;; amdgpu-corpus repo=pytorch/pytorch kind=compiled arch=gfx90a opt=O3
	.text
	.amdgcn_target "amdgcn-amd-amdhsa--gfx90a"
	.amdhsa_code_object_version 6
	.section	.text._ZN2at6native29vectorized_elementwise_kernelILi16EZZZNS0_23launch_dirichlet_kernelERNS_18TensorIteratorBaseEENKUlvE_clEvENKUlvE_clEvEUlddE_St5arrayIPcLm3EEEEviT0_T1_,"axG",@progbits,_ZN2at6native29vectorized_elementwise_kernelILi16EZZZNS0_23launch_dirichlet_kernelERNS_18TensorIteratorBaseEENKUlvE_clEvENKUlvE_clEvEUlddE_St5arrayIPcLm3EEEEviT0_T1_,comdat
	.globl	_ZN2at6native29vectorized_elementwise_kernelILi16EZZZNS0_23launch_dirichlet_kernelERNS_18TensorIteratorBaseEENKUlvE_clEvENKUlvE_clEvEUlddE_St5arrayIPcLm3EEEEviT0_T1_ ; -- Begin function _ZN2at6native29vectorized_elementwise_kernelILi16EZZZNS0_23launch_dirichlet_kernelERNS_18TensorIteratorBaseEENKUlvE_clEvENKUlvE_clEvEUlddE_St5arrayIPcLm3EEEEviT0_T1_
	.p2align	8
	.type	_ZN2at6native29vectorized_elementwise_kernelILi16EZZZNS0_23launch_dirichlet_kernelERNS_18TensorIteratorBaseEENKUlvE_clEvENKUlvE_clEvEUlddE_St5arrayIPcLm3EEEEviT0_T1_,@function
_ZN2at6native29vectorized_elementwise_kernelILi16EZZZNS0_23launch_dirichlet_kernelERNS_18TensorIteratorBaseEENKUlvE_clEvENKUlvE_clEvEUlddE_St5arrayIPcLm3EEEEviT0_T1_: ; @_ZN2at6native29vectorized_elementwise_kernelILi16EZZZNS0_23launch_dirichlet_kernelERNS_18TensorIteratorBaseEENKUlvE_clEvENKUlvE_clEvEUlddE_St5arrayIPcLm3EEEEviT0_T1_
; %bb.0:
	s_load_dword s0, s[4:5], 0x0
	s_load_dwordx4 s[8:11], s[4:5], 0x8
	s_load_dwordx2 s[12:13], s[4:5], 0x18
	s_lshl_b32 s6, s6, 10
	s_waitcnt lgkmcnt(0)
	s_sub_i32 s18, s0, s6
	s_cmpk_gt_i32 s18, 0x3ff
	s_mov_b64 s[0:1], -1
	s_cbranch_scc0 .LBB0_2
; %bb.1:
	s_ashr_i32 s7, s6, 31
	s_lshl_b64 s[0:1], s[6:7], 3
	s_add_u32 s2, s10, s0
	s_addc_u32 s3, s11, s1
	v_lshlrev_b32_e32 v1, 5, v0
	global_load_dwordx4 v[2:5], v1, s[2:3]
	s_add_u32 s4, s12, s0
	s_addc_u32 s5, s13, s1
	global_load_dwordx4 v[6:9], v1, s[4:5]
	global_load_dwordx4 v[10:13], v1, s[2:3] offset:16
	global_load_dwordx4 v[14:17], v1, s[4:5] offset:16
	s_add_u32 s20, s8, s0
	s_addc_u32 s21, s9, s1
	s_mov_b32 s16, 0
	s_mov_b32 s17, 0x100000
	v_mov_b32_e32 v50, 0x100000
	s_mov_b32 s14, -2
	s_mov_b32 s15, 0x3fefffff
	v_mov_b32_e32 v51, 0x3fefffff
	s_waitcnt vmcnt(2)
	v_div_scale_f64 v[18:19], s[0:1], v[6:7], v[6:7], v[2:3]
	v_div_scale_f64 v[22:23], s[0:1], v[8:9], v[8:9], v[4:5]
	v_rcp_f64_e32 v[34:35], v[18:19]
	s_waitcnt vmcnt(0)
	v_div_scale_f64 v[26:27], s[2:3], v[14:15], v[14:15], v[10:11]
	v_rcp_f64_e32 v[36:37], v[22:23]
	v_div_scale_f64 v[30:31], s[4:5], v[16:17], v[16:17], v[12:13]
	v_rcp_f64_e32 v[38:39], v[26:27]
	v_rcp_f64_e32 v[40:41], v[30:31]
	v_fma_f64 v[42:43], -v[18:19], v[34:35], 1.0
	v_fma_f64 v[44:45], -v[22:23], v[36:37], 1.0
	v_fmac_f64_e32 v[34:35], v[34:35], v[42:43]
	v_fma_f64 v[46:47], -v[26:27], v[38:39], 1.0
	v_fmac_f64_e32 v[36:37], v[36:37], v[44:45]
	v_fma_f64 v[42:43], -v[18:19], v[34:35], 1.0
	v_div_scale_f64 v[20:21], vcc, v[2:3], v[6:7], v[2:3]
	v_fma_f64 v[48:49], -v[30:31], v[40:41], 1.0
	v_fmac_f64_e32 v[38:39], v[38:39], v[46:47]
	v_fma_f64 v[44:45], -v[22:23], v[36:37], 1.0
	v_fmac_f64_e32 v[34:35], v[34:35], v[42:43]
	v_div_scale_f64 v[24:25], s[0:1], v[4:5], v[8:9], v[4:5]
	v_fmac_f64_e32 v[40:41], v[40:41], v[48:49]
	v_fma_f64 v[46:47], -v[26:27], v[38:39], 1.0
	v_fmac_f64_e32 v[36:37], v[36:37], v[44:45]
	v_mul_f64 v[42:43], v[20:21], v[34:35]
	v_div_scale_f64 v[28:29], s[2:3], v[10:11], v[14:15], v[10:11]
	v_fma_f64 v[48:49], -v[30:31], v[40:41], 1.0
	v_fmac_f64_e32 v[38:39], v[38:39], v[46:47]
	v_mul_f64 v[44:45], v[24:25], v[36:37]
	v_fma_f64 v[18:19], -v[18:19], v[42:43], v[20:21]
	v_div_scale_f64 v[32:33], s[4:5], v[12:13], v[16:17], v[12:13]
	v_fmac_f64_e32 v[40:41], v[40:41], v[48:49]
	v_mul_f64 v[46:47], v[28:29], v[38:39]
	v_fma_f64 v[20:21], -v[22:23], v[44:45], v[24:25]
	v_div_fmas_f64 v[18:19], v[18:19], v[34:35], v[42:43]
	s_mov_b64 vcc, s[0:1]
	v_mul_f64 v[48:49], v[32:33], v[40:41]
	v_fma_f64 v[22:23], -v[26:27], v[46:47], v[28:29]
	v_div_fixup_f64 v[2:3], v[18:19], v[6:7], v[2:3]
	v_div_fmas_f64 v[6:7], v[20:21], v[36:37], v[44:45]
	s_mov_b64 vcc, s[2:3]
	v_fma_f64 v[24:25], -v[30:31], v[48:49], v[32:33]
	v_cmp_ngt_f64_e64 s[0:1], s[16:17], v[2:3]
	v_div_fixup_f64 v[4:5], v[6:7], v[8:9], v[4:5]
	v_div_fmas_f64 v[6:7], v[22:23], v[38:39], v[46:47]
	s_mov_b64 vcc, s[4:5]
	v_cndmask_b32_e64 v3, v50, v3, s[0:1]
	v_cndmask_b32_e64 v2, 0, v2, s[0:1]
	v_cmp_ngt_f64_e64 s[0:1], s[16:17], v[4:5]
	v_div_fixup_f64 v[6:7], v[6:7], v[14:15], v[10:11]
	v_div_fmas_f64 v[8:9], v[24:25], v[40:41], v[48:49]
	v_cndmask_b32_e64 v5, v50, v5, s[0:1]
	v_cmp_nlt_f64_e32 vcc, s[14:15], v[2:3]
	v_cndmask_b32_e64 v4, 0, v4, s[0:1]
	v_cmp_ngt_f64_e64 s[0:1], s[16:17], v[6:7]
	v_div_fixup_f64 v[8:9], v[8:9], v[16:17], v[12:13]
	v_cndmask_b32_e32 v3, v51, v3, vcc
	v_cndmask_b32_e64 v7, v50, v7, s[0:1]
	v_cndmask_b32_e32 v2, -2, v2, vcc
	v_cmp_nlt_f64_e32 vcc, s[14:15], v[4:5]
	v_cndmask_b32_e64 v6, 0, v6, s[0:1]
	v_cmp_ngt_f64_e64 s[0:1], s[16:17], v[8:9]
	v_cndmask_b32_e32 v5, v51, v5, vcc
	v_cndmask_b32_e64 v9, v50, v9, s[0:1]
	v_cndmask_b32_e32 v4, -2, v4, vcc
	v_cmp_nlt_f64_e32 vcc, s[14:15], v[6:7]
	v_cndmask_b32_e64 v8, 0, v8, s[0:1]
	v_cndmask_b32_e32 v7, v51, v7, vcc
	v_cndmask_b32_e32 v6, -2, v6, vcc
	v_cmp_nlt_f64_e32 vcc, s[14:15], v[8:9]
	v_cndmask_b32_e32 v9, v51, v9, vcc
	v_cndmask_b32_e32 v8, -2, v8, vcc
	global_store_dwordx4 v1, v[2:5], s[20:21]
	global_store_dwordx4 v1, v[6:9], s[20:21] offset:16
	s_mov_b64 s[0:1], 0
.LBB0_2:
	s_andn2_b64 vcc, exec, s[0:1]
	s_cbranch_vccnz .LBB0_23
; %bb.3:
	v_pk_mov_b32 v[14:15], 0, 0
	v_cmp_gt_i32_e64 s[0:1], s18, v0
	v_or_b32_e32 v10, s6, v0
	v_pk_mov_b32 v[24:25], v[14:15], v[14:15] op_sel:[0,1]
	v_pk_mov_b32 v[26:27], v[14:15], v[14:15] op_sel:[0,1]
	v_mov_b32_e32 v1, v0
	s_and_saveexec_b64 s[2:3], s[0:1]
	s_cbranch_execz .LBB0_5
; %bb.4:
	v_mov_b32_e32 v11, 0
	v_lshlrev_b64 v[2:3], 3, v[10:11]
	v_mov_b32_e32 v1, s13
	v_add_co_u32_e32 v4, vcc, s12, v2
	v_addc_co_u32_e32 v5, vcc, v1, v3, vcc
	v_mov_b32_e32 v1, s11
	v_add_co_u32_e32 v2, vcc, s10, v2
	v_addc_co_u32_e32 v3, vcc, v1, v3, vcc
	global_load_dwordx2 v[24:25], v[2:3], off
	global_load_dwordx2 v[26:27], v[4:5], off
	v_or_b32_e32 v1, 0x100, v0
.LBB0_5:
	s_or_b64 exec, exec, s[2:3]
	v_cmp_gt_i32_e32 vcc, s18, v1
	v_pk_mov_b32 v[22:23], v[14:15], v[14:15] op_sel:[0,1]
	s_and_saveexec_b64 s[2:3], vcc
	s_cbranch_execz .LBB0_7
; %bb.6:
	v_add_u32_e32 v2, s6, v1
	v_mov_b32_e32 v3, 0
	v_lshlrev_b64 v[2:3], 3, v[2:3]
	v_mov_b32_e32 v5, s13
	v_add_co_u32_e32 v4, vcc, s12, v2
	v_addc_co_u32_e32 v5, vcc, v5, v3, vcc
	v_mov_b32_e32 v6, s11
	v_add_co_u32_e32 v2, vcc, s10, v2
	v_addc_co_u32_e32 v3, vcc, v6, v3, vcc
	global_load_dwordx2 v[14:15], v[2:3], off
	global_load_dwordx2 v[22:23], v[4:5], off
	v_add_u32_e32 v1, 0x100, v1
.LBB0_7:
	s_or_b64 exec, exec, s[2:3]
	v_pk_mov_b32 v[12:13], 0, 0
	v_cmp_gt_i32_e32 vcc, s18, v1
	v_pk_mov_b32 v[18:19], v[12:13], v[12:13] op_sel:[0,1]
	v_pk_mov_b32 v[20:21], v[12:13], v[12:13] op_sel:[0,1]
	s_and_saveexec_b64 s[2:3], vcc
	s_cbranch_execz .LBB0_9
; %bb.8:
	v_add_u32_e32 v2, s6, v1
	v_mov_b32_e32 v3, 0
	v_lshlrev_b64 v[2:3], 3, v[2:3]
	v_mov_b32_e32 v5, s13
	v_add_co_u32_e32 v4, vcc, s12, v2
	v_addc_co_u32_e32 v5, vcc, v5, v3, vcc
	v_mov_b32_e32 v6, s11
	v_add_co_u32_e32 v2, vcc, s10, v2
	v_addc_co_u32_e32 v3, vcc, v6, v3, vcc
	global_load_dwordx2 v[18:19], v[2:3], off
	global_load_dwordx2 v[20:21], v[4:5], off
	v_add_u32_e32 v1, 0x100, v1
.LBB0_9:
	s_or_b64 exec, exec, s[2:3]
	v_cmp_gt_i32_e32 vcc, s18, v1
	v_pk_mov_b32 v[16:17], v[12:13], v[12:13] op_sel:[0,1]
	s_and_saveexec_b64 s[2:3], vcc
	s_cbranch_execz .LBB0_11
; %bb.10:
	v_add_u32_e32 v2, s6, v1
	v_mov_b32_e32 v3, 0
	v_lshlrev_b64 v[2:3], 3, v[2:3]
	v_mov_b32_e32 v1, s13
	v_add_co_u32_e32 v4, vcc, s12, v2
	v_addc_co_u32_e32 v5, vcc, v1, v3, vcc
	v_mov_b32_e32 v1, s11
	v_add_co_u32_e32 v2, vcc, s10, v2
	v_addc_co_u32_e32 v3, vcc, v1, v3, vcc
	global_load_dwordx2 v[12:13], v[2:3], off
	global_load_dwordx2 v[16:17], v[4:5], off
.LBB0_11:
	s_or_b64 exec, exec, s[2:3]
                                        ; implicit-def: $vgpr2_vgpr3_vgpr4_vgpr5_vgpr6_vgpr7_vgpr8_vgpr9
	s_and_saveexec_b64 s[2:3], s[0:1]
	s_cbranch_execz .LBB0_13
; %bb.12:
	s_waitcnt vmcnt(0)
	v_div_scale_f64 v[2:3], s[4:5], v[26:27], v[26:27], v[24:25]
	v_rcp_f64_e32 v[4:5], v[2:3]
	v_div_scale_f64 v[6:7], vcc, v[24:25], v[26:27], v[24:25]
	s_mov_b32 s4, 0
	v_fma_f64 v[8:9], -v[2:3], v[4:5], 1.0
	v_fmac_f64_e32 v[4:5], v[4:5], v[8:9]
	v_fma_f64 v[8:9], -v[2:3], v[4:5], 1.0
	v_fmac_f64_e32 v[4:5], v[4:5], v[8:9]
	v_mul_f64 v[8:9], v[6:7], v[4:5]
	v_fma_f64 v[2:3], -v[2:3], v[8:9], v[6:7]
	v_div_fmas_f64 v[2:3], v[2:3], v[4:5], v[8:9]
	v_div_fixup_f64 v[2:3], v[2:3], v[26:27], v[24:25]
	s_mov_b32 s5, 0x100000
	v_mov_b32_e32 v1, 0x100000
	v_cmp_ngt_f64_e32 vcc, s[4:5], v[2:3]
	s_mov_b32 s4, -2
	v_cndmask_b32_e32 v3, v1, v3, vcc
	v_cndmask_b32_e32 v2, 0, v2, vcc
	s_mov_b32 s5, 0x3fefffff
	v_mov_b32_e32 v1, 0x3fefffff
	v_cmp_nlt_f64_e32 vcc, s[4:5], v[2:3]
	v_cndmask_b32_e32 v3, v1, v3, vcc
	v_cndmask_b32_e32 v2, -2, v2, vcc
.LBB0_13:
	s_or_b64 exec, exec, s[2:3]
	v_or_b32_e32 v1, 0x100, v0
	v_cmp_gt_i32_e32 vcc, s18, v1
	s_and_saveexec_b64 s[2:3], vcc
	s_cbranch_execz .LBB0_15
; %bb.14:
	s_waitcnt vmcnt(0)
	v_div_scale_f64 v[4:5], s[4:5], v[22:23], v[22:23], v[14:15]
	v_rcp_f64_e32 v[24:25], v[4:5]
	v_div_scale_f64 v[26:27], vcc, v[14:15], v[22:23], v[14:15]
	s_mov_b32 s4, 0
	v_fma_f64 v[28:29], -v[4:5], v[24:25], 1.0
	v_fmac_f64_e32 v[24:25], v[24:25], v[28:29]
	v_fma_f64 v[28:29], -v[4:5], v[24:25], 1.0
	v_fmac_f64_e32 v[24:25], v[24:25], v[28:29]
	v_mul_f64 v[28:29], v[26:27], v[24:25]
	v_fma_f64 v[4:5], -v[4:5], v[28:29], v[26:27]
	v_div_fmas_f64 v[4:5], v[4:5], v[24:25], v[28:29]
	v_div_fixup_f64 v[4:5], v[4:5], v[22:23], v[14:15]
	s_mov_b32 s5, 0x100000
	v_mov_b32_e32 v11, 0x100000
	v_cmp_ngt_f64_e32 vcc, s[4:5], v[4:5]
	s_mov_b32 s4, -2
	v_cndmask_b32_e32 v5, v11, v5, vcc
	v_cndmask_b32_e32 v4, 0, v4, vcc
	s_mov_b32 s5, 0x3fefffff
	v_mov_b32_e32 v11, 0x3fefffff
	v_cmp_nlt_f64_e32 vcc, s[4:5], v[4:5]
	v_cndmask_b32_e32 v5, v11, v5, vcc
	v_cndmask_b32_e32 v4, -2, v4, vcc
.LBB0_15:
	s_or_b64 exec, exec, s[2:3]
	v_or_b32_e32 v11, 0x200, v0
	v_cmp_gt_i32_e32 vcc, s18, v11
	s_and_saveexec_b64 s[2:3], vcc
	;; [unrolled: 31-line block ×3, first 2 shown]
	s_cbranch_execnz .LBB0_24
; %bb.18:
	s_or_b64 exec, exec, s[2:3]
	s_and_saveexec_b64 s[2:3], s[0:1]
	s_xor_b64 s[0:1], exec, s[2:3]
	s_cbranch_execnz .LBB0_25
.LBB0_19:
	s_or_b64 exec, exec, s[0:1]
	v_cmp_gt_i32_e32 vcc, s18, v0
	s_and_saveexec_b64 s[0:1], vcc
	s_cbranch_execnz .LBB0_26
.LBB0_20:
	s_or_b64 exec, exec, s[0:1]
	v_cmp_gt_i32_e32 vcc, s18, v0
	s_and_saveexec_b64 s[0:1], vcc
	s_cbranch_execnz .LBB0_27
.LBB0_21:
	s_or_b64 exec, exec, s[0:1]
	v_cmp_gt_i32_e32 vcc, s18, v0
	s_and_saveexec_b64 s[0:1], vcc
	s_cbranch_execz .LBB0_23
.LBB0_22:
	v_add_u32_e32 v0, s6, v0
	v_mov_b32_e32 v1, 0
	v_lshlrev_b64 v[0:1], 3, v[0:1]
	v_mov_b32_e32 v2, s9
	v_add_co_u32_e32 v0, vcc, s8, v0
	v_addc_co_u32_e32 v1, vcc, v2, v1, vcc
	global_store_dwordx2 v[0:1], v[8:9], off
.LBB0_23:
	s_endpgm
.LBB0_24:
	s_waitcnt vmcnt(0)
	v_div_scale_f64 v[8:9], s[4:5], v[16:17], v[16:17], v[12:13]
	v_rcp_f64_e32 v[14:15], v[8:9]
	v_div_scale_f64 v[18:19], vcc, v[12:13], v[16:17], v[12:13]
	s_mov_b32 s4, 0
	v_fma_f64 v[20:21], -v[8:9], v[14:15], 1.0
	v_fmac_f64_e32 v[14:15], v[14:15], v[20:21]
	v_fma_f64 v[20:21], -v[8:9], v[14:15], 1.0
	v_fmac_f64_e32 v[14:15], v[14:15], v[20:21]
	v_mul_f64 v[20:21], v[18:19], v[14:15]
	v_fma_f64 v[8:9], -v[8:9], v[20:21], v[18:19]
	v_div_fmas_f64 v[8:9], v[8:9], v[14:15], v[20:21]
	v_div_fixup_f64 v[8:9], v[8:9], v[16:17], v[12:13]
	s_mov_b32 s5, 0x100000
	v_mov_b32_e32 v11, 0x100000
	v_cmp_ngt_f64_e32 vcc, s[4:5], v[8:9]
	s_mov_b32 s4, -2
	v_cndmask_b32_e32 v9, v11, v9, vcc
	v_cndmask_b32_e32 v8, 0, v8, vcc
	s_mov_b32 s5, 0x3fefffff
	v_mov_b32_e32 v11, 0x3fefffff
	v_cmp_nlt_f64_e32 vcc, s[4:5], v[8:9]
	v_cndmask_b32_e32 v9, v11, v9, vcc
	v_cndmask_b32_e32 v8, -2, v8, vcc
	s_or_b64 exec, exec, s[2:3]
	s_and_saveexec_b64 s[2:3], s[0:1]
	s_xor_b64 s[0:1], exec, s[2:3]
	s_cbranch_execz .LBB0_19
.LBB0_25:
	v_mov_b32_e32 v11, 0
	v_lshlrev_b64 v[10:11], 3, v[10:11]
	v_mov_b32_e32 v0, s9
	v_add_co_u32_e32 v10, vcc, s8, v10
	v_addc_co_u32_e32 v11, vcc, v0, v11, vcc
	v_mov_b32_e32 v0, v1
	global_store_dwordx2 v[10:11], v[2:3], off
	s_or_b64 exec, exec, s[0:1]
	v_cmp_gt_i32_e32 vcc, s18, v0
	s_and_saveexec_b64 s[0:1], vcc
	s_cbranch_execz .LBB0_20
.LBB0_26:
	v_add_u32_e32 v2, s6, v0
	v_mov_b32_e32 v3, 0
	v_lshlrev_b64 v[2:3], 3, v[2:3]
	v_mov_b32_e32 v1, s9
	v_add_co_u32_e32 v2, vcc, s8, v2
	v_addc_co_u32_e32 v3, vcc, v1, v3, vcc
	v_add_u32_e32 v0, 0x100, v0
	global_store_dwordx2 v[2:3], v[4:5], off
	s_or_b64 exec, exec, s[0:1]
	v_cmp_gt_i32_e32 vcc, s18, v0
	s_and_saveexec_b64 s[0:1], vcc
	s_cbranch_execz .LBB0_21
.LBB0_27:
	v_add_u32_e32 v2, s6, v0
	v_mov_b32_e32 v3, 0
	v_lshlrev_b64 v[2:3], 3, v[2:3]
	v_mov_b32_e32 v1, s9
	v_add_co_u32_e32 v2, vcc, s8, v2
	v_addc_co_u32_e32 v3, vcc, v1, v3, vcc
	v_add_u32_e32 v0, 0x100, v0
	global_store_dwordx2 v[2:3], v[6:7], off
	s_or_b64 exec, exec, s[0:1]
	v_cmp_gt_i32_e32 vcc, s18, v0
	s_and_saveexec_b64 s[0:1], vcc
	s_cbranch_execnz .LBB0_22
	s_branch .LBB0_23
	.section	.rodata,"a",@progbits
	.p2align	6, 0x0
	.amdhsa_kernel _ZN2at6native29vectorized_elementwise_kernelILi16EZZZNS0_23launch_dirichlet_kernelERNS_18TensorIteratorBaseEENKUlvE_clEvENKUlvE_clEvEUlddE_St5arrayIPcLm3EEEEviT0_T1_
		.amdhsa_group_segment_fixed_size 0
		.amdhsa_private_segment_fixed_size 0
		.amdhsa_kernarg_size 32
		.amdhsa_user_sgpr_count 6
		.amdhsa_user_sgpr_private_segment_buffer 1
		.amdhsa_user_sgpr_dispatch_ptr 0
		.amdhsa_user_sgpr_queue_ptr 0
		.amdhsa_user_sgpr_kernarg_segment_ptr 1
		.amdhsa_user_sgpr_dispatch_id 0
		.amdhsa_user_sgpr_flat_scratch_init 0
		.amdhsa_user_sgpr_kernarg_preload_length 0
		.amdhsa_user_sgpr_kernarg_preload_offset 0
		.amdhsa_user_sgpr_private_segment_size 0
		.amdhsa_uses_dynamic_stack 0
		.amdhsa_system_sgpr_private_segment_wavefront_offset 0
		.amdhsa_system_sgpr_workgroup_id_x 1
		.amdhsa_system_sgpr_workgroup_id_y 0
		.amdhsa_system_sgpr_workgroup_id_z 0
		.amdhsa_system_sgpr_workgroup_info 0
		.amdhsa_system_vgpr_workitem_id 0
		.amdhsa_next_free_vgpr 52
		.amdhsa_next_free_sgpr 22
		.amdhsa_accum_offset 52
		.amdhsa_reserve_vcc 1
		.amdhsa_reserve_flat_scratch 0
		.amdhsa_float_round_mode_32 0
		.amdhsa_float_round_mode_16_64 0
		.amdhsa_float_denorm_mode_32 3
		.amdhsa_float_denorm_mode_16_64 3
		.amdhsa_dx10_clamp 1
		.amdhsa_ieee_mode 1
		.amdhsa_fp16_overflow 0
		.amdhsa_tg_split 0
		.amdhsa_exception_fp_ieee_invalid_op 0
		.amdhsa_exception_fp_denorm_src 0
		.amdhsa_exception_fp_ieee_div_zero 0
		.amdhsa_exception_fp_ieee_overflow 0
		.amdhsa_exception_fp_ieee_underflow 0
		.amdhsa_exception_fp_ieee_inexact 0
		.amdhsa_exception_int_div_zero 0
	.end_amdhsa_kernel
	.section	.text._ZN2at6native29vectorized_elementwise_kernelILi16EZZZNS0_23launch_dirichlet_kernelERNS_18TensorIteratorBaseEENKUlvE_clEvENKUlvE_clEvEUlddE_St5arrayIPcLm3EEEEviT0_T1_,"axG",@progbits,_ZN2at6native29vectorized_elementwise_kernelILi16EZZZNS0_23launch_dirichlet_kernelERNS_18TensorIteratorBaseEENKUlvE_clEvENKUlvE_clEvEUlddE_St5arrayIPcLm3EEEEviT0_T1_,comdat
.Lfunc_end0:
	.size	_ZN2at6native29vectorized_elementwise_kernelILi16EZZZNS0_23launch_dirichlet_kernelERNS_18TensorIteratorBaseEENKUlvE_clEvENKUlvE_clEvEUlddE_St5arrayIPcLm3EEEEviT0_T1_, .Lfunc_end0-_ZN2at6native29vectorized_elementwise_kernelILi16EZZZNS0_23launch_dirichlet_kernelERNS_18TensorIteratorBaseEENKUlvE_clEvENKUlvE_clEvEUlddE_St5arrayIPcLm3EEEEviT0_T1_
                                        ; -- End function
	.section	.AMDGPU.csdata,"",@progbits
; Kernel info:
; codeLenInByte = 1988
; NumSgprs: 26
; NumVgprs: 52
; NumAgprs: 0
; TotalNumVgprs: 52
; ScratchSize: 0
; MemoryBound: 0
; FloatMode: 240
; IeeeMode: 1
; LDSByteSize: 0 bytes/workgroup (compile time only)
; SGPRBlocks: 3
; VGPRBlocks: 6
; NumSGPRsForWavesPerEU: 26
; NumVGPRsForWavesPerEU: 52
; AccumOffset: 52
; Occupancy: 8
; WaveLimiterHint : 0
; COMPUTE_PGM_RSRC2:SCRATCH_EN: 0
; COMPUTE_PGM_RSRC2:USER_SGPR: 6
; COMPUTE_PGM_RSRC2:TRAP_HANDLER: 0
; COMPUTE_PGM_RSRC2:TGID_X_EN: 1
; COMPUTE_PGM_RSRC2:TGID_Y_EN: 0
; COMPUTE_PGM_RSRC2:TGID_Z_EN: 0
; COMPUTE_PGM_RSRC2:TIDIG_COMP_CNT: 0
; COMPUTE_PGM_RSRC3_GFX90A:ACCUM_OFFSET: 12
; COMPUTE_PGM_RSRC3_GFX90A:TG_SPLIT: 0
	.section	.text._ZN2at6native29vectorized_elementwise_kernelILi8EZZZNS0_23launch_dirichlet_kernelERNS_18TensorIteratorBaseEENKUlvE_clEvENKUlvE_clEvEUlddE_St5arrayIPcLm3EEEEviT0_T1_,"axG",@progbits,_ZN2at6native29vectorized_elementwise_kernelILi8EZZZNS0_23launch_dirichlet_kernelERNS_18TensorIteratorBaseEENKUlvE_clEvENKUlvE_clEvEUlddE_St5arrayIPcLm3EEEEviT0_T1_,comdat
	.globl	_ZN2at6native29vectorized_elementwise_kernelILi8EZZZNS0_23launch_dirichlet_kernelERNS_18TensorIteratorBaseEENKUlvE_clEvENKUlvE_clEvEUlddE_St5arrayIPcLm3EEEEviT0_T1_ ; -- Begin function _ZN2at6native29vectorized_elementwise_kernelILi8EZZZNS0_23launch_dirichlet_kernelERNS_18TensorIteratorBaseEENKUlvE_clEvENKUlvE_clEvEUlddE_St5arrayIPcLm3EEEEviT0_T1_
	.p2align	8
	.type	_ZN2at6native29vectorized_elementwise_kernelILi8EZZZNS0_23launch_dirichlet_kernelERNS_18TensorIteratorBaseEENKUlvE_clEvENKUlvE_clEvEUlddE_St5arrayIPcLm3EEEEviT0_T1_,@function
_ZN2at6native29vectorized_elementwise_kernelILi8EZZZNS0_23launch_dirichlet_kernelERNS_18TensorIteratorBaseEENKUlvE_clEvENKUlvE_clEvEUlddE_St5arrayIPcLm3EEEEviT0_T1_: ; @_ZN2at6native29vectorized_elementwise_kernelILi8EZZZNS0_23launch_dirichlet_kernelERNS_18TensorIteratorBaseEENKUlvE_clEvENKUlvE_clEvEUlddE_St5arrayIPcLm3EEEEviT0_T1_
; %bb.0:
	s_load_dword s0, s[4:5], 0x0
	s_load_dwordx4 s[8:11], s[4:5], 0x8
	s_load_dwordx2 s[12:13], s[4:5], 0x18
	s_lshl_b32 s6, s6, 10
	s_waitcnt lgkmcnt(0)
	s_sub_i32 s18, s0, s6
	s_cmpk_gt_i32 s18, 0x3ff
	s_mov_b64 s[0:1], -1
	s_cbranch_scc0 .LBB1_2
; %bb.1:
	s_ashr_i32 s7, s6, 31
	s_lshl_b64 s[0:1], s[6:7], 3
	s_add_u32 s2, s10, s0
	s_addc_u32 s3, s11, s1
	v_lshlrev_b32_e32 v1, 5, v0
	global_load_dwordx4 v[2:5], v1, s[2:3]
	s_add_u32 s4, s12, s0
	s_addc_u32 s5, s13, s1
	global_load_dwordx4 v[6:9], v1, s[4:5]
	global_load_dwordx4 v[10:13], v1, s[2:3] offset:16
	global_load_dwordx4 v[14:17], v1, s[4:5] offset:16
	s_add_u32 s20, s8, s0
	s_addc_u32 s21, s9, s1
	s_mov_b32 s16, 0
	s_mov_b32 s17, 0x100000
	v_mov_b32_e32 v50, 0x100000
	s_mov_b32 s14, -2
	s_mov_b32 s15, 0x3fefffff
	v_mov_b32_e32 v51, 0x3fefffff
	s_waitcnt vmcnt(2)
	v_div_scale_f64 v[18:19], s[0:1], v[6:7], v[6:7], v[2:3]
	v_div_scale_f64 v[22:23], s[0:1], v[8:9], v[8:9], v[4:5]
	v_rcp_f64_e32 v[34:35], v[18:19]
	s_waitcnt vmcnt(0)
	v_div_scale_f64 v[26:27], s[2:3], v[14:15], v[14:15], v[10:11]
	v_rcp_f64_e32 v[36:37], v[22:23]
	v_div_scale_f64 v[30:31], s[4:5], v[16:17], v[16:17], v[12:13]
	v_rcp_f64_e32 v[38:39], v[26:27]
	v_rcp_f64_e32 v[40:41], v[30:31]
	v_fma_f64 v[42:43], -v[18:19], v[34:35], 1.0
	v_fma_f64 v[44:45], -v[22:23], v[36:37], 1.0
	v_fmac_f64_e32 v[34:35], v[34:35], v[42:43]
	v_fma_f64 v[46:47], -v[26:27], v[38:39], 1.0
	v_fmac_f64_e32 v[36:37], v[36:37], v[44:45]
	v_fma_f64 v[42:43], -v[18:19], v[34:35], 1.0
	v_div_scale_f64 v[20:21], vcc, v[2:3], v[6:7], v[2:3]
	v_fma_f64 v[48:49], -v[30:31], v[40:41], 1.0
	v_fmac_f64_e32 v[38:39], v[38:39], v[46:47]
	v_fma_f64 v[44:45], -v[22:23], v[36:37], 1.0
	v_fmac_f64_e32 v[34:35], v[34:35], v[42:43]
	v_div_scale_f64 v[24:25], s[0:1], v[4:5], v[8:9], v[4:5]
	v_fmac_f64_e32 v[40:41], v[40:41], v[48:49]
	v_fma_f64 v[46:47], -v[26:27], v[38:39], 1.0
	v_fmac_f64_e32 v[36:37], v[36:37], v[44:45]
	v_mul_f64 v[42:43], v[20:21], v[34:35]
	v_div_scale_f64 v[28:29], s[2:3], v[10:11], v[14:15], v[10:11]
	v_fma_f64 v[48:49], -v[30:31], v[40:41], 1.0
	v_fmac_f64_e32 v[38:39], v[38:39], v[46:47]
	v_mul_f64 v[44:45], v[24:25], v[36:37]
	v_fma_f64 v[18:19], -v[18:19], v[42:43], v[20:21]
	v_div_scale_f64 v[32:33], s[4:5], v[12:13], v[16:17], v[12:13]
	v_fmac_f64_e32 v[40:41], v[40:41], v[48:49]
	v_mul_f64 v[46:47], v[28:29], v[38:39]
	v_fma_f64 v[20:21], -v[22:23], v[44:45], v[24:25]
	v_div_fmas_f64 v[18:19], v[18:19], v[34:35], v[42:43]
	s_mov_b64 vcc, s[0:1]
	v_mul_f64 v[48:49], v[32:33], v[40:41]
	v_fma_f64 v[22:23], -v[26:27], v[46:47], v[28:29]
	v_div_fixup_f64 v[2:3], v[18:19], v[6:7], v[2:3]
	v_div_fmas_f64 v[6:7], v[20:21], v[36:37], v[44:45]
	s_mov_b64 vcc, s[2:3]
	v_fma_f64 v[24:25], -v[30:31], v[48:49], v[32:33]
	v_cmp_ngt_f64_e64 s[0:1], s[16:17], v[2:3]
	v_div_fixup_f64 v[4:5], v[6:7], v[8:9], v[4:5]
	v_div_fmas_f64 v[6:7], v[22:23], v[38:39], v[46:47]
	s_mov_b64 vcc, s[4:5]
	v_cndmask_b32_e64 v3, v50, v3, s[0:1]
	v_cndmask_b32_e64 v2, 0, v2, s[0:1]
	v_cmp_ngt_f64_e64 s[0:1], s[16:17], v[4:5]
	v_div_fixup_f64 v[6:7], v[6:7], v[14:15], v[10:11]
	v_div_fmas_f64 v[8:9], v[24:25], v[40:41], v[48:49]
	v_cndmask_b32_e64 v5, v50, v5, s[0:1]
	v_cmp_nlt_f64_e32 vcc, s[14:15], v[2:3]
	v_cndmask_b32_e64 v4, 0, v4, s[0:1]
	v_cmp_ngt_f64_e64 s[0:1], s[16:17], v[6:7]
	v_div_fixup_f64 v[8:9], v[8:9], v[16:17], v[12:13]
	v_cndmask_b32_e32 v3, v51, v3, vcc
	v_cndmask_b32_e64 v7, v50, v7, s[0:1]
	v_cndmask_b32_e32 v2, -2, v2, vcc
	v_cmp_nlt_f64_e32 vcc, s[14:15], v[4:5]
	v_cndmask_b32_e64 v6, 0, v6, s[0:1]
	v_cmp_ngt_f64_e64 s[0:1], s[16:17], v[8:9]
	v_cndmask_b32_e32 v5, v51, v5, vcc
	v_cndmask_b32_e64 v9, v50, v9, s[0:1]
	v_cndmask_b32_e32 v4, -2, v4, vcc
	v_cmp_nlt_f64_e32 vcc, s[14:15], v[6:7]
	v_cndmask_b32_e64 v8, 0, v8, s[0:1]
	v_cndmask_b32_e32 v7, v51, v7, vcc
	v_cndmask_b32_e32 v6, -2, v6, vcc
	v_cmp_nlt_f64_e32 vcc, s[14:15], v[8:9]
	v_cndmask_b32_e32 v9, v51, v9, vcc
	v_cndmask_b32_e32 v8, -2, v8, vcc
	global_store_dwordx4 v1, v[2:5], s[20:21]
	global_store_dwordx4 v1, v[6:9], s[20:21] offset:16
	s_mov_b64 s[0:1], 0
.LBB1_2:
	s_andn2_b64 vcc, exec, s[0:1]
	s_cbranch_vccnz .LBB1_23
; %bb.3:
	v_pk_mov_b32 v[14:15], 0, 0
	v_cmp_gt_i32_e64 s[0:1], s18, v0
	v_or_b32_e32 v10, s6, v0
	v_pk_mov_b32 v[24:25], v[14:15], v[14:15] op_sel:[0,1]
	v_pk_mov_b32 v[26:27], v[14:15], v[14:15] op_sel:[0,1]
	v_mov_b32_e32 v1, v0
	s_and_saveexec_b64 s[2:3], s[0:1]
	s_cbranch_execz .LBB1_5
; %bb.4:
	v_mov_b32_e32 v11, 0
	v_lshlrev_b64 v[2:3], 3, v[10:11]
	v_mov_b32_e32 v1, s13
	v_add_co_u32_e32 v4, vcc, s12, v2
	v_addc_co_u32_e32 v5, vcc, v1, v3, vcc
	v_mov_b32_e32 v1, s11
	v_add_co_u32_e32 v2, vcc, s10, v2
	v_addc_co_u32_e32 v3, vcc, v1, v3, vcc
	global_load_dwordx2 v[24:25], v[2:3], off
	global_load_dwordx2 v[26:27], v[4:5], off
	v_or_b32_e32 v1, 0x100, v0
.LBB1_5:
	s_or_b64 exec, exec, s[2:3]
	v_cmp_gt_i32_e32 vcc, s18, v1
	v_pk_mov_b32 v[22:23], v[14:15], v[14:15] op_sel:[0,1]
	s_and_saveexec_b64 s[2:3], vcc
	s_cbranch_execz .LBB1_7
; %bb.6:
	v_add_u32_e32 v2, s6, v1
	v_mov_b32_e32 v3, 0
	v_lshlrev_b64 v[2:3], 3, v[2:3]
	v_mov_b32_e32 v5, s13
	v_add_co_u32_e32 v4, vcc, s12, v2
	v_addc_co_u32_e32 v5, vcc, v5, v3, vcc
	v_mov_b32_e32 v6, s11
	v_add_co_u32_e32 v2, vcc, s10, v2
	v_addc_co_u32_e32 v3, vcc, v6, v3, vcc
	global_load_dwordx2 v[14:15], v[2:3], off
	global_load_dwordx2 v[22:23], v[4:5], off
	v_add_u32_e32 v1, 0x100, v1
.LBB1_7:
	s_or_b64 exec, exec, s[2:3]
	v_pk_mov_b32 v[12:13], 0, 0
	v_cmp_gt_i32_e32 vcc, s18, v1
	v_pk_mov_b32 v[18:19], v[12:13], v[12:13] op_sel:[0,1]
	v_pk_mov_b32 v[20:21], v[12:13], v[12:13] op_sel:[0,1]
	s_and_saveexec_b64 s[2:3], vcc
	s_cbranch_execz .LBB1_9
; %bb.8:
	v_add_u32_e32 v2, s6, v1
	v_mov_b32_e32 v3, 0
	v_lshlrev_b64 v[2:3], 3, v[2:3]
	v_mov_b32_e32 v5, s13
	v_add_co_u32_e32 v4, vcc, s12, v2
	v_addc_co_u32_e32 v5, vcc, v5, v3, vcc
	v_mov_b32_e32 v6, s11
	v_add_co_u32_e32 v2, vcc, s10, v2
	v_addc_co_u32_e32 v3, vcc, v6, v3, vcc
	global_load_dwordx2 v[18:19], v[2:3], off
	global_load_dwordx2 v[20:21], v[4:5], off
	v_add_u32_e32 v1, 0x100, v1
.LBB1_9:
	s_or_b64 exec, exec, s[2:3]
	v_cmp_gt_i32_e32 vcc, s18, v1
	v_pk_mov_b32 v[16:17], v[12:13], v[12:13] op_sel:[0,1]
	s_and_saveexec_b64 s[2:3], vcc
	s_cbranch_execz .LBB1_11
; %bb.10:
	v_add_u32_e32 v2, s6, v1
	v_mov_b32_e32 v3, 0
	v_lshlrev_b64 v[2:3], 3, v[2:3]
	v_mov_b32_e32 v1, s13
	v_add_co_u32_e32 v4, vcc, s12, v2
	v_addc_co_u32_e32 v5, vcc, v1, v3, vcc
	v_mov_b32_e32 v1, s11
	v_add_co_u32_e32 v2, vcc, s10, v2
	v_addc_co_u32_e32 v3, vcc, v1, v3, vcc
	global_load_dwordx2 v[12:13], v[2:3], off
	global_load_dwordx2 v[16:17], v[4:5], off
.LBB1_11:
	s_or_b64 exec, exec, s[2:3]
                                        ; implicit-def: $vgpr2_vgpr3_vgpr4_vgpr5_vgpr6_vgpr7_vgpr8_vgpr9
	s_and_saveexec_b64 s[2:3], s[0:1]
	s_cbranch_execz .LBB1_13
; %bb.12:
	s_waitcnt vmcnt(0)
	v_div_scale_f64 v[2:3], s[4:5], v[26:27], v[26:27], v[24:25]
	v_rcp_f64_e32 v[4:5], v[2:3]
	v_div_scale_f64 v[6:7], vcc, v[24:25], v[26:27], v[24:25]
	s_mov_b32 s4, 0
	v_fma_f64 v[8:9], -v[2:3], v[4:5], 1.0
	v_fmac_f64_e32 v[4:5], v[4:5], v[8:9]
	v_fma_f64 v[8:9], -v[2:3], v[4:5], 1.0
	v_fmac_f64_e32 v[4:5], v[4:5], v[8:9]
	v_mul_f64 v[8:9], v[6:7], v[4:5]
	v_fma_f64 v[2:3], -v[2:3], v[8:9], v[6:7]
	v_div_fmas_f64 v[2:3], v[2:3], v[4:5], v[8:9]
	v_div_fixup_f64 v[2:3], v[2:3], v[26:27], v[24:25]
	s_mov_b32 s5, 0x100000
	v_mov_b32_e32 v1, 0x100000
	v_cmp_ngt_f64_e32 vcc, s[4:5], v[2:3]
	s_mov_b32 s4, -2
	v_cndmask_b32_e32 v3, v1, v3, vcc
	v_cndmask_b32_e32 v2, 0, v2, vcc
	s_mov_b32 s5, 0x3fefffff
	v_mov_b32_e32 v1, 0x3fefffff
	v_cmp_nlt_f64_e32 vcc, s[4:5], v[2:3]
	v_cndmask_b32_e32 v3, v1, v3, vcc
	v_cndmask_b32_e32 v2, -2, v2, vcc
.LBB1_13:
	s_or_b64 exec, exec, s[2:3]
	v_or_b32_e32 v1, 0x100, v0
	v_cmp_gt_i32_e32 vcc, s18, v1
	s_and_saveexec_b64 s[2:3], vcc
	s_cbranch_execz .LBB1_15
; %bb.14:
	s_waitcnt vmcnt(0)
	v_div_scale_f64 v[4:5], s[4:5], v[22:23], v[22:23], v[14:15]
	v_rcp_f64_e32 v[24:25], v[4:5]
	v_div_scale_f64 v[26:27], vcc, v[14:15], v[22:23], v[14:15]
	s_mov_b32 s4, 0
	v_fma_f64 v[28:29], -v[4:5], v[24:25], 1.0
	v_fmac_f64_e32 v[24:25], v[24:25], v[28:29]
	v_fma_f64 v[28:29], -v[4:5], v[24:25], 1.0
	v_fmac_f64_e32 v[24:25], v[24:25], v[28:29]
	v_mul_f64 v[28:29], v[26:27], v[24:25]
	v_fma_f64 v[4:5], -v[4:5], v[28:29], v[26:27]
	v_div_fmas_f64 v[4:5], v[4:5], v[24:25], v[28:29]
	v_div_fixup_f64 v[4:5], v[4:5], v[22:23], v[14:15]
	s_mov_b32 s5, 0x100000
	v_mov_b32_e32 v11, 0x100000
	v_cmp_ngt_f64_e32 vcc, s[4:5], v[4:5]
	s_mov_b32 s4, -2
	v_cndmask_b32_e32 v5, v11, v5, vcc
	v_cndmask_b32_e32 v4, 0, v4, vcc
	s_mov_b32 s5, 0x3fefffff
	v_mov_b32_e32 v11, 0x3fefffff
	v_cmp_nlt_f64_e32 vcc, s[4:5], v[4:5]
	v_cndmask_b32_e32 v5, v11, v5, vcc
	v_cndmask_b32_e32 v4, -2, v4, vcc
.LBB1_15:
	s_or_b64 exec, exec, s[2:3]
	v_or_b32_e32 v11, 0x200, v0
	v_cmp_gt_i32_e32 vcc, s18, v11
	s_and_saveexec_b64 s[2:3], vcc
	s_cbranch_execz .LBB1_17
; %bb.16:
	s_waitcnt vmcnt(0)
	v_div_scale_f64 v[6:7], s[4:5], v[20:21], v[20:21], v[18:19]
	v_rcp_f64_e32 v[14:15], v[6:7]
	v_div_scale_f64 v[22:23], vcc, v[18:19], v[20:21], v[18:19]
	s_mov_b32 s4, 0
	v_fma_f64 v[24:25], -v[6:7], v[14:15], 1.0
	v_fmac_f64_e32 v[14:15], v[14:15], v[24:25]
	v_fma_f64 v[24:25], -v[6:7], v[14:15], 1.0
	v_fmac_f64_e32 v[14:15], v[14:15], v[24:25]
	v_mul_f64 v[24:25], v[22:23], v[14:15]
	v_fma_f64 v[6:7], -v[6:7], v[24:25], v[22:23]
	v_div_fmas_f64 v[6:7], v[6:7], v[14:15], v[24:25]
	v_div_fixup_f64 v[6:7], v[6:7], v[20:21], v[18:19]
	s_mov_b32 s5, 0x100000
	v_mov_b32_e32 v11, 0x100000
	v_cmp_ngt_f64_e32 vcc, s[4:5], v[6:7]
	s_mov_b32 s4, -2
	v_cndmask_b32_e32 v7, v11, v7, vcc
	v_cndmask_b32_e32 v6, 0, v6, vcc
	s_mov_b32 s5, 0x3fefffff
	v_mov_b32_e32 v11, 0x3fefffff
	v_cmp_nlt_f64_e32 vcc, s[4:5], v[6:7]
	v_cndmask_b32_e32 v7, v11, v7, vcc
	v_cndmask_b32_e32 v6, -2, v6, vcc
.LBB1_17:
	s_or_b64 exec, exec, s[2:3]
	v_or_b32_e32 v11, 0x300, v0
	v_cmp_gt_i32_e32 vcc, s18, v11
	s_and_saveexec_b64 s[2:3], vcc
	s_cbranch_execnz .LBB1_24
; %bb.18:
	s_or_b64 exec, exec, s[2:3]
	s_and_saveexec_b64 s[2:3], s[0:1]
	s_xor_b64 s[0:1], exec, s[2:3]
	s_cbranch_execnz .LBB1_25
.LBB1_19:
	s_or_b64 exec, exec, s[0:1]
	v_cmp_gt_i32_e32 vcc, s18, v0
	s_and_saveexec_b64 s[0:1], vcc
	s_cbranch_execnz .LBB1_26
.LBB1_20:
	s_or_b64 exec, exec, s[0:1]
	v_cmp_gt_i32_e32 vcc, s18, v0
	s_and_saveexec_b64 s[0:1], vcc
	s_cbranch_execnz .LBB1_27
.LBB1_21:
	s_or_b64 exec, exec, s[0:1]
	v_cmp_gt_i32_e32 vcc, s18, v0
	s_and_saveexec_b64 s[0:1], vcc
	s_cbranch_execz .LBB1_23
.LBB1_22:
	v_add_u32_e32 v0, s6, v0
	v_mov_b32_e32 v1, 0
	v_lshlrev_b64 v[0:1], 3, v[0:1]
	v_mov_b32_e32 v2, s9
	v_add_co_u32_e32 v0, vcc, s8, v0
	v_addc_co_u32_e32 v1, vcc, v2, v1, vcc
	global_store_dwordx2 v[0:1], v[8:9], off
.LBB1_23:
	s_endpgm
.LBB1_24:
	s_waitcnt vmcnt(0)
	v_div_scale_f64 v[8:9], s[4:5], v[16:17], v[16:17], v[12:13]
	v_rcp_f64_e32 v[14:15], v[8:9]
	v_div_scale_f64 v[18:19], vcc, v[12:13], v[16:17], v[12:13]
	s_mov_b32 s4, 0
	v_fma_f64 v[20:21], -v[8:9], v[14:15], 1.0
	v_fmac_f64_e32 v[14:15], v[14:15], v[20:21]
	v_fma_f64 v[20:21], -v[8:9], v[14:15], 1.0
	v_fmac_f64_e32 v[14:15], v[14:15], v[20:21]
	v_mul_f64 v[20:21], v[18:19], v[14:15]
	v_fma_f64 v[8:9], -v[8:9], v[20:21], v[18:19]
	v_div_fmas_f64 v[8:9], v[8:9], v[14:15], v[20:21]
	v_div_fixup_f64 v[8:9], v[8:9], v[16:17], v[12:13]
	s_mov_b32 s5, 0x100000
	v_mov_b32_e32 v11, 0x100000
	v_cmp_ngt_f64_e32 vcc, s[4:5], v[8:9]
	s_mov_b32 s4, -2
	v_cndmask_b32_e32 v9, v11, v9, vcc
	v_cndmask_b32_e32 v8, 0, v8, vcc
	s_mov_b32 s5, 0x3fefffff
	v_mov_b32_e32 v11, 0x3fefffff
	v_cmp_nlt_f64_e32 vcc, s[4:5], v[8:9]
	v_cndmask_b32_e32 v9, v11, v9, vcc
	v_cndmask_b32_e32 v8, -2, v8, vcc
	s_or_b64 exec, exec, s[2:3]
	s_and_saveexec_b64 s[2:3], s[0:1]
	s_xor_b64 s[0:1], exec, s[2:3]
	s_cbranch_execz .LBB1_19
.LBB1_25:
	v_mov_b32_e32 v11, 0
	v_lshlrev_b64 v[10:11], 3, v[10:11]
	v_mov_b32_e32 v0, s9
	v_add_co_u32_e32 v10, vcc, s8, v10
	v_addc_co_u32_e32 v11, vcc, v0, v11, vcc
	v_mov_b32_e32 v0, v1
	global_store_dwordx2 v[10:11], v[2:3], off
	s_or_b64 exec, exec, s[0:1]
	v_cmp_gt_i32_e32 vcc, s18, v0
	s_and_saveexec_b64 s[0:1], vcc
	s_cbranch_execz .LBB1_20
.LBB1_26:
	v_add_u32_e32 v2, s6, v0
	v_mov_b32_e32 v3, 0
	v_lshlrev_b64 v[2:3], 3, v[2:3]
	v_mov_b32_e32 v1, s9
	v_add_co_u32_e32 v2, vcc, s8, v2
	v_addc_co_u32_e32 v3, vcc, v1, v3, vcc
	v_add_u32_e32 v0, 0x100, v0
	global_store_dwordx2 v[2:3], v[4:5], off
	s_or_b64 exec, exec, s[0:1]
	v_cmp_gt_i32_e32 vcc, s18, v0
	s_and_saveexec_b64 s[0:1], vcc
	s_cbranch_execz .LBB1_21
.LBB1_27:
	v_add_u32_e32 v2, s6, v0
	v_mov_b32_e32 v3, 0
	v_lshlrev_b64 v[2:3], 3, v[2:3]
	v_mov_b32_e32 v1, s9
	v_add_co_u32_e32 v2, vcc, s8, v2
	v_addc_co_u32_e32 v3, vcc, v1, v3, vcc
	v_add_u32_e32 v0, 0x100, v0
	global_store_dwordx2 v[2:3], v[6:7], off
	s_or_b64 exec, exec, s[0:1]
	v_cmp_gt_i32_e32 vcc, s18, v0
	s_and_saveexec_b64 s[0:1], vcc
	s_cbranch_execnz .LBB1_22
	s_branch .LBB1_23
	.section	.rodata,"a",@progbits
	.p2align	6, 0x0
	.amdhsa_kernel _ZN2at6native29vectorized_elementwise_kernelILi8EZZZNS0_23launch_dirichlet_kernelERNS_18TensorIteratorBaseEENKUlvE_clEvENKUlvE_clEvEUlddE_St5arrayIPcLm3EEEEviT0_T1_
		.amdhsa_group_segment_fixed_size 0
		.amdhsa_private_segment_fixed_size 0
		.amdhsa_kernarg_size 32
		.amdhsa_user_sgpr_count 6
		.amdhsa_user_sgpr_private_segment_buffer 1
		.amdhsa_user_sgpr_dispatch_ptr 0
		.amdhsa_user_sgpr_queue_ptr 0
		.amdhsa_user_sgpr_kernarg_segment_ptr 1
		.amdhsa_user_sgpr_dispatch_id 0
		.amdhsa_user_sgpr_flat_scratch_init 0
		.amdhsa_user_sgpr_kernarg_preload_length 0
		.amdhsa_user_sgpr_kernarg_preload_offset 0
		.amdhsa_user_sgpr_private_segment_size 0
		.amdhsa_uses_dynamic_stack 0
		.amdhsa_system_sgpr_private_segment_wavefront_offset 0
		.amdhsa_system_sgpr_workgroup_id_x 1
		.amdhsa_system_sgpr_workgroup_id_y 0
		.amdhsa_system_sgpr_workgroup_id_z 0
		.amdhsa_system_sgpr_workgroup_info 0
		.amdhsa_system_vgpr_workitem_id 0
		.amdhsa_next_free_vgpr 52
		.amdhsa_next_free_sgpr 22
		.amdhsa_accum_offset 52
		.amdhsa_reserve_vcc 1
		.amdhsa_reserve_flat_scratch 0
		.amdhsa_float_round_mode_32 0
		.amdhsa_float_round_mode_16_64 0
		.amdhsa_float_denorm_mode_32 3
		.amdhsa_float_denorm_mode_16_64 3
		.amdhsa_dx10_clamp 1
		.amdhsa_ieee_mode 1
		.amdhsa_fp16_overflow 0
		.amdhsa_tg_split 0
		.amdhsa_exception_fp_ieee_invalid_op 0
		.amdhsa_exception_fp_denorm_src 0
		.amdhsa_exception_fp_ieee_div_zero 0
		.amdhsa_exception_fp_ieee_overflow 0
		.amdhsa_exception_fp_ieee_underflow 0
		.amdhsa_exception_fp_ieee_inexact 0
		.amdhsa_exception_int_div_zero 0
	.end_amdhsa_kernel
	.section	.text._ZN2at6native29vectorized_elementwise_kernelILi8EZZZNS0_23launch_dirichlet_kernelERNS_18TensorIteratorBaseEENKUlvE_clEvENKUlvE_clEvEUlddE_St5arrayIPcLm3EEEEviT0_T1_,"axG",@progbits,_ZN2at6native29vectorized_elementwise_kernelILi8EZZZNS0_23launch_dirichlet_kernelERNS_18TensorIteratorBaseEENKUlvE_clEvENKUlvE_clEvEUlddE_St5arrayIPcLm3EEEEviT0_T1_,comdat
.Lfunc_end1:
	.size	_ZN2at6native29vectorized_elementwise_kernelILi8EZZZNS0_23launch_dirichlet_kernelERNS_18TensorIteratorBaseEENKUlvE_clEvENKUlvE_clEvEUlddE_St5arrayIPcLm3EEEEviT0_T1_, .Lfunc_end1-_ZN2at6native29vectorized_elementwise_kernelILi8EZZZNS0_23launch_dirichlet_kernelERNS_18TensorIteratorBaseEENKUlvE_clEvENKUlvE_clEvEUlddE_St5arrayIPcLm3EEEEviT0_T1_
                                        ; -- End function
	.section	.AMDGPU.csdata,"",@progbits
; Kernel info:
; codeLenInByte = 1988
; NumSgprs: 26
; NumVgprs: 52
; NumAgprs: 0
; TotalNumVgprs: 52
; ScratchSize: 0
; MemoryBound: 0
; FloatMode: 240
; IeeeMode: 1
; LDSByteSize: 0 bytes/workgroup (compile time only)
; SGPRBlocks: 3
; VGPRBlocks: 6
; NumSGPRsForWavesPerEU: 26
; NumVGPRsForWavesPerEU: 52
; AccumOffset: 52
; Occupancy: 8
; WaveLimiterHint : 0
; COMPUTE_PGM_RSRC2:SCRATCH_EN: 0
; COMPUTE_PGM_RSRC2:USER_SGPR: 6
; COMPUTE_PGM_RSRC2:TRAP_HANDLER: 0
; COMPUTE_PGM_RSRC2:TGID_X_EN: 1
; COMPUTE_PGM_RSRC2:TGID_Y_EN: 0
; COMPUTE_PGM_RSRC2:TGID_Z_EN: 0
; COMPUTE_PGM_RSRC2:TIDIG_COMP_CNT: 0
; COMPUTE_PGM_RSRC3_GFX90A:ACCUM_OFFSET: 12
; COMPUTE_PGM_RSRC3_GFX90A:TG_SPLIT: 0
	.section	.text._ZN2at6native29vectorized_elementwise_kernelILi4EZZZNS0_23launch_dirichlet_kernelERNS_18TensorIteratorBaseEENKUlvE_clEvENKUlvE_clEvEUlddE_St5arrayIPcLm3EEEEviT0_T1_,"axG",@progbits,_ZN2at6native29vectorized_elementwise_kernelILi4EZZZNS0_23launch_dirichlet_kernelERNS_18TensorIteratorBaseEENKUlvE_clEvENKUlvE_clEvEUlddE_St5arrayIPcLm3EEEEviT0_T1_,comdat
	.globl	_ZN2at6native29vectorized_elementwise_kernelILi4EZZZNS0_23launch_dirichlet_kernelERNS_18TensorIteratorBaseEENKUlvE_clEvENKUlvE_clEvEUlddE_St5arrayIPcLm3EEEEviT0_T1_ ; -- Begin function _ZN2at6native29vectorized_elementwise_kernelILi4EZZZNS0_23launch_dirichlet_kernelERNS_18TensorIteratorBaseEENKUlvE_clEvENKUlvE_clEvEUlddE_St5arrayIPcLm3EEEEviT0_T1_
	.p2align	8
	.type	_ZN2at6native29vectorized_elementwise_kernelILi4EZZZNS0_23launch_dirichlet_kernelERNS_18TensorIteratorBaseEENKUlvE_clEvENKUlvE_clEvEUlddE_St5arrayIPcLm3EEEEviT0_T1_,@function
_ZN2at6native29vectorized_elementwise_kernelILi4EZZZNS0_23launch_dirichlet_kernelERNS_18TensorIteratorBaseEENKUlvE_clEvENKUlvE_clEvEUlddE_St5arrayIPcLm3EEEEviT0_T1_: ; @_ZN2at6native29vectorized_elementwise_kernelILi4EZZZNS0_23launch_dirichlet_kernelERNS_18TensorIteratorBaseEENKUlvE_clEvENKUlvE_clEvEUlddE_St5arrayIPcLm3EEEEviT0_T1_
; %bb.0:
	s_load_dword s0, s[4:5], 0x0
	s_load_dwordx4 s[8:11], s[4:5], 0x8
	s_load_dwordx2 s[12:13], s[4:5], 0x18
	s_lshl_b32 s6, s6, 10
	s_waitcnt lgkmcnt(0)
	s_sub_i32 s18, s0, s6
	s_cmpk_gt_i32 s18, 0x3ff
	s_mov_b64 s[0:1], -1
	s_cbranch_scc0 .LBB2_2
; %bb.1:
	s_ashr_i32 s7, s6, 31
	s_lshl_b64 s[0:1], s[6:7], 3
	s_add_u32 s2, s10, s0
	s_addc_u32 s3, s11, s1
	v_lshlrev_b32_e32 v1, 5, v0
	global_load_dwordx4 v[2:5], v1, s[2:3]
	s_add_u32 s4, s12, s0
	s_addc_u32 s5, s13, s1
	global_load_dwordx4 v[6:9], v1, s[4:5]
	global_load_dwordx4 v[10:13], v1, s[2:3] offset:16
	global_load_dwordx4 v[14:17], v1, s[4:5] offset:16
	s_add_u32 s20, s8, s0
	s_addc_u32 s21, s9, s1
	s_mov_b32 s16, 0
	s_mov_b32 s17, 0x100000
	v_mov_b32_e32 v50, 0x100000
	s_mov_b32 s14, -2
	s_mov_b32 s15, 0x3fefffff
	v_mov_b32_e32 v51, 0x3fefffff
	s_waitcnt vmcnt(2)
	v_div_scale_f64 v[18:19], s[0:1], v[6:7], v[6:7], v[2:3]
	v_div_scale_f64 v[22:23], s[0:1], v[8:9], v[8:9], v[4:5]
	v_rcp_f64_e32 v[34:35], v[18:19]
	s_waitcnt vmcnt(0)
	v_div_scale_f64 v[26:27], s[2:3], v[14:15], v[14:15], v[10:11]
	v_rcp_f64_e32 v[36:37], v[22:23]
	v_div_scale_f64 v[30:31], s[4:5], v[16:17], v[16:17], v[12:13]
	v_rcp_f64_e32 v[38:39], v[26:27]
	v_rcp_f64_e32 v[40:41], v[30:31]
	v_fma_f64 v[42:43], -v[18:19], v[34:35], 1.0
	v_fma_f64 v[44:45], -v[22:23], v[36:37], 1.0
	v_fmac_f64_e32 v[34:35], v[34:35], v[42:43]
	v_fma_f64 v[46:47], -v[26:27], v[38:39], 1.0
	v_fmac_f64_e32 v[36:37], v[36:37], v[44:45]
	v_fma_f64 v[42:43], -v[18:19], v[34:35], 1.0
	v_div_scale_f64 v[20:21], vcc, v[2:3], v[6:7], v[2:3]
	v_fma_f64 v[48:49], -v[30:31], v[40:41], 1.0
	v_fmac_f64_e32 v[38:39], v[38:39], v[46:47]
	v_fma_f64 v[44:45], -v[22:23], v[36:37], 1.0
	v_fmac_f64_e32 v[34:35], v[34:35], v[42:43]
	v_div_scale_f64 v[24:25], s[0:1], v[4:5], v[8:9], v[4:5]
	v_fmac_f64_e32 v[40:41], v[40:41], v[48:49]
	v_fma_f64 v[46:47], -v[26:27], v[38:39], 1.0
	v_fmac_f64_e32 v[36:37], v[36:37], v[44:45]
	v_mul_f64 v[42:43], v[20:21], v[34:35]
	v_div_scale_f64 v[28:29], s[2:3], v[10:11], v[14:15], v[10:11]
	v_fma_f64 v[48:49], -v[30:31], v[40:41], 1.0
	v_fmac_f64_e32 v[38:39], v[38:39], v[46:47]
	v_mul_f64 v[44:45], v[24:25], v[36:37]
	v_fma_f64 v[18:19], -v[18:19], v[42:43], v[20:21]
	v_div_scale_f64 v[32:33], s[4:5], v[12:13], v[16:17], v[12:13]
	v_fmac_f64_e32 v[40:41], v[40:41], v[48:49]
	v_mul_f64 v[46:47], v[28:29], v[38:39]
	v_fma_f64 v[20:21], -v[22:23], v[44:45], v[24:25]
	v_div_fmas_f64 v[18:19], v[18:19], v[34:35], v[42:43]
	s_mov_b64 vcc, s[0:1]
	v_mul_f64 v[48:49], v[32:33], v[40:41]
	v_fma_f64 v[22:23], -v[26:27], v[46:47], v[28:29]
	v_div_fixup_f64 v[2:3], v[18:19], v[6:7], v[2:3]
	v_div_fmas_f64 v[6:7], v[20:21], v[36:37], v[44:45]
	s_mov_b64 vcc, s[2:3]
	v_fma_f64 v[24:25], -v[30:31], v[48:49], v[32:33]
	v_cmp_ngt_f64_e64 s[0:1], s[16:17], v[2:3]
	v_div_fixup_f64 v[4:5], v[6:7], v[8:9], v[4:5]
	v_div_fmas_f64 v[6:7], v[22:23], v[38:39], v[46:47]
	s_mov_b64 vcc, s[4:5]
	v_cndmask_b32_e64 v3, v50, v3, s[0:1]
	v_cndmask_b32_e64 v2, 0, v2, s[0:1]
	v_cmp_ngt_f64_e64 s[0:1], s[16:17], v[4:5]
	v_div_fixup_f64 v[6:7], v[6:7], v[14:15], v[10:11]
	v_div_fmas_f64 v[8:9], v[24:25], v[40:41], v[48:49]
	v_cndmask_b32_e64 v5, v50, v5, s[0:1]
	v_cmp_nlt_f64_e32 vcc, s[14:15], v[2:3]
	v_cndmask_b32_e64 v4, 0, v4, s[0:1]
	v_cmp_ngt_f64_e64 s[0:1], s[16:17], v[6:7]
	v_div_fixup_f64 v[8:9], v[8:9], v[16:17], v[12:13]
	v_cndmask_b32_e32 v3, v51, v3, vcc
	v_cndmask_b32_e64 v7, v50, v7, s[0:1]
	v_cndmask_b32_e32 v2, -2, v2, vcc
	v_cmp_nlt_f64_e32 vcc, s[14:15], v[4:5]
	v_cndmask_b32_e64 v6, 0, v6, s[0:1]
	v_cmp_ngt_f64_e64 s[0:1], s[16:17], v[8:9]
	v_cndmask_b32_e32 v5, v51, v5, vcc
	v_cndmask_b32_e64 v9, v50, v9, s[0:1]
	v_cndmask_b32_e32 v4, -2, v4, vcc
	v_cmp_nlt_f64_e32 vcc, s[14:15], v[6:7]
	v_cndmask_b32_e64 v8, 0, v8, s[0:1]
	v_cndmask_b32_e32 v7, v51, v7, vcc
	v_cndmask_b32_e32 v6, -2, v6, vcc
	v_cmp_nlt_f64_e32 vcc, s[14:15], v[8:9]
	v_cndmask_b32_e32 v9, v51, v9, vcc
	v_cndmask_b32_e32 v8, -2, v8, vcc
	global_store_dwordx4 v1, v[2:5], s[20:21]
	global_store_dwordx4 v1, v[6:9], s[20:21] offset:16
	s_mov_b64 s[0:1], 0
.LBB2_2:
	s_andn2_b64 vcc, exec, s[0:1]
	s_cbranch_vccnz .LBB2_23
; %bb.3:
	v_pk_mov_b32 v[14:15], 0, 0
	v_cmp_gt_i32_e64 s[0:1], s18, v0
	v_or_b32_e32 v10, s6, v0
	v_pk_mov_b32 v[24:25], v[14:15], v[14:15] op_sel:[0,1]
	v_pk_mov_b32 v[26:27], v[14:15], v[14:15] op_sel:[0,1]
	v_mov_b32_e32 v1, v0
	s_and_saveexec_b64 s[2:3], s[0:1]
	s_cbranch_execz .LBB2_5
; %bb.4:
	v_mov_b32_e32 v11, 0
	v_lshlrev_b64 v[2:3], 3, v[10:11]
	v_mov_b32_e32 v1, s13
	v_add_co_u32_e32 v4, vcc, s12, v2
	v_addc_co_u32_e32 v5, vcc, v1, v3, vcc
	v_mov_b32_e32 v1, s11
	v_add_co_u32_e32 v2, vcc, s10, v2
	v_addc_co_u32_e32 v3, vcc, v1, v3, vcc
	global_load_dwordx2 v[24:25], v[2:3], off
	global_load_dwordx2 v[26:27], v[4:5], off
	v_or_b32_e32 v1, 0x100, v0
.LBB2_5:
	s_or_b64 exec, exec, s[2:3]
	v_cmp_gt_i32_e32 vcc, s18, v1
	v_pk_mov_b32 v[22:23], v[14:15], v[14:15] op_sel:[0,1]
	s_and_saveexec_b64 s[2:3], vcc
	s_cbranch_execz .LBB2_7
; %bb.6:
	v_add_u32_e32 v2, s6, v1
	v_mov_b32_e32 v3, 0
	v_lshlrev_b64 v[2:3], 3, v[2:3]
	v_mov_b32_e32 v5, s13
	v_add_co_u32_e32 v4, vcc, s12, v2
	v_addc_co_u32_e32 v5, vcc, v5, v3, vcc
	v_mov_b32_e32 v6, s11
	v_add_co_u32_e32 v2, vcc, s10, v2
	v_addc_co_u32_e32 v3, vcc, v6, v3, vcc
	global_load_dwordx2 v[14:15], v[2:3], off
	global_load_dwordx2 v[22:23], v[4:5], off
	v_add_u32_e32 v1, 0x100, v1
.LBB2_7:
	s_or_b64 exec, exec, s[2:3]
	v_pk_mov_b32 v[12:13], 0, 0
	v_cmp_gt_i32_e32 vcc, s18, v1
	v_pk_mov_b32 v[18:19], v[12:13], v[12:13] op_sel:[0,1]
	v_pk_mov_b32 v[20:21], v[12:13], v[12:13] op_sel:[0,1]
	s_and_saveexec_b64 s[2:3], vcc
	s_cbranch_execz .LBB2_9
; %bb.8:
	v_add_u32_e32 v2, s6, v1
	v_mov_b32_e32 v3, 0
	v_lshlrev_b64 v[2:3], 3, v[2:3]
	v_mov_b32_e32 v5, s13
	v_add_co_u32_e32 v4, vcc, s12, v2
	v_addc_co_u32_e32 v5, vcc, v5, v3, vcc
	v_mov_b32_e32 v6, s11
	v_add_co_u32_e32 v2, vcc, s10, v2
	v_addc_co_u32_e32 v3, vcc, v6, v3, vcc
	global_load_dwordx2 v[18:19], v[2:3], off
	global_load_dwordx2 v[20:21], v[4:5], off
	v_add_u32_e32 v1, 0x100, v1
.LBB2_9:
	s_or_b64 exec, exec, s[2:3]
	v_cmp_gt_i32_e32 vcc, s18, v1
	v_pk_mov_b32 v[16:17], v[12:13], v[12:13] op_sel:[0,1]
	s_and_saveexec_b64 s[2:3], vcc
	s_cbranch_execz .LBB2_11
; %bb.10:
	v_add_u32_e32 v2, s6, v1
	v_mov_b32_e32 v3, 0
	v_lshlrev_b64 v[2:3], 3, v[2:3]
	v_mov_b32_e32 v1, s13
	v_add_co_u32_e32 v4, vcc, s12, v2
	v_addc_co_u32_e32 v5, vcc, v1, v3, vcc
	v_mov_b32_e32 v1, s11
	v_add_co_u32_e32 v2, vcc, s10, v2
	v_addc_co_u32_e32 v3, vcc, v1, v3, vcc
	global_load_dwordx2 v[12:13], v[2:3], off
	global_load_dwordx2 v[16:17], v[4:5], off
.LBB2_11:
	s_or_b64 exec, exec, s[2:3]
                                        ; implicit-def: $vgpr2_vgpr3_vgpr4_vgpr5_vgpr6_vgpr7_vgpr8_vgpr9
	s_and_saveexec_b64 s[2:3], s[0:1]
	s_cbranch_execz .LBB2_13
; %bb.12:
	s_waitcnt vmcnt(0)
	v_div_scale_f64 v[2:3], s[4:5], v[26:27], v[26:27], v[24:25]
	v_rcp_f64_e32 v[4:5], v[2:3]
	v_div_scale_f64 v[6:7], vcc, v[24:25], v[26:27], v[24:25]
	s_mov_b32 s4, 0
	v_fma_f64 v[8:9], -v[2:3], v[4:5], 1.0
	v_fmac_f64_e32 v[4:5], v[4:5], v[8:9]
	v_fma_f64 v[8:9], -v[2:3], v[4:5], 1.0
	v_fmac_f64_e32 v[4:5], v[4:5], v[8:9]
	v_mul_f64 v[8:9], v[6:7], v[4:5]
	v_fma_f64 v[2:3], -v[2:3], v[8:9], v[6:7]
	v_div_fmas_f64 v[2:3], v[2:3], v[4:5], v[8:9]
	v_div_fixup_f64 v[2:3], v[2:3], v[26:27], v[24:25]
	s_mov_b32 s5, 0x100000
	v_mov_b32_e32 v1, 0x100000
	v_cmp_ngt_f64_e32 vcc, s[4:5], v[2:3]
	s_mov_b32 s4, -2
	v_cndmask_b32_e32 v3, v1, v3, vcc
	v_cndmask_b32_e32 v2, 0, v2, vcc
	s_mov_b32 s5, 0x3fefffff
	v_mov_b32_e32 v1, 0x3fefffff
	v_cmp_nlt_f64_e32 vcc, s[4:5], v[2:3]
	v_cndmask_b32_e32 v3, v1, v3, vcc
	v_cndmask_b32_e32 v2, -2, v2, vcc
.LBB2_13:
	s_or_b64 exec, exec, s[2:3]
	v_or_b32_e32 v1, 0x100, v0
	v_cmp_gt_i32_e32 vcc, s18, v1
	s_and_saveexec_b64 s[2:3], vcc
	s_cbranch_execz .LBB2_15
; %bb.14:
	s_waitcnt vmcnt(0)
	v_div_scale_f64 v[4:5], s[4:5], v[22:23], v[22:23], v[14:15]
	v_rcp_f64_e32 v[24:25], v[4:5]
	v_div_scale_f64 v[26:27], vcc, v[14:15], v[22:23], v[14:15]
	s_mov_b32 s4, 0
	v_fma_f64 v[28:29], -v[4:5], v[24:25], 1.0
	v_fmac_f64_e32 v[24:25], v[24:25], v[28:29]
	v_fma_f64 v[28:29], -v[4:5], v[24:25], 1.0
	v_fmac_f64_e32 v[24:25], v[24:25], v[28:29]
	v_mul_f64 v[28:29], v[26:27], v[24:25]
	v_fma_f64 v[4:5], -v[4:5], v[28:29], v[26:27]
	v_div_fmas_f64 v[4:5], v[4:5], v[24:25], v[28:29]
	v_div_fixup_f64 v[4:5], v[4:5], v[22:23], v[14:15]
	s_mov_b32 s5, 0x100000
	v_mov_b32_e32 v11, 0x100000
	v_cmp_ngt_f64_e32 vcc, s[4:5], v[4:5]
	s_mov_b32 s4, -2
	v_cndmask_b32_e32 v5, v11, v5, vcc
	v_cndmask_b32_e32 v4, 0, v4, vcc
	s_mov_b32 s5, 0x3fefffff
	v_mov_b32_e32 v11, 0x3fefffff
	v_cmp_nlt_f64_e32 vcc, s[4:5], v[4:5]
	v_cndmask_b32_e32 v5, v11, v5, vcc
	v_cndmask_b32_e32 v4, -2, v4, vcc
.LBB2_15:
	s_or_b64 exec, exec, s[2:3]
	v_or_b32_e32 v11, 0x200, v0
	v_cmp_gt_i32_e32 vcc, s18, v11
	s_and_saveexec_b64 s[2:3], vcc
	;; [unrolled: 31-line block ×3, first 2 shown]
	s_cbranch_execnz .LBB2_24
; %bb.18:
	s_or_b64 exec, exec, s[2:3]
	s_and_saveexec_b64 s[2:3], s[0:1]
	s_xor_b64 s[0:1], exec, s[2:3]
	s_cbranch_execnz .LBB2_25
.LBB2_19:
	s_or_b64 exec, exec, s[0:1]
	v_cmp_gt_i32_e32 vcc, s18, v0
	s_and_saveexec_b64 s[0:1], vcc
	s_cbranch_execnz .LBB2_26
.LBB2_20:
	s_or_b64 exec, exec, s[0:1]
	v_cmp_gt_i32_e32 vcc, s18, v0
	s_and_saveexec_b64 s[0:1], vcc
	s_cbranch_execnz .LBB2_27
.LBB2_21:
	s_or_b64 exec, exec, s[0:1]
	v_cmp_gt_i32_e32 vcc, s18, v0
	s_and_saveexec_b64 s[0:1], vcc
	s_cbranch_execz .LBB2_23
.LBB2_22:
	v_add_u32_e32 v0, s6, v0
	v_mov_b32_e32 v1, 0
	v_lshlrev_b64 v[0:1], 3, v[0:1]
	v_mov_b32_e32 v2, s9
	v_add_co_u32_e32 v0, vcc, s8, v0
	v_addc_co_u32_e32 v1, vcc, v2, v1, vcc
	global_store_dwordx2 v[0:1], v[8:9], off
.LBB2_23:
	s_endpgm
.LBB2_24:
	s_waitcnt vmcnt(0)
	v_div_scale_f64 v[8:9], s[4:5], v[16:17], v[16:17], v[12:13]
	v_rcp_f64_e32 v[14:15], v[8:9]
	v_div_scale_f64 v[18:19], vcc, v[12:13], v[16:17], v[12:13]
	s_mov_b32 s4, 0
	v_fma_f64 v[20:21], -v[8:9], v[14:15], 1.0
	v_fmac_f64_e32 v[14:15], v[14:15], v[20:21]
	v_fma_f64 v[20:21], -v[8:9], v[14:15], 1.0
	v_fmac_f64_e32 v[14:15], v[14:15], v[20:21]
	v_mul_f64 v[20:21], v[18:19], v[14:15]
	v_fma_f64 v[8:9], -v[8:9], v[20:21], v[18:19]
	v_div_fmas_f64 v[8:9], v[8:9], v[14:15], v[20:21]
	v_div_fixup_f64 v[8:9], v[8:9], v[16:17], v[12:13]
	s_mov_b32 s5, 0x100000
	v_mov_b32_e32 v11, 0x100000
	v_cmp_ngt_f64_e32 vcc, s[4:5], v[8:9]
	s_mov_b32 s4, -2
	v_cndmask_b32_e32 v9, v11, v9, vcc
	v_cndmask_b32_e32 v8, 0, v8, vcc
	s_mov_b32 s5, 0x3fefffff
	v_mov_b32_e32 v11, 0x3fefffff
	v_cmp_nlt_f64_e32 vcc, s[4:5], v[8:9]
	v_cndmask_b32_e32 v9, v11, v9, vcc
	v_cndmask_b32_e32 v8, -2, v8, vcc
	s_or_b64 exec, exec, s[2:3]
	s_and_saveexec_b64 s[2:3], s[0:1]
	s_xor_b64 s[0:1], exec, s[2:3]
	s_cbranch_execz .LBB2_19
.LBB2_25:
	v_mov_b32_e32 v11, 0
	v_lshlrev_b64 v[10:11], 3, v[10:11]
	v_mov_b32_e32 v0, s9
	v_add_co_u32_e32 v10, vcc, s8, v10
	v_addc_co_u32_e32 v11, vcc, v0, v11, vcc
	v_mov_b32_e32 v0, v1
	global_store_dwordx2 v[10:11], v[2:3], off
	s_or_b64 exec, exec, s[0:1]
	v_cmp_gt_i32_e32 vcc, s18, v0
	s_and_saveexec_b64 s[0:1], vcc
	s_cbranch_execz .LBB2_20
.LBB2_26:
	v_add_u32_e32 v2, s6, v0
	v_mov_b32_e32 v3, 0
	v_lshlrev_b64 v[2:3], 3, v[2:3]
	v_mov_b32_e32 v1, s9
	v_add_co_u32_e32 v2, vcc, s8, v2
	v_addc_co_u32_e32 v3, vcc, v1, v3, vcc
	v_add_u32_e32 v0, 0x100, v0
	global_store_dwordx2 v[2:3], v[4:5], off
	s_or_b64 exec, exec, s[0:1]
	v_cmp_gt_i32_e32 vcc, s18, v0
	s_and_saveexec_b64 s[0:1], vcc
	s_cbranch_execz .LBB2_21
.LBB2_27:
	v_add_u32_e32 v2, s6, v0
	v_mov_b32_e32 v3, 0
	v_lshlrev_b64 v[2:3], 3, v[2:3]
	v_mov_b32_e32 v1, s9
	v_add_co_u32_e32 v2, vcc, s8, v2
	v_addc_co_u32_e32 v3, vcc, v1, v3, vcc
	v_add_u32_e32 v0, 0x100, v0
	global_store_dwordx2 v[2:3], v[6:7], off
	s_or_b64 exec, exec, s[0:1]
	v_cmp_gt_i32_e32 vcc, s18, v0
	s_and_saveexec_b64 s[0:1], vcc
	s_cbranch_execnz .LBB2_22
	s_branch .LBB2_23
	.section	.rodata,"a",@progbits
	.p2align	6, 0x0
	.amdhsa_kernel _ZN2at6native29vectorized_elementwise_kernelILi4EZZZNS0_23launch_dirichlet_kernelERNS_18TensorIteratorBaseEENKUlvE_clEvENKUlvE_clEvEUlddE_St5arrayIPcLm3EEEEviT0_T1_
		.amdhsa_group_segment_fixed_size 0
		.amdhsa_private_segment_fixed_size 0
		.amdhsa_kernarg_size 32
		.amdhsa_user_sgpr_count 6
		.amdhsa_user_sgpr_private_segment_buffer 1
		.amdhsa_user_sgpr_dispatch_ptr 0
		.amdhsa_user_sgpr_queue_ptr 0
		.amdhsa_user_sgpr_kernarg_segment_ptr 1
		.amdhsa_user_sgpr_dispatch_id 0
		.amdhsa_user_sgpr_flat_scratch_init 0
		.amdhsa_user_sgpr_kernarg_preload_length 0
		.amdhsa_user_sgpr_kernarg_preload_offset 0
		.amdhsa_user_sgpr_private_segment_size 0
		.amdhsa_uses_dynamic_stack 0
		.amdhsa_system_sgpr_private_segment_wavefront_offset 0
		.amdhsa_system_sgpr_workgroup_id_x 1
		.amdhsa_system_sgpr_workgroup_id_y 0
		.amdhsa_system_sgpr_workgroup_id_z 0
		.amdhsa_system_sgpr_workgroup_info 0
		.amdhsa_system_vgpr_workitem_id 0
		.amdhsa_next_free_vgpr 52
		.amdhsa_next_free_sgpr 22
		.amdhsa_accum_offset 52
		.amdhsa_reserve_vcc 1
		.amdhsa_reserve_flat_scratch 0
		.amdhsa_float_round_mode_32 0
		.amdhsa_float_round_mode_16_64 0
		.amdhsa_float_denorm_mode_32 3
		.amdhsa_float_denorm_mode_16_64 3
		.amdhsa_dx10_clamp 1
		.amdhsa_ieee_mode 1
		.amdhsa_fp16_overflow 0
		.amdhsa_tg_split 0
		.amdhsa_exception_fp_ieee_invalid_op 0
		.amdhsa_exception_fp_denorm_src 0
		.amdhsa_exception_fp_ieee_div_zero 0
		.amdhsa_exception_fp_ieee_overflow 0
		.amdhsa_exception_fp_ieee_underflow 0
		.amdhsa_exception_fp_ieee_inexact 0
		.amdhsa_exception_int_div_zero 0
	.end_amdhsa_kernel
	.section	.text._ZN2at6native29vectorized_elementwise_kernelILi4EZZZNS0_23launch_dirichlet_kernelERNS_18TensorIteratorBaseEENKUlvE_clEvENKUlvE_clEvEUlddE_St5arrayIPcLm3EEEEviT0_T1_,"axG",@progbits,_ZN2at6native29vectorized_elementwise_kernelILi4EZZZNS0_23launch_dirichlet_kernelERNS_18TensorIteratorBaseEENKUlvE_clEvENKUlvE_clEvEUlddE_St5arrayIPcLm3EEEEviT0_T1_,comdat
.Lfunc_end2:
	.size	_ZN2at6native29vectorized_elementwise_kernelILi4EZZZNS0_23launch_dirichlet_kernelERNS_18TensorIteratorBaseEENKUlvE_clEvENKUlvE_clEvEUlddE_St5arrayIPcLm3EEEEviT0_T1_, .Lfunc_end2-_ZN2at6native29vectorized_elementwise_kernelILi4EZZZNS0_23launch_dirichlet_kernelERNS_18TensorIteratorBaseEENKUlvE_clEvENKUlvE_clEvEUlddE_St5arrayIPcLm3EEEEviT0_T1_
                                        ; -- End function
	.section	.AMDGPU.csdata,"",@progbits
; Kernel info:
; codeLenInByte = 1988
; NumSgprs: 26
; NumVgprs: 52
; NumAgprs: 0
; TotalNumVgprs: 52
; ScratchSize: 0
; MemoryBound: 0
; FloatMode: 240
; IeeeMode: 1
; LDSByteSize: 0 bytes/workgroup (compile time only)
; SGPRBlocks: 3
; VGPRBlocks: 6
; NumSGPRsForWavesPerEU: 26
; NumVGPRsForWavesPerEU: 52
; AccumOffset: 52
; Occupancy: 8
; WaveLimiterHint : 0
; COMPUTE_PGM_RSRC2:SCRATCH_EN: 0
; COMPUTE_PGM_RSRC2:USER_SGPR: 6
; COMPUTE_PGM_RSRC2:TRAP_HANDLER: 0
; COMPUTE_PGM_RSRC2:TGID_X_EN: 1
; COMPUTE_PGM_RSRC2:TGID_Y_EN: 0
; COMPUTE_PGM_RSRC2:TGID_Z_EN: 0
; COMPUTE_PGM_RSRC2:TIDIG_COMP_CNT: 0
; COMPUTE_PGM_RSRC3_GFX90A:ACCUM_OFFSET: 12
; COMPUTE_PGM_RSRC3_GFX90A:TG_SPLIT: 0
	.section	.text._ZN2at6native29vectorized_elementwise_kernelILi2EZZZNS0_23launch_dirichlet_kernelERNS_18TensorIteratorBaseEENKUlvE_clEvENKUlvE_clEvEUlddE_St5arrayIPcLm3EEEEviT0_T1_,"axG",@progbits,_ZN2at6native29vectorized_elementwise_kernelILi2EZZZNS0_23launch_dirichlet_kernelERNS_18TensorIteratorBaseEENKUlvE_clEvENKUlvE_clEvEUlddE_St5arrayIPcLm3EEEEviT0_T1_,comdat
	.globl	_ZN2at6native29vectorized_elementwise_kernelILi2EZZZNS0_23launch_dirichlet_kernelERNS_18TensorIteratorBaseEENKUlvE_clEvENKUlvE_clEvEUlddE_St5arrayIPcLm3EEEEviT0_T1_ ; -- Begin function _ZN2at6native29vectorized_elementwise_kernelILi2EZZZNS0_23launch_dirichlet_kernelERNS_18TensorIteratorBaseEENKUlvE_clEvENKUlvE_clEvEUlddE_St5arrayIPcLm3EEEEviT0_T1_
	.p2align	8
	.type	_ZN2at6native29vectorized_elementwise_kernelILi2EZZZNS0_23launch_dirichlet_kernelERNS_18TensorIteratorBaseEENKUlvE_clEvENKUlvE_clEvEUlddE_St5arrayIPcLm3EEEEviT0_T1_,@function
_ZN2at6native29vectorized_elementwise_kernelILi2EZZZNS0_23launch_dirichlet_kernelERNS_18TensorIteratorBaseEENKUlvE_clEvENKUlvE_clEvEUlddE_St5arrayIPcLm3EEEEviT0_T1_: ; @_ZN2at6native29vectorized_elementwise_kernelILi2EZZZNS0_23launch_dirichlet_kernelERNS_18TensorIteratorBaseEENKUlvE_clEvENKUlvE_clEvEUlddE_St5arrayIPcLm3EEEEviT0_T1_
; %bb.0:
	s_load_dword s0, s[4:5], 0x0
	s_load_dwordx4 s[8:11], s[4:5], 0x8
	s_load_dwordx2 s[12:13], s[4:5], 0x18
	s_lshl_b32 s6, s6, 10
	s_waitcnt lgkmcnt(0)
	s_sub_i32 s20, s0, s6
	s_cmpk_gt_i32 s20, 0x3ff
	s_mov_b64 s[0:1], -1
	s_cbranch_scc0 .LBB3_2
; %bb.1:
	s_ashr_i32 s7, s6, 31
	s_lshl_b64 s[14:15], s[6:7], 3
	s_add_u32 s0, s10, s14
	s_addc_u32 s1, s11, s15
	v_lshlrev_b32_e32 v1, 4, v0
	v_mov_b32_e32 v2, s1
	v_add_co_u32_e32 v3, vcc, s0, v1
	v_addc_co_u32_e32 v4, vcc, 0, v2, vcc
	s_movk_i32 s4, 0x1000
	v_add_co_u32_e32 v2, vcc, s4, v3
	s_add_u32 s2, s12, s14
	v_addc_co_u32_e32 v3, vcc, 0, v4, vcc
	s_addc_u32 s3, s13, s15
	global_load_dwordx4 v[2:5], v[2:3], off
	s_nop 0
	global_load_dwordx4 v[6:9], v1, s[0:1]
	global_load_dwordx4 v[10:13], v1, s[2:3]
	v_mov_b32_e32 v14, s3
	v_add_co_u32_e32 v15, vcc, s2, v1
	v_addc_co_u32_e32 v16, vcc, 0, v14, vcc
	v_add_co_u32_e32 v14, vcc, s4, v15
	v_addc_co_u32_e32 v15, vcc, 0, v16, vcc
	global_load_dwordx4 v[14:17], v[14:15], off
	s_mov_b32 s16, 0
	s_mov_b32 s17, 0x100000
	v_mov_b32_e32 v50, 0x100000
	s_mov_b32 s18, -2
	s_mov_b32 s19, 0x3fefffff
	v_mov_b32_e32 v51, 0x3fefffff
	s_waitcnt vmcnt(1)
	v_div_scale_f64 v[18:19], s[0:1], v[10:11], v[10:11], v[6:7]
	v_div_scale_f64 v[22:23], s[0:1], v[12:13], v[12:13], v[8:9]
	v_rcp_f64_e32 v[26:27], v[18:19]
	v_rcp_f64_e32 v[28:29], v[22:23]
	v_div_scale_f64 v[20:21], vcc, v[6:7], v[10:11], v[6:7]
	v_fma_f64 v[42:43], -v[18:19], v[26:27], 1.0
	v_fma_f64 v[44:45], -v[22:23], v[28:29], 1.0
	s_waitcnt vmcnt(0)
	v_div_scale_f64 v[30:31], s[2:3], v[14:15], v[14:15], v[2:3]
	v_rcp_f64_e32 v[38:39], v[30:31]
	v_fmac_f64_e32 v[26:27], v[26:27], v[42:43]
	v_fmac_f64_e32 v[28:29], v[28:29], v[44:45]
	v_fma_f64 v[42:43], -v[18:19], v[26:27], 1.0
	v_fma_f64 v[44:45], -v[22:23], v[28:29], 1.0
	v_fmac_f64_e32 v[26:27], v[26:27], v[42:43]
	v_div_scale_f64 v[24:25], s[0:1], v[8:9], v[12:13], v[8:9]
	v_fmac_f64_e32 v[28:29], v[28:29], v[44:45]
	v_fma_f64 v[42:43], -v[30:31], v[38:39], 1.0
	v_mul_f64 v[46:47], v[20:21], v[26:27]
	v_div_scale_f64 v[34:35], s[4:5], v[16:17], v[16:17], v[4:5]
	v_mul_f64 v[48:49], v[24:25], v[28:29]
	v_fmac_f64_e32 v[38:39], v[38:39], v[42:43]
	v_fma_f64 v[18:19], -v[18:19], v[46:47], v[20:21]
	v_rcp_f64_e32 v[40:41], v[34:35]
	v_fma_f64 v[20:21], -v[22:23], v[48:49], v[24:25]
	v_fma_f64 v[22:23], -v[30:31], v[38:39], 1.0
	v_div_fmas_f64 v[18:19], v[18:19], v[26:27], v[46:47]
	v_div_scale_f64 v[32:33], s[2:3], v[2:3], v[14:15], v[2:3]
	v_fmac_f64_e32 v[38:39], v[38:39], v[22:23]
	v_div_fixup_f64 v[6:7], v[18:19], v[10:11], v[6:7]
	s_mov_b64 vcc, s[0:1]
	v_div_fmas_f64 v[10:11], v[20:21], v[28:29], v[48:49]
	v_mul_f64 v[18:19], v[32:33], v[38:39]
	v_cmp_ngt_f64_e32 vcc, s[16:17], v[6:7]
	v_cndmask_b32_e32 v7, v50, v7, vcc
	v_div_fixup_f64 v[8:9], v[10:11], v[12:13], v[8:9]
	v_fma_f64 v[10:11], -v[30:31], v[18:19], v[32:33]
	v_cndmask_b32_e32 v6, 0, v6, vcc
	s_mov_b64 vcc, s[2:3]
	v_fma_f64 v[44:45], -v[34:35], v[40:41], 1.0
	v_div_fmas_f64 v[10:11], v[10:11], v[38:39], v[18:19]
	v_fmac_f64_e32 v[40:41], v[40:41], v[44:45]
	v_cmp_ngt_f64_e64 s[0:1], s[16:17], v[8:9]
	v_div_fixup_f64 v[2:3], v[10:11], v[14:15], v[2:3]
	v_fma_f64 v[24:25], -v[34:35], v[40:41], 1.0
	v_cndmask_b32_e64 v9, v50, v9, s[0:1]
	v_cmp_nlt_f64_e32 vcc, s[18:19], v[6:7]
	v_cndmask_b32_e64 v8, 0, v8, s[0:1]
	v_cmp_ngt_f64_e64 s[0:1], s[16:17], v[2:3]
	v_div_scale_f64 v[36:37], s[4:5], v[4:5], v[16:17], v[4:5]
	v_fmac_f64_e32 v[40:41], v[40:41], v[24:25]
	v_cndmask_b32_e32 v7, v51, v7, vcc
	v_cndmask_b32_e32 v6, -2, v6, vcc
	v_cmp_nlt_f64_e32 vcc, s[18:19], v[8:9]
	v_cndmask_b32_e64 v3, v50, v3, s[0:1]
	v_cndmask_b32_e64 v2, 0, v2, s[0:1]
	v_mul_f64 v[20:21], v[36:37], v[40:41]
	v_cndmask_b32_e32 v9, v51, v9, vcc
	v_cndmask_b32_e32 v8, -2, v8, vcc
	v_cmp_nlt_f64_e32 vcc, s[18:19], v[2:3]
	v_cndmask_b32_e32 v3, v51, v3, vcc
	v_cndmask_b32_e32 v2, -2, v2, vcc
	v_fma_f64 v[10:11], -v[34:35], v[20:21], v[36:37]
	s_mov_b64 vcc, s[4:5]
	v_div_fmas_f64 v[10:11], v[10:11], v[40:41], v[20:21]
	v_div_fixup_f64 v[4:5], v[10:11], v[16:17], v[4:5]
	v_cmp_ngt_f64_e32 vcc, s[16:17], v[4:5]
	v_cndmask_b32_e32 v5, v50, v5, vcc
	v_cndmask_b32_e32 v4, 0, v4, vcc
	s_add_u32 s0, s8, s14
	v_cmp_nlt_f64_e32 vcc, s[18:19], v[4:5]
	s_addc_u32 s1, s9, s15
	v_cndmask_b32_e32 v5, v51, v5, vcc
	v_cndmask_b32_e32 v4, -2, v4, vcc
	v_mov_b32_e32 v10, s1
	v_add_co_u32_e32 v11, vcc, s0, v1
	v_addc_co_u32_e32 v10, vcc, 0, v10, vcc
	global_store_dwordx4 v1, v[6:9], s[0:1]
	s_mov_b64 s[0:1], 0
	v_add_co_u32_e32 v6, vcc, 0x1000, v11
	v_addc_co_u32_e32 v7, vcc, 0, v10, vcc
	global_store_dwordx4 v[6:7], v[2:5], off
.LBB3_2:
	s_andn2_b64 vcc, exec, s[0:1]
	s_cbranch_vccnz .LBB3_23
; %bb.3:
	v_pk_mov_b32 v[14:15], 0, 0
	v_cmp_gt_i32_e64 s[0:1], s20, v0
	v_or_b32_e32 v10, s6, v0
	v_pk_mov_b32 v[24:25], v[14:15], v[14:15] op_sel:[0,1]
	v_pk_mov_b32 v[26:27], v[14:15], v[14:15] op_sel:[0,1]
	v_mov_b32_e32 v1, v0
	s_and_saveexec_b64 s[2:3], s[0:1]
	s_cbranch_execz .LBB3_5
; %bb.4:
	v_mov_b32_e32 v11, 0
	v_lshlrev_b64 v[2:3], 3, v[10:11]
	v_mov_b32_e32 v1, s13
	v_add_co_u32_e32 v4, vcc, s12, v2
	v_addc_co_u32_e32 v5, vcc, v1, v3, vcc
	v_mov_b32_e32 v1, s11
	v_add_co_u32_e32 v2, vcc, s10, v2
	v_addc_co_u32_e32 v3, vcc, v1, v3, vcc
	global_load_dwordx2 v[24:25], v[2:3], off
	global_load_dwordx2 v[26:27], v[4:5], off
	v_or_b32_e32 v1, 0x100, v0
.LBB3_5:
	s_or_b64 exec, exec, s[2:3]
	v_cmp_gt_i32_e32 vcc, s20, v1
	v_pk_mov_b32 v[22:23], v[14:15], v[14:15] op_sel:[0,1]
	s_and_saveexec_b64 s[2:3], vcc
	s_cbranch_execz .LBB3_7
; %bb.6:
	v_add_u32_e32 v2, s6, v1
	v_mov_b32_e32 v3, 0
	v_lshlrev_b64 v[2:3], 3, v[2:3]
	v_mov_b32_e32 v5, s13
	v_add_co_u32_e32 v4, vcc, s12, v2
	v_addc_co_u32_e32 v5, vcc, v5, v3, vcc
	v_mov_b32_e32 v6, s11
	v_add_co_u32_e32 v2, vcc, s10, v2
	v_addc_co_u32_e32 v3, vcc, v6, v3, vcc
	global_load_dwordx2 v[14:15], v[2:3], off
	global_load_dwordx2 v[22:23], v[4:5], off
	v_add_u32_e32 v1, 0x100, v1
.LBB3_7:
	s_or_b64 exec, exec, s[2:3]
	v_pk_mov_b32 v[12:13], 0, 0
	v_cmp_gt_i32_e32 vcc, s20, v1
	v_pk_mov_b32 v[18:19], v[12:13], v[12:13] op_sel:[0,1]
	v_pk_mov_b32 v[20:21], v[12:13], v[12:13] op_sel:[0,1]
	s_and_saveexec_b64 s[2:3], vcc
	s_cbranch_execz .LBB3_9
; %bb.8:
	v_add_u32_e32 v2, s6, v1
	v_mov_b32_e32 v3, 0
	v_lshlrev_b64 v[2:3], 3, v[2:3]
	v_mov_b32_e32 v5, s13
	v_add_co_u32_e32 v4, vcc, s12, v2
	v_addc_co_u32_e32 v5, vcc, v5, v3, vcc
	v_mov_b32_e32 v6, s11
	v_add_co_u32_e32 v2, vcc, s10, v2
	v_addc_co_u32_e32 v3, vcc, v6, v3, vcc
	global_load_dwordx2 v[18:19], v[2:3], off
	global_load_dwordx2 v[20:21], v[4:5], off
	v_add_u32_e32 v1, 0x100, v1
.LBB3_9:
	s_or_b64 exec, exec, s[2:3]
	v_cmp_gt_i32_e32 vcc, s20, v1
	v_pk_mov_b32 v[16:17], v[12:13], v[12:13] op_sel:[0,1]
	s_and_saveexec_b64 s[2:3], vcc
	s_cbranch_execz .LBB3_11
; %bb.10:
	v_add_u32_e32 v2, s6, v1
	v_mov_b32_e32 v3, 0
	v_lshlrev_b64 v[2:3], 3, v[2:3]
	v_mov_b32_e32 v1, s13
	v_add_co_u32_e32 v4, vcc, s12, v2
	v_addc_co_u32_e32 v5, vcc, v1, v3, vcc
	v_mov_b32_e32 v1, s11
	v_add_co_u32_e32 v2, vcc, s10, v2
	v_addc_co_u32_e32 v3, vcc, v1, v3, vcc
	global_load_dwordx2 v[12:13], v[2:3], off
	global_load_dwordx2 v[16:17], v[4:5], off
.LBB3_11:
	s_or_b64 exec, exec, s[2:3]
                                        ; implicit-def: $vgpr2_vgpr3_vgpr4_vgpr5_vgpr6_vgpr7_vgpr8_vgpr9
	s_and_saveexec_b64 s[2:3], s[0:1]
	s_cbranch_execz .LBB3_13
; %bb.12:
	s_waitcnt vmcnt(0)
	v_div_scale_f64 v[2:3], s[4:5], v[26:27], v[26:27], v[24:25]
	v_rcp_f64_e32 v[4:5], v[2:3]
	v_div_scale_f64 v[6:7], vcc, v[24:25], v[26:27], v[24:25]
	s_mov_b32 s4, 0
	v_fma_f64 v[8:9], -v[2:3], v[4:5], 1.0
	v_fmac_f64_e32 v[4:5], v[4:5], v[8:9]
	v_fma_f64 v[8:9], -v[2:3], v[4:5], 1.0
	v_fmac_f64_e32 v[4:5], v[4:5], v[8:9]
	v_mul_f64 v[8:9], v[6:7], v[4:5]
	v_fma_f64 v[2:3], -v[2:3], v[8:9], v[6:7]
	v_div_fmas_f64 v[2:3], v[2:3], v[4:5], v[8:9]
	v_div_fixup_f64 v[2:3], v[2:3], v[26:27], v[24:25]
	s_mov_b32 s5, 0x100000
	v_mov_b32_e32 v1, 0x100000
	v_cmp_ngt_f64_e32 vcc, s[4:5], v[2:3]
	s_mov_b32 s4, -2
	v_cndmask_b32_e32 v3, v1, v3, vcc
	v_cndmask_b32_e32 v2, 0, v2, vcc
	s_mov_b32 s5, 0x3fefffff
	v_mov_b32_e32 v1, 0x3fefffff
	v_cmp_nlt_f64_e32 vcc, s[4:5], v[2:3]
	v_cndmask_b32_e32 v3, v1, v3, vcc
	v_cndmask_b32_e32 v2, -2, v2, vcc
.LBB3_13:
	s_or_b64 exec, exec, s[2:3]
	v_or_b32_e32 v1, 0x100, v0
	v_cmp_gt_i32_e32 vcc, s20, v1
	s_and_saveexec_b64 s[2:3], vcc
	s_cbranch_execz .LBB3_15
; %bb.14:
	s_waitcnt vmcnt(0)
	v_div_scale_f64 v[4:5], s[4:5], v[22:23], v[22:23], v[14:15]
	v_rcp_f64_e32 v[24:25], v[4:5]
	v_div_scale_f64 v[26:27], vcc, v[14:15], v[22:23], v[14:15]
	s_mov_b32 s4, 0
	v_fma_f64 v[28:29], -v[4:5], v[24:25], 1.0
	v_fmac_f64_e32 v[24:25], v[24:25], v[28:29]
	v_fma_f64 v[28:29], -v[4:5], v[24:25], 1.0
	v_fmac_f64_e32 v[24:25], v[24:25], v[28:29]
	v_mul_f64 v[28:29], v[26:27], v[24:25]
	v_fma_f64 v[4:5], -v[4:5], v[28:29], v[26:27]
	v_div_fmas_f64 v[4:5], v[4:5], v[24:25], v[28:29]
	v_div_fixup_f64 v[4:5], v[4:5], v[22:23], v[14:15]
	s_mov_b32 s5, 0x100000
	v_mov_b32_e32 v11, 0x100000
	v_cmp_ngt_f64_e32 vcc, s[4:5], v[4:5]
	s_mov_b32 s4, -2
	v_cndmask_b32_e32 v5, v11, v5, vcc
	v_cndmask_b32_e32 v4, 0, v4, vcc
	s_mov_b32 s5, 0x3fefffff
	v_mov_b32_e32 v11, 0x3fefffff
	v_cmp_nlt_f64_e32 vcc, s[4:5], v[4:5]
	v_cndmask_b32_e32 v5, v11, v5, vcc
	v_cndmask_b32_e32 v4, -2, v4, vcc
.LBB3_15:
	s_or_b64 exec, exec, s[2:3]
	v_or_b32_e32 v11, 0x200, v0
	v_cmp_gt_i32_e32 vcc, s20, v11
	s_and_saveexec_b64 s[2:3], vcc
	;; [unrolled: 31-line block ×3, first 2 shown]
	s_cbranch_execnz .LBB3_24
; %bb.18:
	s_or_b64 exec, exec, s[2:3]
	s_and_saveexec_b64 s[2:3], s[0:1]
	s_xor_b64 s[0:1], exec, s[2:3]
	s_cbranch_execnz .LBB3_25
.LBB3_19:
	s_or_b64 exec, exec, s[0:1]
	v_cmp_gt_i32_e32 vcc, s20, v0
	s_and_saveexec_b64 s[0:1], vcc
	s_cbranch_execnz .LBB3_26
.LBB3_20:
	s_or_b64 exec, exec, s[0:1]
	v_cmp_gt_i32_e32 vcc, s20, v0
	s_and_saveexec_b64 s[0:1], vcc
	s_cbranch_execnz .LBB3_27
.LBB3_21:
	s_or_b64 exec, exec, s[0:1]
	v_cmp_gt_i32_e32 vcc, s20, v0
	s_and_saveexec_b64 s[0:1], vcc
	s_cbranch_execz .LBB3_23
.LBB3_22:
	v_add_u32_e32 v0, s6, v0
	v_mov_b32_e32 v1, 0
	v_lshlrev_b64 v[0:1], 3, v[0:1]
	v_mov_b32_e32 v2, s9
	v_add_co_u32_e32 v0, vcc, s8, v0
	v_addc_co_u32_e32 v1, vcc, v2, v1, vcc
	global_store_dwordx2 v[0:1], v[8:9], off
.LBB3_23:
	s_endpgm
.LBB3_24:
	s_waitcnt vmcnt(0)
	v_div_scale_f64 v[8:9], s[4:5], v[16:17], v[16:17], v[12:13]
	v_rcp_f64_e32 v[14:15], v[8:9]
	v_div_scale_f64 v[18:19], vcc, v[12:13], v[16:17], v[12:13]
	s_mov_b32 s4, 0
	v_fma_f64 v[20:21], -v[8:9], v[14:15], 1.0
	v_fmac_f64_e32 v[14:15], v[14:15], v[20:21]
	v_fma_f64 v[20:21], -v[8:9], v[14:15], 1.0
	v_fmac_f64_e32 v[14:15], v[14:15], v[20:21]
	v_mul_f64 v[20:21], v[18:19], v[14:15]
	v_fma_f64 v[8:9], -v[8:9], v[20:21], v[18:19]
	v_div_fmas_f64 v[8:9], v[8:9], v[14:15], v[20:21]
	v_div_fixup_f64 v[8:9], v[8:9], v[16:17], v[12:13]
	s_mov_b32 s5, 0x100000
	v_mov_b32_e32 v11, 0x100000
	v_cmp_ngt_f64_e32 vcc, s[4:5], v[8:9]
	s_mov_b32 s4, -2
	v_cndmask_b32_e32 v9, v11, v9, vcc
	v_cndmask_b32_e32 v8, 0, v8, vcc
	s_mov_b32 s5, 0x3fefffff
	v_mov_b32_e32 v11, 0x3fefffff
	v_cmp_nlt_f64_e32 vcc, s[4:5], v[8:9]
	v_cndmask_b32_e32 v9, v11, v9, vcc
	v_cndmask_b32_e32 v8, -2, v8, vcc
	s_or_b64 exec, exec, s[2:3]
	s_and_saveexec_b64 s[2:3], s[0:1]
	s_xor_b64 s[0:1], exec, s[2:3]
	s_cbranch_execz .LBB3_19
.LBB3_25:
	v_mov_b32_e32 v11, 0
	v_lshlrev_b64 v[10:11], 3, v[10:11]
	v_mov_b32_e32 v0, s9
	v_add_co_u32_e32 v10, vcc, s8, v10
	v_addc_co_u32_e32 v11, vcc, v0, v11, vcc
	v_mov_b32_e32 v0, v1
	global_store_dwordx2 v[10:11], v[2:3], off
	s_or_b64 exec, exec, s[0:1]
	v_cmp_gt_i32_e32 vcc, s20, v0
	s_and_saveexec_b64 s[0:1], vcc
	s_cbranch_execz .LBB3_20
.LBB3_26:
	v_add_u32_e32 v2, s6, v0
	v_mov_b32_e32 v3, 0
	v_lshlrev_b64 v[2:3], 3, v[2:3]
	v_mov_b32_e32 v1, s9
	v_add_co_u32_e32 v2, vcc, s8, v2
	v_addc_co_u32_e32 v3, vcc, v1, v3, vcc
	v_add_u32_e32 v0, 0x100, v0
	global_store_dwordx2 v[2:3], v[4:5], off
	s_or_b64 exec, exec, s[0:1]
	v_cmp_gt_i32_e32 vcc, s20, v0
	s_and_saveexec_b64 s[0:1], vcc
	s_cbranch_execz .LBB3_21
.LBB3_27:
	v_add_u32_e32 v2, s6, v0
	v_mov_b32_e32 v3, 0
	v_lshlrev_b64 v[2:3], 3, v[2:3]
	v_mov_b32_e32 v1, s9
	v_add_co_u32_e32 v2, vcc, s8, v2
	v_addc_co_u32_e32 v3, vcc, v1, v3, vcc
	v_add_u32_e32 v0, 0x100, v0
	global_store_dwordx2 v[2:3], v[6:7], off
	s_or_b64 exec, exec, s[0:1]
	v_cmp_gt_i32_e32 vcc, s20, v0
	s_and_saveexec_b64 s[0:1], vcc
	s_cbranch_execnz .LBB3_22
	s_branch .LBB3_23
	.section	.rodata,"a",@progbits
	.p2align	6, 0x0
	.amdhsa_kernel _ZN2at6native29vectorized_elementwise_kernelILi2EZZZNS0_23launch_dirichlet_kernelERNS_18TensorIteratorBaseEENKUlvE_clEvENKUlvE_clEvEUlddE_St5arrayIPcLm3EEEEviT0_T1_
		.amdhsa_group_segment_fixed_size 0
		.amdhsa_private_segment_fixed_size 0
		.amdhsa_kernarg_size 32
		.amdhsa_user_sgpr_count 6
		.amdhsa_user_sgpr_private_segment_buffer 1
		.amdhsa_user_sgpr_dispatch_ptr 0
		.amdhsa_user_sgpr_queue_ptr 0
		.amdhsa_user_sgpr_kernarg_segment_ptr 1
		.amdhsa_user_sgpr_dispatch_id 0
		.amdhsa_user_sgpr_flat_scratch_init 0
		.amdhsa_user_sgpr_kernarg_preload_length 0
		.amdhsa_user_sgpr_kernarg_preload_offset 0
		.amdhsa_user_sgpr_private_segment_size 0
		.amdhsa_uses_dynamic_stack 0
		.amdhsa_system_sgpr_private_segment_wavefront_offset 0
		.amdhsa_system_sgpr_workgroup_id_x 1
		.amdhsa_system_sgpr_workgroup_id_y 0
		.amdhsa_system_sgpr_workgroup_id_z 0
		.amdhsa_system_sgpr_workgroup_info 0
		.amdhsa_system_vgpr_workitem_id 0
		.amdhsa_next_free_vgpr 52
		.amdhsa_next_free_sgpr 21
		.amdhsa_accum_offset 52
		.amdhsa_reserve_vcc 1
		.amdhsa_reserve_flat_scratch 0
		.amdhsa_float_round_mode_32 0
		.amdhsa_float_round_mode_16_64 0
		.amdhsa_float_denorm_mode_32 3
		.amdhsa_float_denorm_mode_16_64 3
		.amdhsa_dx10_clamp 1
		.amdhsa_ieee_mode 1
		.amdhsa_fp16_overflow 0
		.amdhsa_tg_split 0
		.amdhsa_exception_fp_ieee_invalid_op 0
		.amdhsa_exception_fp_denorm_src 0
		.amdhsa_exception_fp_ieee_div_zero 0
		.amdhsa_exception_fp_ieee_overflow 0
		.amdhsa_exception_fp_ieee_underflow 0
		.amdhsa_exception_fp_ieee_inexact 0
		.amdhsa_exception_int_div_zero 0
	.end_amdhsa_kernel
	.section	.text._ZN2at6native29vectorized_elementwise_kernelILi2EZZZNS0_23launch_dirichlet_kernelERNS_18TensorIteratorBaseEENKUlvE_clEvENKUlvE_clEvEUlddE_St5arrayIPcLm3EEEEviT0_T1_,"axG",@progbits,_ZN2at6native29vectorized_elementwise_kernelILi2EZZZNS0_23launch_dirichlet_kernelERNS_18TensorIteratorBaseEENKUlvE_clEvENKUlvE_clEvEUlddE_St5arrayIPcLm3EEEEviT0_T1_,comdat
.Lfunc_end3:
	.size	_ZN2at6native29vectorized_elementwise_kernelILi2EZZZNS0_23launch_dirichlet_kernelERNS_18TensorIteratorBaseEENKUlvE_clEvENKUlvE_clEvEUlddE_St5arrayIPcLm3EEEEviT0_T1_, .Lfunc_end3-_ZN2at6native29vectorized_elementwise_kernelILi2EZZZNS0_23launch_dirichlet_kernelERNS_18TensorIteratorBaseEENKUlvE_clEvENKUlvE_clEvEUlddE_St5arrayIPcLm3EEEEviT0_T1_
                                        ; -- End function
	.section	.AMDGPU.csdata,"",@progbits
; Kernel info:
; codeLenInByte = 2036
; NumSgprs: 25
; NumVgprs: 52
; NumAgprs: 0
; TotalNumVgprs: 52
; ScratchSize: 0
; MemoryBound: 0
; FloatMode: 240
; IeeeMode: 1
; LDSByteSize: 0 bytes/workgroup (compile time only)
; SGPRBlocks: 3
; VGPRBlocks: 6
; NumSGPRsForWavesPerEU: 25
; NumVGPRsForWavesPerEU: 52
; AccumOffset: 52
; Occupancy: 8
; WaveLimiterHint : 1
; COMPUTE_PGM_RSRC2:SCRATCH_EN: 0
; COMPUTE_PGM_RSRC2:USER_SGPR: 6
; COMPUTE_PGM_RSRC2:TRAP_HANDLER: 0
; COMPUTE_PGM_RSRC2:TGID_X_EN: 1
; COMPUTE_PGM_RSRC2:TGID_Y_EN: 0
; COMPUTE_PGM_RSRC2:TGID_Z_EN: 0
; COMPUTE_PGM_RSRC2:TIDIG_COMP_CNT: 0
; COMPUTE_PGM_RSRC3_GFX90A:ACCUM_OFFSET: 12
; COMPUTE_PGM_RSRC3_GFX90A:TG_SPLIT: 0
	.section	.text._ZN2at6native27unrolled_elementwise_kernelIZZZNS0_23launch_dirichlet_kernelERNS_18TensorIteratorBaseEENKUlvE_clEvENKUlvE_clEvEUlddE_St5arrayIPcLm3EELi4E23TrivialOffsetCalculatorILi2EjESA_ILi1EjENS0_6memory15LoadWithoutCastENSD_16StoreWithoutCastEEEviT_T0_T2_T3_T4_T5_,"axG",@progbits,_ZN2at6native27unrolled_elementwise_kernelIZZZNS0_23launch_dirichlet_kernelERNS_18TensorIteratorBaseEENKUlvE_clEvENKUlvE_clEvEUlddE_St5arrayIPcLm3EELi4E23TrivialOffsetCalculatorILi2EjESA_ILi1EjENS0_6memory15LoadWithoutCastENSD_16StoreWithoutCastEEEviT_T0_T2_T3_T4_T5_,comdat
	.globl	_ZN2at6native27unrolled_elementwise_kernelIZZZNS0_23launch_dirichlet_kernelERNS_18TensorIteratorBaseEENKUlvE_clEvENKUlvE_clEvEUlddE_St5arrayIPcLm3EELi4E23TrivialOffsetCalculatorILi2EjESA_ILi1EjENS0_6memory15LoadWithoutCastENSD_16StoreWithoutCastEEEviT_T0_T2_T3_T4_T5_ ; -- Begin function _ZN2at6native27unrolled_elementwise_kernelIZZZNS0_23launch_dirichlet_kernelERNS_18TensorIteratorBaseEENKUlvE_clEvENKUlvE_clEvEUlddE_St5arrayIPcLm3EELi4E23TrivialOffsetCalculatorILi2EjESA_ILi1EjENS0_6memory15LoadWithoutCastENSD_16StoreWithoutCastEEEviT_T0_T2_T3_T4_T5_
	.p2align	8
	.type	_ZN2at6native27unrolled_elementwise_kernelIZZZNS0_23launch_dirichlet_kernelERNS_18TensorIteratorBaseEENKUlvE_clEvENKUlvE_clEvEUlddE_St5arrayIPcLm3EELi4E23TrivialOffsetCalculatorILi2EjESA_ILi1EjENS0_6memory15LoadWithoutCastENSD_16StoreWithoutCastEEEviT_T0_T2_T3_T4_T5_,@function
_ZN2at6native27unrolled_elementwise_kernelIZZZNS0_23launch_dirichlet_kernelERNS_18TensorIteratorBaseEENKUlvE_clEvENKUlvE_clEvEUlddE_St5arrayIPcLm3EELi4E23TrivialOffsetCalculatorILi2EjESA_ILi1EjENS0_6memory15LoadWithoutCastENSD_16StoreWithoutCastEEEviT_T0_T2_T3_T4_T5_: ; @_ZN2at6native27unrolled_elementwise_kernelIZZZNS0_23launch_dirichlet_kernelERNS_18TensorIteratorBaseEENKUlvE_clEvENKUlvE_clEvEUlddE_St5arrayIPcLm3EELi4E23TrivialOffsetCalculatorILi2EjESA_ILi1EjENS0_6memory15LoadWithoutCastENSD_16StoreWithoutCastEEEviT_T0_T2_T3_T4_T5_
; %bb.0:
	s_load_dword s0, s[4:5], 0x0
	s_load_dwordx4 s[8:11], s[4:5], 0x8
	s_load_dwordx2 s[2:3], s[4:5], 0x18
	s_lshl_b32 s6, s6, 10
	v_pk_mov_b32 v[14:15], 0, 0
	s_waitcnt lgkmcnt(0)
	s_sub_i32 s7, s0, s6
	v_cmp_gt_i32_e64 s[0:1], s7, v0
	v_or_b32_e32 v10, s6, v0
	v_pk_mov_b32 v[24:25], v[14:15], v[14:15] op_sel:[0,1]
	v_pk_mov_b32 v[26:27], v[14:15], v[14:15] op_sel:[0,1]
	v_mov_b32_e32 v1, v0
	s_and_saveexec_b64 s[4:5], s[0:1]
	s_cbranch_execz .LBB4_2
; %bb.1:
	v_mov_b32_e32 v11, 0
	v_lshlrev_b64 v[2:3], 3, v[10:11]
	v_mov_b32_e32 v1, s11
	v_add_co_u32_e32 v4, vcc, s10, v2
	v_addc_co_u32_e32 v5, vcc, v1, v3, vcc
	v_mov_b32_e32 v1, s3
	v_add_co_u32_e32 v2, vcc, s2, v2
	v_addc_co_u32_e32 v3, vcc, v1, v3, vcc
	global_load_dwordx2 v[24:25], v[4:5], off
	global_load_dwordx2 v[26:27], v[2:3], off
	v_or_b32_e32 v1, 0x100, v0
.LBB4_2:
	s_or_b64 exec, exec, s[4:5]
	v_cmp_gt_i32_e32 vcc, s7, v1
	v_pk_mov_b32 v[22:23], v[14:15], v[14:15] op_sel:[0,1]
	s_and_saveexec_b64 s[4:5], vcc
	s_cbranch_execz .LBB4_4
; %bb.3:
	v_add_u32_e32 v2, s6, v1
	v_mov_b32_e32 v3, 0
	v_lshlrev_b64 v[2:3], 3, v[2:3]
	v_mov_b32_e32 v5, s11
	v_add_co_u32_e32 v4, vcc, s10, v2
	v_addc_co_u32_e32 v5, vcc, v5, v3, vcc
	v_mov_b32_e32 v6, s3
	v_add_co_u32_e32 v2, vcc, s2, v2
	v_addc_co_u32_e32 v3, vcc, v6, v3, vcc
	global_load_dwordx2 v[14:15], v[4:5], off
	global_load_dwordx2 v[22:23], v[2:3], off
	v_add_u32_e32 v1, 0x100, v1
.LBB4_4:
	s_or_b64 exec, exec, s[4:5]
	v_pk_mov_b32 v[12:13], 0, 0
	v_cmp_gt_i32_e32 vcc, s7, v1
	v_pk_mov_b32 v[18:19], v[12:13], v[12:13] op_sel:[0,1]
	v_pk_mov_b32 v[20:21], v[12:13], v[12:13] op_sel:[0,1]
	s_and_saveexec_b64 s[4:5], vcc
	s_cbranch_execz .LBB4_6
; %bb.5:
	v_add_u32_e32 v2, s6, v1
	v_mov_b32_e32 v3, 0
	v_lshlrev_b64 v[2:3], 3, v[2:3]
	v_mov_b32_e32 v5, s11
	v_add_co_u32_e32 v4, vcc, s10, v2
	v_addc_co_u32_e32 v5, vcc, v5, v3, vcc
	v_mov_b32_e32 v6, s3
	v_add_co_u32_e32 v2, vcc, s2, v2
	v_addc_co_u32_e32 v3, vcc, v6, v3, vcc
	global_load_dwordx2 v[18:19], v[4:5], off
	global_load_dwordx2 v[20:21], v[2:3], off
	v_add_u32_e32 v1, 0x100, v1
.LBB4_6:
	s_or_b64 exec, exec, s[4:5]
	v_cmp_gt_i32_e32 vcc, s7, v1
	v_pk_mov_b32 v[16:17], v[12:13], v[12:13] op_sel:[0,1]
	s_and_saveexec_b64 s[4:5], vcc
	s_cbranch_execz .LBB4_8
; %bb.7:
	v_add_u32_e32 v2, s6, v1
	v_mov_b32_e32 v3, 0
	v_lshlrev_b64 v[2:3], 3, v[2:3]
	v_mov_b32_e32 v1, s11
	v_add_co_u32_e32 v4, vcc, s10, v2
	v_addc_co_u32_e32 v5, vcc, v1, v3, vcc
	v_mov_b32_e32 v1, s3
	v_add_co_u32_e32 v2, vcc, s2, v2
	v_addc_co_u32_e32 v3, vcc, v1, v3, vcc
	global_load_dwordx2 v[12:13], v[4:5], off
	global_load_dwordx2 v[16:17], v[2:3], off
.LBB4_8:
	s_or_b64 exec, exec, s[4:5]
                                        ; implicit-def: $vgpr2_vgpr3_vgpr4_vgpr5_vgpr6_vgpr7_vgpr8_vgpr9
	s_and_saveexec_b64 s[2:3], s[0:1]
	s_cbranch_execz .LBB4_10
; %bb.9:
	s_waitcnt vmcnt(0)
	v_div_scale_f64 v[2:3], s[4:5], v[26:27], v[26:27], v[24:25]
	v_rcp_f64_e32 v[4:5], v[2:3]
	v_div_scale_f64 v[6:7], vcc, v[24:25], v[26:27], v[24:25]
	s_mov_b32 s4, 0
	v_fma_f64 v[8:9], -v[2:3], v[4:5], 1.0
	v_fmac_f64_e32 v[4:5], v[4:5], v[8:9]
	v_fma_f64 v[8:9], -v[2:3], v[4:5], 1.0
	v_fmac_f64_e32 v[4:5], v[4:5], v[8:9]
	v_mul_f64 v[8:9], v[6:7], v[4:5]
	v_fma_f64 v[2:3], -v[2:3], v[8:9], v[6:7]
	v_div_fmas_f64 v[2:3], v[2:3], v[4:5], v[8:9]
	v_div_fixup_f64 v[2:3], v[2:3], v[26:27], v[24:25]
	s_mov_b32 s5, 0x100000
	v_mov_b32_e32 v1, 0x100000
	v_cmp_ngt_f64_e32 vcc, s[4:5], v[2:3]
	s_mov_b32 s4, -2
	v_cndmask_b32_e32 v3, v1, v3, vcc
	v_cndmask_b32_e32 v2, 0, v2, vcc
	s_mov_b32 s5, 0x3fefffff
	v_mov_b32_e32 v1, 0x3fefffff
	v_cmp_nlt_f64_e32 vcc, s[4:5], v[2:3]
	v_cndmask_b32_e32 v3, v1, v3, vcc
	v_cndmask_b32_e32 v2, -2, v2, vcc
.LBB4_10:
	s_or_b64 exec, exec, s[2:3]
	v_or_b32_e32 v1, 0x100, v0
	v_cmp_gt_i32_e32 vcc, s7, v1
	s_and_saveexec_b64 s[2:3], vcc
	s_cbranch_execz .LBB4_12
; %bb.11:
	s_waitcnt vmcnt(0)
	v_div_scale_f64 v[4:5], s[4:5], v[22:23], v[22:23], v[14:15]
	v_rcp_f64_e32 v[24:25], v[4:5]
	v_div_scale_f64 v[26:27], vcc, v[14:15], v[22:23], v[14:15]
	s_mov_b32 s4, 0
	v_fma_f64 v[28:29], -v[4:5], v[24:25], 1.0
	v_fmac_f64_e32 v[24:25], v[24:25], v[28:29]
	v_fma_f64 v[28:29], -v[4:5], v[24:25], 1.0
	v_fmac_f64_e32 v[24:25], v[24:25], v[28:29]
	v_mul_f64 v[28:29], v[26:27], v[24:25]
	v_fma_f64 v[4:5], -v[4:5], v[28:29], v[26:27]
	v_div_fmas_f64 v[4:5], v[4:5], v[24:25], v[28:29]
	v_div_fixup_f64 v[4:5], v[4:5], v[22:23], v[14:15]
	s_mov_b32 s5, 0x100000
	v_mov_b32_e32 v11, 0x100000
	v_cmp_ngt_f64_e32 vcc, s[4:5], v[4:5]
	s_mov_b32 s4, -2
	v_cndmask_b32_e32 v5, v11, v5, vcc
	v_cndmask_b32_e32 v4, 0, v4, vcc
	s_mov_b32 s5, 0x3fefffff
	v_mov_b32_e32 v11, 0x3fefffff
	v_cmp_nlt_f64_e32 vcc, s[4:5], v[4:5]
	v_cndmask_b32_e32 v5, v11, v5, vcc
	v_cndmask_b32_e32 v4, -2, v4, vcc
.LBB4_12:
	s_or_b64 exec, exec, s[2:3]
	v_or_b32_e32 v11, 0x200, v0
	v_cmp_gt_i32_e32 vcc, s7, v11
	s_and_saveexec_b64 s[2:3], vcc
	;; [unrolled: 31-line block ×3, first 2 shown]
	s_cbranch_execnz .LBB4_20
; %bb.15:
	s_or_b64 exec, exec, s[2:3]
	s_and_saveexec_b64 s[2:3], s[0:1]
	s_xor_b64 s[0:1], exec, s[2:3]
	s_cbranch_execnz .LBB4_21
.LBB4_16:
	s_or_b64 exec, exec, s[0:1]
	v_cmp_gt_i32_e32 vcc, s7, v0
	s_and_saveexec_b64 s[0:1], vcc
	s_cbranch_execnz .LBB4_22
.LBB4_17:
	s_or_b64 exec, exec, s[0:1]
	v_cmp_gt_i32_e32 vcc, s7, v0
	s_and_saveexec_b64 s[0:1], vcc
	s_cbranch_execnz .LBB4_23
.LBB4_18:
	s_or_b64 exec, exec, s[0:1]
	v_cmp_gt_i32_e32 vcc, s7, v0
	s_and_saveexec_b64 s[0:1], vcc
	s_cbranch_execnz .LBB4_24
.LBB4_19:
	s_endpgm
.LBB4_20:
	s_waitcnt vmcnt(0)
	v_div_scale_f64 v[8:9], s[4:5], v[16:17], v[16:17], v[12:13]
	v_rcp_f64_e32 v[14:15], v[8:9]
	v_div_scale_f64 v[18:19], vcc, v[12:13], v[16:17], v[12:13]
	s_mov_b32 s4, 0
	v_fma_f64 v[20:21], -v[8:9], v[14:15], 1.0
	v_fmac_f64_e32 v[14:15], v[14:15], v[20:21]
	v_fma_f64 v[20:21], -v[8:9], v[14:15], 1.0
	v_fmac_f64_e32 v[14:15], v[14:15], v[20:21]
	v_mul_f64 v[20:21], v[18:19], v[14:15]
	v_fma_f64 v[8:9], -v[8:9], v[20:21], v[18:19]
	v_div_fmas_f64 v[8:9], v[8:9], v[14:15], v[20:21]
	v_div_fixup_f64 v[8:9], v[8:9], v[16:17], v[12:13]
	s_mov_b32 s5, 0x100000
	v_mov_b32_e32 v11, 0x100000
	v_cmp_ngt_f64_e32 vcc, s[4:5], v[8:9]
	s_mov_b32 s4, -2
	v_cndmask_b32_e32 v9, v11, v9, vcc
	v_cndmask_b32_e32 v8, 0, v8, vcc
	s_mov_b32 s5, 0x3fefffff
	v_mov_b32_e32 v11, 0x3fefffff
	v_cmp_nlt_f64_e32 vcc, s[4:5], v[8:9]
	v_cndmask_b32_e32 v9, v11, v9, vcc
	v_cndmask_b32_e32 v8, -2, v8, vcc
	s_or_b64 exec, exec, s[2:3]
	s_and_saveexec_b64 s[2:3], s[0:1]
	s_xor_b64 s[0:1], exec, s[2:3]
	s_cbranch_execz .LBB4_16
.LBB4_21:
	v_mov_b32_e32 v11, 0
	v_lshlrev_b64 v[10:11], 3, v[10:11]
	v_mov_b32_e32 v0, s9
	v_add_co_u32_e32 v10, vcc, s8, v10
	v_addc_co_u32_e32 v11, vcc, v0, v11, vcc
	v_mov_b32_e32 v0, v1
	global_store_dwordx2 v[10:11], v[2:3], off
	s_or_b64 exec, exec, s[0:1]
	v_cmp_gt_i32_e32 vcc, s7, v0
	s_and_saveexec_b64 s[0:1], vcc
	s_cbranch_execz .LBB4_17
.LBB4_22:
	v_add_u32_e32 v2, 0x100, v0
	v_add_u32_e32 v0, s6, v0
	v_mov_b32_e32 v1, 0
	v_lshlrev_b64 v[0:1], 3, v[0:1]
	v_mov_b32_e32 v3, s9
	v_add_co_u32_e32 v0, vcc, s8, v0
	v_addc_co_u32_e32 v1, vcc, v3, v1, vcc
	global_store_dwordx2 v[0:1], v[4:5], off
	v_mov_b32_e32 v0, v2
	s_or_b64 exec, exec, s[0:1]
	v_cmp_gt_i32_e32 vcc, s7, v0
	s_and_saveexec_b64 s[0:1], vcc
	s_cbranch_execz .LBB4_18
.LBB4_23:
	v_add_u32_e32 v2, 0x100, v0
	v_add_u32_e32 v0, s6, v0
	v_mov_b32_e32 v1, 0
	v_lshlrev_b64 v[0:1], 3, v[0:1]
	v_mov_b32_e32 v3, s9
	v_add_co_u32_e32 v0, vcc, s8, v0
	v_addc_co_u32_e32 v1, vcc, v3, v1, vcc
	global_store_dwordx2 v[0:1], v[6:7], off
	v_mov_b32_e32 v0, v2
	s_or_b64 exec, exec, s[0:1]
	v_cmp_gt_i32_e32 vcc, s7, v0
	s_and_saveexec_b64 s[0:1], vcc
	s_cbranch_execz .LBB4_19
.LBB4_24:
	v_add_u32_e32 v0, s6, v0
	v_mov_b32_e32 v1, 0
	v_lshlrev_b64 v[0:1], 3, v[0:1]
	v_mov_b32_e32 v2, s9
	v_add_co_u32_e32 v0, vcc, s8, v0
	v_addc_co_u32_e32 v1, vcc, v2, v1, vcc
	global_store_dwordx2 v[0:1], v[8:9], off
	s_endpgm
	.section	.rodata,"a",@progbits
	.p2align	6, 0x0
	.amdhsa_kernel _ZN2at6native27unrolled_elementwise_kernelIZZZNS0_23launch_dirichlet_kernelERNS_18TensorIteratorBaseEENKUlvE_clEvENKUlvE_clEvEUlddE_St5arrayIPcLm3EELi4E23TrivialOffsetCalculatorILi2EjESA_ILi1EjENS0_6memory15LoadWithoutCastENSD_16StoreWithoutCastEEEviT_T0_T2_T3_T4_T5_
		.amdhsa_group_segment_fixed_size 0
		.amdhsa_private_segment_fixed_size 0
		.amdhsa_kernarg_size 36
		.amdhsa_user_sgpr_count 6
		.amdhsa_user_sgpr_private_segment_buffer 1
		.amdhsa_user_sgpr_dispatch_ptr 0
		.amdhsa_user_sgpr_queue_ptr 0
		.amdhsa_user_sgpr_kernarg_segment_ptr 1
		.amdhsa_user_sgpr_dispatch_id 0
		.amdhsa_user_sgpr_flat_scratch_init 0
		.amdhsa_user_sgpr_kernarg_preload_length 0
		.amdhsa_user_sgpr_kernarg_preload_offset 0
		.amdhsa_user_sgpr_private_segment_size 0
		.amdhsa_uses_dynamic_stack 0
		.amdhsa_system_sgpr_private_segment_wavefront_offset 0
		.amdhsa_system_sgpr_workgroup_id_x 1
		.amdhsa_system_sgpr_workgroup_id_y 0
		.amdhsa_system_sgpr_workgroup_id_z 0
		.amdhsa_system_sgpr_workgroup_info 0
		.amdhsa_system_vgpr_workitem_id 0
		.amdhsa_next_free_vgpr 30
		.amdhsa_next_free_sgpr 12
		.amdhsa_accum_offset 32
		.amdhsa_reserve_vcc 1
		.amdhsa_reserve_flat_scratch 0
		.amdhsa_float_round_mode_32 0
		.amdhsa_float_round_mode_16_64 0
		.amdhsa_float_denorm_mode_32 3
		.amdhsa_float_denorm_mode_16_64 3
		.amdhsa_dx10_clamp 1
		.amdhsa_ieee_mode 1
		.amdhsa_fp16_overflow 0
		.amdhsa_tg_split 0
		.amdhsa_exception_fp_ieee_invalid_op 0
		.amdhsa_exception_fp_denorm_src 0
		.amdhsa_exception_fp_ieee_div_zero 0
		.amdhsa_exception_fp_ieee_overflow 0
		.amdhsa_exception_fp_ieee_underflow 0
		.amdhsa_exception_fp_ieee_inexact 0
		.amdhsa_exception_int_div_zero 0
	.end_amdhsa_kernel
	.section	.text._ZN2at6native27unrolled_elementwise_kernelIZZZNS0_23launch_dirichlet_kernelERNS_18TensorIteratorBaseEENKUlvE_clEvENKUlvE_clEvEUlddE_St5arrayIPcLm3EELi4E23TrivialOffsetCalculatorILi2EjESA_ILi1EjENS0_6memory15LoadWithoutCastENSD_16StoreWithoutCastEEEviT_T0_T2_T3_T4_T5_,"axG",@progbits,_ZN2at6native27unrolled_elementwise_kernelIZZZNS0_23launch_dirichlet_kernelERNS_18TensorIteratorBaseEENKUlvE_clEvENKUlvE_clEvEUlddE_St5arrayIPcLm3EELi4E23TrivialOffsetCalculatorILi2EjESA_ILi1EjENS0_6memory15LoadWithoutCastENSD_16StoreWithoutCastEEEviT_T0_T2_T3_T4_T5_,comdat
.Lfunc_end4:
	.size	_ZN2at6native27unrolled_elementwise_kernelIZZZNS0_23launch_dirichlet_kernelERNS_18TensorIteratorBaseEENKUlvE_clEvENKUlvE_clEvEUlddE_St5arrayIPcLm3EELi4E23TrivialOffsetCalculatorILi2EjESA_ILi1EjENS0_6memory15LoadWithoutCastENSD_16StoreWithoutCastEEEviT_T0_T2_T3_T4_T5_, .Lfunc_end4-_ZN2at6native27unrolled_elementwise_kernelIZZZNS0_23launch_dirichlet_kernelERNS_18TensorIteratorBaseEENKUlvE_clEvENKUlvE_clEvEUlddE_St5arrayIPcLm3EELi4E23TrivialOffsetCalculatorILi2EjESA_ILi1EjENS0_6memory15LoadWithoutCastENSD_16StoreWithoutCastEEEviT_T0_T2_T3_T4_T5_
                                        ; -- End function
	.section	.AMDGPU.csdata,"",@progbits
; Kernel info:
; codeLenInByte = 1380
; NumSgprs: 16
; NumVgprs: 30
; NumAgprs: 0
; TotalNumVgprs: 30
; ScratchSize: 0
; MemoryBound: 0
; FloatMode: 240
; IeeeMode: 1
; LDSByteSize: 0 bytes/workgroup (compile time only)
; SGPRBlocks: 1
; VGPRBlocks: 3
; NumSGPRsForWavesPerEU: 16
; NumVGPRsForWavesPerEU: 30
; AccumOffset: 32
; Occupancy: 8
; WaveLimiterHint : 0
; COMPUTE_PGM_RSRC2:SCRATCH_EN: 0
; COMPUTE_PGM_RSRC2:USER_SGPR: 6
; COMPUTE_PGM_RSRC2:TRAP_HANDLER: 0
; COMPUTE_PGM_RSRC2:TGID_X_EN: 1
; COMPUTE_PGM_RSRC2:TGID_Y_EN: 0
; COMPUTE_PGM_RSRC2:TGID_Z_EN: 0
; COMPUTE_PGM_RSRC2:TIDIG_COMP_CNT: 0
; COMPUTE_PGM_RSRC3_GFX90A:ACCUM_OFFSET: 7
; COMPUTE_PGM_RSRC3_GFX90A:TG_SPLIT: 0
	.section	.text._ZN2at6native32elementwise_kernel_manual_unrollILi128ELi4EZNS0_22gpu_kernel_impl_nocastIZZZNS0_23launch_dirichlet_kernelERNS_18TensorIteratorBaseEENKUlvE_clEvENKUlvE_clEvEUlddE_EEvS4_RKT_EUlibE_EEviT1_,"axG",@progbits,_ZN2at6native32elementwise_kernel_manual_unrollILi128ELi4EZNS0_22gpu_kernel_impl_nocastIZZZNS0_23launch_dirichlet_kernelERNS_18TensorIteratorBaseEENKUlvE_clEvENKUlvE_clEvEUlddE_EEvS4_RKT_EUlibE_EEviT1_,comdat
	.globl	_ZN2at6native32elementwise_kernel_manual_unrollILi128ELi4EZNS0_22gpu_kernel_impl_nocastIZZZNS0_23launch_dirichlet_kernelERNS_18TensorIteratorBaseEENKUlvE_clEvENKUlvE_clEvEUlddE_EEvS4_RKT_EUlibE_EEviT1_ ; -- Begin function _ZN2at6native32elementwise_kernel_manual_unrollILi128ELi4EZNS0_22gpu_kernel_impl_nocastIZZZNS0_23launch_dirichlet_kernelERNS_18TensorIteratorBaseEENKUlvE_clEvENKUlvE_clEvEUlddE_EEvS4_RKT_EUlibE_EEviT1_
	.p2align	8
	.type	_ZN2at6native32elementwise_kernel_manual_unrollILi128ELi4EZNS0_22gpu_kernel_impl_nocastIZZZNS0_23launch_dirichlet_kernelERNS_18TensorIteratorBaseEENKUlvE_clEvENKUlvE_clEvEUlddE_EEvS4_RKT_EUlibE_EEviT1_,@function
_ZN2at6native32elementwise_kernel_manual_unrollILi128ELi4EZNS0_22gpu_kernel_impl_nocastIZZZNS0_23launch_dirichlet_kernelERNS_18TensorIteratorBaseEENKUlvE_clEvENKUlvE_clEvEUlddE_EEvS4_RKT_EUlibE_EEviT1_: ; @_ZN2at6native32elementwise_kernel_manual_unrollILi128ELi4EZNS0_22gpu_kernel_impl_nocastIZZZNS0_23launch_dirichlet_kernelERNS_18TensorIteratorBaseEENKUlvE_clEvENKUlvE_clEvEUlddE_EEvS4_RKT_EUlibE_EEviT1_
; %bb.0:
	s_load_dword s36, s[4:5], 0x0
	s_load_dword s33, s[4:5], 0x8
	s_or_b32 s4, s4, 8
	v_lshl_or_b32 v12, s6, 9, v0
	v_or_b32_e32 v24, 0x180, v12
	s_waitcnt lgkmcnt(0)
	v_cmp_le_i32_e32 vcc, s36, v24
	s_add_i32 s34, s33, -1
	s_cmp_gt_u32 s34, 1
	s_cselect_b64 s[6:7], -1, 0
	s_and_saveexec_b64 s[0:1], vcc
	s_xor_b64 s[16:17], exec, s[0:1]
	s_cbranch_execz .LBB5_50
; %bb.1:
	s_load_dwordx4 s[12:15], s[4:5], 0x4
	s_load_dwordx2 s[22:23], s[4:5], 0x14
	s_load_dwordx4 s[8:11], s[4:5], 0xc4
	s_load_dwordx2 s[20:21], s[4:5], 0xd4
	s_load_dwordx2 s[18:19], s[4:5], 0x198
	s_load_dwordx4 s[0:3], s[4:5], 0x188
	s_cmp_lg_u32 s33, 0
	s_cselect_b64 s[26:27], -1, 0
	s_min_u32 s35, s34, 15
	s_cmp_gt_u32 s33, 1
	s_cselect_b64 s[24:25], -1, 0
	v_cmp_gt_i32_e32 vcc, s36, v12
	s_and_saveexec_b64 s[28:29], vcc
	s_cbranch_execnz .LBB5_5
; %bb.2:
	s_or_b64 exec, exec, s[28:29]
	v_cmp_gt_i32_e32 vcc, s36, v12
	s_and_saveexec_b64 s[28:29], vcc
	s_cbranch_execnz .LBB5_16
.LBB5_3:
	s_or_b64 exec, exec, s[28:29]
	v_cmp_gt_i32_e32 vcc, s36, v12
	s_and_saveexec_b64 s[28:29], vcc
	s_cbranch_execnz .LBB5_27
.LBB5_4:
	s_or_b64 exec, exec, s[28:29]
	v_cmp_gt_i32_e32 vcc, s36, v12
	s_and_saveexec_b64 s[28:29], vcc
	s_cbranch_execnz .LBB5_38
	s_branch .LBB5_49
.LBB5_5:
	s_andn2_b64 vcc, exec, s[6:7]
	s_cbranch_vccnz .LBB5_12
; %bb.6:
	s_andn2_b64 vcc, exec, s[26:27]
	v_mov_b32_e32 v2, 0
	v_mov_b32_e32 v4, 0
	;; [unrolled: 1-line block ×3, first 2 shown]
	s_cbranch_vccnz .LBB5_11
; %bb.7:
	s_add_i32 s30, s35, 1
	s_and_b32 s37, s30, 30
	s_add_u32 s30, s4, 0xffffffec
	s_addc_u32 s31, s5, -1
	v_mov_b32_e32 v0, 0
	v_mov_b32_e32 v1, v12
	;; [unrolled: 1-line block ×4, first 2 shown]
.LBB5_8:                                ; =>This Inner Loop Header: Depth=1
	s_mov_b64 s[38:39], s[30:31]
	s_load_dwordx4 s[40:43], s[38:39], 0x18
	s_load_dwordx2 s[48:49], s[38:39], 0x28
	s_load_dwordx2 s[50:51], s[38:39], 0xe8
	s_load_dwordx4 s[44:47], s[38:39], 0xd8
	s_add_u32 s30, s38, 24
	s_waitcnt lgkmcnt(0)
	v_mul_hi_u32 v3, s41, v1
	v_add_u32_e32 v3, v1, v3
	v_lshrrev_b32_e32 v3, s42, v3
	v_mul_lo_u32 v5, v3, s40
	v_mul_hi_u32 v6, s48, v3
	v_sub_u32_e32 v1, v1, v5
	v_add_u32_e32 v5, v3, v6
	v_mul_lo_u32 v6, v1, s44
	v_mul_lo_u32 v7, v1, s45
	;; [unrolled: 1-line block ×3, first 2 shown]
	v_lshrrev_b32_e32 v1, s49, v5
	v_mul_lo_u32 v5, v1, s43
	v_sub_u32_e32 v3, v3, v5
	s_addc_u32 s31, s39, 0
	s_add_i32 s37, s37, -2
	v_mul_lo_u32 v5, v3, s47
	v_mul_lo_u32 v9, v3, s50
	;; [unrolled: 1-line block ×3, first 2 shown]
	s_cmp_lg_u32 s37, 0
	v_add3_u32 v0, v6, v0, v5
	v_add3_u32 v2, v8, v2, v3
	;; [unrolled: 1-line block ×3, first 2 shown]
	s_cbranch_scc1 .LBB5_8
; %bb.9:
	s_bitcmp1_b32 s35, 0
	s_cselect_b64 s[38:39], -1, 0
	s_and_b64 vcc, exec, s[38:39]
	s_cbranch_vccnz .LBB5_11
; %bb.10:
	s_load_dwordx2 s[38:39], s[30:31], 0x18
	s_load_dword s37, s[30:31], 0x20
	s_load_dword s42, s[30:31], 0xe0
	s_load_dwordx2 s[40:41], s[30:31], 0xd8
	s_waitcnt lgkmcnt(0)
	v_mul_hi_u32 v3, s39, v1
	v_add_u32_e32 v3, v1, v3
	v_lshrrev_b32_e32 v3, s37, v3
	v_mul_lo_u32 v3, v3, s38
	v_sub_u32_e32 v3, v1, v3
	v_mad_u64_u32 v[0:1], s[30:31], v3, s40, v[0:1]
	v_mad_u64_u32 v[4:5], s[30:31], v3, s41, v[4:5]
	;; [unrolled: 1-line block ×3, first 2 shown]
.LBB5_11:
	s_cbranch_execz .LBB5_13
	s_branch .LBB5_15
.LBB5_12:
                                        ; implicit-def: $vgpr2
                                        ; implicit-def: $vgpr4
                                        ; implicit-def: $vgpr0
.LBB5_13:
	s_waitcnt lgkmcnt(0)
	v_mul_hi_u32 v0, s13, v12
	v_add_u32_e32 v0, v12, v0
	v_lshrrev_b32_e32 v1, s14, v0
	v_mul_lo_u32 v0, v1, s12
	v_sub_u32_e32 v3, v12, v0
	v_mul_lo_u32 v0, v3, s8
	v_mul_lo_u32 v2, v3, s10
	s_andn2_b64 vcc, exec, s[24:25]
	v_mul_lo_u32 v4, v3, s9
	s_cbranch_vccnz .LBB5_15
; %bb.14:
	v_mul_hi_u32 v3, s22, v1
	v_add_u32_e32 v3, v1, v3
	v_lshrrev_b32_e32 v3, s23, v3
	v_mul_lo_u32 v3, v3, s15
	v_sub_u32_e32 v3, v1, v3
	v_mad_u64_u32 v[0:1], s[30:31], v3, s11, v[0:1]
	v_mad_u64_u32 v[4:5], s[30:31], v3, s20, v[4:5]
	;; [unrolled: 1-line block ×3, first 2 shown]
.LBB5_15:
	s_waitcnt lgkmcnt(0)
	global_load_dwordx2 v[6:7], v4, s[2:3]
	global_load_dwordx2 v[8:9], v2, s[18:19]
	s_mov_b32 s30, 0
	s_mov_b32 s31, 0x100000
	v_mov_b32_e32 v1, 0x100000
	s_mov_b32 s38, -2
	s_mov_b32 s39, 0x3fefffff
	v_mov_b32_e32 v13, 0x3fefffff
	v_add_u32_e32 v12, 0x80, v12
	s_waitcnt vmcnt(0)
	v_div_scale_f64 v[2:3], s[40:41], v[8:9], v[8:9], v[6:7]
	v_rcp_f64_e32 v[4:5], v[2:3]
	v_div_scale_f64 v[10:11], vcc, v[6:7], v[8:9], v[6:7]
	v_fma_f64 v[14:15], -v[2:3], v[4:5], 1.0
	v_fmac_f64_e32 v[4:5], v[4:5], v[14:15]
	v_fma_f64 v[14:15], -v[2:3], v[4:5], 1.0
	v_fmac_f64_e32 v[4:5], v[4:5], v[14:15]
	v_mul_f64 v[14:15], v[10:11], v[4:5]
	v_fma_f64 v[2:3], -v[2:3], v[14:15], v[10:11]
	v_div_fmas_f64 v[2:3], v[2:3], v[4:5], v[14:15]
	v_div_fixup_f64 v[2:3], v[2:3], v[8:9], v[6:7]
	v_cmp_ngt_f64_e32 vcc, s[30:31], v[2:3]
	v_cndmask_b32_e32 v3, v1, v3, vcc
	v_cndmask_b32_e32 v2, 0, v2, vcc
	v_cmp_nlt_f64_e32 vcc, s[38:39], v[2:3]
	v_cndmask_b32_e32 v3, v13, v3, vcc
	v_cndmask_b32_e32 v2, -2, v2, vcc
	global_store_dwordx2 v0, v[2:3], s[0:1]
	s_or_b64 exec, exec, s[28:29]
	v_cmp_gt_i32_e32 vcc, s36, v12
	s_and_saveexec_b64 s[28:29], vcc
	s_cbranch_execz .LBB5_3
.LBB5_16:
	s_andn2_b64 vcc, exec, s[6:7]
	s_cbranch_vccnz .LBB5_23
; %bb.17:
	s_andn2_b64 vcc, exec, s[26:27]
	v_mov_b32_e32 v2, 0
	v_mov_b32_e32 v4, 0
	;; [unrolled: 1-line block ×3, first 2 shown]
	s_cbranch_vccnz .LBB5_22
; %bb.18:
	s_add_i32 s30, s35, 1
	s_and_b32 s37, s30, 30
	s_add_u32 s30, s4, 0xffffffec
	s_addc_u32 s31, s5, -1
	v_mov_b32_e32 v0, 0
	v_mov_b32_e32 v1, v12
	;; [unrolled: 1-line block ×4, first 2 shown]
.LBB5_19:                               ; =>This Inner Loop Header: Depth=1
	s_mov_b64 s[38:39], s[30:31]
	s_load_dwordx4 s[40:43], s[38:39], 0x18
	s_load_dwordx2 s[48:49], s[38:39], 0x28
	s_load_dwordx2 s[50:51], s[38:39], 0xe8
	s_load_dwordx4 s[44:47], s[38:39], 0xd8
	s_add_u32 s30, s38, 24
	s_waitcnt lgkmcnt(0)
	v_mul_hi_u32 v3, s41, v1
	v_add_u32_e32 v3, v1, v3
	v_lshrrev_b32_e32 v3, s42, v3
	v_mul_lo_u32 v5, v3, s40
	v_mul_hi_u32 v6, s48, v3
	v_sub_u32_e32 v1, v1, v5
	v_add_u32_e32 v5, v3, v6
	v_mul_lo_u32 v6, v1, s44
	v_mul_lo_u32 v7, v1, s45
	;; [unrolled: 1-line block ×3, first 2 shown]
	v_lshrrev_b32_e32 v1, s49, v5
	v_mul_lo_u32 v5, v1, s43
	v_sub_u32_e32 v3, v3, v5
	s_addc_u32 s31, s39, 0
	s_add_i32 s37, s37, -2
	v_mul_lo_u32 v5, v3, s47
	v_mul_lo_u32 v9, v3, s50
	;; [unrolled: 1-line block ×3, first 2 shown]
	s_cmp_eq_u32 s37, 0
	v_add3_u32 v0, v6, v0, v5
	v_add3_u32 v2, v8, v2, v3
	v_add3_u32 v4, v7, v4, v9
	s_cbranch_scc0 .LBB5_19
; %bb.20:
	s_bitcmp1_b32 s35, 0
	s_cselect_b64 s[38:39], -1, 0
	s_and_b64 vcc, exec, s[38:39]
	s_cbranch_vccnz .LBB5_22
; %bb.21:
	s_load_dwordx2 s[38:39], s[30:31], 0x18
	s_load_dword s37, s[30:31], 0x20
	s_load_dword s42, s[30:31], 0xe0
	s_load_dwordx2 s[40:41], s[30:31], 0xd8
	s_waitcnt lgkmcnt(0)
	v_mul_hi_u32 v3, s39, v1
	v_add_u32_e32 v3, v1, v3
	v_lshrrev_b32_e32 v3, s37, v3
	v_mul_lo_u32 v3, v3, s38
	v_sub_u32_e32 v3, v1, v3
	v_mad_u64_u32 v[0:1], s[30:31], v3, s40, v[0:1]
	v_mad_u64_u32 v[4:5], s[30:31], v3, s41, v[4:5]
	;; [unrolled: 1-line block ×3, first 2 shown]
.LBB5_22:
	s_cbranch_execz .LBB5_24
	s_branch .LBB5_26
.LBB5_23:
                                        ; implicit-def: $vgpr2
                                        ; implicit-def: $vgpr4
                                        ; implicit-def: $vgpr0
.LBB5_24:
	s_waitcnt lgkmcnt(0)
	v_mul_hi_u32 v0, s13, v12
	v_add_u32_e32 v0, v12, v0
	v_lshrrev_b32_e32 v1, s14, v0
	v_mul_lo_u32 v0, v1, s12
	v_sub_u32_e32 v3, v12, v0
	v_mul_lo_u32 v0, v3, s8
	v_mul_lo_u32 v2, v3, s10
	s_andn2_b64 vcc, exec, s[24:25]
	v_mul_lo_u32 v4, v3, s9
	s_cbranch_vccnz .LBB5_26
; %bb.25:
	v_mul_hi_u32 v3, s22, v1
	v_add_u32_e32 v3, v1, v3
	v_lshrrev_b32_e32 v3, s23, v3
	v_mul_lo_u32 v3, v3, s15
	v_sub_u32_e32 v3, v1, v3
	v_mad_u64_u32 v[0:1], s[30:31], v3, s11, v[0:1]
	v_mad_u64_u32 v[4:5], s[30:31], v3, s20, v[4:5]
	v_mad_u64_u32 v[2:3], s[30:31], v3, s21, v[2:3]
.LBB5_26:
	s_waitcnt lgkmcnt(0)
	global_load_dwordx2 v[6:7], v4, s[2:3]
	global_load_dwordx2 v[8:9], v2, s[18:19]
	s_mov_b32 s30, 0
	s_mov_b32 s31, 0x100000
	v_mov_b32_e32 v1, 0x100000
	s_mov_b32 s38, -2
	s_mov_b32 s39, 0x3fefffff
	v_mov_b32_e32 v13, 0x3fefffff
	v_add_u32_e32 v12, 0x80, v12
	s_waitcnt vmcnt(0)
	v_div_scale_f64 v[2:3], s[40:41], v[8:9], v[8:9], v[6:7]
	v_rcp_f64_e32 v[4:5], v[2:3]
	v_div_scale_f64 v[10:11], vcc, v[6:7], v[8:9], v[6:7]
	v_fma_f64 v[14:15], -v[2:3], v[4:5], 1.0
	v_fmac_f64_e32 v[4:5], v[4:5], v[14:15]
	v_fma_f64 v[14:15], -v[2:3], v[4:5], 1.0
	v_fmac_f64_e32 v[4:5], v[4:5], v[14:15]
	v_mul_f64 v[14:15], v[10:11], v[4:5]
	v_fma_f64 v[2:3], -v[2:3], v[14:15], v[10:11]
	v_div_fmas_f64 v[2:3], v[2:3], v[4:5], v[14:15]
	v_div_fixup_f64 v[2:3], v[2:3], v[8:9], v[6:7]
	v_cmp_ngt_f64_e32 vcc, s[30:31], v[2:3]
	v_cndmask_b32_e32 v3, v1, v3, vcc
	v_cndmask_b32_e32 v2, 0, v2, vcc
	v_cmp_nlt_f64_e32 vcc, s[38:39], v[2:3]
	v_cndmask_b32_e32 v3, v13, v3, vcc
	v_cndmask_b32_e32 v2, -2, v2, vcc
	global_store_dwordx2 v0, v[2:3], s[0:1]
	s_or_b64 exec, exec, s[28:29]
	v_cmp_gt_i32_e32 vcc, s36, v12
	s_and_saveexec_b64 s[28:29], vcc
	s_cbranch_execz .LBB5_4
.LBB5_27:
	s_andn2_b64 vcc, exec, s[6:7]
	s_cbranch_vccnz .LBB5_34
; %bb.28:
	s_andn2_b64 vcc, exec, s[26:27]
	v_mov_b32_e32 v2, 0
	v_mov_b32_e32 v4, 0
	;; [unrolled: 1-line block ×3, first 2 shown]
	s_cbranch_vccnz .LBB5_33
; %bb.29:
	s_add_i32 s30, s35, 1
	s_and_b32 s37, s30, 30
	s_add_u32 s30, s4, 0xffffffec
	s_addc_u32 s31, s5, -1
	v_mov_b32_e32 v0, 0
	v_mov_b32_e32 v1, v12
	;; [unrolled: 1-line block ×4, first 2 shown]
.LBB5_30:                               ; =>This Inner Loop Header: Depth=1
	s_mov_b64 s[38:39], s[30:31]
	s_load_dwordx4 s[40:43], s[38:39], 0x18
	s_load_dwordx2 s[48:49], s[38:39], 0x28
	s_load_dwordx2 s[50:51], s[38:39], 0xe8
	s_load_dwordx4 s[44:47], s[38:39], 0xd8
	s_add_u32 s30, s38, 24
	s_waitcnt lgkmcnt(0)
	v_mul_hi_u32 v3, s41, v1
	v_add_u32_e32 v3, v1, v3
	v_lshrrev_b32_e32 v3, s42, v3
	v_mul_lo_u32 v5, v3, s40
	v_mul_hi_u32 v6, s48, v3
	v_sub_u32_e32 v1, v1, v5
	v_add_u32_e32 v5, v3, v6
	v_mul_lo_u32 v6, v1, s44
	v_mul_lo_u32 v7, v1, s45
	;; [unrolled: 1-line block ×3, first 2 shown]
	v_lshrrev_b32_e32 v1, s49, v5
	v_mul_lo_u32 v5, v1, s43
	v_sub_u32_e32 v3, v3, v5
	s_addc_u32 s31, s39, 0
	s_add_i32 s37, s37, -2
	v_mul_lo_u32 v5, v3, s47
	v_mul_lo_u32 v9, v3, s50
	;; [unrolled: 1-line block ×3, first 2 shown]
	s_cmp_eq_u32 s37, 0
	v_add3_u32 v0, v6, v0, v5
	v_add3_u32 v2, v8, v2, v3
	;; [unrolled: 1-line block ×3, first 2 shown]
	s_cbranch_scc0 .LBB5_30
; %bb.31:
	s_bitcmp1_b32 s35, 0
	s_cselect_b64 s[38:39], -1, 0
	s_and_b64 vcc, exec, s[38:39]
	s_cbranch_vccnz .LBB5_33
; %bb.32:
	s_load_dwordx2 s[38:39], s[30:31], 0x18
	s_load_dword s37, s[30:31], 0x20
	s_load_dword s42, s[30:31], 0xe0
	s_load_dwordx2 s[40:41], s[30:31], 0xd8
	s_waitcnt lgkmcnt(0)
	v_mul_hi_u32 v3, s39, v1
	v_add_u32_e32 v3, v1, v3
	v_lshrrev_b32_e32 v3, s37, v3
	v_mul_lo_u32 v3, v3, s38
	v_sub_u32_e32 v3, v1, v3
	v_mad_u64_u32 v[0:1], s[30:31], v3, s40, v[0:1]
	v_mad_u64_u32 v[4:5], s[30:31], v3, s41, v[4:5]
	;; [unrolled: 1-line block ×3, first 2 shown]
.LBB5_33:
	s_cbranch_execz .LBB5_35
	s_branch .LBB5_37
.LBB5_34:
                                        ; implicit-def: $vgpr2
                                        ; implicit-def: $vgpr4
                                        ; implicit-def: $vgpr0
.LBB5_35:
	s_waitcnt lgkmcnt(0)
	v_mul_hi_u32 v0, s13, v12
	v_add_u32_e32 v0, v12, v0
	v_lshrrev_b32_e32 v1, s14, v0
	v_mul_lo_u32 v0, v1, s12
	v_sub_u32_e32 v3, v12, v0
	v_mul_lo_u32 v0, v3, s8
	v_mul_lo_u32 v2, v3, s10
	s_andn2_b64 vcc, exec, s[24:25]
	v_mul_lo_u32 v4, v3, s9
	s_cbranch_vccnz .LBB5_37
; %bb.36:
	v_mul_hi_u32 v3, s22, v1
	v_add_u32_e32 v3, v1, v3
	v_lshrrev_b32_e32 v3, s23, v3
	v_mul_lo_u32 v3, v3, s15
	v_sub_u32_e32 v3, v1, v3
	v_mad_u64_u32 v[0:1], s[30:31], v3, s11, v[0:1]
	v_mad_u64_u32 v[4:5], s[30:31], v3, s20, v[4:5]
	;; [unrolled: 1-line block ×3, first 2 shown]
.LBB5_37:
	s_waitcnt lgkmcnt(0)
	global_load_dwordx2 v[6:7], v4, s[2:3]
	global_load_dwordx2 v[8:9], v2, s[18:19]
	s_mov_b32 s30, 0
	s_mov_b32 s31, 0x100000
	v_mov_b32_e32 v1, 0x100000
	s_mov_b32 s38, -2
	s_mov_b32 s39, 0x3fefffff
	v_mov_b32_e32 v13, 0x3fefffff
	v_add_u32_e32 v12, 0x80, v12
	s_waitcnt vmcnt(0)
	v_div_scale_f64 v[2:3], s[40:41], v[8:9], v[8:9], v[6:7]
	v_rcp_f64_e32 v[4:5], v[2:3]
	v_div_scale_f64 v[10:11], vcc, v[6:7], v[8:9], v[6:7]
	v_fma_f64 v[14:15], -v[2:3], v[4:5], 1.0
	v_fmac_f64_e32 v[4:5], v[4:5], v[14:15]
	v_fma_f64 v[14:15], -v[2:3], v[4:5], 1.0
	v_fmac_f64_e32 v[4:5], v[4:5], v[14:15]
	v_mul_f64 v[14:15], v[10:11], v[4:5]
	v_fma_f64 v[2:3], -v[2:3], v[14:15], v[10:11]
	v_div_fmas_f64 v[2:3], v[2:3], v[4:5], v[14:15]
	v_div_fixup_f64 v[2:3], v[2:3], v[8:9], v[6:7]
	v_cmp_ngt_f64_e32 vcc, s[30:31], v[2:3]
	v_cndmask_b32_e32 v3, v1, v3, vcc
	v_cndmask_b32_e32 v2, 0, v2, vcc
	v_cmp_nlt_f64_e32 vcc, s[38:39], v[2:3]
	v_cndmask_b32_e32 v3, v13, v3, vcc
	v_cndmask_b32_e32 v2, -2, v2, vcc
	global_store_dwordx2 v0, v[2:3], s[0:1]
	s_or_b64 exec, exec, s[28:29]
	v_cmp_gt_i32_e32 vcc, s36, v12
	s_and_saveexec_b64 s[28:29], vcc
	s_cbranch_execz .LBB5_49
.LBB5_38:
	s_andn2_b64 vcc, exec, s[6:7]
	s_cbranch_vccnz .LBB5_45
; %bb.39:
	s_andn2_b64 vcc, exec, s[26:27]
	v_mov_b32_e32 v2, 0
	v_mov_b32_e32 v4, 0
	;; [unrolled: 1-line block ×3, first 2 shown]
	s_cbranch_vccnz .LBB5_44
; %bb.40:
	s_add_i32 s26, s35, 1
	s_and_b32 s30, s26, 30
	s_add_u32 s26, s4, 0xffffffec
	s_addc_u32 s27, s5, -1
	v_mov_b32_e32 v0, 0
	v_mov_b32_e32 v1, v12
	;; [unrolled: 1-line block ×4, first 2 shown]
.LBB5_41:                               ; =>This Inner Loop Header: Depth=1
	s_mov_b64 s[44:45], s[26:27]
	s_load_dwordx4 s[36:39], s[44:45], 0x18
	s_load_dwordx2 s[46:47], s[44:45], 0x28
	s_load_dwordx2 s[48:49], s[44:45], 0xe8
	s_load_dwordx4 s[40:43], s[44:45], 0xd8
	s_add_u32 s26, s44, 24
	s_waitcnt lgkmcnt(0)
	v_mul_hi_u32 v3, s37, v1
	v_add_u32_e32 v3, v1, v3
	v_lshrrev_b32_e32 v3, s38, v3
	v_mul_lo_u32 v5, v3, s36
	v_mul_hi_u32 v6, s46, v3
	v_sub_u32_e32 v1, v1, v5
	v_add_u32_e32 v5, v3, v6
	v_mul_lo_u32 v6, v1, s40
	v_mul_lo_u32 v7, v1, s41
	;; [unrolled: 1-line block ×3, first 2 shown]
	v_lshrrev_b32_e32 v1, s47, v5
	v_mul_lo_u32 v5, v1, s39
	v_sub_u32_e32 v3, v3, v5
	s_addc_u32 s27, s45, 0
	s_add_i32 s30, s30, -2
	v_mul_lo_u32 v5, v3, s43
	v_mul_lo_u32 v9, v3, s48
	;; [unrolled: 1-line block ×3, first 2 shown]
	s_cmp_eq_u32 s30, 0
	v_add3_u32 v0, v6, v0, v5
	v_add3_u32 v2, v8, v2, v3
	;; [unrolled: 1-line block ×3, first 2 shown]
	s_cbranch_scc0 .LBB5_41
; %bb.42:
	s_bitcmp1_b32 s35, 0
	s_cselect_b64 s[30:31], -1, 0
	s_and_b64 vcc, exec, s[30:31]
	s_cbranch_vccnz .LBB5_44
; %bb.43:
	s_load_dwordx2 s[30:31], s[26:27], 0x18
	s_load_dword s35, s[26:27], 0x20
	s_load_dword s38, s[26:27], 0xe0
	s_load_dwordx2 s[36:37], s[26:27], 0xd8
	s_waitcnt lgkmcnt(0)
	v_mul_hi_u32 v3, s31, v1
	v_add_u32_e32 v3, v1, v3
	v_lshrrev_b32_e32 v3, s35, v3
	v_mul_lo_u32 v3, v3, s30
	v_sub_u32_e32 v3, v1, v3
	v_mad_u64_u32 v[0:1], s[26:27], v3, s36, v[0:1]
	v_mad_u64_u32 v[4:5], s[26:27], v3, s37, v[4:5]
	;; [unrolled: 1-line block ×3, first 2 shown]
.LBB5_44:
	s_cbranch_execz .LBB5_46
	s_branch .LBB5_48
.LBB5_45:
                                        ; implicit-def: $vgpr2
                                        ; implicit-def: $vgpr4
                                        ; implicit-def: $vgpr0
.LBB5_46:
	s_waitcnt lgkmcnt(0)
	v_mul_hi_u32 v0, s13, v12
	v_add_u32_e32 v0, v12, v0
	v_lshrrev_b32_e32 v1, s14, v0
	v_mul_lo_u32 v0, v1, s12
	v_sub_u32_e32 v3, v12, v0
	v_mul_lo_u32 v0, v3, s8
	v_mul_lo_u32 v2, v3, s10
	s_andn2_b64 vcc, exec, s[24:25]
	v_mul_lo_u32 v4, v3, s9
	s_cbranch_vccnz .LBB5_48
; %bb.47:
	v_mul_hi_u32 v3, s22, v1
	v_add_u32_e32 v3, v1, v3
	v_lshrrev_b32_e32 v3, s23, v3
	v_mul_lo_u32 v3, v3, s15
	v_sub_u32_e32 v3, v1, v3
	v_mad_u64_u32 v[0:1], s[8:9], v3, s11, v[0:1]
	v_mad_u64_u32 v[4:5], s[8:9], v3, s20, v[4:5]
	;; [unrolled: 1-line block ×3, first 2 shown]
.LBB5_48:
	s_waitcnt lgkmcnt(0)
	global_load_dwordx2 v[6:7], v4, s[2:3]
	global_load_dwordx2 v[8:9], v2, s[18:19]
	s_mov_b32 s2, 0
	s_mov_b32 s3, 0x100000
	v_mov_b32_e32 v1, 0x100000
	s_mov_b32 s8, -2
	s_mov_b32 s9, 0x3fefffff
	v_mov_b32_e32 v14, 0x3fefffff
	s_waitcnt vmcnt(0)
	v_div_scale_f64 v[2:3], s[10:11], v[8:9], v[8:9], v[6:7]
	v_rcp_f64_e32 v[4:5], v[2:3]
	v_div_scale_f64 v[10:11], vcc, v[6:7], v[8:9], v[6:7]
	v_fma_f64 v[12:13], -v[2:3], v[4:5], 1.0
	v_fmac_f64_e32 v[4:5], v[4:5], v[12:13]
	v_fma_f64 v[12:13], -v[2:3], v[4:5], 1.0
	v_fmac_f64_e32 v[4:5], v[4:5], v[12:13]
	v_mul_f64 v[12:13], v[10:11], v[4:5]
	v_fma_f64 v[2:3], -v[2:3], v[12:13], v[10:11]
	v_div_fmas_f64 v[2:3], v[2:3], v[4:5], v[12:13]
	v_div_fixup_f64 v[2:3], v[2:3], v[8:9], v[6:7]
	v_cmp_ngt_f64_e32 vcc, s[2:3], v[2:3]
	v_cndmask_b32_e32 v3, v1, v3, vcc
	v_cndmask_b32_e32 v2, 0, v2, vcc
	v_cmp_nlt_f64_e32 vcc, s[8:9], v[2:3]
	v_cndmask_b32_e32 v3, v14, v3, vcc
	v_cndmask_b32_e32 v2, -2, v2, vcc
	global_store_dwordx2 v0, v[2:3], s[0:1]
.LBB5_49:
	s_or_b64 exec, exec, s[28:29]
                                        ; implicit-def: $vgpr24
                                        ; implicit-def: $vgpr12
.LBB5_50:
	s_waitcnt lgkmcnt(0)
	s_andn2_saveexec_b64 s[0:1], s[16:17]
	s_cbranch_execz .LBB5_57
; %bb.51:
	v_cndmask_b32_e64 v0, 0, 1, s[6:7]
	v_cmp_ne_u32_e64 s[0:1], 1, v0
	s_andn2_b64 vcc, exec, s[6:7]
	s_cbranch_vccnz .LBB5_58
; %bb.52:
	s_cmp_lg_u32 s33, 0
	v_mov_b32_e32 v2, 0
	v_mov_b32_e32 v4, 0
	;; [unrolled: 1-line block ×3, first 2 shown]
	s_cbranch_scc0 .LBB5_59
; %bb.53:
	s_min_u32 s6, s34, 15
	s_add_i32 s2, s6, 1
	s_and_b32 s7, s2, 30
	s_add_u32 s2, s4, 0xffffffec
	s_addc_u32 s3, s5, -1
	v_mov_b32_e32 v0, 0
	v_mov_b32_e32 v1, v12
	;; [unrolled: 1-line block ×4, first 2 shown]
.LBB5_54:                               ; =>This Inner Loop Header: Depth=1
	s_mov_b64 s[16:17], s[2:3]
	s_load_dwordx4 s[8:11], s[16:17], 0x18
	s_load_dwordx2 s[18:19], s[16:17], 0x28
	s_load_dwordx2 s[20:21], s[16:17], 0xe8
	s_load_dwordx4 s[12:15], s[16:17], 0xd8
	s_add_u32 s2, s16, 24
	s_waitcnt lgkmcnt(0)
	v_mul_hi_u32 v3, s9, v1
	v_add_u32_e32 v3, v1, v3
	v_lshrrev_b32_e32 v3, s10, v3
	v_mul_lo_u32 v5, v3, s8
	v_mul_hi_u32 v6, s18, v3
	v_sub_u32_e32 v1, v1, v5
	v_add_u32_e32 v5, v3, v6
	v_mul_lo_u32 v6, v1, s12
	v_mul_lo_u32 v7, v1, s13
	;; [unrolled: 1-line block ×3, first 2 shown]
	v_lshrrev_b32_e32 v1, s19, v5
	v_mul_lo_u32 v5, v1, s11
	v_sub_u32_e32 v3, v3, v5
	s_addc_u32 s3, s17, 0
	s_add_i32 s7, s7, -2
	v_mul_lo_u32 v5, v3, s15
	v_mul_lo_u32 v9, v3, s20
	;; [unrolled: 1-line block ×3, first 2 shown]
	s_cmp_lg_u32 s7, 0
	v_add3_u32 v0, v6, v0, v5
	v_add3_u32 v2, v8, v2, v3
	;; [unrolled: 1-line block ×3, first 2 shown]
	s_cbranch_scc1 .LBB5_54
; %bb.55:
	s_bitcmp1_b32 s6, 0
	s_cselect_b64 s[6:7], -1, 0
	s_and_b64 vcc, exec, s[6:7]
	s_cbranch_vccnz .LBB5_59
; %bb.56:
	s_load_dwordx2 s[6:7], s[2:3], 0x18
	s_load_dword s10, s[2:3], 0x20
	s_load_dword s11, s[2:3], 0xe0
	s_load_dwordx2 s[8:9], s[2:3], 0xd8
	s_waitcnt lgkmcnt(0)
	v_mul_hi_u32 v3, s7, v1
	v_add_u32_e32 v3, v1, v3
	v_lshrrev_b32_e32 v3, s10, v3
	v_mul_lo_u32 v3, v3, s6
	v_sub_u32_e32 v3, v1, v3
	v_mad_u64_u32 v[0:1], s[2:3], v3, s8, v[0:1]
	v_mad_u64_u32 v[4:5], s[2:3], v3, s9, v[4:5]
	;; [unrolled: 1-line block ×3, first 2 shown]
	s_cbranch_execz .LBB5_60
	s_branch .LBB5_62
.LBB5_57:
	s_endpgm
.LBB5_58:
                                        ; implicit-def: $vgpr2
                                        ; implicit-def: $vgpr4
                                        ; implicit-def: $vgpr0
	s_branch .LBB5_60
.LBB5_59:
	s_cbranch_execnz .LBB5_62
.LBB5_60:
	s_load_dwordx4 s[8:11], s[4:5], 0x4
	s_load_dwordx4 s[12:15], s[4:5], 0xc4
	s_cmp_lt_u32 s33, 2
	s_waitcnt lgkmcnt(0)
	v_mul_hi_u32 v0, s9, v12
	v_add_u32_e32 v0, v12, v0
	v_lshrrev_b32_e32 v1, s10, v0
	v_mul_lo_u32 v0, v1, s8
	v_sub_u32_e32 v3, v12, v0
	v_mul_lo_u32 v0, v3, s12
	v_mul_lo_u32 v2, v3, s14
	;; [unrolled: 1-line block ×3, first 2 shown]
	s_cbranch_scc1 .LBB5_62
; %bb.61:
	s_load_dwordx4 s[8:11], s[4:5], 0x10
	s_load_dwordx4 s[12:15], s[4:5], 0xd0
	s_waitcnt lgkmcnt(0)
	v_mul_hi_u32 v3, s9, v1
	v_add_u32_e32 v3, v1, v3
	v_lshrrev_b32_e32 v3, s10, v3
	v_mul_lo_u32 v3, v3, s8
	v_sub_u32_e32 v3, v1, v3
	v_mad_u64_u32 v[0:1], s[2:3], v3, s12, v[0:1]
	v_mad_u64_u32 v[4:5], s[2:3], v3, s13, v[4:5]
	;; [unrolled: 1-line block ×3, first 2 shown]
.LBB5_62:
	s_and_b64 vcc, exec, s[0:1]
	v_add_u32_e32 v1, 0x80, v12
	s_cbranch_vccnz .LBB5_68
; %bb.63:
	s_cmp_lg_u32 s33, 0
	v_mov_b32_e32 v8, 0
	v_mov_b32_e32 v10, 0
	;; [unrolled: 1-line block ×3, first 2 shown]
	s_cbranch_scc0 .LBB5_69
; %bb.64:
	s_min_u32 s6, s34, 15
	s_add_i32 s2, s6, 1
	s_and_b32 s7, s2, 30
	s_add_u32 s2, s4, 0xffffffec
	s_addc_u32 s3, s5, -1
	v_mov_b32_e32 v6, 0
	v_mov_b32_e32 v3, v1
	;; [unrolled: 1-line block ×4, first 2 shown]
.LBB5_65:                               ; =>This Inner Loop Header: Depth=1
	s_mov_b64 s[16:17], s[2:3]
	s_load_dwordx4 s[8:11], s[16:17], 0x18
	s_load_dwordx2 s[18:19], s[16:17], 0x28
	s_load_dwordx2 s[20:21], s[16:17], 0xe8
	s_load_dwordx4 s[12:15], s[16:17], 0xd8
	s_add_u32 s2, s16, 24
	s_waitcnt lgkmcnt(0)
	v_mul_hi_u32 v5, s9, v3
	v_add_u32_e32 v5, v3, v5
	v_lshrrev_b32_e32 v5, s10, v5
	v_mul_lo_u32 v7, v5, s8
	v_mul_hi_u32 v9, s18, v5
	v_sub_u32_e32 v3, v3, v7
	v_add_u32_e32 v7, v5, v9
	v_mul_lo_u32 v9, v3, s12
	v_mul_lo_u32 v11, v3, s13
	;; [unrolled: 1-line block ×3, first 2 shown]
	v_lshrrev_b32_e32 v3, s19, v7
	v_mul_lo_u32 v7, v3, s11
	v_sub_u32_e32 v5, v5, v7
	s_addc_u32 s3, s17, 0
	s_add_i32 s7, s7, -2
	v_mul_lo_u32 v7, v5, s15
	v_mul_lo_u32 v14, v5, s20
	;; [unrolled: 1-line block ×3, first 2 shown]
	s_cmp_lg_u32 s7, 0
	v_add3_u32 v6, v9, v6, v7
	v_add3_u32 v8, v13, v8, v5
	v_add3_u32 v10, v11, v10, v14
	s_cbranch_scc1 .LBB5_65
; %bb.66:
	s_bitcmp1_b32 s6, 0
	s_cselect_b64 s[6:7], -1, 0
	s_and_b64 vcc, exec, s[6:7]
	s_cbranch_vccnz .LBB5_69
; %bb.67:
	s_load_dwordx2 s[6:7], s[2:3], 0x18
	s_load_dword s10, s[2:3], 0x20
	s_load_dword s11, s[2:3], 0xe0
	s_load_dwordx2 s[8:9], s[2:3], 0xd8
	s_waitcnt lgkmcnt(0)
	v_mul_hi_u32 v5, s7, v3
	v_add_u32_e32 v5, v3, v5
	v_lshrrev_b32_e32 v5, s10, v5
	v_mul_lo_u32 v5, v5, s6
	v_sub_u32_e32 v3, v3, v5
	v_mad_u64_u32 v[6:7], s[2:3], v3, s8, v[6:7]
	v_mad_u64_u32 v[10:11], s[2:3], v3, s9, v[10:11]
	;; [unrolled: 1-line block ×3, first 2 shown]
	s_cbranch_execz .LBB5_70
	s_branch .LBB5_72
.LBB5_68:
                                        ; implicit-def: $vgpr8
                                        ; implicit-def: $vgpr10
                                        ; implicit-def: $vgpr6
	s_branch .LBB5_70
.LBB5_69:
	s_cbranch_execnz .LBB5_72
.LBB5_70:
	s_load_dwordx4 s[8:11], s[4:5], 0x4
	s_load_dwordx4 s[12:15], s[4:5], 0xc4
	s_cmp_lt_u32 s33, 2
	s_waitcnt lgkmcnt(0)
	v_mul_hi_u32 v3, s9, v1
	v_add_u32_e32 v3, v1, v3
	v_lshrrev_b32_e32 v3, s10, v3
	v_mul_lo_u32 v5, v3, s8
	v_sub_u32_e32 v1, v1, v5
	v_mul_lo_u32 v6, v1, s12
	v_mul_lo_u32 v8, v1, s14
	;; [unrolled: 1-line block ×3, first 2 shown]
	s_cbranch_scc1 .LBB5_72
; %bb.71:
	s_load_dwordx4 s[8:11], s[4:5], 0x10
	s_load_dwordx4 s[12:15], s[4:5], 0xd0
	s_waitcnt lgkmcnt(0)
	v_mul_hi_u32 v1, s9, v3
	v_add_u32_e32 v1, v3, v1
	v_lshrrev_b32_e32 v1, s10, v1
	v_mul_lo_u32 v1, v1, s8
	v_sub_u32_e32 v1, v3, v1
	v_mad_u64_u32 v[6:7], s[2:3], v1, s12, v[6:7]
	v_mad_u64_u32 v[10:11], s[2:3], v1, s13, v[10:11]
	;; [unrolled: 1-line block ×3, first 2 shown]
.LBB5_72:
	s_and_b64 vcc, exec, s[0:1]
	v_add_u32_e32 v1, 0x100, v12
	s_cbranch_vccnz .LBB5_78
; %bb.73:
	s_cmp_lg_u32 s33, 0
	v_mov_b32_e32 v14, 0
	v_mov_b32_e32 v16, 0
	;; [unrolled: 1-line block ×3, first 2 shown]
	s_cbranch_scc0 .LBB5_79
; %bb.74:
	s_min_u32 s6, s34, 15
	s_add_i32 s2, s6, 1
	s_and_b32 s7, s2, 30
	s_add_u32 s2, s4, 0xffffffec
	s_addc_u32 s3, s5, -1
	v_mov_b32_e32 v12, 0
	v_mov_b32_e32 v3, v1
	;; [unrolled: 1-line block ×4, first 2 shown]
.LBB5_75:                               ; =>This Inner Loop Header: Depth=1
	s_mov_b64 s[16:17], s[2:3]
	s_load_dwordx4 s[8:11], s[16:17], 0x18
	s_load_dwordx2 s[18:19], s[16:17], 0x28
	s_load_dwordx2 s[20:21], s[16:17], 0xe8
	s_load_dwordx4 s[12:15], s[16:17], 0xd8
	s_add_u32 s2, s16, 24
	s_waitcnt lgkmcnt(0)
	v_mul_hi_u32 v5, s9, v3
	v_add_u32_e32 v5, v3, v5
	v_lshrrev_b32_e32 v5, s10, v5
	v_mul_lo_u32 v7, v5, s8
	v_mul_hi_u32 v9, s18, v5
	v_sub_u32_e32 v3, v3, v7
	v_add_u32_e32 v7, v5, v9
	v_mul_lo_u32 v9, v3, s12
	v_mul_lo_u32 v11, v3, s13
	;; [unrolled: 1-line block ×3, first 2 shown]
	v_lshrrev_b32_e32 v3, s19, v7
	v_mul_lo_u32 v7, v3, s11
	v_sub_u32_e32 v5, v5, v7
	s_addc_u32 s3, s17, 0
	s_add_i32 s7, s7, -2
	v_mul_lo_u32 v7, v5, s15
	v_mul_lo_u32 v15, v5, s20
	v_mul_lo_u32 v5, v5, s21
	s_cmp_lg_u32 s7, 0
	v_add3_u32 v12, v9, v12, v7
	v_add3_u32 v14, v13, v14, v5
	;; [unrolled: 1-line block ×3, first 2 shown]
	s_cbranch_scc1 .LBB5_75
; %bb.76:
	s_bitcmp1_b32 s6, 0
	s_cselect_b64 s[6:7], -1, 0
	s_and_b64 vcc, exec, s[6:7]
	s_cbranch_vccnz .LBB5_79
; %bb.77:
	s_load_dwordx2 s[6:7], s[2:3], 0x18
	s_load_dword s10, s[2:3], 0x20
	s_load_dword s11, s[2:3], 0xe0
	s_load_dwordx2 s[8:9], s[2:3], 0xd8
	s_waitcnt lgkmcnt(0)
	v_mul_hi_u32 v5, s7, v3
	v_add_u32_e32 v5, v3, v5
	v_lshrrev_b32_e32 v5, s10, v5
	v_mul_lo_u32 v5, v5, s6
	v_sub_u32_e32 v3, v3, v5
	v_mad_u64_u32 v[12:13], s[2:3], v3, s8, v[12:13]
	v_mad_u64_u32 v[16:17], s[2:3], v3, s9, v[16:17]
	;; [unrolled: 1-line block ×3, first 2 shown]
	s_cbranch_execz .LBB5_80
	s_branch .LBB5_82
.LBB5_78:
                                        ; implicit-def: $vgpr14
                                        ; implicit-def: $vgpr16
                                        ; implicit-def: $vgpr12
	s_branch .LBB5_80
.LBB5_79:
	s_cbranch_execnz .LBB5_82
.LBB5_80:
	s_load_dwordx4 s[8:11], s[4:5], 0x4
	s_load_dwordx4 s[12:15], s[4:5], 0xc4
	s_cmp_lt_u32 s33, 2
	s_waitcnt lgkmcnt(0)
	v_mul_hi_u32 v3, s9, v1
	v_add_u32_e32 v3, v1, v3
	v_lshrrev_b32_e32 v3, s10, v3
	v_mul_lo_u32 v5, v3, s8
	v_sub_u32_e32 v1, v1, v5
	v_mul_lo_u32 v12, v1, s12
	v_mul_lo_u32 v14, v1, s14
	v_mul_lo_u32 v16, v1, s13
	s_cbranch_scc1 .LBB5_82
; %bb.81:
	s_load_dwordx4 s[8:11], s[4:5], 0x10
	s_load_dwordx4 s[12:15], s[4:5], 0xd0
	s_waitcnt lgkmcnt(0)
	v_mul_hi_u32 v1, s9, v3
	v_add_u32_e32 v1, v3, v1
	v_lshrrev_b32_e32 v1, s10, v1
	v_mul_lo_u32 v1, v1, s8
	v_sub_u32_e32 v1, v3, v1
	v_mad_u64_u32 v[12:13], s[2:3], v1, s12, v[12:13]
	v_mad_u64_u32 v[16:17], s[2:3], v1, s13, v[16:17]
	;; [unrolled: 1-line block ×3, first 2 shown]
.LBB5_82:
	s_and_b64 vcc, exec, s[0:1]
	s_cbranch_vccnz .LBB5_88
; %bb.83:
	s_cmp_lg_u32 s33, 0
	v_mov_b32_e32 v20, 0
	v_mov_b32_e32 v22, 0
	;; [unrolled: 1-line block ×3, first 2 shown]
	s_cbranch_scc0 .LBB5_89
; %bb.84:
	s_min_u32 s2, s34, 15
	s_add_i32 s0, s2, 1
	s_and_b32 s3, s0, 30
	s_add_u32 s0, s4, 0xffffffec
	s_addc_u32 s1, s5, -1
	v_mov_b32_e32 v18, 0
	v_mov_b32_e32 v1, v24
	;; [unrolled: 1-line block ×4, first 2 shown]
.LBB5_85:                               ; =>This Inner Loop Header: Depth=1
	s_mov_b64 s[6:7], s[0:1]
	s_load_dwordx4 s[8:11], s[6:7], 0x18
	s_load_dwordx2 s[16:17], s[6:7], 0x28
	s_load_dwordx2 s[18:19], s[6:7], 0xe8
	s_load_dwordx4 s[12:15], s[6:7], 0xd8
	s_add_u32 s0, s6, 24
	s_waitcnt lgkmcnt(0)
	v_mul_hi_u32 v3, s9, v1
	v_add_u32_e32 v3, v1, v3
	v_lshrrev_b32_e32 v3, s10, v3
	v_mul_lo_u32 v5, v3, s8
	v_mul_hi_u32 v7, s16, v3
	v_sub_u32_e32 v1, v1, v5
	v_add_u32_e32 v5, v3, v7
	v_mul_lo_u32 v7, v1, s12
	v_mul_lo_u32 v9, v1, s13
	;; [unrolled: 1-line block ×3, first 2 shown]
	v_lshrrev_b32_e32 v1, s17, v5
	v_mul_lo_u32 v5, v1, s11
	v_sub_u32_e32 v3, v3, v5
	s_addc_u32 s1, s7, 0
	s_add_i32 s3, s3, -2
	v_mul_lo_u32 v5, v3, s15
	v_mul_lo_u32 v13, v3, s18
	;; [unrolled: 1-line block ×3, first 2 shown]
	s_cmp_lg_u32 s3, 0
	v_add3_u32 v18, v7, v18, v5
	v_add3_u32 v20, v11, v20, v3
	v_add3_u32 v22, v9, v22, v13
	s_cbranch_scc1 .LBB5_85
; %bb.86:
	s_bitcmp1_b32 s2, 0
	s_cselect_b64 s[2:3], -1, 0
	s_and_b64 vcc, exec, s[2:3]
	s_cbranch_vccnz .LBB5_89
; %bb.87:
	s_load_dwordx2 s[2:3], s[0:1], 0x18
	s_load_dword s8, s[0:1], 0x20
	s_load_dword s9, s[0:1], 0xe0
	s_load_dwordx2 s[6:7], s[0:1], 0xd8
	s_waitcnt lgkmcnt(0)
	v_mul_hi_u32 v3, s3, v1
	v_add_u32_e32 v3, v1, v3
	v_lshrrev_b32_e32 v3, s8, v3
	v_mul_lo_u32 v3, v3, s2
	v_sub_u32_e32 v1, v1, v3
	v_mad_u64_u32 v[18:19], s[0:1], v1, s6, v[18:19]
	v_mad_u64_u32 v[22:23], s[0:1], v1, s7, v[22:23]
	;; [unrolled: 1-line block ×3, first 2 shown]
	s_cbranch_execz .LBB5_90
	s_branch .LBB5_92
.LBB5_88:
                                        ; implicit-def: $vgpr20
                                        ; implicit-def: $vgpr22
                                        ; implicit-def: $vgpr18
	s_branch .LBB5_90
.LBB5_89:
	s_cbranch_execnz .LBB5_92
.LBB5_90:
	s_load_dwordx4 s[0:3], s[4:5], 0x4
	s_load_dwordx4 s[8:11], s[4:5], 0xc4
	s_cmp_lt_u32 s33, 2
	s_waitcnt lgkmcnt(0)
	v_mul_hi_u32 v1, s1, v24
	v_add_u32_e32 v1, v24, v1
	v_lshrrev_b32_e32 v1, s2, v1
	v_mul_lo_u32 v3, v1, s0
	v_sub_u32_e32 v3, v24, v3
	v_mul_lo_u32 v18, v3, s8
	v_mul_lo_u32 v20, v3, s10
	v_mul_lo_u32 v22, v3, s9
	s_cbranch_scc1 .LBB5_92
; %bb.91:
	s_load_dwordx4 s[0:3], s[4:5], 0x10
	s_load_dwordx4 s[8:11], s[4:5], 0xd0
	s_waitcnt lgkmcnt(0)
	v_mul_hi_u32 v3, s1, v1
	v_add_u32_e32 v3, v1, v3
	v_lshrrev_b32_e32 v3, s2, v3
	v_mul_lo_u32 v3, v3, s0
	v_sub_u32_e32 v1, v1, v3
	v_mad_u64_u32 v[18:19], s[0:1], v1, s8, v[18:19]
	v_mad_u64_u32 v[22:23], s[0:1], v1, s9, v[22:23]
	v_mad_u64_u32 v[20:21], s[0:1], v1, s10, v[20:21]
.LBB5_92:
	s_load_dwordx4 s[8:11], s[4:5], 0x188
	s_load_dwordx2 s[0:1], s[4:5], 0x198
	s_mov_b32 s6, 0
	s_mov_b32 s7, 0x100000
	v_mov_b32_e32 v1, 0x100000
	v_mov_b32_e32 v7, 0x3fefffff
	s_waitcnt lgkmcnt(0)
	global_load_dwordx2 v[24:25], v4, s[10:11]
	global_load_dwordx2 v[26:27], v2, s[0:1]
	;; [unrolled: 1-line block ×8, first 2 shown]
	s_mov_b32 s10, -2
	s_mov_b32 s11, 0x3fefffff
	s_waitcnt vmcnt(6)
	v_div_scale_f64 v[2:3], s[0:1], v[26:27], v[26:27], v[24:25]
	s_waitcnt vmcnt(4)
	v_div_scale_f64 v[8:9], s[0:1], v[30:31], v[30:31], v[28:29]
	v_rcp_f64_e32 v[40:41], v[2:3]
	s_waitcnt vmcnt(2)
	v_div_scale_f64 v[14:15], s[2:3], v[34:35], v[34:35], v[32:33]
	v_rcp_f64_e32 v[42:43], v[8:9]
	;; [unrolled: 3-line block ×3, first 2 shown]
	v_rcp_f64_e32 v[46:47], v[20:21]
	v_fma_f64 v[48:49], -v[2:3], v[40:41], 1.0
	v_fma_f64 v[50:51], -v[8:9], v[42:43], 1.0
	v_fmac_f64_e32 v[40:41], v[40:41], v[48:49]
	v_fma_f64 v[52:53], -v[14:15], v[44:45], 1.0
	v_fmac_f64_e32 v[42:43], v[42:43], v[50:51]
	v_fma_f64 v[48:49], -v[2:3], v[40:41], 1.0
	v_div_scale_f64 v[4:5], vcc, v[24:25], v[26:27], v[24:25]
	v_fma_f64 v[54:55], -v[20:21], v[46:47], 1.0
	v_fmac_f64_e32 v[44:45], v[44:45], v[52:53]
	v_fma_f64 v[50:51], -v[8:9], v[42:43], 1.0
	v_fmac_f64_e32 v[40:41], v[40:41], v[48:49]
	v_div_scale_f64 v[10:11], s[0:1], v[28:29], v[30:31], v[28:29]
	v_fmac_f64_e32 v[46:47], v[46:47], v[54:55]
	v_fma_f64 v[52:53], -v[14:15], v[44:45], 1.0
	v_fmac_f64_e32 v[42:43], v[42:43], v[50:51]
	v_mul_f64 v[48:49], v[4:5], v[40:41]
	v_div_scale_f64 v[16:17], s[2:3], v[32:33], v[34:35], v[32:33]
	v_fma_f64 v[54:55], -v[20:21], v[46:47], 1.0
	v_fmac_f64_e32 v[44:45], v[44:45], v[52:53]
	v_mul_f64 v[50:51], v[10:11], v[42:43]
	v_fma_f64 v[2:3], -v[2:3], v[48:49], v[4:5]
	v_div_scale_f64 v[22:23], s[4:5], v[36:37], v[38:39], v[36:37]
	v_fmac_f64_e32 v[46:47], v[46:47], v[54:55]
	v_mul_f64 v[52:53], v[16:17], v[44:45]
	v_fma_f64 v[4:5], -v[8:9], v[50:51], v[10:11]
	v_div_fmas_f64 v[2:3], v[2:3], v[40:41], v[48:49]
	s_mov_b64 vcc, s[0:1]
	v_mul_f64 v[54:55], v[22:23], v[46:47]
	v_fma_f64 v[8:9], -v[14:15], v[52:53], v[16:17]
	v_div_fixup_f64 v[2:3], v[2:3], v[26:27], v[24:25]
	v_div_fmas_f64 v[4:5], v[4:5], v[42:43], v[50:51]
	s_mov_b64 vcc, s[2:3]
	v_fma_f64 v[10:11], -v[20:21], v[54:55], v[22:23]
	v_cmp_ngt_f64_e64 s[0:1], s[6:7], v[2:3]
	v_div_fixup_f64 v[4:5], v[4:5], v[30:31], v[28:29]
	v_div_fmas_f64 v[8:9], v[8:9], v[44:45], v[52:53]
	s_mov_b64 vcc, s[4:5]
	v_cndmask_b32_e64 v3, v1, v3, s[0:1]
	v_cndmask_b32_e64 v2, 0, v2, s[0:1]
	v_cmp_ngt_f64_e64 s[0:1], s[6:7], v[4:5]
	v_div_fixup_f64 v[8:9], v[8:9], v[34:35], v[32:33]
	v_div_fmas_f64 v[10:11], v[10:11], v[46:47], v[54:55]
	v_cndmask_b32_e64 v5, v1, v5, s[0:1]
	v_cmp_nlt_f64_e32 vcc, s[10:11], v[2:3]
	v_cndmask_b32_e64 v4, 0, v4, s[0:1]
	v_cmp_ngt_f64_e64 s[0:1], s[6:7], v[8:9]
	v_div_fixup_f64 v[10:11], v[10:11], v[38:39], v[36:37]
	v_cndmask_b32_e32 v3, v7, v3, vcc
	v_cndmask_b32_e64 v9, v1, v9, s[0:1]
	v_cndmask_b32_e32 v2, -2, v2, vcc
	v_cmp_nlt_f64_e32 vcc, s[10:11], v[4:5]
	v_cndmask_b32_e64 v8, 0, v8, s[0:1]
	v_cmp_ngt_f64_e64 s[0:1], s[6:7], v[10:11]
	v_cndmask_b32_e32 v5, v7, v5, vcc
	v_cndmask_b32_e64 v11, v1, v11, s[0:1]
	v_cndmask_b32_e32 v4, -2, v4, vcc
	v_cmp_nlt_f64_e32 vcc, s[10:11], v[8:9]
	v_cndmask_b32_e64 v10, 0, v10, s[0:1]
	v_cndmask_b32_e32 v1, v7, v9, vcc
	global_store_dwordx2 v0, v[2:3], s[8:9]
	v_cndmask_b32_e32 v0, -2, v8, vcc
	v_cmp_nlt_f64_e32 vcc, s[10:11], v[10:11]
	v_cndmask_b32_e32 v3, v7, v11, vcc
	global_store_dwordx2 v6, v[4:5], s[8:9]
	v_cndmask_b32_e32 v2, -2, v10, vcc
	global_store_dwordx2 v12, v[0:1], s[8:9]
	global_store_dwordx2 v18, v[2:3], s[8:9]
	s_endpgm
	.section	.rodata,"a",@progbits
	.p2align	6, 0x0
	.amdhsa_kernel _ZN2at6native32elementwise_kernel_manual_unrollILi128ELi4EZNS0_22gpu_kernel_impl_nocastIZZZNS0_23launch_dirichlet_kernelERNS_18TensorIteratorBaseEENKUlvE_clEvENKUlvE_clEvEUlddE_EEvS4_RKT_EUlibE_EEviT1_
		.amdhsa_group_segment_fixed_size 0
		.amdhsa_private_segment_fixed_size 0
		.amdhsa_kernarg_size 432
		.amdhsa_user_sgpr_count 6
		.amdhsa_user_sgpr_private_segment_buffer 1
		.amdhsa_user_sgpr_dispatch_ptr 0
		.amdhsa_user_sgpr_queue_ptr 0
		.amdhsa_user_sgpr_kernarg_segment_ptr 1
		.amdhsa_user_sgpr_dispatch_id 0
		.amdhsa_user_sgpr_flat_scratch_init 0
		.amdhsa_user_sgpr_kernarg_preload_length 0
		.amdhsa_user_sgpr_kernarg_preload_offset 0
		.amdhsa_user_sgpr_private_segment_size 0
		.amdhsa_uses_dynamic_stack 0
		.amdhsa_system_sgpr_private_segment_wavefront_offset 0
		.amdhsa_system_sgpr_workgroup_id_x 1
		.amdhsa_system_sgpr_workgroup_id_y 0
		.amdhsa_system_sgpr_workgroup_id_z 0
		.amdhsa_system_sgpr_workgroup_info 0
		.amdhsa_system_vgpr_workitem_id 0
		.amdhsa_next_free_vgpr 56
		.amdhsa_next_free_sgpr 52
		.amdhsa_accum_offset 56
		.amdhsa_reserve_vcc 1
		.amdhsa_reserve_flat_scratch 0
		.amdhsa_float_round_mode_32 0
		.amdhsa_float_round_mode_16_64 0
		.amdhsa_float_denorm_mode_32 3
		.amdhsa_float_denorm_mode_16_64 3
		.amdhsa_dx10_clamp 1
		.amdhsa_ieee_mode 1
		.amdhsa_fp16_overflow 0
		.amdhsa_tg_split 0
		.amdhsa_exception_fp_ieee_invalid_op 0
		.amdhsa_exception_fp_denorm_src 0
		.amdhsa_exception_fp_ieee_div_zero 0
		.amdhsa_exception_fp_ieee_overflow 0
		.amdhsa_exception_fp_ieee_underflow 0
		.amdhsa_exception_fp_ieee_inexact 0
		.amdhsa_exception_int_div_zero 0
	.end_amdhsa_kernel
	.section	.text._ZN2at6native32elementwise_kernel_manual_unrollILi128ELi4EZNS0_22gpu_kernel_impl_nocastIZZZNS0_23launch_dirichlet_kernelERNS_18TensorIteratorBaseEENKUlvE_clEvENKUlvE_clEvEUlddE_EEvS4_RKT_EUlibE_EEviT1_,"axG",@progbits,_ZN2at6native32elementwise_kernel_manual_unrollILi128ELi4EZNS0_22gpu_kernel_impl_nocastIZZZNS0_23launch_dirichlet_kernelERNS_18TensorIteratorBaseEENKUlvE_clEvENKUlvE_clEvEUlddE_EEvS4_RKT_EUlibE_EEviT1_,comdat
.Lfunc_end5:
	.size	_ZN2at6native32elementwise_kernel_manual_unrollILi128ELi4EZNS0_22gpu_kernel_impl_nocastIZZZNS0_23launch_dirichlet_kernelERNS_18TensorIteratorBaseEENKUlvE_clEvENKUlvE_clEvEUlddE_EEvS4_RKT_EUlibE_EEviT1_, .Lfunc_end5-_ZN2at6native32elementwise_kernel_manual_unrollILi128ELi4EZNS0_22gpu_kernel_impl_nocastIZZZNS0_23launch_dirichlet_kernelERNS_18TensorIteratorBaseEENKUlvE_clEvENKUlvE_clEvEUlddE_EEvS4_RKT_EUlibE_EEviT1_
                                        ; -- End function
	.section	.AMDGPU.csdata,"",@progbits
; Kernel info:
; codeLenInByte = 5680
; NumSgprs: 56
; NumVgprs: 56
; NumAgprs: 0
; TotalNumVgprs: 56
; ScratchSize: 0
; MemoryBound: 0
; FloatMode: 240
; IeeeMode: 1
; LDSByteSize: 0 bytes/workgroup (compile time only)
; SGPRBlocks: 6
; VGPRBlocks: 6
; NumSGPRsForWavesPerEU: 56
; NumVGPRsForWavesPerEU: 56
; AccumOffset: 56
; Occupancy: 8
; WaveLimiterHint : 1
; COMPUTE_PGM_RSRC2:SCRATCH_EN: 0
; COMPUTE_PGM_RSRC2:USER_SGPR: 6
; COMPUTE_PGM_RSRC2:TRAP_HANDLER: 0
; COMPUTE_PGM_RSRC2:TGID_X_EN: 1
; COMPUTE_PGM_RSRC2:TGID_Y_EN: 0
; COMPUTE_PGM_RSRC2:TGID_Z_EN: 0
; COMPUTE_PGM_RSRC2:TIDIG_COMP_CNT: 0
; COMPUTE_PGM_RSRC3_GFX90A:ACCUM_OFFSET: 13
; COMPUTE_PGM_RSRC3_GFX90A:TG_SPLIT: 0
	.section	.text._ZN2at6native32elementwise_kernel_manual_unrollILi128ELi4EZNS0_15gpu_kernel_implIZZZNS0_23launch_dirichlet_kernelERNS_18TensorIteratorBaseEENKUlvE_clEvENKUlvE_clEvEUlddE_EEvS4_RKT_EUlibE_EEviT1_,"axG",@progbits,_ZN2at6native32elementwise_kernel_manual_unrollILi128ELi4EZNS0_15gpu_kernel_implIZZZNS0_23launch_dirichlet_kernelERNS_18TensorIteratorBaseEENKUlvE_clEvENKUlvE_clEvEUlddE_EEvS4_RKT_EUlibE_EEviT1_,comdat
	.globl	_ZN2at6native32elementwise_kernel_manual_unrollILi128ELi4EZNS0_15gpu_kernel_implIZZZNS0_23launch_dirichlet_kernelERNS_18TensorIteratorBaseEENKUlvE_clEvENKUlvE_clEvEUlddE_EEvS4_RKT_EUlibE_EEviT1_ ; -- Begin function _ZN2at6native32elementwise_kernel_manual_unrollILi128ELi4EZNS0_15gpu_kernel_implIZZZNS0_23launch_dirichlet_kernelERNS_18TensorIteratorBaseEENKUlvE_clEvENKUlvE_clEvEUlddE_EEvS4_RKT_EUlibE_EEviT1_
	.p2align	8
	.type	_ZN2at6native32elementwise_kernel_manual_unrollILi128ELi4EZNS0_15gpu_kernel_implIZZZNS0_23launch_dirichlet_kernelERNS_18TensorIteratorBaseEENKUlvE_clEvENKUlvE_clEvEUlddE_EEvS4_RKT_EUlibE_EEviT1_,@function
_ZN2at6native32elementwise_kernel_manual_unrollILi128ELi4EZNS0_15gpu_kernel_implIZZZNS0_23launch_dirichlet_kernelERNS_18TensorIteratorBaseEENKUlvE_clEvENKUlvE_clEvEUlddE_EEvS4_RKT_EUlibE_EEviT1_: ; @_ZN2at6native32elementwise_kernel_manual_unrollILi128ELi4EZNS0_15gpu_kernel_implIZZZNS0_23launch_dirichlet_kernelERNS_18TensorIteratorBaseEENKUlvE_clEvENKUlvE_clEvEUlddE_EEvS4_RKT_EUlibE_EEviT1_
; %bb.0:
	v_mov_b32_e32 v1, 0
	global_load_ushort v18, v1, s[4:5] offset:45
	global_load_sbyte v20, v1, s[4:5] offset:47
	s_load_dword s33, s[4:5], 0x0
	s_load_dwordx4 s[8:11], s[4:5], 0x8
	s_load_dwordx2 s[2:3], s[4:5], 0x18
	s_load_dwordx4 s[12:15], s[4:5], 0x20
	v_lshl_or_b32 v19, s6, 9, v0
	v_or_b32_e32 v0, 0x180, v19
	s_mov_b64 s[16:17], 0
	s_waitcnt lgkmcnt(0)
	v_cmp_le_i32_e32 vcc, s33, v0
	s_mov_b64 s[6:7], 0
	s_waitcnt vmcnt(1)
	v_lshrrev_b32_e32 v16, 8, v18
	s_and_saveexec_b64 s[0:1], vcc
	s_xor_b64 s[4:5], exec, s[0:1]
	s_cbranch_execz .LBB6_1544
; %bb.1:
	v_cmp_gt_i32_e32 vcc, s33, v19
	s_mov_b64 s[0:1], -1
	s_mov_b64 s[26:27], 0
	s_mov_b64 s[20:21], 0
	;; [unrolled: 1-line block ×3, first 2 shown]
	s_and_saveexec_b64 s[22:23], vcc
	s_cbranch_execz .LBB6_383
; %bb.2:
	v_mul_lo_u32 v0, v19, s13
	v_ashrrev_i32_e32 v1, 31, v0
	v_mov_b32_e32 v3, s11
	v_add_co_u32_e32 v2, vcc, s10, v0
	v_mov_b32_e32 v0, 11
	v_addc_co_u32_e32 v3, vcc, v3, v1, vcc
	v_cmp_lt_i16_sdwa s[0:1], v16, v0 src0_sel:BYTE_0 src1_sel:DWORD
	s_and_b64 vcc, exec, s[0:1]
	s_cbranch_vccnz .LBB6_9
; %bb.3:
	v_mov_b32_e32 v0, 25
	v_cmp_gt_i16_sdwa s[0:1], v16, v0 src0_sel:BYTE_0 src1_sel:DWORD
	s_and_b64 vcc, exec, s[0:1]
	s_cbranch_vccz .LBB6_18
; %bb.4:
	v_mov_b32_e32 v0, 28
	v_cmp_gt_i16_sdwa s[0:1], v16, v0 src0_sel:BYTE_0 src1_sel:DWORD
	s_and_b64 vcc, exec, s[0:1]
	s_cbranch_vccz .LBB6_28
	;; [unrolled: 5-line block ×4, first 2 shown]
; %bb.7:
	v_mov_b32_e32 v0, 46
	v_cmp_eq_u16_sdwa s[0:1], v16, v0 src0_sel:BYTE_0 src1_sel:DWORD
	s_and_b64 vcc, exec, s[0:1]
	s_cbranch_vccz .LBB6_37
; %bb.8:
	global_load_dword v0, v[2:3], off
	s_mov_b64 s[0:1], -1
	s_waitcnt vmcnt(0)
	v_lshlrev_b32_e32 v0, 16, v0
	v_cvt_f64_f32_e32 v[0:1], v0
	s_branch .LBB6_39
.LBB6_9:
                                        ; implicit-def: $vgpr0_vgpr1
	s_mov_b64 s[0:1], 0
	s_cbranch_execnz .LBB6_105
.LBB6_10:
	s_andn2_b64 vcc, exec, s[0:1]
	s_cbranch_vccnz .LBB6_152
.LBB6_11:
	v_mul_lo_u32 v2, v19, s14
	v_ashrrev_i32_e32 v3, 31, v2
	v_mov_b32_e32 v4, s3
	v_add_co_u32_e32 v2, vcc, s2, v2
	v_addc_co_u32_e32 v3, vcc, v4, v3, vcc
	v_mov_b32_e32 v4, 11
	s_waitcnt vmcnt(0)
	v_cmp_lt_i16_sdwa s[0:1], v20, v4 src0_sel:BYTE_0 src1_sel:DWORD
	s_and_b64 vcc, exec, s[0:1]
	s_cbranch_vccnz .LBB6_19
; %bb.12:
	v_mov_b32_e32 v4, 25
	v_cmp_gt_i16_sdwa s[0:1], v20, v4 src0_sel:BYTE_0 src1_sel:DWORD
	s_and_b64 vcc, exec, s[0:1]
	s_cbranch_vccz .LBB6_29
; %bb.13:
	v_mov_b32_e32 v4, 28
	v_cmp_gt_i16_sdwa s[0:1], v20, v4 src0_sel:BYTE_0 src1_sel:DWORD
	s_and_b64 vcc, exec, s[0:1]
	s_cbranch_vccz .LBB6_32
	;; [unrolled: 5-line block ×4, first 2 shown]
; %bb.16:
	v_mov_b32_e32 v4, 46
	v_cmp_eq_u16_sdwa s[0:1], v20, v4 src0_sel:BYTE_0 src1_sel:DWORD
	s_mov_b64 s[6:7], 0
	s_and_b64 vcc, exec, s[0:1]
	s_cbranch_vccz .LBB6_153
; %bb.17:
	global_load_dword v4, v[2:3], off
	s_mov_b64 s[0:1], -1
	s_mov_b64 s[18:19], 0
	s_waitcnt vmcnt(0)
	v_lshlrev_b32_e32 v4, 16, v4
	v_cvt_f64_f32_e32 v[4:5], v4
	s_branch .LBB6_155
.LBB6_18:
	s_mov_b64 s[0:1], 0
                                        ; implicit-def: $vgpr0_vgpr1
	s_cbranch_execnz .LBB6_70
	s_branch .LBB6_104
.LBB6_19:
	s_mov_b64 s[18:19], 0
                                        ; implicit-def: $vgpr4_vgpr5
	s_mov_b64 s[0:1], 0
	s_cbranch_execnz .LBB6_332
.LBB6_20:
	s_andn2_b64 vcc, exec, s[0:1]
	s_cbranch_vccnz .LBB6_380
.LBB6_21:
	s_waitcnt vmcnt(0)
	v_div_scale_f64 v[2:3], s[0:1], v[4:5], v[4:5], v[0:1]
	v_rcp_f64_e32 v[6:7], v[2:3]
	v_div_scale_f64 v[8:9], vcc, v[0:1], v[4:5], v[0:1]
	s_mov_b32 s0, 0
	v_fma_f64 v[10:11], -v[2:3], v[6:7], 1.0
	v_fmac_f64_e32 v[6:7], v[6:7], v[10:11]
	v_fma_f64 v[10:11], -v[2:3], v[6:7], 1.0
	v_fmac_f64_e32 v[6:7], v[6:7], v[10:11]
	v_mul_f64 v[10:11], v[8:9], v[6:7]
	v_fma_f64 v[2:3], -v[2:3], v[10:11], v[8:9]
	v_div_fmas_f64 v[2:3], v[2:3], v[6:7], v[10:11]
	v_div_fixup_f64 v[0:1], v[2:3], v[4:5], v[0:1]
	s_mov_b32 s1, 0x100000
	v_mov_b32_e32 v2, 0x100000
	v_cmp_ngt_f64_e32 vcc, s[0:1], v[0:1]
	s_mov_b32 s0, -2
	v_cndmask_b32_e32 v1, v2, v1, vcc
	v_cndmask_b32_e32 v0, 0, v0, vcc
	s_mov_b32 s1, 0x3fefffff
	v_mov_b32_e32 v2, 0x3fefffff
	v_cmp_nlt_f64_e32 vcc, s[0:1], v[0:1]
	v_cndmask_b32_e32 v1, v2, v1, vcc
	v_mul_lo_u32 v2, v19, s12
	v_cndmask_b32_e32 v0, -2, v0, vcc
	v_ashrrev_i32_e32 v3, 31, v2
	v_mov_b32_e32 v5, s9
	v_add_co_u32_e32 v4, vcc, s8, v2
	v_mov_b32_e32 v2, 11
	v_addc_co_u32_e32 v5, vcc, v5, v3, vcc
	v_cmp_lt_i16_sdwa s[0:1], v18, v2 src0_sel:BYTE_0 src1_sel:DWORD
	s_and_b64 vcc, exec, s[0:1]
	s_cbranch_vccnz .LBB6_30
; %bb.22:
	v_mov_b32_e32 v2, 25
	v_cmp_gt_i16_sdwa s[0:1], v18, v2 src0_sel:BYTE_0 src1_sel:DWORD
	s_and_b64 vcc, exec, s[0:1]
	s_cbranch_vccz .LBB6_33
; %bb.23:
	v_mov_b32_e32 v2, 28
	v_cmp_gt_i16_sdwa s[0:1], v18, v2 src0_sel:BYTE_0 src1_sel:DWORD
	s_and_b64 vcc, exec, s[0:1]
	s_cbranch_vccz .LBB6_36
	;; [unrolled: 5-line block ×4, first 2 shown]
; %bb.26:
	v_mov_b32_e32 v2, 46
	v_cmp_eq_u16_sdwa s[6:7], v18, v2 src0_sel:BYTE_0 src1_sel:DWORD
	s_mov_b64 s[24:25], 0
	s_mov_b64 s[0:1], -1
	s_and_b64 vcc, exec, s[6:7]
	s_mov_b64 s[6:7], 0
	s_cbranch_vccz .LBB6_159
; %bb.27:
	v_cvt_f32_f64_e32 v2, v[0:1]
	v_bfe_u32 v3, v2, 16, 1
	s_movk_i32 s0, 0x7fff
	v_add3_u32 v3, v2, v3, s0
	v_lshrrev_b32_e32 v3, 16, v3
	v_mov_b32_e32 v6, 0x7fc0
	v_cmp_o_f32_e32 vcc, v2, v2
	v_cndmask_b32_e32 v2, v6, v3, vcc
	global_store_dword v[4:5], v2, off
	s_mov_b64 s[6:7], -1
	s_mov_b64 s[0:1], 0
	s_branch .LBB6_159
.LBB6_28:
	s_mov_b64 s[6:7], -1
	s_mov_b64 s[0:1], 0
                                        ; implicit-def: $vgpr0_vgpr1
	s_branch .LBB6_51
.LBB6_29:
	s_mov_b64 s[6:7], -1
	s_mov_b64 s[18:19], 0
	s_mov_b64 s[0:1], 0
                                        ; implicit-def: $vgpr4_vgpr5
	s_branch .LBB6_296
.LBB6_30:
	s_mov_b64 s[24:25], -1
	s_mov_b64 s[0:1], 0
	s_mov_b64 s[6:7], 0
	s_branch .LBB6_228
.LBB6_31:
	s_mov_b64 s[6:7], -1
	s_mov_b64 s[0:1], 0
                                        ; implicit-def: $vgpr0_vgpr1
	s_branch .LBB6_46
.LBB6_32:
	s_mov_b64 s[6:7], -1
	s_mov_b64 s[18:19], 0
	s_mov_b64 s[0:1], 0
                                        ; implicit-def: $vgpr4_vgpr5
	s_branch .LBB6_277
.LBB6_33:
	s_mov_b64 s[24:25], -1
	s_mov_b64 s[0:1], 0
	s_mov_b64 s[6:7], 0
	s_branch .LBB6_186
.LBB6_34:
	s_mov_b64 s[6:7], -1
	s_branch .LBB6_38
.LBB6_35:
	s_mov_b64 s[6:7], -1
	s_mov_b64 s[18:19], 0
	s_mov_b64 s[0:1], 0
                                        ; implicit-def: $vgpr4_vgpr5
	s_branch .LBB6_272
.LBB6_36:
	s_mov_b64 s[24:25], -1
	s_mov_b64 s[0:1], 0
	s_mov_b64 s[6:7], 0
	s_branch .LBB6_169
.LBB6_37:
	s_mov_b64 s[20:21], -1
.LBB6_38:
	s_mov_b64 s[0:1], 0
                                        ; implicit-def: $vgpr0_vgpr1
.LBB6_39:
	s_and_b64 vcc, exec, s[6:7]
	s_cbranch_vccz .LBB6_45
; %bb.40:
	v_mov_b32_e32 v0, 44
	v_cmp_eq_u16_sdwa s[6:7], v16, v0 src0_sel:BYTE_0 src1_sel:DWORD
	s_and_b64 vcc, exec, s[6:7]
	s_cbranch_vccz .LBB6_44
; %bb.41:
	global_load_ubyte v4, v[2:3], off
	s_movk_i32 s6, 0xff
	v_bfrev_b32_e32 v5, 4
	v_mov_b32_e32 v6, 0x7ff80000
	v_bfrev_b32_e32 v7, 28
	s_mov_b64 s[0:1], -1
	s_mov_b64 s[20:21], 0
	s_waitcnt vmcnt(0)
	v_lshlrev_b32_e32 v0, 23, v4
	v_cvt_f64_f32_e32 v[0:1], v0
	v_cmp_ne_u32_e32 vcc, s6, v4
	v_cndmask_b32_e32 v0, v5, v0, vcc
	v_cndmask_b32_e32 v1, v6, v1, vcc
	v_cmp_ne_u32_e32 vcc, 0, v4
	v_cndmask_b32_e32 v1, v7, v1, vcc
	v_cndmask_b32_e32 v0, 0, v0, vcc
	s_branch .LBB6_45
.LBB6_42:
	s_mov_b64 s[6:7], -1
	s_mov_b64 s[18:19], 0
	s_branch .LBB6_154
.LBB6_43:
	s_mov_b64 s[24:25], -1
	s_mov_b64 s[0:1], 0
	s_mov_b64 s[6:7], 0
	s_branch .LBB6_165
.LBB6_44:
	s_mov_b64 s[20:21], -1
                                        ; implicit-def: $vgpr0_vgpr1
.LBB6_45:
	s_mov_b64 s[6:7], 0
.LBB6_46:
	s_and_b64 vcc, exec, s[6:7]
	s_cbranch_vccz .LBB6_50
; %bb.47:
	v_mov_b32_e32 v0, 29
	v_cmp_eq_u16_sdwa s[6:7], v16, v0 src0_sel:BYTE_0 src1_sel:DWORD
	s_and_b64 vcc, exec, s[6:7]
	s_cbranch_vccz .LBB6_49
; %bb.48:
	global_load_dwordx2 v[0:1], v[2:3], off
	s_mov_b64 s[0:1], -1
	s_mov_b64 s[20:21], 0
	s_mov_b64 s[6:7], 0
	s_waitcnt vmcnt(0)
	v_cvt_f64_u32_e32 v[4:5], v1
	v_cvt_f64_u32_e32 v[0:1], v0
	v_ldexp_f64 v[4:5], v[4:5], 32
	v_add_f64 v[0:1], v[4:5], v[0:1]
	s_branch .LBB6_51
.LBB6_49:
	s_mov_b64 s[20:21], -1
                                        ; implicit-def: $vgpr0_vgpr1
.LBB6_50:
	s_mov_b64 s[6:7], 0
.LBB6_51:
	s_and_b64 vcc, exec, s[6:7]
	s_cbranch_vccz .LBB6_69
; %bb.52:
	v_mov_b32_e32 v0, 27
	v_cmp_lt_i16_sdwa s[0:1], v16, v0 src0_sel:BYTE_0 src1_sel:DWORD
	s_and_b64 vcc, exec, s[0:1]
	s_cbranch_vccnz .LBB6_55
; %bb.53:
	v_cmp_gt_i16_sdwa s[0:1], v16, v0 src0_sel:BYTE_0 src1_sel:DWORD
	s_and_b64 vcc, exec, s[0:1]
	s_cbranch_vccz .LBB6_56
; %bb.54:
	global_load_dword v0, v[2:3], off
	s_mov_b64 s[0:1], 0
	s_waitcnt vmcnt(0)
	v_cvt_f64_u32_e32 v[0:1], v0
	s_branch .LBB6_57
.LBB6_55:
	s_mov_b64 s[0:1], -1
                                        ; implicit-def: $vgpr0_vgpr1
	s_branch .LBB6_60
.LBB6_56:
	s_mov_b64 s[0:1], -1
                                        ; implicit-def: $vgpr0_vgpr1
.LBB6_57:
	s_andn2_b64 vcc, exec, s[0:1]
	s_cbranch_vccnz .LBB6_59
; %bb.58:
	global_load_ushort v0, v[2:3], off
	s_waitcnt vmcnt(0)
	v_cvt_f64_u32_e32 v[0:1], v0
.LBB6_59:
	s_mov_b64 s[0:1], 0
.LBB6_60:
	s_andn2_b64 vcc, exec, s[0:1]
	s_cbranch_vccnz .LBB6_68
; %bb.61:
	global_load_ubyte v4, v[2:3], off
	s_movk_i32 s0, 0x7f
                                        ; implicit-def: $sgpr6_sgpr7
	s_waitcnt vmcnt(0)
	v_cmp_lt_i16_e32 vcc, s0, v4
	s_mov_b64 s[0:1], 0
	s_and_saveexec_b64 s[18:19], vcc
	s_xor_b64 s[18:19], exec, s[18:19]
	s_cbranch_execz .LBB6_81
; %bb.62:
	s_movk_i32 s0, 0x80
	v_cmp_eq_u16_e32 vcc, s0, v4
	s_mov_b64 s[24:25], -1
                                        ; implicit-def: $sgpr6_sgpr7
	s_and_saveexec_b64 s[0:1], vcc
; %bb.63:
	s_mov_b32 s7, 0x7ff80000
	s_brev_b32 s6, 4
	s_xor_b64 s[24:25], exec, -1
; %bb.64:
	s_or_b64 exec, exec, s[0:1]
	s_and_b64 s[0:1], s[24:25], exec
	s_or_saveexec_b64 s[18:19], s[18:19]
	v_pk_mov_b32 v[0:1], s[6:7], s[6:7] op_sel:[0,1]
	s_xor_b64 exec, exec, s[18:19]
	s_cbranch_execnz .LBB6_82
.LBB6_65:
	s_or_b64 exec, exec, s[18:19]
	s_and_saveexec_b64 s[6:7], s[0:1]
	s_cbranch_execz .LBB6_67
.LBB6_66:
	v_and_b32_e32 v1, 0xffff, v4
	v_lshlrev_b32_e32 v0, 24, v4
	v_and_b32_e32 v4, 7, v1
	v_ffbh_u32_e32 v6, v4
	v_min_u32_e32 v6, 32, v6
	v_subrev_u32_e32 v7, 28, v6
	v_bfe_u32 v5, v1, 3, 4
	v_lshlrev_b32_e32 v1, v7, v1
	v_sub_u32_e32 v6, 29, v6
	v_and_b32_e32 v1, 7, v1
	v_cmp_eq_u32_e32 vcc, 0, v5
	v_cndmask_b32_e32 v5, v5, v6, vcc
	v_cndmask_b32_e32 v1, v4, v1, vcc
	v_mov_b32_e32 v4, 0x3b800000
	v_lshlrev_b32_e32 v1, 20, v1
	v_and_b32_e32 v0, 0x80000000, v0
	v_lshl_add_u32 v4, v5, 23, v4
	v_or3_b32 v0, v0, v4, v1
	v_cvt_f64_f32_e32 v[0:1], v0
.LBB6_67:
	s_or_b64 exec, exec, s[6:7]
.LBB6_68:
	s_mov_b64 s[0:1], -1
.LBB6_69:
	s_branch .LBB6_104
.LBB6_70:
	v_mov_b32_e32 v0, 22
	v_cmp_gt_i16_sdwa s[6:7], v16, v0 src0_sel:BYTE_0 src1_sel:DWORD
	s_and_b64 vcc, exec, s[6:7]
	s_cbranch_vccz .LBB6_80
; %bb.71:
	v_mov_b32_e32 v0, 24
	v_cmp_lt_i16_sdwa s[0:1], v16, v0 src0_sel:BYTE_0 src1_sel:DWORD
	s_and_b64 vcc, exec, s[0:1]
	s_cbranch_vccnz .LBB6_83
; %bb.72:
	v_cmp_gt_i16_sdwa s[0:1], v16, v0 src0_sel:BYTE_0 src1_sel:DWORD
	s_and_b64 vcc, exec, s[0:1]
	s_cbranch_vccz .LBB6_84
; %bb.73:
	global_load_ubyte v4, v[2:3], off
	s_movk_i32 s0, 0x7f
                                        ; implicit-def: $sgpr6_sgpr7
	s_waitcnt vmcnt(0)
	v_cmp_lt_i16_e32 vcc, s0, v4
	s_mov_b64 s[0:1], 0
	s_and_saveexec_b64 s[18:19], vcc
	s_xor_b64 s[18:19], exec, s[18:19]
	s_cbranch_execz .LBB6_96
; %bb.74:
	s_movk_i32 s0, 0x80
	v_cmp_eq_u16_e32 vcc, s0, v4
	s_mov_b64 s[24:25], -1
                                        ; implicit-def: $sgpr6_sgpr7
	s_and_saveexec_b64 s[0:1], vcc
; %bb.75:
	s_mov_b32 s7, 0x7ff80000
	s_brev_b32 s6, 4
	s_xor_b64 s[24:25], exec, -1
; %bb.76:
	s_or_b64 exec, exec, s[0:1]
	s_and_b64 s[0:1], s[24:25], exec
	s_or_saveexec_b64 s[18:19], s[18:19]
	v_pk_mov_b32 v[0:1], s[6:7], s[6:7] op_sel:[0,1]
	s_xor_b64 exec, exec, s[18:19]
	s_cbranch_execnz .LBB6_97
.LBB6_77:
	s_or_b64 exec, exec, s[18:19]
	s_and_saveexec_b64 s[6:7], s[0:1]
	s_cbranch_execz .LBB6_79
.LBB6_78:
	v_and_b32_e32 v1, 0xffff, v4
	v_lshlrev_b32_e32 v0, 24, v4
	v_and_b32_e32 v4, 3, v1
	v_ffbh_u32_e32 v6, v4
	v_min_u32_e32 v6, 32, v6
	v_subrev_u32_e32 v7, 29, v6
	v_bfe_u32 v5, v1, 2, 5
	v_lshlrev_b32_e32 v1, v7, v1
	v_sub_u32_e32 v6, 30, v6
	v_and_b32_e32 v1, 3, v1
	v_cmp_eq_u32_e32 vcc, 0, v5
	v_cndmask_b32_e32 v5, v5, v6, vcc
	v_cndmask_b32_e32 v1, v4, v1, vcc
	v_mov_b32_e32 v4, 0x37800000
	v_lshlrev_b32_e32 v1, 21, v1
	v_and_b32_e32 v0, 0x80000000, v0
	v_lshl_add_u32 v4, v5, 23, v4
	v_or3_b32 v0, v0, v4, v1
	v_cvt_f64_f32_e32 v[0:1], v0
.LBB6_79:
	s_or_b64 exec, exec, s[6:7]
	s_mov_b64 s[0:1], 0
	s_branch .LBB6_85
.LBB6_80:
	s_mov_b64 s[6:7], -1
                                        ; implicit-def: $vgpr0_vgpr1
	s_branch .LBB6_91
.LBB6_81:
	s_or_saveexec_b64 s[18:19], s[18:19]
	v_pk_mov_b32 v[0:1], s[6:7], s[6:7] op_sel:[0,1]
	s_xor_b64 exec, exec, s[18:19]
	s_cbranch_execz .LBB6_65
.LBB6_82:
	v_cmp_ne_u16_e32 vcc, 0, v4
	s_andn2_b64 s[0:1], s[0:1], exec
	s_and_b64 s[6:7], vcc, exec
	v_pk_mov_b32 v[0:1], 0, 0
	s_or_b64 s[0:1], s[0:1], s[6:7]
	s_or_b64 exec, exec, s[18:19]
	s_and_saveexec_b64 s[6:7], s[0:1]
	s_cbranch_execnz .LBB6_66
	s_branch .LBB6_67
.LBB6_83:
	s_mov_b64 s[0:1], -1
                                        ; implicit-def: $vgpr0_vgpr1
	s_branch .LBB6_88
.LBB6_84:
	s_mov_b64 s[0:1], -1
                                        ; implicit-def: $vgpr0_vgpr1
.LBB6_85:
	s_and_b64 vcc, exec, s[0:1]
	s_cbranch_vccz .LBB6_87
; %bb.86:
	global_load_ubyte v0, v[2:3], off
	s_mov_b32 s0, 0x7f800000
	s_waitcnt vmcnt(0)
	v_lshlrev_b32_e32 v0, 24, v0
	v_and_b32_e32 v1, 0x7f000000, v0
	v_ffbh_u32_e32 v4, v1
	v_min_u32_e32 v4, 32, v4
	v_sub_u32_e64 v4, v4, 4 clamp
	v_lshlrev_b32_e32 v6, v4, v1
	v_lshlrev_b32_e32 v4, 23, v4
	v_lshrrev_b32_e32 v6, 4, v6
	v_add_u32_e32 v5, 0x1000000, v1
	v_sub_u32_e32 v4, v6, v4
	v_ashrrev_i32_e32 v5, 8, v5
	v_add_u32_e32 v4, 0x3c000000, v4
	v_and_or_b32 v4, v5, s0, v4
	v_cmp_ne_u32_e32 vcc, 0, v1
	v_cndmask_b32_e32 v1, 0, v4, vcc
	s_brev_b32 s0, 1
	v_and_or_b32 v0, v0, s0, v1
	v_cvt_f64_f32_e32 v[0:1], v0
.LBB6_87:
	s_mov_b64 s[0:1], 0
.LBB6_88:
	s_andn2_b64 vcc, exec, s[0:1]
	s_cbranch_vccnz .LBB6_90
; %bb.89:
	global_load_ubyte v0, v[2:3], off
	s_movk_i32 s0, 0x7f00
	s_brev_b32 s1, 16
	s_waitcnt vmcnt(0)
	v_lshlrev_b16_e32 v1, 8, v0
	v_lshlrev_b32_e32 v0, 25, v0
	v_lshrrev_b32_e32 v4, 4, v0
	v_and_or_b32 v5, v1, s0, 0.5
	v_or_b32_e32 v4, 0x70000000, v4
	v_add_f32_e32 v5, -0.5, v5
	v_mul_f32_e32 v4, 0x7800000, v4
	v_cmp_gt_u32_e32 vcc, s1, v0
	v_bfe_i32 v1, v1, 0, 16
	v_cndmask_b32_e32 v0, v4, v5, vcc
	s_brev_b32 s0, 1
	v_and_or_b32 v0, v1, s0, v0
	v_cvt_f64_f32_e32 v[0:1], v0
.LBB6_90:
	s_mov_b64 s[6:7], 0
	s_mov_b64 s[0:1], -1
.LBB6_91:
	s_andn2_b64 vcc, exec, s[6:7]
	s_cbranch_vccnz .LBB6_104
; %bb.92:
	v_mov_b32_e32 v0, 14
	v_cmp_gt_i16_sdwa s[6:7], v16, v0 src0_sel:BYTE_0 src1_sel:DWORD
	s_and_b64 vcc, exec, s[6:7]
	s_cbranch_vccz .LBB6_95
; %bb.93:
	v_mov_b32_e32 v0, 15
	v_cmp_eq_u16_sdwa s[6:7], v16, v0 src0_sel:BYTE_0 src1_sel:DWORD
	s_and_b64 vcc, exec, s[6:7]
	s_cbranch_vccz .LBB6_98
; %bb.94:
	global_load_ushort v0, v[2:3], off
	s_mov_b64 s[0:1], -1
	s_mov_b64 s[20:21], 0
	s_waitcnt vmcnt(0)
	v_lshlrev_b32_e32 v0, 16, v0
	v_cvt_f64_f32_e32 v[0:1], v0
	s_branch .LBB6_99
.LBB6_95:
	s_mov_b64 s[6:7], -1
                                        ; implicit-def: $vgpr0_vgpr1
	s_branch .LBB6_100
.LBB6_96:
	s_or_saveexec_b64 s[18:19], s[18:19]
	v_pk_mov_b32 v[0:1], s[6:7], s[6:7] op_sel:[0,1]
	s_xor_b64 exec, exec, s[18:19]
	s_cbranch_execz .LBB6_77
.LBB6_97:
	v_cmp_ne_u16_e32 vcc, 0, v4
	s_andn2_b64 s[0:1], s[0:1], exec
	s_and_b64 s[6:7], vcc, exec
	v_pk_mov_b32 v[0:1], 0, 0
	s_or_b64 s[0:1], s[0:1], s[6:7]
	s_or_b64 exec, exec, s[18:19]
	s_and_saveexec_b64 s[6:7], s[0:1]
	s_cbranch_execnz .LBB6_78
	s_branch .LBB6_79
.LBB6_98:
	s_mov_b64 s[20:21], -1
                                        ; implicit-def: $vgpr0_vgpr1
.LBB6_99:
	s_mov_b64 s[6:7], 0
.LBB6_100:
	s_and_b64 vcc, exec, s[6:7]
	s_cbranch_vccz .LBB6_104
; %bb.101:
	v_mov_b32_e32 v0, 11
	v_cmp_eq_u16_sdwa s[6:7], v16, v0 src0_sel:BYTE_0 src1_sel:DWORD
	s_and_b64 vcc, exec, s[6:7]
	s_cbranch_vccz .LBB6_103
; %bb.102:
	global_load_ubyte v1, v[2:3], off
	v_mov_b32_e32 v4, 0x3ff00000
	v_mov_b32_e32 v0, 0
	s_mov_b64 s[0:1], -1
	s_mov_b64 s[20:21], 0
	s_waitcnt vmcnt(0)
	v_cmp_ne_u16_e32 vcc, 0, v1
	v_cndmask_b32_e32 v1, 0, v4, vcc
	s_branch .LBB6_104
.LBB6_103:
	s_mov_b64 s[20:21], -1
                                        ; implicit-def: $vgpr0_vgpr1
.LBB6_104:
	s_branch .LBB6_10
.LBB6_105:
	v_mov_b32_e32 v0, 5
	v_cmp_lt_i16_sdwa s[0:1], v16, v0 src0_sel:BYTE_0 src1_sel:DWORD
	s_and_b64 vcc, exec, s[0:1]
	s_cbranch_vccnz .LBB6_110
; %bb.106:
	v_mov_b32_e32 v0, 8
	v_cmp_lt_i16_sdwa s[0:1], v16, v0 src0_sel:BYTE_0 src1_sel:DWORD
	s_and_b64 vcc, exec, s[0:1]
	s_cbranch_vccnz .LBB6_111
; %bb.107:
	v_mov_b32_e32 v0, 9
	v_cmp_lt_i16_sdwa s[0:1], v16, v0 src0_sel:BYTE_0 src1_sel:DWORD
	s_and_b64 vcc, exec, s[0:1]
	s_cbranch_vccnz .LBB6_112
; %bb.108:
	v_cmp_gt_i16_sdwa s[0:1], v16, v0 src0_sel:BYTE_0 src1_sel:DWORD
	s_and_b64 vcc, exec, s[0:1]
	s_cbranch_vccz .LBB6_113
; %bb.109:
	global_load_dwordx2 v[0:1], v[2:3], off
	s_mov_b64 s[0:1], 0
	s_branch .LBB6_114
.LBB6_110:
                                        ; implicit-def: $vgpr0_vgpr1
	s_branch .LBB6_132
.LBB6_111:
	s_mov_b64 s[0:1], -1
                                        ; implicit-def: $vgpr0_vgpr1
	s_branch .LBB6_120
.LBB6_112:
	s_mov_b64 s[0:1], -1
                                        ; implicit-def: $vgpr0_vgpr1
	s_branch .LBB6_117
.LBB6_113:
	s_mov_b64 s[0:1], -1
                                        ; implicit-def: $vgpr0_vgpr1
.LBB6_114:
	s_andn2_b64 vcc, exec, s[0:1]
	s_cbranch_vccnz .LBB6_116
; %bb.115:
	global_load_dword v0, v[2:3], off
	s_waitcnt vmcnt(0)
	v_cvt_f64_f32_e32 v[0:1], v0
.LBB6_116:
	s_mov_b64 s[0:1], 0
.LBB6_117:
	s_andn2_b64 vcc, exec, s[0:1]
	s_cbranch_vccnz .LBB6_119
; %bb.118:
	global_load_dword v0, v[2:3], off
	s_waitcnt vmcnt(0)
	v_cvt_f32_f16_e32 v0, v0
	v_cvt_f64_f32_e32 v[0:1], v0
.LBB6_119:
	s_mov_b64 s[0:1], 0
.LBB6_120:
	s_andn2_b64 vcc, exec, s[0:1]
	s_cbranch_vccnz .LBB6_131
; %bb.121:
	s_waitcnt vmcnt(0)
	v_mov_b32_e32 v0, 6
	v_cmp_lt_i16_sdwa s[0:1], v16, v0 src0_sel:BYTE_0 src1_sel:DWORD
	s_and_b64 vcc, exec, s[0:1]
	s_cbranch_vccnz .LBB6_124
; %bb.122:
	v_cmp_gt_i16_sdwa s[0:1], v16, v0 src0_sel:BYTE_0 src1_sel:DWORD
	s_and_b64 vcc, exec, s[0:1]
	s_cbranch_vccz .LBB6_125
; %bb.123:
	global_load_dwordx2 v[0:1], v[2:3], off
	s_mov_b64 s[0:1], 0
	s_branch .LBB6_126
.LBB6_124:
	s_mov_b64 s[0:1], -1
                                        ; implicit-def: $vgpr0_vgpr1
	s_branch .LBB6_129
.LBB6_125:
	s_mov_b64 s[0:1], -1
                                        ; implicit-def: $vgpr0_vgpr1
.LBB6_126:
	s_andn2_b64 vcc, exec, s[0:1]
	s_cbranch_vccnz .LBB6_128
; %bb.127:
	global_load_dword v0, v[2:3], off
	s_waitcnt vmcnt(0)
	v_cvt_f64_f32_e32 v[0:1], v0
.LBB6_128:
	s_mov_b64 s[0:1], 0
.LBB6_129:
	s_andn2_b64 vcc, exec, s[0:1]
	s_cbranch_vccnz .LBB6_131
; %bb.130:
	global_load_ushort v0, v[2:3], off
	s_waitcnt vmcnt(0)
	v_cvt_f32_f16_e32 v0, v0
	v_cvt_f64_f32_e32 v[0:1], v0
.LBB6_131:
	s_cbranch_execnz .LBB6_151
.LBB6_132:
	s_waitcnt vmcnt(0)
	v_mov_b32_e32 v0, 2
	v_cmp_lt_i16_sdwa s[0:1], v16, v0 src0_sel:BYTE_0 src1_sel:DWORD
	s_and_b64 vcc, exec, s[0:1]
	s_cbranch_vccnz .LBB6_136
; %bb.133:
	v_mov_b32_e32 v0, 3
	v_cmp_lt_i16_sdwa s[0:1], v16, v0 src0_sel:BYTE_0 src1_sel:DWORD
	s_and_b64 vcc, exec, s[0:1]
	s_cbranch_vccnz .LBB6_137
; %bb.134:
	v_cmp_gt_i16_sdwa s[0:1], v16, v0 src0_sel:BYTE_0 src1_sel:DWORD
	s_and_b64 vcc, exec, s[0:1]
	s_cbranch_vccz .LBB6_138
; %bb.135:
	global_load_dwordx2 v[0:1], v[2:3], off
	s_mov_b64 s[0:1], 0
	s_waitcnt vmcnt(0)
	v_cvt_f64_i32_e32 v[4:5], v1
	v_cvt_f64_u32_e32 v[0:1], v0
	v_ldexp_f64 v[4:5], v[4:5], 32
	v_add_f64 v[0:1], v[4:5], v[0:1]
	s_branch .LBB6_139
.LBB6_136:
	s_mov_b64 s[0:1], -1
                                        ; implicit-def: $vgpr0_vgpr1
	s_branch .LBB6_145
.LBB6_137:
	s_mov_b64 s[0:1], -1
                                        ; implicit-def: $vgpr0_vgpr1
	s_branch .LBB6_142
.LBB6_138:
	s_mov_b64 s[0:1], -1
                                        ; implicit-def: $vgpr0_vgpr1
.LBB6_139:
	s_andn2_b64 vcc, exec, s[0:1]
	s_cbranch_vccnz .LBB6_141
; %bb.140:
	global_load_dword v0, v[2:3], off
	s_waitcnt vmcnt(0)
	v_cvt_f64_i32_e32 v[0:1], v0
.LBB6_141:
	s_mov_b64 s[0:1], 0
.LBB6_142:
	s_andn2_b64 vcc, exec, s[0:1]
	s_cbranch_vccnz .LBB6_144
; %bb.143:
	global_load_sshort v0, v[2:3], off
	s_waitcnt vmcnt(0)
	v_cvt_f64_i32_e32 v[0:1], v0
.LBB6_144:
	s_mov_b64 s[0:1], 0
.LBB6_145:
	s_andn2_b64 vcc, exec, s[0:1]
	s_cbranch_vccnz .LBB6_151
; %bb.146:
	v_mov_b32_e32 v0, 0
	v_cmp_gt_i16_sdwa s[0:1], v16, v0 src0_sel:BYTE_0 src1_sel:DWORD
	s_and_b64 vcc, exec, s[0:1]
	s_cbranch_vccz .LBB6_148
; %bb.147:
	global_load_sbyte v0, v[2:3], off
	s_mov_b64 s[0:1], 0
	s_waitcnt vmcnt(0)
	v_cvt_f64_i32_e32 v[0:1], v0
	s_branch .LBB6_149
.LBB6_148:
	s_mov_b64 s[0:1], -1
                                        ; implicit-def: $vgpr0_vgpr1
.LBB6_149:
	s_andn2_b64 vcc, exec, s[0:1]
	s_cbranch_vccnz .LBB6_151
; %bb.150:
	global_load_ubyte v0, v[2:3], off
	s_waitcnt vmcnt(0)
	v_cvt_f64_u32_e32 v[0:1], v0
.LBB6_151:
	s_branch .LBB6_11
.LBB6_152:
	s_mov_b64 s[0:1], 0
	s_mov_b64 s[18:19], 0
	s_branch .LBB6_381
.LBB6_153:
	s_mov_b64 s[18:19], -1
.LBB6_154:
	s_mov_b64 s[0:1], 0
                                        ; implicit-def: $vgpr4_vgpr5
.LBB6_155:
	s_and_b64 vcc, exec, s[6:7]
	s_cbranch_vccz .LBB6_271
; %bb.156:
	v_mov_b32_e32 v4, 44
	v_cmp_eq_u16_sdwa s[6:7], v20, v4 src0_sel:BYTE_0 src1_sel:DWORD
	s_and_b64 vcc, exec, s[6:7]
	s_cbranch_vccz .LBB6_270
; %bb.157:
	global_load_ubyte v6, v[2:3], off
	s_movk_i32 s6, 0xff
	v_bfrev_b32_e32 v7, 4
	v_mov_b32_e32 v8, 0x7ff80000
	v_bfrev_b32_e32 v9, 28
	s_mov_b64 s[0:1], -1
	s_mov_b64 s[18:19], 0
	s_waitcnt vmcnt(0)
	v_lshlrev_b32_e32 v4, 23, v6
	v_cvt_f64_f32_e32 v[4:5], v4
	v_cmp_ne_u32_e32 vcc, s6, v6
	v_cndmask_b32_e32 v4, v7, v4, vcc
	v_cndmask_b32_e32 v5, v8, v5, vcc
	v_cmp_ne_u32_e32 vcc, 0, v6
	v_cndmask_b32_e32 v5, v9, v5, vcc
	v_cndmask_b32_e32 v4, 0, v4, vcc
	s_branch .LBB6_271
.LBB6_158:
	s_mov_b64 s[24:25], -1
	s_mov_b64 s[0:1], 0
	s_mov_b64 s[6:7], 0
.LBB6_159:
	s_and_b64 vcc, exec, s[24:25]
	s_cbranch_vccz .LBB6_164
; %bb.160:
	v_mov_b32_e32 v2, 44
	v_cmp_eq_u16_sdwa s[24:25], v18, v2 src0_sel:BYTE_0 src1_sel:DWORD
	s_mov_b64 s[0:1], -1
	s_and_b64 vcc, exec, s[24:25]
	s_cbranch_vccz .LBB6_164
; %bb.161:
	v_cvt_f32_f64_e32 v2, v[0:1]
	v_bfe_u32 v3, v2, 23, 8
	s_movk_i32 s0, 0xff
	v_cmp_ne_u32_e32 vcc, s0, v3
	v_mov_b32_e32 v6, 0xff
	s_and_saveexec_b64 s[6:7], vcc
; %bb.162:
	s_mov_b32 s0, 0x3fffff
	v_lshrrev_b32_e32 v6, 23, v2
	v_and_b32_e32 v7, 0x400000, v2
	v_and_or_b32 v2, v2, s0, v3
	v_cmp_ne_u32_e32 vcc, 0, v7
	v_cmp_ne_u32_e64 s[0:1], 0, v2
	s_and_b64 s[0:1], vcc, s[0:1]
	v_cndmask_b32_e64 v2, 0, 1, s[0:1]
	v_add_u32_e32 v6, v6, v2
; %bb.163:
	s_or_b64 exec, exec, s[6:7]
	s_mov_b64 s[6:7], -1
	s_mov_b64 s[0:1], 0
	global_store_byte v[4:5], v6, off
.LBB6_164:
	s_mov_b64 s[24:25], 0
.LBB6_165:
	s_and_b64 vcc, exec, s[24:25]
	s_cbranch_vccz .LBB6_168
; %bb.166:
	v_mov_b32_e32 v2, 29
	v_cmp_eq_u16_sdwa s[24:25], v18, v2 src0_sel:BYTE_0 src1_sel:DWORD
	s_mov_b64 s[0:1], -1
	s_and_b64 vcc, exec, s[24:25]
	s_cbranch_vccz .LBB6_168
; %bb.167:
	v_trunc_f64_e32 v[2:3], v[0:1]
	s_movk_i32 s0, 0xffe0
	v_ldexp_f64 v[6:7], v[2:3], s0
	v_floor_f64_e32 v[6:7], v[6:7]
	v_fmac_f64_e32 v[2:3], 0xc1f00000, v[6:7]
	v_cvt_u32_f64_e32 v9, v[6:7]
	v_cvt_u32_f64_e32 v8, v[2:3]
	global_store_dwordx2 v[4:5], v[8:9], off
	s_mov_b64 s[6:7], -1
	s_mov_b64 s[0:1], 0
.LBB6_168:
	s_mov_b64 s[24:25], 0
.LBB6_169:
	s_and_b64 vcc, exec, s[24:25]
	s_cbranch_vccz .LBB6_185
; %bb.170:
	v_mov_b32_e32 v2, 27
	v_cmp_lt_i16_sdwa s[24:25], v18, v2 src0_sel:BYTE_0 src1_sel:DWORD
	s_mov_b64 s[6:7], -1
	s_and_b64 vcc, exec, s[24:25]
	s_cbranch_vccnz .LBB6_176
; %bb.171:
	v_cmp_gt_i16_sdwa s[24:25], v18, v2 src0_sel:BYTE_0 src1_sel:DWORD
	s_and_b64 vcc, exec, s[24:25]
	v_cvt_u32_f64_e32 v2, v[0:1]
	s_cbranch_vccz .LBB6_173
; %bb.172:
	s_mov_b64 s[6:7], 0
	global_store_dword v[4:5], v2, off
.LBB6_173:
	s_andn2_b64 vcc, exec, s[6:7]
	s_cbranch_vccnz .LBB6_175
; %bb.174:
	global_store_short v[4:5], v2, off
.LBB6_175:
	s_mov_b64 s[6:7], 0
.LBB6_176:
	s_andn2_b64 vcc, exec, s[6:7]
	s_cbranch_vccnz .LBB6_184
; %bb.177:
	v_cvt_f32_f64_e32 v2, v[0:1]
	v_and_b32_e32 v3, 0x7fffffff, v2
	s_mov_b32 s6, 0x43800000
	v_cmp_gt_u32_e32 vcc, s6, v3
	v_mov_b32_e32 v6, 0x80
	s_and_saveexec_b64 s[6:7], vcc
	s_cbranch_execz .LBB6_183
; %bb.178:
	s_mov_b32 s15, 0x3bffffff
	v_cmp_lt_u32_e32 vcc, s15, v3
	s_mov_b64 s[24:25], 0
                                        ; implicit-def: $vgpr3
	s_and_saveexec_b64 s[28:29], vcc
	s_xor_b64 s[28:29], exec, s[28:29]
	s_cbranch_execz .LBB6_412
; %bb.179:
	v_bfe_u32 v3, v2, 20, 1
	s_mov_b32 s15, 0x487ffff
	v_add3_u32 v3, v2, v3, s15
	s_mov_b64 s[24:25], exec
	v_lshrrev_b32_e32 v3, 20, v3
	s_or_saveexec_b64 s[28:29], s[28:29]
                                        ; implicit-def: $sgpr15
	s_xor_b64 exec, exec, s[28:29]
	s_cbranch_execnz .LBB6_413
.LBB6_180:
	s_or_b64 exec, exec, s[28:29]
	v_mov_b32_e32 v6, s15
	s_and_saveexec_b64 s[28:29], s[24:25]
.LBB6_181:
	v_lshrrev_b32_e32 v2, 24, v2
	s_movk_i32 s15, 0x80
	v_and_or_b32 v6, v2, s15, v3
.LBB6_182:
	s_or_b64 exec, exec, s[28:29]
.LBB6_183:
	s_or_b64 exec, exec, s[6:7]
	global_store_byte v[4:5], v6, off
.LBB6_184:
	s_mov_b64 s[6:7], -1
.LBB6_185:
	s_mov_b64 s[24:25], 0
.LBB6_186:
	s_and_b64 vcc, exec, s[24:25]
	s_cbranch_vccz .LBB6_227
; %bb.187:
	v_mov_b32_e32 v2, 22
	v_cmp_gt_i16_sdwa s[28:29], v18, v2 src0_sel:BYTE_0 src1_sel:DWORD
	s_mov_b64 s[24:25], -1
	s_and_b64 vcc, exec, s[28:29]
	s_cbranch_vccz .LBB6_219
; %bb.188:
	v_mov_b32_e32 v2, 24
	v_cmp_lt_i16_sdwa s[24:25], v18, v2 src0_sel:BYTE_0 src1_sel:DWORD
	s_mov_b64 s[6:7], -1
	s_and_b64 vcc, exec, s[24:25]
	s_cbranch_vccnz .LBB6_208
; %bb.189:
	v_cmp_gt_i16_sdwa s[24:25], v18, v2 src0_sel:BYTE_0 src1_sel:DWORD
	s_and_b64 vcc, exec, s[24:25]
	s_cbranch_vccz .LBB6_197
; %bb.190:
	v_cvt_f32_f64_e32 v2, v[0:1]
	v_and_b32_e32 v3, 0x7fffffff, v2
	s_mov_b32 s6, 0x47800000
	v_cmp_gt_u32_e32 vcc, s6, v3
	v_mov_b32_e32 v6, 0x80
	s_and_saveexec_b64 s[6:7], vcc
	s_cbranch_execz .LBB6_196
; %bb.191:
	s_mov_b32 s15, 0x37ffffff
	v_cmp_lt_u32_e32 vcc, s15, v3
	s_mov_b64 s[24:25], 0
                                        ; implicit-def: $vgpr3
	s_and_saveexec_b64 s[28:29], vcc
	s_xor_b64 s[28:29], exec, s[28:29]
	s_cbranch_execz .LBB6_531
; %bb.192:
	v_bfe_u32 v3, v2, 21, 1
	s_mov_b32 s15, 0x88fffff
	v_add3_u32 v3, v2, v3, s15
	s_mov_b64 s[24:25], exec
	v_lshrrev_b32_e32 v3, 21, v3
	s_or_saveexec_b64 s[28:29], s[28:29]
                                        ; implicit-def: $sgpr15
	s_xor_b64 exec, exec, s[28:29]
	s_cbranch_execnz .LBB6_532
.LBB6_193:
	s_or_b64 exec, exec, s[28:29]
	v_mov_b32_e32 v6, s15
	s_and_saveexec_b64 s[28:29], s[24:25]
.LBB6_194:
	v_lshrrev_b32_e32 v2, 24, v2
	s_movk_i32 s15, 0x80
	v_and_or_b32 v6, v2, s15, v3
.LBB6_195:
	s_or_b64 exec, exec, s[28:29]
.LBB6_196:
	s_or_b64 exec, exec, s[6:7]
	s_mov_b64 s[6:7], 0
	global_store_byte v[4:5], v6, off
.LBB6_197:
	s_and_b64 vcc, exec, s[6:7]
	s_cbranch_vccz .LBB6_207
; %bb.198:
	v_cvt_f32_f64_e32 v2, v[0:1]
	v_and_b32_e32 v6, 0x7fffffff, v2
	s_mov_b32 s6, 0x43f00000
	v_cmp_gt_u32_e32 vcc, s6, v6
                                        ; implicit-def: $vgpr3
	s_and_saveexec_b64 s[6:7], vcc
	s_xor_b64 s[6:7], exec, s[6:7]
	s_cbranch_execz .LBB6_204
; %bb.199:
	s_mov_b32 s15, 0x3c7fffff
	v_cmp_lt_u32_e32 vcc, s15, v6
                                        ; implicit-def: $vgpr3
	s_and_saveexec_b64 s[24:25], vcc
	s_xor_b64 s[24:25], exec, s[24:25]
; %bb.200:
	v_bfe_u32 v3, v2, 20, 1
	s_mov_b32 s15, 0x407ffff
	v_add3_u32 v3, v2, v3, s15
	v_lshrrev_b32_e32 v6, 20, v3
	v_and_b32_e32 v3, 0xff00000, v3
	s_mov_b32 s15, 0x7f00000
	v_mov_b32_e32 v7, 0x7e
	v_cmp_ne_u32_e32 vcc, s15, v3
	v_cndmask_b32_e32 v3, v7, v6, vcc
; %bb.201:
	s_andn2_saveexec_b64 s[24:25], s[24:25]
; %bb.202:
	s_mov_b32 s15, 0x46800000
	v_add_f32_e64 v3, |v2|, s15
; %bb.203:
	s_or_b64 exec, exec, s[24:25]
                                        ; implicit-def: $vgpr6
.LBB6_204:
	s_andn2_saveexec_b64 s[6:7], s[6:7]
; %bb.205:
	s_mov_b32 s15, 0x7f800000
	v_mov_b32_e32 v3, 0x7e
	v_mov_b32_e32 v7, 0x7f
	v_cmp_lt_u32_e32 vcc, s15, v6
	v_cndmask_b32_e32 v3, v3, v7, vcc
; %bb.206:
	s_or_b64 exec, exec, s[6:7]
	v_lshrrev_b32_e32 v2, 24, v2
	s_movk_i32 s6, 0x80
	v_and_or_b32 v2, v2, s6, v3
	global_store_byte v[4:5], v2, off
.LBB6_207:
	s_mov_b64 s[6:7], 0
.LBB6_208:
	s_andn2_b64 vcc, exec, s[6:7]
	s_cbranch_vccnz .LBB6_218
; %bb.209:
	v_cvt_f32_f64_e32 v2, v[0:1]
	v_and_b32_e32 v6, 0x7fffffff, v2
	s_mov_b32 s6, 0x47800000
	v_cmp_gt_u32_e32 vcc, s6, v6
                                        ; implicit-def: $vgpr3
	s_and_saveexec_b64 s[6:7], vcc
	s_xor_b64 s[6:7], exec, s[6:7]
	s_cbranch_execz .LBB6_215
; %bb.210:
	s_mov_b32 s15, 0x387fffff
	v_cmp_lt_u32_e32 vcc, s15, v6
                                        ; implicit-def: $vgpr3
	s_and_saveexec_b64 s[24:25], vcc
	s_xor_b64 s[24:25], exec, s[24:25]
; %bb.211:
	v_bfe_u32 v3, v2, 21, 1
	s_mov_b32 s15, 0x80fffff
	v_add3_u32 v3, v2, v3, s15
	v_lshrrev_b32_e32 v3, 21, v3
; %bb.212:
	s_andn2_saveexec_b64 s[24:25], s[24:25]
; %bb.213:
	s_mov_b32 s15, 0x43000000
	v_add_f32_e64 v3, |v2|, s15
; %bb.214:
	s_or_b64 exec, exec, s[24:25]
                                        ; implicit-def: $vgpr6
.LBB6_215:
	s_andn2_saveexec_b64 s[6:7], s[6:7]
; %bb.216:
	s_mov_b32 s15, 0x7f800000
	v_mov_b32_e32 v3, 0x7c
	v_mov_b32_e32 v7, 0x7f
	v_cmp_lt_u32_e32 vcc, s15, v6
	v_cndmask_b32_e32 v3, v3, v7, vcc
; %bb.217:
	s_or_b64 exec, exec, s[6:7]
	v_lshrrev_b32_e32 v2, 24, v2
	s_movk_i32 s6, 0x80
	v_and_or_b32 v2, v2, s6, v3
	global_store_byte v[4:5], v2, off
.LBB6_218:
	s_mov_b64 s[24:25], 0
	s_mov_b64 s[6:7], -1
.LBB6_219:
	s_andn2_b64 vcc, exec, s[24:25]
	s_cbranch_vccnz .LBB6_227
; %bb.220:
	v_mov_b32_e32 v2, 14
	v_cmp_gt_i16_sdwa s[28:29], v18, v2 src0_sel:BYTE_0 src1_sel:DWORD
	s_mov_b64 s[24:25], -1
	s_and_b64 vcc, exec, s[28:29]
	s_cbranch_vccz .LBB6_224
; %bb.221:
	v_mov_b32_e32 v2, 15
	v_cmp_eq_u16_sdwa s[24:25], v18, v2 src0_sel:BYTE_0 src1_sel:DWORD
	s_mov_b64 s[0:1], -1
	s_and_b64 vcc, exec, s[24:25]
	s_cbranch_vccz .LBB6_223
; %bb.222:
	v_cvt_f32_f64_e32 v2, v[0:1]
	v_bfe_u32 v3, v2, 16, 1
	s_movk_i32 s0, 0x7fff
	v_add3_u32 v3, v2, v3, s0
	v_lshrrev_b32_e32 v3, 16, v3
	v_mov_b32_e32 v6, 0x7fc0
	v_cmp_o_f32_e32 vcc, v2, v2
	v_cndmask_b32_e32 v2, v6, v3, vcc
	global_store_short v[4:5], v2, off
	s_mov_b64 s[6:7], -1
	s_mov_b64 s[0:1], 0
.LBB6_223:
	s_mov_b64 s[24:25], 0
.LBB6_224:
	s_and_b64 vcc, exec, s[24:25]
	s_cbranch_vccz .LBB6_227
; %bb.225:
	v_mov_b32_e32 v2, 11
	v_cmp_eq_u16_sdwa s[24:25], v18, v2 src0_sel:BYTE_0 src1_sel:DWORD
	s_mov_b64 s[0:1], -1
	s_and_b64 vcc, exec, s[24:25]
	s_cbranch_vccz .LBB6_227
; %bb.226:
	v_mov_b32_e32 v2, 1
	s_mov_b64 s[6:7], -1
	s_mov_b64 s[0:1], 0
	global_store_byte v[4:5], v2, off
.LBB6_227:
	s_mov_b64 s[24:25], 0
.LBB6_228:
	s_and_b64 vcc, exec, s[24:25]
	s_cbranch_vccz .LBB6_267
; %bb.229:
	v_mov_b32_e32 v2, 5
	v_cmp_lt_i16_sdwa s[24:25], v18, v2 src0_sel:BYTE_0 src1_sel:DWORD
	s_mov_b64 s[6:7], -1
	s_and_b64 vcc, exec, s[24:25]
	s_cbranch_vccnz .LBB6_250
; %bb.230:
	v_mov_b32_e32 v2, 8
	v_cmp_lt_i16_sdwa s[24:25], v18, v2 src0_sel:BYTE_0 src1_sel:DWORD
	s_and_b64 vcc, exec, s[24:25]
	s_cbranch_vccnz .LBB6_240
; %bb.231:
	v_mov_b32_e32 v2, 9
	v_cmp_lt_i16_sdwa s[24:25], v18, v2 src0_sel:BYTE_0 src1_sel:DWORD
	s_and_b64 vcc, exec, s[24:25]
	s_cbranch_vccnz .LBB6_237
; %bb.232:
	v_cmp_gt_i16_sdwa s[24:25], v18, v2 src0_sel:BYTE_0 src1_sel:DWORD
	s_and_b64 vcc, exec, s[24:25]
	s_cbranch_vccz .LBB6_234
; %bb.233:
	v_mov_b32_e32 v2, 0
	v_mov_b32_e32 v3, v2
	global_store_dwordx4 v[4:5], v[0:3], off
	s_mov_b64 s[6:7], 0
.LBB6_234:
	s_andn2_b64 vcc, exec, s[6:7]
	s_cbranch_vccnz .LBB6_236
; %bb.235:
	v_cvt_f32_f64_e32 v2, v[0:1]
	v_mov_b32_e32 v3, 0
	global_store_dwordx2 v[4:5], v[2:3], off
.LBB6_236:
	s_mov_b64 s[6:7], 0
.LBB6_237:
	s_andn2_b64 vcc, exec, s[6:7]
	s_cbranch_vccnz .LBB6_239
; %bb.238:
	v_cvt_f32_f64_e32 v2, v[0:1]
	v_cvt_f16_f32_e32 v2, v2
	global_store_dword v[4:5], v2, off
.LBB6_239:
	s_mov_b64 s[6:7], 0
.LBB6_240:
	s_andn2_b64 vcc, exec, s[6:7]
	s_cbranch_vccnz .LBB6_249
; %bb.241:
	v_mov_b32_e32 v2, 6
	v_cmp_lt_i16_sdwa s[24:25], v18, v2 src0_sel:BYTE_0 src1_sel:DWORD
	s_mov_b64 s[6:7], -1
	s_and_b64 vcc, exec, s[24:25]
	s_cbranch_vccnz .LBB6_247
; %bb.242:
	v_cmp_gt_i16_sdwa s[24:25], v18, v2 src0_sel:BYTE_0 src1_sel:DWORD
	s_and_b64 vcc, exec, s[24:25]
	s_cbranch_vccz .LBB6_244
; %bb.243:
	global_store_dwordx2 v[4:5], v[0:1], off
	s_mov_b64 s[6:7], 0
.LBB6_244:
	s_andn2_b64 vcc, exec, s[6:7]
	s_cbranch_vccnz .LBB6_246
; %bb.245:
	v_cvt_f32_f64_e32 v2, v[0:1]
	global_store_dword v[4:5], v2, off
.LBB6_246:
	s_mov_b64 s[6:7], 0
.LBB6_247:
	s_andn2_b64 vcc, exec, s[6:7]
	s_cbranch_vccnz .LBB6_249
; %bb.248:
	v_cvt_f32_f64_e32 v2, v[0:1]
	v_cvt_f16_f32_e32 v2, v2
	global_store_short v[4:5], v2, off
.LBB6_249:
	s_mov_b64 s[6:7], 0
.LBB6_250:
	s_andn2_b64 vcc, exec, s[6:7]
	s_cbranch_vccnz .LBB6_266
; %bb.251:
	v_mov_b32_e32 v2, 2
	v_cmp_lt_i16_sdwa s[24:25], v18, v2 src0_sel:BYTE_0 src1_sel:DWORD
	s_mov_b64 s[6:7], -1
	s_and_b64 vcc, exec, s[24:25]
	s_cbranch_vccnz .LBB6_261
; %bb.252:
	v_mov_b32_e32 v2, 3
	v_cmp_lt_i16_sdwa s[24:25], v18, v2 src0_sel:BYTE_0 src1_sel:DWORD
	s_and_b64 vcc, exec, s[24:25]
	s_cbranch_vccnz .LBB6_258
; %bb.253:
	v_cmp_gt_i16_sdwa s[24:25], v18, v2 src0_sel:BYTE_0 src1_sel:DWORD
	s_and_b64 vcc, exec, s[24:25]
	s_cbranch_vccz .LBB6_255
; %bb.254:
	v_trunc_f64_e32 v[2:3], v[0:1]
	s_movk_i32 s6, 0xffe0
	v_ldexp_f64 v[6:7], v[2:3], s6
	v_floor_f64_e32 v[6:7], v[6:7]
	v_fmac_f64_e32 v[2:3], 0xc1f00000, v[6:7]
	v_cvt_i32_f64_e32 v9, v[6:7]
	v_cvt_u32_f64_e32 v8, v[2:3]
	global_store_dwordx2 v[4:5], v[8:9], off
	s_mov_b64 s[6:7], 0
.LBB6_255:
	s_andn2_b64 vcc, exec, s[6:7]
	s_cbranch_vccnz .LBB6_257
; %bb.256:
	v_cvt_i32_f64_e32 v2, v[0:1]
	global_store_dword v[4:5], v2, off
.LBB6_257:
	s_mov_b64 s[6:7], 0
.LBB6_258:
	s_andn2_b64 vcc, exec, s[6:7]
	s_cbranch_vccnz .LBB6_260
; %bb.259:
	v_cvt_i32_f64_e32 v2, v[0:1]
	global_store_short v[4:5], v2, off
.LBB6_260:
	s_mov_b64 s[6:7], 0
.LBB6_261:
	s_andn2_b64 vcc, exec, s[6:7]
	s_cbranch_vccnz .LBB6_266
; %bb.262:
	v_mov_b32_e32 v2, 0
	v_cmp_gt_i16_sdwa s[24:25], v18, v2 src0_sel:BYTE_0 src1_sel:DWORD
	s_mov_b64 s[6:7], -1
	s_and_b64 vcc, exec, s[24:25]
	s_cbranch_vccz .LBB6_264
; %bb.263:
	v_cvt_i32_f64_e32 v2, v[0:1]
	global_store_byte v[4:5], v2, off
	s_mov_b64 s[6:7], 0
.LBB6_264:
	s_andn2_b64 vcc, exec, s[6:7]
	s_cbranch_vccnz .LBB6_266
; %bb.265:
	v_trunc_f64_e32 v[0:1], v[0:1]
	s_movk_i32 s6, 0xffe0
	v_ldexp_f64 v[2:3], v[0:1], s6
	v_floor_f64_e32 v[2:3], v[2:3]
	v_fmac_f64_e32 v[0:1], 0xc1f00000, v[2:3]
	v_cvt_u32_f64_e32 v0, v[0:1]
	global_store_byte v[4:5], v0, off
.LBB6_266:
	s_mov_b64 s[6:7], -1
.LBB6_267:
	s_andn2_b64 vcc, exec, s[6:7]
	s_cbranch_vccnz .LBB6_269
; %bb.268:
	v_add_u32_e32 v19, 0x80, v19
	s_mov_b64 s[24:25], -1
	s_branch .LBB6_382
.LBB6_269:
	s_mov_b64 s[24:25], 0
                                        ; implicit-def: $vgpr19
	s_branch .LBB6_382
.LBB6_270:
	s_mov_b64 s[18:19], -1
                                        ; implicit-def: $vgpr4_vgpr5
.LBB6_271:
	s_mov_b64 s[6:7], 0
.LBB6_272:
	s_and_b64 vcc, exec, s[6:7]
	s_cbranch_vccz .LBB6_276
; %bb.273:
	v_mov_b32_e32 v4, 29
	v_cmp_eq_u16_sdwa s[6:7], v20, v4 src0_sel:BYTE_0 src1_sel:DWORD
	s_and_b64 vcc, exec, s[6:7]
	s_cbranch_vccz .LBB6_275
; %bb.274:
	global_load_dwordx2 v[4:5], v[2:3], off
	s_mov_b64 s[0:1], -1
	s_mov_b64 s[18:19], 0
	s_mov_b64 s[6:7], 0
	s_waitcnt vmcnt(0)
	v_cvt_f64_u32_e32 v[6:7], v5
	v_cvt_f64_u32_e32 v[4:5], v4
	v_ldexp_f64 v[6:7], v[6:7], 32
	v_add_f64 v[4:5], v[6:7], v[4:5]
	s_branch .LBB6_277
.LBB6_275:
	s_mov_b64 s[18:19], -1
                                        ; implicit-def: $vgpr4_vgpr5
.LBB6_276:
	s_mov_b64 s[6:7], 0
.LBB6_277:
	s_and_b64 vcc, exec, s[6:7]
	s_cbranch_vccz .LBB6_295
; %bb.278:
	v_mov_b32_e32 v4, 27
	v_cmp_lt_i16_sdwa s[0:1], v20, v4 src0_sel:BYTE_0 src1_sel:DWORD
	s_and_b64 vcc, exec, s[0:1]
	s_cbranch_vccnz .LBB6_281
; %bb.279:
	v_cmp_gt_i16_sdwa s[0:1], v20, v4 src0_sel:BYTE_0 src1_sel:DWORD
	s_and_b64 vcc, exec, s[0:1]
	s_cbranch_vccz .LBB6_282
; %bb.280:
	global_load_dword v4, v[2:3], off
	s_mov_b64 s[0:1], 0
	s_waitcnt vmcnt(0)
	v_cvt_f64_u32_e32 v[4:5], v4
	s_branch .LBB6_283
.LBB6_281:
	s_mov_b64 s[0:1], -1
                                        ; implicit-def: $vgpr4_vgpr5
	s_branch .LBB6_286
.LBB6_282:
	s_mov_b64 s[0:1], -1
                                        ; implicit-def: $vgpr4_vgpr5
.LBB6_283:
	s_andn2_b64 vcc, exec, s[0:1]
	s_cbranch_vccnz .LBB6_285
; %bb.284:
	global_load_ushort v4, v[2:3], off
	s_waitcnt vmcnt(0)
	v_cvt_f64_u32_e32 v[4:5], v4
.LBB6_285:
	s_mov_b64 s[0:1], 0
.LBB6_286:
	s_andn2_b64 vcc, exec, s[0:1]
	s_cbranch_vccnz .LBB6_294
; %bb.287:
	global_load_ubyte v6, v[2:3], off
	s_movk_i32 s0, 0x7f
                                        ; implicit-def: $sgpr6_sgpr7
	s_waitcnt vmcnt(0)
	v_cmp_lt_i16_e32 vcc, s0, v6
	s_mov_b64 s[0:1], 0
	s_and_saveexec_b64 s[24:25], vcc
	s_xor_b64 s[24:25], exec, s[24:25]
	s_cbranch_execz .LBB6_308
; %bb.288:
	s_movk_i32 s0, 0x80
	v_cmp_eq_u16_e32 vcc, s0, v6
	s_mov_b64 s[28:29], -1
                                        ; implicit-def: $sgpr6_sgpr7
	s_and_saveexec_b64 s[0:1], vcc
; %bb.289:
	s_mov_b32 s7, 0x7ff80000
	s_brev_b32 s6, 4
	s_xor_b64 s[28:29], exec, -1
; %bb.290:
	s_or_b64 exec, exec, s[0:1]
	s_and_b64 s[0:1], s[28:29], exec
	s_or_saveexec_b64 s[24:25], s[24:25]
	v_pk_mov_b32 v[4:5], s[6:7], s[6:7] op_sel:[0,1]
	s_xor_b64 exec, exec, s[24:25]
	s_cbranch_execnz .LBB6_309
.LBB6_291:
	s_or_b64 exec, exec, s[24:25]
	s_and_saveexec_b64 s[6:7], s[0:1]
	s_cbranch_execz .LBB6_293
.LBB6_292:
	v_and_b32_e32 v5, 0xffff, v6
	v_lshlrev_b32_e32 v4, 24, v6
	v_and_b32_e32 v6, 7, v5
	v_ffbh_u32_e32 v8, v6
	v_min_u32_e32 v8, 32, v8
	v_subrev_u32_e32 v9, 28, v8
	v_bfe_u32 v7, v5, 3, 4
	v_lshlrev_b32_e32 v5, v9, v5
	v_sub_u32_e32 v8, 29, v8
	v_and_b32_e32 v5, 7, v5
	v_cmp_eq_u32_e32 vcc, 0, v7
	v_cndmask_b32_e32 v7, v7, v8, vcc
	v_cndmask_b32_e32 v5, v6, v5, vcc
	v_mov_b32_e32 v6, 0x3b800000
	v_lshlrev_b32_e32 v5, 20, v5
	v_and_b32_e32 v4, 0x80000000, v4
	v_lshl_add_u32 v6, v7, 23, v6
	v_or3_b32 v4, v4, v6, v5
	v_cvt_f64_f32_e32 v[4:5], v4
.LBB6_293:
	s_or_b64 exec, exec, s[6:7]
.LBB6_294:
	s_mov_b64 s[0:1], -1
.LBB6_295:
	s_mov_b64 s[6:7], 0
.LBB6_296:
	s_and_b64 vcc, exec, s[6:7]
	s_cbranch_vccz .LBB6_331
; %bb.297:
	v_mov_b32_e32 v4, 22
	v_cmp_gt_i16_sdwa s[6:7], v20, v4 src0_sel:BYTE_0 src1_sel:DWORD
	s_and_b64 vcc, exec, s[6:7]
	s_cbranch_vccz .LBB6_307
; %bb.298:
	v_mov_b32_e32 v4, 24
	v_cmp_lt_i16_sdwa s[0:1], v20, v4 src0_sel:BYTE_0 src1_sel:DWORD
	s_and_b64 vcc, exec, s[0:1]
	s_cbranch_vccnz .LBB6_310
; %bb.299:
	v_cmp_gt_i16_sdwa s[0:1], v20, v4 src0_sel:BYTE_0 src1_sel:DWORD
	s_and_b64 vcc, exec, s[0:1]
	s_cbranch_vccz .LBB6_311
; %bb.300:
	global_load_ubyte v6, v[2:3], off
	s_movk_i32 s0, 0x7f
                                        ; implicit-def: $sgpr6_sgpr7
	s_waitcnt vmcnt(0)
	v_cmp_lt_i16_e32 vcc, s0, v6
	s_mov_b64 s[0:1], 0
	s_and_saveexec_b64 s[24:25], vcc
	s_xor_b64 s[24:25], exec, s[24:25]
	s_cbranch_execz .LBB6_323
; %bb.301:
	s_movk_i32 s0, 0x80
	v_cmp_eq_u16_e32 vcc, s0, v6
	s_mov_b64 s[28:29], -1
                                        ; implicit-def: $sgpr6_sgpr7
	s_and_saveexec_b64 s[0:1], vcc
; %bb.302:
	s_mov_b32 s7, 0x7ff80000
	s_brev_b32 s6, 4
	s_xor_b64 s[28:29], exec, -1
; %bb.303:
	s_or_b64 exec, exec, s[0:1]
	s_and_b64 s[0:1], s[28:29], exec
	s_or_saveexec_b64 s[24:25], s[24:25]
	v_pk_mov_b32 v[4:5], s[6:7], s[6:7] op_sel:[0,1]
	s_xor_b64 exec, exec, s[24:25]
	s_cbranch_execnz .LBB6_324
.LBB6_304:
	s_or_b64 exec, exec, s[24:25]
	s_and_saveexec_b64 s[6:7], s[0:1]
	s_cbranch_execz .LBB6_306
.LBB6_305:
	v_and_b32_e32 v5, 0xffff, v6
	v_lshlrev_b32_e32 v4, 24, v6
	v_and_b32_e32 v6, 3, v5
	v_ffbh_u32_e32 v8, v6
	v_min_u32_e32 v8, 32, v8
	v_subrev_u32_e32 v9, 29, v8
	v_bfe_u32 v7, v5, 2, 5
	v_lshlrev_b32_e32 v5, v9, v5
	v_sub_u32_e32 v8, 30, v8
	v_and_b32_e32 v5, 3, v5
	v_cmp_eq_u32_e32 vcc, 0, v7
	v_cndmask_b32_e32 v7, v7, v8, vcc
	v_cndmask_b32_e32 v5, v6, v5, vcc
	v_mov_b32_e32 v6, 0x37800000
	v_lshlrev_b32_e32 v5, 21, v5
	v_and_b32_e32 v4, 0x80000000, v4
	v_lshl_add_u32 v6, v7, 23, v6
	v_or3_b32 v4, v4, v6, v5
	v_cvt_f64_f32_e32 v[4:5], v4
.LBB6_306:
	s_or_b64 exec, exec, s[6:7]
	s_mov_b64 s[0:1], 0
	s_branch .LBB6_312
.LBB6_307:
	s_mov_b64 s[6:7], -1
                                        ; implicit-def: $vgpr4_vgpr5
	s_branch .LBB6_318
.LBB6_308:
	s_or_saveexec_b64 s[24:25], s[24:25]
	v_pk_mov_b32 v[4:5], s[6:7], s[6:7] op_sel:[0,1]
	s_xor_b64 exec, exec, s[24:25]
	s_cbranch_execz .LBB6_291
.LBB6_309:
	v_cmp_ne_u16_e32 vcc, 0, v6
	s_andn2_b64 s[0:1], s[0:1], exec
	s_and_b64 s[6:7], vcc, exec
	v_pk_mov_b32 v[4:5], 0, 0
	s_or_b64 s[0:1], s[0:1], s[6:7]
	s_or_b64 exec, exec, s[24:25]
	s_and_saveexec_b64 s[6:7], s[0:1]
	s_cbranch_execnz .LBB6_292
	s_branch .LBB6_293
.LBB6_310:
	s_mov_b64 s[0:1], -1
                                        ; implicit-def: $vgpr4_vgpr5
	s_branch .LBB6_315
.LBB6_311:
	s_mov_b64 s[0:1], -1
                                        ; implicit-def: $vgpr4_vgpr5
.LBB6_312:
	s_and_b64 vcc, exec, s[0:1]
	s_cbranch_vccz .LBB6_314
; %bb.313:
	global_load_ubyte v4, v[2:3], off
	s_mov_b32 s0, 0x7f800000
	s_waitcnt vmcnt(0)
	v_lshlrev_b32_e32 v4, 24, v4
	v_and_b32_e32 v5, 0x7f000000, v4
	v_ffbh_u32_e32 v6, v5
	v_min_u32_e32 v6, 32, v6
	v_sub_u32_e64 v6, v6, 4 clamp
	v_lshlrev_b32_e32 v8, v6, v5
	v_lshlrev_b32_e32 v6, 23, v6
	v_lshrrev_b32_e32 v8, 4, v8
	v_add_u32_e32 v7, 0x1000000, v5
	v_sub_u32_e32 v6, v8, v6
	v_ashrrev_i32_e32 v7, 8, v7
	v_add_u32_e32 v6, 0x3c000000, v6
	v_and_or_b32 v6, v7, s0, v6
	v_cmp_ne_u32_e32 vcc, 0, v5
	v_cndmask_b32_e32 v5, 0, v6, vcc
	s_brev_b32 s0, 1
	v_and_or_b32 v4, v4, s0, v5
	v_cvt_f64_f32_e32 v[4:5], v4
.LBB6_314:
	s_mov_b64 s[0:1], 0
.LBB6_315:
	s_andn2_b64 vcc, exec, s[0:1]
	s_cbranch_vccnz .LBB6_317
; %bb.316:
	global_load_ubyte v4, v[2:3], off
	s_movk_i32 s0, 0x7f00
	s_brev_b32 s1, 16
	s_waitcnt vmcnt(0)
	v_lshlrev_b16_e32 v5, 8, v4
	v_lshlrev_b32_e32 v4, 25, v4
	v_lshrrev_b32_e32 v6, 4, v4
	v_and_or_b32 v7, v5, s0, 0.5
	v_or_b32_e32 v6, 0x70000000, v6
	v_add_f32_e32 v7, -0.5, v7
	v_mul_f32_e32 v6, 0x7800000, v6
	v_cmp_gt_u32_e32 vcc, s1, v4
	v_bfe_i32 v5, v5, 0, 16
	v_cndmask_b32_e32 v4, v6, v7, vcc
	s_brev_b32 s0, 1
	v_and_or_b32 v4, v5, s0, v4
	v_cvt_f64_f32_e32 v[4:5], v4
.LBB6_317:
	s_mov_b64 s[6:7], 0
	s_mov_b64 s[0:1], -1
.LBB6_318:
	s_andn2_b64 vcc, exec, s[6:7]
	s_cbranch_vccnz .LBB6_331
; %bb.319:
	v_mov_b32_e32 v4, 14
	v_cmp_gt_i16_sdwa s[6:7], v20, v4 src0_sel:BYTE_0 src1_sel:DWORD
	s_and_b64 vcc, exec, s[6:7]
	s_cbranch_vccz .LBB6_322
; %bb.320:
	v_mov_b32_e32 v4, 15
	v_cmp_eq_u16_sdwa s[6:7], v20, v4 src0_sel:BYTE_0 src1_sel:DWORD
	s_and_b64 vcc, exec, s[6:7]
	s_cbranch_vccz .LBB6_325
; %bb.321:
	global_load_ushort v4, v[2:3], off
	s_mov_b64 s[0:1], -1
	s_mov_b64 s[18:19], 0
	s_waitcnt vmcnt(0)
	v_lshlrev_b32_e32 v4, 16, v4
	v_cvt_f64_f32_e32 v[4:5], v4
	s_branch .LBB6_326
.LBB6_322:
	s_mov_b64 s[6:7], -1
                                        ; implicit-def: $vgpr4_vgpr5
	s_branch .LBB6_327
.LBB6_323:
	s_or_saveexec_b64 s[24:25], s[24:25]
	v_pk_mov_b32 v[4:5], s[6:7], s[6:7] op_sel:[0,1]
	s_xor_b64 exec, exec, s[24:25]
	s_cbranch_execz .LBB6_304
.LBB6_324:
	v_cmp_ne_u16_e32 vcc, 0, v6
	s_andn2_b64 s[0:1], s[0:1], exec
	s_and_b64 s[6:7], vcc, exec
	v_pk_mov_b32 v[4:5], 0, 0
	s_or_b64 s[0:1], s[0:1], s[6:7]
	s_or_b64 exec, exec, s[24:25]
	s_and_saveexec_b64 s[6:7], s[0:1]
	s_cbranch_execnz .LBB6_305
	s_branch .LBB6_306
.LBB6_325:
	s_mov_b64 s[18:19], -1
                                        ; implicit-def: $vgpr4_vgpr5
.LBB6_326:
	s_mov_b64 s[6:7], 0
.LBB6_327:
	s_and_b64 vcc, exec, s[6:7]
	s_cbranch_vccz .LBB6_331
; %bb.328:
	v_mov_b32_e32 v4, 11
	v_cmp_eq_u16_sdwa s[6:7], v20, v4 src0_sel:BYTE_0 src1_sel:DWORD
	s_and_b64 vcc, exec, s[6:7]
	s_cbranch_vccz .LBB6_330
; %bb.329:
	global_load_ubyte v5, v[2:3], off
	v_mov_b32_e32 v6, 0x3ff00000
	v_mov_b32_e32 v4, 0
	s_mov_b64 s[0:1], -1
	s_mov_b64 s[18:19], 0
	s_waitcnt vmcnt(0)
	v_cmp_ne_u16_e32 vcc, 0, v5
	v_cndmask_b32_e32 v5, 0, v6, vcc
	s_branch .LBB6_331
.LBB6_330:
	s_mov_b64 s[18:19], -1
                                        ; implicit-def: $vgpr4_vgpr5
.LBB6_331:
	s_branch .LBB6_20
.LBB6_332:
	v_mov_b32_e32 v4, 5
	v_cmp_lt_i16_sdwa s[0:1], v20, v4 src0_sel:BYTE_0 src1_sel:DWORD
	s_and_b64 vcc, exec, s[0:1]
	s_cbranch_vccnz .LBB6_337
; %bb.333:
	v_mov_b32_e32 v4, 8
	v_cmp_lt_i16_sdwa s[0:1], v20, v4 src0_sel:BYTE_0 src1_sel:DWORD
	s_and_b64 vcc, exec, s[0:1]
	s_cbranch_vccnz .LBB6_338
; %bb.334:
	;; [unrolled: 5-line block ×3, first 2 shown]
	v_cmp_gt_i16_sdwa s[0:1], v20, v4 src0_sel:BYTE_0 src1_sel:DWORD
	s_and_b64 vcc, exec, s[0:1]
	s_cbranch_vccz .LBB6_340
; %bb.336:
	global_load_dwordx2 v[4:5], v[2:3], off
	s_mov_b64 s[0:1], 0
	s_branch .LBB6_341
.LBB6_337:
	s_mov_b64 s[0:1], -1
                                        ; implicit-def: $vgpr4_vgpr5
	s_branch .LBB6_359
.LBB6_338:
	s_mov_b64 s[0:1], -1
                                        ; implicit-def: $vgpr4_vgpr5
	s_branch .LBB6_347
.LBB6_339:
	s_mov_b64 s[0:1], -1
                                        ; implicit-def: $vgpr4_vgpr5
	s_branch .LBB6_344
.LBB6_340:
	s_mov_b64 s[0:1], -1
                                        ; implicit-def: $vgpr4_vgpr5
.LBB6_341:
	s_andn2_b64 vcc, exec, s[0:1]
	s_cbranch_vccnz .LBB6_343
; %bb.342:
	global_load_dword v4, v[2:3], off
	s_waitcnt vmcnt(0)
	v_cvt_f64_f32_e32 v[4:5], v4
.LBB6_343:
	s_mov_b64 s[0:1], 0
.LBB6_344:
	s_andn2_b64 vcc, exec, s[0:1]
	s_cbranch_vccnz .LBB6_346
; %bb.345:
	global_load_dword v4, v[2:3], off
	s_waitcnt vmcnt(0)
	v_cvt_f32_f16_e32 v4, v4
	v_cvt_f64_f32_e32 v[4:5], v4
.LBB6_346:
	s_mov_b64 s[0:1], 0
.LBB6_347:
	s_andn2_b64 vcc, exec, s[0:1]
	s_cbranch_vccnz .LBB6_358
; %bb.348:
	s_waitcnt vmcnt(0)
	v_mov_b32_e32 v4, 6
	v_cmp_lt_i16_sdwa s[0:1], v20, v4 src0_sel:BYTE_0 src1_sel:DWORD
	s_and_b64 vcc, exec, s[0:1]
	s_cbranch_vccnz .LBB6_351
; %bb.349:
	v_cmp_gt_i16_sdwa s[0:1], v20, v4 src0_sel:BYTE_0 src1_sel:DWORD
	s_and_b64 vcc, exec, s[0:1]
	s_cbranch_vccz .LBB6_352
; %bb.350:
	global_load_dwordx2 v[4:5], v[2:3], off
	s_mov_b64 s[0:1], 0
	s_branch .LBB6_353
.LBB6_351:
	s_mov_b64 s[0:1], -1
                                        ; implicit-def: $vgpr4_vgpr5
	s_branch .LBB6_356
.LBB6_352:
	s_mov_b64 s[0:1], -1
                                        ; implicit-def: $vgpr4_vgpr5
.LBB6_353:
	s_andn2_b64 vcc, exec, s[0:1]
	s_cbranch_vccnz .LBB6_355
; %bb.354:
	global_load_dword v4, v[2:3], off
	s_waitcnt vmcnt(0)
	v_cvt_f64_f32_e32 v[4:5], v4
.LBB6_355:
	s_mov_b64 s[0:1], 0
.LBB6_356:
	s_andn2_b64 vcc, exec, s[0:1]
	s_cbranch_vccnz .LBB6_358
; %bb.357:
	global_load_ushort v4, v[2:3], off
	s_waitcnt vmcnt(0)
	v_cvt_f32_f16_e32 v4, v4
	v_cvt_f64_f32_e32 v[4:5], v4
.LBB6_358:
	s_mov_b64 s[0:1], 0
.LBB6_359:
	s_andn2_b64 vcc, exec, s[0:1]
	s_cbranch_vccnz .LBB6_379
; %bb.360:
	s_waitcnt vmcnt(0)
	v_mov_b32_e32 v4, 2
	v_cmp_lt_i16_sdwa s[0:1], v20, v4 src0_sel:BYTE_0 src1_sel:DWORD
	s_and_b64 vcc, exec, s[0:1]
	s_cbranch_vccnz .LBB6_364
; %bb.361:
	v_mov_b32_e32 v4, 3
	v_cmp_lt_i16_sdwa s[0:1], v20, v4 src0_sel:BYTE_0 src1_sel:DWORD
	s_and_b64 vcc, exec, s[0:1]
	s_cbranch_vccnz .LBB6_365
; %bb.362:
	v_cmp_gt_i16_sdwa s[0:1], v20, v4 src0_sel:BYTE_0 src1_sel:DWORD
	s_and_b64 vcc, exec, s[0:1]
	s_cbranch_vccz .LBB6_366
; %bb.363:
	global_load_dwordx2 v[4:5], v[2:3], off
	s_mov_b64 s[0:1], 0
	s_waitcnt vmcnt(0)
	v_cvt_f64_i32_e32 v[6:7], v5
	v_cvt_f64_u32_e32 v[4:5], v4
	v_ldexp_f64 v[6:7], v[6:7], 32
	v_add_f64 v[4:5], v[6:7], v[4:5]
	s_branch .LBB6_367
.LBB6_364:
	s_mov_b64 s[0:1], -1
                                        ; implicit-def: $vgpr4_vgpr5
	s_branch .LBB6_373
.LBB6_365:
	s_mov_b64 s[0:1], -1
                                        ; implicit-def: $vgpr4_vgpr5
	s_branch .LBB6_370
.LBB6_366:
	s_mov_b64 s[0:1], -1
                                        ; implicit-def: $vgpr4_vgpr5
.LBB6_367:
	s_andn2_b64 vcc, exec, s[0:1]
	s_cbranch_vccnz .LBB6_369
; %bb.368:
	global_load_dword v4, v[2:3], off
	s_waitcnt vmcnt(0)
	v_cvt_f64_i32_e32 v[4:5], v4
.LBB6_369:
	s_mov_b64 s[0:1], 0
.LBB6_370:
	s_andn2_b64 vcc, exec, s[0:1]
	s_cbranch_vccnz .LBB6_372
; %bb.371:
	global_load_sshort v4, v[2:3], off
	s_waitcnt vmcnt(0)
	v_cvt_f64_i32_e32 v[4:5], v4
.LBB6_372:
	s_mov_b64 s[0:1], 0
.LBB6_373:
	s_andn2_b64 vcc, exec, s[0:1]
	s_cbranch_vccnz .LBB6_379
; %bb.374:
	v_mov_b32_e32 v4, 0
	v_cmp_gt_i16_sdwa s[0:1], v20, v4 src0_sel:BYTE_0 src1_sel:DWORD
	s_and_b64 vcc, exec, s[0:1]
	s_cbranch_vccz .LBB6_376
; %bb.375:
	global_load_sbyte v4, v[2:3], off
	s_mov_b64 s[0:1], 0
	s_waitcnt vmcnt(0)
	v_cvt_f64_i32_e32 v[4:5], v4
	s_branch .LBB6_377
.LBB6_376:
	s_mov_b64 s[0:1], -1
                                        ; implicit-def: $vgpr4_vgpr5
.LBB6_377:
	s_andn2_b64 vcc, exec, s[0:1]
	s_cbranch_vccnz .LBB6_379
; %bb.378:
	global_load_ubyte v2, v[2:3], off
	s_waitcnt vmcnt(0)
	v_cvt_f64_u32_e32 v[4:5], v2
.LBB6_379:
	s_branch .LBB6_21
.LBB6_380:
	s_mov_b64 s[0:1], 0
.LBB6_381:
                                        ; implicit-def: $vgpr19
	s_mov_b64 s[24:25], 0
.LBB6_382:
	s_and_b64 s[6:7], s[0:1], exec
	s_and_b64 s[18:19], s[18:19], exec
	;; [unrolled: 1-line block ×3, first 2 shown]
	s_orn2_b64 s[0:1], s[24:25], exec
.LBB6_383:
	s_or_b64 exec, exec, s[22:23]
	s_mov_b64 s[30:31], 0
	s_mov_b64 s[28:29], 0
                                        ; implicit-def: $vgpr4
                                        ; implicit-def: $vgpr0_vgpr1
                                        ; implicit-def: $vgpr2_vgpr3
	s_and_saveexec_b64 s[22:23], s[0:1]
	s_cbranch_execz .LBB6_392
; %bb.384:
	v_cmp_gt_i32_e32 vcc, s33, v19
	s_mov_b64 s[0:1], -1
	s_mov_b64 s[24:25], s[20:21]
	s_mov_b64 s[26:27], s[18:19]
	;; [unrolled: 1-line block ×3, first 2 shown]
	s_and_saveexec_b64 s[30:31], vcc
	s_cbranch_execz .LBB6_773
; %bb.385:
	s_waitcnt vmcnt(0)
	v_mul_lo_u32 v0, v19, s13
	v_ashrrev_i32_e32 v1, 31, v0
	v_mov_b32_e32 v3, s11
	v_add_co_u32_e32 v2, vcc, s10, v0
	v_mov_b32_e32 v0, 11
	v_addc_co_u32_e32 v3, vcc, v3, v1, vcc
	v_cmp_lt_i16_sdwa s[0:1], v16, v0 src0_sel:BYTE_0 src1_sel:DWORD
	s_and_b64 vcc, exec, s[0:1]
	s_cbranch_vccnz .LBB6_395
; %bb.386:
	v_mov_b32_e32 v0, 25
	v_cmp_gt_i16_sdwa s[0:1], v16, v0 src0_sel:BYTE_0 src1_sel:DWORD
	s_and_b64 vcc, exec, s[0:1]
	s_cbranch_vccz .LBB6_404
; %bb.387:
	v_mov_b32_e32 v0, 28
	v_cmp_gt_i16_sdwa s[0:1], v16, v0 src0_sel:BYTE_0 src1_sel:DWORD
	s_and_b64 vcc, exec, s[0:1]
	s_cbranch_vccz .LBB6_406
	;; [unrolled: 5-line block ×4, first 2 shown]
; %bb.390:
	v_mov_b32_e32 v0, 46
	v_cmp_eq_u16_sdwa s[0:1], v16, v0 src0_sel:BYTE_0 src1_sel:DWORD
	s_mov_b64 s[26:27], 0
	s_and_b64 vcc, exec, s[0:1]
	s_cbranch_vccz .LBB6_414
; %bb.391:
	global_load_dword v0, v[2:3], off
	s_mov_b64 s[0:1], -1
	s_mov_b64 s[24:25], 0
	s_waitcnt vmcnt(0)
	v_lshlrev_b32_e32 v0, 16, v0
	v_cvt_f64_f32_e32 v[0:1], v0
	s_branch .LBB6_415
.LBB6_392:
	s_or_b64 exec, exec, s[22:23]
	s_mov_b64 s[22:23], 0
	s_and_saveexec_b64 s[0:1], s[20:21]
	s_cbranch_execnz .LBB6_1248
.LBB6_393:
	s_or_b64 exec, exec, s[0:1]
	s_and_saveexec_b64 s[0:1], s[26:27]
	s_xor_b64 s[0:1], exec, s[0:1]
	s_cbranch_execz .LBB6_1249
.LBB6_394:
	s_waitcnt vmcnt(0)
	global_load_ubyte v3, v[0:1], off
	v_mov_b32_e32 v5, 0x3ff00000
	v_mov_b32_e32 v2, 0
	s_or_b64 s[28:29], s[28:29], exec
	s_waitcnt vmcnt(0)
	v_cmp_ne_u16_e32 vcc, 0, v3
	v_cndmask_b32_e32 v3, 0, v5, vcc
	s_or_b64 exec, exec, s[0:1]
	s_and_saveexec_b64 s[0:1], s[30:31]
	s_cbranch_execz .LBB6_1295
	s_branch .LBB6_1250
.LBB6_395:
	s_mov_b64 s[0:1], 0
                                        ; implicit-def: $vgpr0_vgpr1
	s_mov_b64 s[24:25], s[20:21]
	s_cbranch_execnz .LBB6_481
.LBB6_396:
	s_andn2_b64 vcc, exec, s[0:1]
	s_cbranch_vccnz .LBB6_529
.LBB6_397:
	v_mul_lo_u32 v2, v19, s14
	v_ashrrev_i32_e32 v3, 31, v2
	v_mov_b32_e32 v4, s3
	v_add_co_u32_e32 v2, vcc, s2, v2
	v_addc_co_u32_e32 v3, vcc, v4, v3, vcc
	v_mov_b32_e32 v4, 11
	v_cmp_lt_i16_sdwa s[0:1], v20, v4 src0_sel:BYTE_0 src1_sel:DWORD
	s_and_b64 vcc, exec, s[0:1]
	s_cbranch_vccnz .LBB6_405
; %bb.398:
	v_mov_b32_e32 v4, 25
	v_cmp_gt_i16_sdwa s[0:1], v20, v4 src0_sel:BYTE_0 src1_sel:DWORD
	s_and_b64 vcc, exec, s[0:1]
	s_cbranch_vccz .LBB6_407
; %bb.399:
	v_mov_b32_e32 v4, 28
	v_cmp_gt_i16_sdwa s[0:1], v20, v4 src0_sel:BYTE_0 src1_sel:DWORD
	s_and_b64 vcc, exec, s[0:1]
	s_cbranch_vccz .LBB6_409
; %bb.400:
	v_mov_b32_e32 v4, 43
	v_cmp_gt_i16_sdwa s[0:1], v20, v4 src0_sel:BYTE_0 src1_sel:DWORD
	s_and_b64 vcc, exec, s[0:1]
	s_cbranch_vccz .LBB6_411
; %bb.401:
	v_mov_b32_e32 v4, 45
	v_cmp_gt_i16_sdwa s[0:1], v20, v4 src0_sel:BYTE_0 src1_sel:DWORD
	s_and_b64 vcc, exec, s[0:1]
	s_cbranch_vccz .LBB6_418
; %bb.402:
	v_mov_b32_e32 v4, 46
	v_cmp_eq_u16_sdwa s[0:1], v20, v4 src0_sel:BYTE_0 src1_sel:DWORD
	s_mov_b64 s[28:29], 0
	s_and_b64 vcc, exec, s[0:1]
	s_cbranch_vccz .LBB6_533
; %bb.403:
	global_load_dword v4, v[2:3], off
	s_mov_b64 s[0:1], -1
	s_mov_b64 s[26:27], 0
	s_waitcnt vmcnt(0)
	v_lshlrev_b32_e32 v4, 16, v4
	v_cvt_f64_f32_e32 v[4:5], v4
	s_branch .LBB6_534
.LBB6_404:
	s_mov_b64 s[26:27], -1
	s_mov_b64 s[0:1], 0
	s_mov_b64 s[24:25], s[20:21]
                                        ; implicit-def: $vgpr0_vgpr1
	s_branch .LBB6_445
.LBB6_405:
	s_mov_b64 s[28:29], -1
	s_mov_b64 s[0:1], 0
                                        ; implicit-def: $vgpr4_vgpr5
	s_mov_b64 s[26:27], s[18:19]
	s_branch .LBB6_599
.LBB6_406:
	s_mov_b64 s[26:27], -1
	s_mov_b64 s[0:1], 0
	s_mov_b64 s[24:25], s[20:21]
                                        ; implicit-def: $vgpr0_vgpr1
	s_branch .LBB6_426
.LBB6_407:
	s_mov_b64 s[28:29], -1
	s_mov_b64 s[0:1], 0
	s_mov_b64 s[26:27], s[18:19]
                                        ; implicit-def: $vgpr4_vgpr5
	s_branch .LBB6_563
.LBB6_408:
	s_mov_b64 s[26:27], -1
	s_mov_b64 s[0:1], 0
	s_mov_b64 s[24:25], s[20:21]
                                        ; implicit-def: $vgpr0_vgpr1
	s_branch .LBB6_421
.LBB6_409:
	s_mov_b64 s[28:29], -1
	s_mov_b64 s[0:1], 0
	s_mov_b64 s[26:27], s[18:19]
                                        ; implicit-def: $vgpr4_vgpr5
	s_branch .LBB6_544
.LBB6_410:
	s_mov_b64 s[26:27], -1
	s_mov_b64 s[0:1], 0
	s_mov_b64 s[24:25], s[20:21]
                                        ; implicit-def: $vgpr0_vgpr1
	s_branch .LBB6_415
.LBB6_411:
	s_mov_b64 s[28:29], -1
	s_mov_b64 s[0:1], 0
	s_mov_b64 s[26:27], s[18:19]
                                        ; implicit-def: $vgpr4_vgpr5
	s_branch .LBB6_539
.LBB6_412:
	s_or_saveexec_b64 s[28:29], s[28:29]
                                        ; implicit-def: $sgpr15
	s_xor_b64 exec, exec, s[28:29]
	s_cbranch_execz .LBB6_180
.LBB6_413:
	s_mov_b32 s15, 0x46000000
	v_add_f32_e64 v3, |v2|, s15
	v_and_b32_e32 v3, 0xff, v3
	v_cmp_ne_u32_e32 vcc, 0, v3
	s_andn2_b64 s[24:25], s[24:25], exec
	s_and_b64 s[30:31], vcc, exec
	s_mov_b32 s15, 0
	s_or_b64 s[24:25], s[24:25], s[30:31]
	s_or_b64 exec, exec, s[28:29]
	v_mov_b32_e32 v6, s15
	s_and_saveexec_b64 s[28:29], s[24:25]
	s_cbranch_execnz .LBB6_181
	s_branch .LBB6_182
.LBB6_414:
	s_mov_b64 s[24:25], -1
                                        ; implicit-def: $vgpr0_vgpr1
	s_mov_b64 s[0:1], 0
.LBB6_415:
	s_and_b64 vcc, exec, s[26:27]
	s_cbranch_vccz .LBB6_420
; %bb.416:
	v_mov_b32_e32 v0, 44
	v_cmp_eq_u16_sdwa s[24:25], v16, v0 src0_sel:BYTE_0 src1_sel:DWORD
	s_and_b64 vcc, exec, s[24:25]
	s_cbranch_vccz .LBB6_419
; %bb.417:
	global_load_ubyte v4, v[2:3], off
	s_movk_i32 s15, 0xff
	v_bfrev_b32_e32 v5, 4
	v_mov_b32_e32 v6, 0x7ff80000
	v_bfrev_b32_e32 v7, 28
	s_mov_b64 s[0:1], -1
	s_mov_b64 s[24:25], 0
	s_waitcnt vmcnt(0)
	v_lshlrev_b32_e32 v0, 23, v4
	v_cvt_f64_f32_e32 v[0:1], v0
	v_cmp_ne_u32_e32 vcc, s15, v4
	v_cndmask_b32_e32 v0, v5, v0, vcc
	v_cndmask_b32_e32 v1, v6, v1, vcc
	v_cmp_ne_u32_e32 vcc, 0, v4
	v_cndmask_b32_e32 v1, v7, v1, vcc
	v_cndmask_b32_e32 v0, 0, v0, vcc
	s_branch .LBB6_420
.LBB6_418:
	s_mov_b64 s[28:29], -1
	s_mov_b64 s[0:1], 0
	s_mov_b64 s[26:27], s[18:19]
                                        ; implicit-def: $vgpr4_vgpr5
	s_branch .LBB6_534
.LBB6_419:
	s_mov_b64 s[24:25], -1
                                        ; implicit-def: $vgpr0_vgpr1
.LBB6_420:
	s_mov_b64 s[26:27], 0
.LBB6_421:
	s_and_b64 vcc, exec, s[26:27]
	s_cbranch_vccz .LBB6_425
; %bb.422:
	v_mov_b32_e32 v0, 29
	v_cmp_eq_u16_sdwa s[24:25], v16, v0 src0_sel:BYTE_0 src1_sel:DWORD
	s_and_b64 vcc, exec, s[24:25]
	s_cbranch_vccz .LBB6_424
; %bb.423:
	global_load_dwordx2 v[0:1], v[2:3], off
	s_mov_b64 s[0:1], -1
	s_mov_b64 s[24:25], 0
	s_mov_b64 s[26:27], 0
	s_waitcnt vmcnt(0)
	v_cvt_f64_u32_e32 v[4:5], v1
	v_cvt_f64_u32_e32 v[0:1], v0
	v_ldexp_f64 v[4:5], v[4:5], 32
	v_add_f64 v[0:1], v[4:5], v[0:1]
	s_branch .LBB6_426
.LBB6_424:
	s_mov_b64 s[24:25], -1
                                        ; implicit-def: $vgpr0_vgpr1
.LBB6_425:
	s_mov_b64 s[26:27], 0
.LBB6_426:
	s_and_b64 vcc, exec, s[26:27]
	s_cbranch_vccz .LBB6_444
; %bb.427:
	v_mov_b32_e32 v0, 27
	v_cmp_lt_i16_sdwa s[0:1], v16, v0 src0_sel:BYTE_0 src1_sel:DWORD
	s_and_b64 vcc, exec, s[0:1]
	s_cbranch_vccnz .LBB6_430
; %bb.428:
	v_cmp_gt_i16_sdwa s[0:1], v16, v0 src0_sel:BYTE_0 src1_sel:DWORD
	s_and_b64 vcc, exec, s[0:1]
	s_cbranch_vccz .LBB6_431
; %bb.429:
	global_load_dword v0, v[2:3], off
	s_mov_b64 s[0:1], 0
	s_waitcnt vmcnt(0)
	v_cvt_f64_u32_e32 v[0:1], v0
	s_branch .LBB6_432
.LBB6_430:
	s_mov_b64 s[0:1], -1
                                        ; implicit-def: $vgpr0_vgpr1
	s_branch .LBB6_435
.LBB6_431:
	s_mov_b64 s[0:1], -1
                                        ; implicit-def: $vgpr0_vgpr1
.LBB6_432:
	s_andn2_b64 vcc, exec, s[0:1]
	s_cbranch_vccnz .LBB6_434
; %bb.433:
	global_load_ushort v0, v[2:3], off
	s_waitcnt vmcnt(0)
	v_cvt_f64_u32_e32 v[0:1], v0
.LBB6_434:
	s_mov_b64 s[0:1], 0
.LBB6_435:
	s_andn2_b64 vcc, exec, s[0:1]
	s_cbranch_vccnz .LBB6_443
; %bb.436:
	global_load_ubyte v4, v[2:3], off
	s_movk_i32 s0, 0x7f
                                        ; implicit-def: $sgpr26_sgpr27
	s_waitcnt vmcnt(0)
	v_cmp_lt_i16_e32 vcc, s0, v4
	s_mov_b64 s[0:1], 0
	s_and_saveexec_b64 s[28:29], vcc
	s_xor_b64 s[28:29], exec, s[28:29]
	s_cbranch_execz .LBB6_457
; %bb.437:
	s_movk_i32 s0, 0x80
	v_cmp_eq_u16_e32 vcc, s0, v4
	s_mov_b64 s[34:35], -1
                                        ; implicit-def: $sgpr26_sgpr27
	s_and_saveexec_b64 s[0:1], vcc
; %bb.438:
	s_mov_b32 s27, 0x7ff80000
	s_brev_b32 s26, 4
	s_xor_b64 s[34:35], exec, -1
; %bb.439:
	s_or_b64 exec, exec, s[0:1]
	s_and_b64 s[0:1], s[34:35], exec
	s_or_saveexec_b64 s[28:29], s[28:29]
	v_pk_mov_b32 v[0:1], s[26:27], s[26:27] op_sel:[0,1]
	s_xor_b64 exec, exec, s[28:29]
	s_cbranch_execnz .LBB6_458
.LBB6_440:
	s_or_b64 exec, exec, s[28:29]
	s_and_saveexec_b64 s[26:27], s[0:1]
	s_cbranch_execz .LBB6_442
.LBB6_441:
	v_and_b32_e32 v1, 0xffff, v4
	v_lshlrev_b32_e32 v0, 24, v4
	v_and_b32_e32 v4, 7, v1
	v_ffbh_u32_e32 v6, v4
	v_min_u32_e32 v6, 32, v6
	v_subrev_u32_e32 v7, 28, v6
	v_bfe_u32 v5, v1, 3, 4
	v_lshlrev_b32_e32 v1, v7, v1
	v_sub_u32_e32 v6, 29, v6
	v_and_b32_e32 v1, 7, v1
	v_cmp_eq_u32_e32 vcc, 0, v5
	v_cndmask_b32_e32 v5, v5, v6, vcc
	v_cndmask_b32_e32 v1, v4, v1, vcc
	v_mov_b32_e32 v4, 0x3b800000
	v_lshlrev_b32_e32 v1, 20, v1
	v_and_b32_e32 v0, 0x80000000, v0
	v_lshl_add_u32 v4, v5, 23, v4
	v_or3_b32 v0, v0, v4, v1
	v_cvt_f64_f32_e32 v[0:1], v0
.LBB6_442:
	s_or_b64 exec, exec, s[26:27]
.LBB6_443:
	s_mov_b64 s[0:1], -1
.LBB6_444:
	s_mov_b64 s[26:27], 0
.LBB6_445:
	s_and_b64 vcc, exec, s[26:27]
	s_cbranch_vccz .LBB6_480
; %bb.446:
	v_mov_b32_e32 v0, 22
	v_cmp_gt_i16_sdwa s[26:27], v16, v0 src0_sel:BYTE_0 src1_sel:DWORD
	s_and_b64 vcc, exec, s[26:27]
	s_cbranch_vccz .LBB6_456
; %bb.447:
	v_mov_b32_e32 v0, 24
	v_cmp_lt_i16_sdwa s[0:1], v16, v0 src0_sel:BYTE_0 src1_sel:DWORD
	s_and_b64 vcc, exec, s[0:1]
	s_cbranch_vccnz .LBB6_459
; %bb.448:
	v_cmp_gt_i16_sdwa s[0:1], v16, v0 src0_sel:BYTE_0 src1_sel:DWORD
	s_and_b64 vcc, exec, s[0:1]
	s_cbranch_vccz .LBB6_460
; %bb.449:
	global_load_ubyte v4, v[2:3], off
	s_movk_i32 s0, 0x7f
                                        ; implicit-def: $sgpr26_sgpr27
	s_waitcnt vmcnt(0)
	v_cmp_lt_i16_e32 vcc, s0, v4
	s_mov_b64 s[0:1], 0
	s_and_saveexec_b64 s[28:29], vcc
	s_xor_b64 s[28:29], exec, s[28:29]
	s_cbranch_execz .LBB6_472
; %bb.450:
	s_movk_i32 s0, 0x80
	v_cmp_eq_u16_e32 vcc, s0, v4
	s_mov_b64 s[34:35], -1
                                        ; implicit-def: $sgpr26_sgpr27
	s_and_saveexec_b64 s[0:1], vcc
; %bb.451:
	s_mov_b32 s27, 0x7ff80000
	s_brev_b32 s26, 4
	s_xor_b64 s[34:35], exec, -1
; %bb.452:
	s_or_b64 exec, exec, s[0:1]
	s_and_b64 s[0:1], s[34:35], exec
	s_or_saveexec_b64 s[28:29], s[28:29]
	v_pk_mov_b32 v[0:1], s[26:27], s[26:27] op_sel:[0,1]
	s_xor_b64 exec, exec, s[28:29]
	s_cbranch_execnz .LBB6_473
.LBB6_453:
	s_or_b64 exec, exec, s[28:29]
	s_and_saveexec_b64 s[26:27], s[0:1]
	s_cbranch_execz .LBB6_455
.LBB6_454:
	v_and_b32_e32 v1, 0xffff, v4
	v_lshlrev_b32_e32 v0, 24, v4
	v_and_b32_e32 v4, 3, v1
	v_ffbh_u32_e32 v6, v4
	v_min_u32_e32 v6, 32, v6
	v_subrev_u32_e32 v7, 29, v6
	v_bfe_u32 v5, v1, 2, 5
	v_lshlrev_b32_e32 v1, v7, v1
	v_sub_u32_e32 v6, 30, v6
	v_and_b32_e32 v1, 3, v1
	v_cmp_eq_u32_e32 vcc, 0, v5
	v_cndmask_b32_e32 v5, v5, v6, vcc
	v_cndmask_b32_e32 v1, v4, v1, vcc
	v_mov_b32_e32 v4, 0x37800000
	v_lshlrev_b32_e32 v1, 21, v1
	v_and_b32_e32 v0, 0x80000000, v0
	v_lshl_add_u32 v4, v5, 23, v4
	v_or3_b32 v0, v0, v4, v1
	v_cvt_f64_f32_e32 v[0:1], v0
.LBB6_455:
	s_or_b64 exec, exec, s[26:27]
	s_mov_b64 s[0:1], 0
	s_branch .LBB6_461
.LBB6_456:
	s_mov_b64 s[26:27], -1
                                        ; implicit-def: $vgpr0_vgpr1
	s_branch .LBB6_467
.LBB6_457:
	s_or_saveexec_b64 s[28:29], s[28:29]
	v_pk_mov_b32 v[0:1], s[26:27], s[26:27] op_sel:[0,1]
	s_xor_b64 exec, exec, s[28:29]
	s_cbranch_execz .LBB6_440
.LBB6_458:
	v_cmp_ne_u16_e32 vcc, 0, v4
	s_andn2_b64 s[0:1], s[0:1], exec
	s_and_b64 s[26:27], vcc, exec
	v_pk_mov_b32 v[0:1], 0, 0
	s_or_b64 s[0:1], s[0:1], s[26:27]
	s_or_b64 exec, exec, s[28:29]
	s_and_saveexec_b64 s[26:27], s[0:1]
	s_cbranch_execnz .LBB6_441
	s_branch .LBB6_442
.LBB6_459:
	s_mov_b64 s[0:1], -1
                                        ; implicit-def: $vgpr0_vgpr1
	s_branch .LBB6_464
.LBB6_460:
	s_mov_b64 s[0:1], -1
                                        ; implicit-def: $vgpr0_vgpr1
.LBB6_461:
	s_and_b64 vcc, exec, s[0:1]
	s_cbranch_vccz .LBB6_463
; %bb.462:
	global_load_ubyte v0, v[2:3], off
	s_mov_b32 s0, 0x7f800000
	s_waitcnt vmcnt(0)
	v_lshlrev_b32_e32 v0, 24, v0
	v_and_b32_e32 v1, 0x7f000000, v0
	v_ffbh_u32_e32 v4, v1
	v_min_u32_e32 v4, 32, v4
	v_sub_u32_e64 v4, v4, 4 clamp
	v_lshlrev_b32_e32 v6, v4, v1
	v_lshlrev_b32_e32 v4, 23, v4
	v_lshrrev_b32_e32 v6, 4, v6
	v_add_u32_e32 v5, 0x1000000, v1
	v_sub_u32_e32 v4, v6, v4
	v_ashrrev_i32_e32 v5, 8, v5
	v_add_u32_e32 v4, 0x3c000000, v4
	v_and_or_b32 v4, v5, s0, v4
	v_cmp_ne_u32_e32 vcc, 0, v1
	v_cndmask_b32_e32 v1, 0, v4, vcc
	s_brev_b32 s0, 1
	v_and_or_b32 v0, v0, s0, v1
	v_cvt_f64_f32_e32 v[0:1], v0
.LBB6_463:
	s_mov_b64 s[0:1], 0
.LBB6_464:
	s_andn2_b64 vcc, exec, s[0:1]
	s_cbranch_vccnz .LBB6_466
; %bb.465:
	global_load_ubyte v0, v[2:3], off
	s_movk_i32 s0, 0x7f00
	s_brev_b32 s1, 16
	s_waitcnt vmcnt(0)
	v_lshlrev_b16_e32 v1, 8, v0
	v_lshlrev_b32_e32 v0, 25, v0
	v_lshrrev_b32_e32 v4, 4, v0
	v_and_or_b32 v5, v1, s0, 0.5
	v_or_b32_e32 v4, 0x70000000, v4
	v_add_f32_e32 v5, -0.5, v5
	v_mul_f32_e32 v4, 0x7800000, v4
	v_cmp_gt_u32_e32 vcc, s1, v0
	v_bfe_i32 v1, v1, 0, 16
	v_cndmask_b32_e32 v0, v4, v5, vcc
	s_brev_b32 s0, 1
	v_and_or_b32 v0, v1, s0, v0
	v_cvt_f64_f32_e32 v[0:1], v0
.LBB6_466:
	s_mov_b64 s[26:27], 0
	s_mov_b64 s[0:1], -1
.LBB6_467:
	s_andn2_b64 vcc, exec, s[26:27]
	s_cbranch_vccnz .LBB6_480
; %bb.468:
	v_mov_b32_e32 v0, 14
	v_cmp_gt_i16_sdwa s[26:27], v16, v0 src0_sel:BYTE_0 src1_sel:DWORD
	s_and_b64 vcc, exec, s[26:27]
	s_cbranch_vccz .LBB6_471
; %bb.469:
	v_mov_b32_e32 v0, 15
	v_cmp_eq_u16_sdwa s[24:25], v16, v0 src0_sel:BYTE_0 src1_sel:DWORD
	s_and_b64 vcc, exec, s[24:25]
	s_cbranch_vccz .LBB6_474
; %bb.470:
	global_load_ushort v0, v[2:3], off
	s_mov_b64 s[0:1], -1
	s_mov_b64 s[24:25], 0
	s_waitcnt vmcnt(0)
	v_lshlrev_b32_e32 v0, 16, v0
	v_cvt_f64_f32_e32 v[0:1], v0
	s_branch .LBB6_475
.LBB6_471:
	s_mov_b64 s[26:27], -1
                                        ; implicit-def: $vgpr0_vgpr1
	s_branch .LBB6_476
.LBB6_472:
	s_or_saveexec_b64 s[28:29], s[28:29]
	v_pk_mov_b32 v[0:1], s[26:27], s[26:27] op_sel:[0,1]
	s_xor_b64 exec, exec, s[28:29]
	s_cbranch_execz .LBB6_453
.LBB6_473:
	v_cmp_ne_u16_e32 vcc, 0, v4
	s_andn2_b64 s[0:1], s[0:1], exec
	s_and_b64 s[26:27], vcc, exec
	v_pk_mov_b32 v[0:1], 0, 0
	s_or_b64 s[0:1], s[0:1], s[26:27]
	s_or_b64 exec, exec, s[28:29]
	s_and_saveexec_b64 s[26:27], s[0:1]
	s_cbranch_execnz .LBB6_454
	s_branch .LBB6_455
.LBB6_474:
	s_mov_b64 s[24:25], -1
                                        ; implicit-def: $vgpr0_vgpr1
.LBB6_475:
	s_mov_b64 s[26:27], 0
.LBB6_476:
	s_and_b64 vcc, exec, s[26:27]
	s_cbranch_vccz .LBB6_480
; %bb.477:
	v_mov_b32_e32 v0, 11
	v_cmp_eq_u16_sdwa s[24:25], v16, v0 src0_sel:BYTE_0 src1_sel:DWORD
	s_and_b64 vcc, exec, s[24:25]
	s_cbranch_vccz .LBB6_479
; %bb.478:
	global_load_ubyte v1, v[2:3], off
	v_mov_b32_e32 v4, 0x3ff00000
	v_mov_b32_e32 v0, 0
	s_mov_b64 s[0:1], -1
	s_mov_b64 s[24:25], 0
	s_waitcnt vmcnt(0)
	v_cmp_ne_u16_e32 vcc, 0, v1
	v_cndmask_b32_e32 v1, 0, v4, vcc
	s_branch .LBB6_480
.LBB6_479:
	s_mov_b64 s[24:25], -1
                                        ; implicit-def: $vgpr0_vgpr1
.LBB6_480:
	s_branch .LBB6_396
.LBB6_481:
	v_mov_b32_e32 v0, 5
	v_cmp_lt_i16_sdwa s[0:1], v16, v0 src0_sel:BYTE_0 src1_sel:DWORD
	s_and_b64 vcc, exec, s[0:1]
	s_cbranch_vccnz .LBB6_486
; %bb.482:
	v_mov_b32_e32 v0, 8
	v_cmp_lt_i16_sdwa s[0:1], v16, v0 src0_sel:BYTE_0 src1_sel:DWORD
	s_and_b64 vcc, exec, s[0:1]
	s_cbranch_vccnz .LBB6_487
; %bb.483:
	;; [unrolled: 5-line block ×3, first 2 shown]
	v_cmp_gt_i16_sdwa s[0:1], v16, v0 src0_sel:BYTE_0 src1_sel:DWORD
	s_and_b64 vcc, exec, s[0:1]
	s_cbranch_vccz .LBB6_489
; %bb.485:
	global_load_dwordx2 v[0:1], v[2:3], off
	s_mov_b64 s[0:1], 0
	s_branch .LBB6_490
.LBB6_486:
	s_mov_b64 s[0:1], -1
                                        ; implicit-def: $vgpr0_vgpr1
	s_branch .LBB6_508
.LBB6_487:
	s_mov_b64 s[0:1], -1
                                        ; implicit-def: $vgpr0_vgpr1
	s_branch .LBB6_496
.LBB6_488:
	s_mov_b64 s[0:1], -1
                                        ; implicit-def: $vgpr0_vgpr1
	s_branch .LBB6_493
.LBB6_489:
	s_mov_b64 s[0:1], -1
                                        ; implicit-def: $vgpr0_vgpr1
.LBB6_490:
	s_andn2_b64 vcc, exec, s[0:1]
	s_cbranch_vccnz .LBB6_492
; %bb.491:
	global_load_dword v0, v[2:3], off
	s_waitcnt vmcnt(0)
	v_cvt_f64_f32_e32 v[0:1], v0
.LBB6_492:
	s_mov_b64 s[0:1], 0
.LBB6_493:
	s_andn2_b64 vcc, exec, s[0:1]
	s_cbranch_vccnz .LBB6_495
; %bb.494:
	global_load_dword v0, v[2:3], off
	s_waitcnt vmcnt(0)
	v_cvt_f32_f16_e32 v0, v0
	v_cvt_f64_f32_e32 v[0:1], v0
.LBB6_495:
	s_mov_b64 s[0:1], 0
.LBB6_496:
	s_andn2_b64 vcc, exec, s[0:1]
	s_cbranch_vccnz .LBB6_507
; %bb.497:
	s_waitcnt vmcnt(0)
	v_mov_b32_e32 v0, 6
	v_cmp_lt_i16_sdwa s[0:1], v16, v0 src0_sel:BYTE_0 src1_sel:DWORD
	s_and_b64 vcc, exec, s[0:1]
	s_cbranch_vccnz .LBB6_500
; %bb.498:
	v_cmp_gt_i16_sdwa s[0:1], v16, v0 src0_sel:BYTE_0 src1_sel:DWORD
	s_and_b64 vcc, exec, s[0:1]
	s_cbranch_vccz .LBB6_501
; %bb.499:
	global_load_dwordx2 v[0:1], v[2:3], off
	s_mov_b64 s[0:1], 0
	s_branch .LBB6_502
.LBB6_500:
	s_mov_b64 s[0:1], -1
                                        ; implicit-def: $vgpr0_vgpr1
	s_branch .LBB6_505
.LBB6_501:
	s_mov_b64 s[0:1], -1
                                        ; implicit-def: $vgpr0_vgpr1
.LBB6_502:
	s_andn2_b64 vcc, exec, s[0:1]
	s_cbranch_vccnz .LBB6_504
; %bb.503:
	global_load_dword v0, v[2:3], off
	s_waitcnt vmcnt(0)
	v_cvt_f64_f32_e32 v[0:1], v0
.LBB6_504:
	s_mov_b64 s[0:1], 0
.LBB6_505:
	s_andn2_b64 vcc, exec, s[0:1]
	s_cbranch_vccnz .LBB6_507
; %bb.506:
	global_load_ushort v0, v[2:3], off
	s_waitcnt vmcnt(0)
	v_cvt_f32_f16_e32 v0, v0
	v_cvt_f64_f32_e32 v[0:1], v0
.LBB6_507:
	s_mov_b64 s[0:1], 0
.LBB6_508:
	s_andn2_b64 vcc, exec, s[0:1]
	s_cbranch_vccnz .LBB6_528
; %bb.509:
	s_waitcnt vmcnt(0)
	v_mov_b32_e32 v0, 2
	v_cmp_lt_i16_sdwa s[0:1], v16, v0 src0_sel:BYTE_0 src1_sel:DWORD
	s_and_b64 vcc, exec, s[0:1]
	s_cbranch_vccnz .LBB6_513
; %bb.510:
	v_mov_b32_e32 v0, 3
	v_cmp_lt_i16_sdwa s[0:1], v16, v0 src0_sel:BYTE_0 src1_sel:DWORD
	s_and_b64 vcc, exec, s[0:1]
	s_cbranch_vccnz .LBB6_514
; %bb.511:
	v_cmp_gt_i16_sdwa s[0:1], v16, v0 src0_sel:BYTE_0 src1_sel:DWORD
	s_and_b64 vcc, exec, s[0:1]
	s_cbranch_vccz .LBB6_515
; %bb.512:
	global_load_dwordx2 v[0:1], v[2:3], off
	s_mov_b64 s[0:1], 0
	s_waitcnt vmcnt(0)
	v_cvt_f64_i32_e32 v[4:5], v1
	v_cvt_f64_u32_e32 v[0:1], v0
	v_ldexp_f64 v[4:5], v[4:5], 32
	v_add_f64 v[0:1], v[4:5], v[0:1]
	s_branch .LBB6_516
.LBB6_513:
	s_mov_b64 s[0:1], -1
                                        ; implicit-def: $vgpr0_vgpr1
	s_branch .LBB6_522
.LBB6_514:
	s_mov_b64 s[0:1], -1
                                        ; implicit-def: $vgpr0_vgpr1
	s_branch .LBB6_519
.LBB6_515:
	s_mov_b64 s[0:1], -1
                                        ; implicit-def: $vgpr0_vgpr1
.LBB6_516:
	s_andn2_b64 vcc, exec, s[0:1]
	s_cbranch_vccnz .LBB6_518
; %bb.517:
	global_load_dword v0, v[2:3], off
	s_waitcnt vmcnt(0)
	v_cvt_f64_i32_e32 v[0:1], v0
.LBB6_518:
	s_mov_b64 s[0:1], 0
.LBB6_519:
	s_andn2_b64 vcc, exec, s[0:1]
	s_cbranch_vccnz .LBB6_521
; %bb.520:
	global_load_sshort v0, v[2:3], off
	s_waitcnt vmcnt(0)
	v_cvt_f64_i32_e32 v[0:1], v0
.LBB6_521:
	s_mov_b64 s[0:1], 0
.LBB6_522:
	s_andn2_b64 vcc, exec, s[0:1]
	s_cbranch_vccnz .LBB6_528
; %bb.523:
	v_mov_b32_e32 v0, 0
	v_cmp_gt_i16_sdwa s[0:1], v16, v0 src0_sel:BYTE_0 src1_sel:DWORD
	s_and_b64 vcc, exec, s[0:1]
	s_cbranch_vccz .LBB6_525
; %bb.524:
	global_load_sbyte v0, v[2:3], off
	s_mov_b64 s[0:1], 0
	s_waitcnt vmcnt(0)
	v_cvt_f64_i32_e32 v[0:1], v0
	s_branch .LBB6_526
.LBB6_525:
	s_mov_b64 s[0:1], -1
                                        ; implicit-def: $vgpr0_vgpr1
.LBB6_526:
	s_andn2_b64 vcc, exec, s[0:1]
	s_cbranch_vccnz .LBB6_528
; %bb.527:
	global_load_ubyte v0, v[2:3], off
	s_waitcnt vmcnt(0)
	v_cvt_f64_u32_e32 v[0:1], v0
.LBB6_528:
	s_branch .LBB6_397
.LBB6_529:
	s_mov_b64 s[34:35], 0
	s_mov_b64 s[0:1], s[6:7]
	;; [unrolled: 1-line block ×3, first 2 shown]
.LBB6_530:
                                        ; implicit-def: $vgpr19
	s_branch .LBB6_772
.LBB6_531:
	s_or_saveexec_b64 s[28:29], s[28:29]
                                        ; implicit-def: $sgpr15
	s_xor_b64 exec, exec, s[28:29]
	s_cbranch_execz .LBB6_193
.LBB6_532:
	s_mov_b32 s15, 0x42800000
	v_add_f32_e64 v3, |v2|, s15
	v_and_b32_e32 v3, 0xff, v3
	v_cmp_ne_u32_e32 vcc, 0, v3
	s_andn2_b64 s[24:25], s[24:25], exec
	s_and_b64 s[30:31], vcc, exec
	s_mov_b32 s15, 0
	s_or_b64 s[24:25], s[24:25], s[30:31]
	s_or_b64 exec, exec, s[28:29]
	v_mov_b32_e32 v6, s15
	s_and_saveexec_b64 s[28:29], s[24:25]
	s_cbranch_execnz .LBB6_194
	s_branch .LBB6_195
.LBB6_533:
	s_mov_b64 s[26:27], -1
                                        ; implicit-def: $vgpr4_vgpr5
	s_mov_b64 s[0:1], 0
.LBB6_534:
	s_and_b64 vcc, exec, s[28:29]
	s_cbranch_vccz .LBB6_538
; %bb.535:
	v_mov_b32_e32 v4, 44
	v_cmp_eq_u16_sdwa s[26:27], v20, v4 src0_sel:BYTE_0 src1_sel:DWORD
	s_and_b64 vcc, exec, s[26:27]
	s_cbranch_vccz .LBB6_537
; %bb.536:
	global_load_ubyte v6, v[2:3], off
	s_movk_i32 s15, 0xff
	v_bfrev_b32_e32 v7, 4
	v_mov_b32_e32 v8, 0x7ff80000
	v_bfrev_b32_e32 v9, 28
	s_mov_b64 s[0:1], -1
	s_mov_b64 s[26:27], 0
	s_waitcnt vmcnt(0)
	v_lshlrev_b32_e32 v4, 23, v6
	v_cvt_f64_f32_e32 v[4:5], v4
	v_cmp_ne_u32_e32 vcc, s15, v6
	v_cndmask_b32_e32 v4, v7, v4, vcc
	v_cndmask_b32_e32 v5, v8, v5, vcc
	v_cmp_ne_u32_e32 vcc, 0, v6
	v_cndmask_b32_e32 v5, v9, v5, vcc
	v_cndmask_b32_e32 v4, 0, v4, vcc
	s_branch .LBB6_538
.LBB6_537:
	s_mov_b64 s[26:27], -1
                                        ; implicit-def: $vgpr4_vgpr5
.LBB6_538:
	s_mov_b64 s[28:29], 0
.LBB6_539:
	s_and_b64 vcc, exec, s[28:29]
	s_cbranch_vccz .LBB6_543
; %bb.540:
	v_mov_b32_e32 v4, 29
	v_cmp_eq_u16_sdwa s[26:27], v20, v4 src0_sel:BYTE_0 src1_sel:DWORD
	s_and_b64 vcc, exec, s[26:27]
	s_cbranch_vccz .LBB6_542
; %bb.541:
	global_load_dwordx2 v[4:5], v[2:3], off
	s_mov_b64 s[0:1], -1
	s_mov_b64 s[26:27], 0
	s_mov_b64 s[28:29], 0
	s_waitcnt vmcnt(0)
	v_cvt_f64_u32_e32 v[6:7], v5
	v_cvt_f64_u32_e32 v[4:5], v4
	v_ldexp_f64 v[6:7], v[6:7], 32
	v_add_f64 v[4:5], v[6:7], v[4:5]
	s_branch .LBB6_544
.LBB6_542:
	s_mov_b64 s[26:27], -1
                                        ; implicit-def: $vgpr4_vgpr5
.LBB6_543:
	s_mov_b64 s[28:29], 0
.LBB6_544:
	s_and_b64 vcc, exec, s[28:29]
	s_cbranch_vccz .LBB6_562
; %bb.545:
	v_mov_b32_e32 v4, 27
	v_cmp_lt_i16_sdwa s[0:1], v20, v4 src0_sel:BYTE_0 src1_sel:DWORD
	s_and_b64 vcc, exec, s[0:1]
	s_cbranch_vccnz .LBB6_548
; %bb.546:
	v_cmp_gt_i16_sdwa s[0:1], v20, v4 src0_sel:BYTE_0 src1_sel:DWORD
	s_and_b64 vcc, exec, s[0:1]
	s_cbranch_vccz .LBB6_549
; %bb.547:
	global_load_dword v4, v[2:3], off
	s_mov_b64 s[0:1], 0
	s_waitcnt vmcnt(0)
	v_cvt_f64_u32_e32 v[4:5], v4
	s_branch .LBB6_550
.LBB6_548:
	s_mov_b64 s[0:1], -1
                                        ; implicit-def: $vgpr4_vgpr5
	s_branch .LBB6_553
.LBB6_549:
	s_mov_b64 s[0:1], -1
                                        ; implicit-def: $vgpr4_vgpr5
.LBB6_550:
	s_andn2_b64 vcc, exec, s[0:1]
	s_cbranch_vccnz .LBB6_552
; %bb.551:
	global_load_ushort v4, v[2:3], off
	s_waitcnt vmcnt(0)
	v_cvt_f64_u32_e32 v[4:5], v4
.LBB6_552:
	s_mov_b64 s[0:1], 0
.LBB6_553:
	s_andn2_b64 vcc, exec, s[0:1]
	s_cbranch_vccnz .LBB6_561
; %bb.554:
	global_load_ubyte v6, v[2:3], off
	s_movk_i32 s0, 0x7f
                                        ; implicit-def: $sgpr28_sgpr29
	s_waitcnt vmcnt(0)
	v_cmp_lt_i16_e32 vcc, s0, v6
	s_mov_b64 s[0:1], 0
	s_and_saveexec_b64 s[34:35], vcc
	s_xor_b64 s[34:35], exec, s[34:35]
	s_cbranch_execz .LBB6_575
; %bb.555:
	s_movk_i32 s0, 0x80
	v_cmp_eq_u16_e32 vcc, s0, v6
	s_mov_b64 s[36:37], -1
                                        ; implicit-def: $sgpr28_sgpr29
	s_and_saveexec_b64 s[0:1], vcc
; %bb.556:
	s_mov_b32 s29, 0x7ff80000
	s_brev_b32 s28, 4
	s_xor_b64 s[36:37], exec, -1
; %bb.557:
	s_or_b64 exec, exec, s[0:1]
	s_and_b64 s[0:1], s[36:37], exec
	s_or_saveexec_b64 s[34:35], s[34:35]
	v_pk_mov_b32 v[4:5], s[28:29], s[28:29] op_sel:[0,1]
	s_xor_b64 exec, exec, s[34:35]
	s_cbranch_execnz .LBB6_576
.LBB6_558:
	s_or_b64 exec, exec, s[34:35]
	s_and_saveexec_b64 s[28:29], s[0:1]
	s_cbranch_execz .LBB6_560
.LBB6_559:
	v_and_b32_e32 v5, 0xffff, v6
	v_lshlrev_b32_e32 v4, 24, v6
	v_and_b32_e32 v6, 7, v5
	v_ffbh_u32_e32 v8, v6
	v_min_u32_e32 v8, 32, v8
	v_subrev_u32_e32 v9, 28, v8
	v_bfe_u32 v7, v5, 3, 4
	v_lshlrev_b32_e32 v5, v9, v5
	v_sub_u32_e32 v8, 29, v8
	v_and_b32_e32 v5, 7, v5
	v_cmp_eq_u32_e32 vcc, 0, v7
	v_cndmask_b32_e32 v7, v7, v8, vcc
	v_cndmask_b32_e32 v5, v6, v5, vcc
	v_mov_b32_e32 v6, 0x3b800000
	v_lshlrev_b32_e32 v5, 20, v5
	v_and_b32_e32 v4, 0x80000000, v4
	v_lshl_add_u32 v6, v7, 23, v6
	v_or3_b32 v4, v4, v6, v5
	v_cvt_f64_f32_e32 v[4:5], v4
.LBB6_560:
	s_or_b64 exec, exec, s[28:29]
.LBB6_561:
	s_mov_b64 s[0:1], -1
.LBB6_562:
	s_mov_b64 s[28:29], 0
.LBB6_563:
	s_and_b64 vcc, exec, s[28:29]
	s_cbranch_vccz .LBB6_598
; %bb.564:
	v_mov_b32_e32 v4, 22
	v_cmp_gt_i16_sdwa s[28:29], v20, v4 src0_sel:BYTE_0 src1_sel:DWORD
	s_and_b64 vcc, exec, s[28:29]
	s_cbranch_vccz .LBB6_574
; %bb.565:
	v_mov_b32_e32 v4, 24
	v_cmp_lt_i16_sdwa s[0:1], v20, v4 src0_sel:BYTE_0 src1_sel:DWORD
	s_and_b64 vcc, exec, s[0:1]
	s_cbranch_vccnz .LBB6_577
; %bb.566:
	v_cmp_gt_i16_sdwa s[0:1], v20, v4 src0_sel:BYTE_0 src1_sel:DWORD
	s_and_b64 vcc, exec, s[0:1]
	s_cbranch_vccz .LBB6_578
; %bb.567:
	global_load_ubyte v6, v[2:3], off
	s_movk_i32 s0, 0x7f
                                        ; implicit-def: $sgpr28_sgpr29
	s_waitcnt vmcnt(0)
	v_cmp_lt_i16_e32 vcc, s0, v6
	s_mov_b64 s[0:1], 0
	s_and_saveexec_b64 s[34:35], vcc
	s_xor_b64 s[34:35], exec, s[34:35]
	s_cbranch_execz .LBB6_590
; %bb.568:
	s_movk_i32 s0, 0x80
	v_cmp_eq_u16_e32 vcc, s0, v6
	s_mov_b64 s[36:37], -1
                                        ; implicit-def: $sgpr28_sgpr29
	s_and_saveexec_b64 s[0:1], vcc
; %bb.569:
	s_mov_b32 s29, 0x7ff80000
	s_brev_b32 s28, 4
	s_xor_b64 s[36:37], exec, -1
; %bb.570:
	s_or_b64 exec, exec, s[0:1]
	s_and_b64 s[0:1], s[36:37], exec
	s_or_saveexec_b64 s[34:35], s[34:35]
	v_pk_mov_b32 v[4:5], s[28:29], s[28:29] op_sel:[0,1]
	s_xor_b64 exec, exec, s[34:35]
	s_cbranch_execnz .LBB6_591
.LBB6_571:
	s_or_b64 exec, exec, s[34:35]
	s_and_saveexec_b64 s[28:29], s[0:1]
	s_cbranch_execz .LBB6_573
.LBB6_572:
	v_and_b32_e32 v5, 0xffff, v6
	v_lshlrev_b32_e32 v4, 24, v6
	v_and_b32_e32 v6, 3, v5
	v_ffbh_u32_e32 v8, v6
	v_min_u32_e32 v8, 32, v8
	v_subrev_u32_e32 v9, 29, v8
	v_bfe_u32 v7, v5, 2, 5
	v_lshlrev_b32_e32 v5, v9, v5
	v_sub_u32_e32 v8, 30, v8
	v_and_b32_e32 v5, 3, v5
	v_cmp_eq_u32_e32 vcc, 0, v7
	v_cndmask_b32_e32 v7, v7, v8, vcc
	v_cndmask_b32_e32 v5, v6, v5, vcc
	v_mov_b32_e32 v6, 0x37800000
	v_lshlrev_b32_e32 v5, 21, v5
	v_and_b32_e32 v4, 0x80000000, v4
	v_lshl_add_u32 v6, v7, 23, v6
	v_or3_b32 v4, v4, v6, v5
	v_cvt_f64_f32_e32 v[4:5], v4
.LBB6_573:
	s_or_b64 exec, exec, s[28:29]
	s_mov_b64 s[0:1], 0
	s_branch .LBB6_579
.LBB6_574:
	s_mov_b64 s[28:29], -1
                                        ; implicit-def: $vgpr4_vgpr5
	s_branch .LBB6_585
.LBB6_575:
	s_or_saveexec_b64 s[34:35], s[34:35]
	v_pk_mov_b32 v[4:5], s[28:29], s[28:29] op_sel:[0,1]
	s_xor_b64 exec, exec, s[34:35]
	s_cbranch_execz .LBB6_558
.LBB6_576:
	v_cmp_ne_u16_e32 vcc, 0, v6
	s_andn2_b64 s[0:1], s[0:1], exec
	s_and_b64 s[28:29], vcc, exec
	v_pk_mov_b32 v[4:5], 0, 0
	s_or_b64 s[0:1], s[0:1], s[28:29]
	s_or_b64 exec, exec, s[34:35]
	s_and_saveexec_b64 s[28:29], s[0:1]
	s_cbranch_execnz .LBB6_559
	s_branch .LBB6_560
.LBB6_577:
	s_mov_b64 s[0:1], -1
                                        ; implicit-def: $vgpr4_vgpr5
	s_branch .LBB6_582
.LBB6_578:
	s_mov_b64 s[0:1], -1
                                        ; implicit-def: $vgpr4_vgpr5
.LBB6_579:
	s_and_b64 vcc, exec, s[0:1]
	s_cbranch_vccz .LBB6_581
; %bb.580:
	global_load_ubyte v4, v[2:3], off
	s_mov_b32 s0, 0x7f800000
	s_waitcnt vmcnt(0)
	v_lshlrev_b32_e32 v4, 24, v4
	v_and_b32_e32 v5, 0x7f000000, v4
	v_ffbh_u32_e32 v6, v5
	v_min_u32_e32 v6, 32, v6
	v_sub_u32_e64 v6, v6, 4 clamp
	v_lshlrev_b32_e32 v8, v6, v5
	v_lshlrev_b32_e32 v6, 23, v6
	v_lshrrev_b32_e32 v8, 4, v8
	v_add_u32_e32 v7, 0x1000000, v5
	v_sub_u32_e32 v6, v8, v6
	v_ashrrev_i32_e32 v7, 8, v7
	v_add_u32_e32 v6, 0x3c000000, v6
	v_and_or_b32 v6, v7, s0, v6
	v_cmp_ne_u32_e32 vcc, 0, v5
	v_cndmask_b32_e32 v5, 0, v6, vcc
	s_brev_b32 s0, 1
	v_and_or_b32 v4, v4, s0, v5
	v_cvt_f64_f32_e32 v[4:5], v4
.LBB6_581:
	s_mov_b64 s[0:1], 0
.LBB6_582:
	s_andn2_b64 vcc, exec, s[0:1]
	s_cbranch_vccnz .LBB6_584
; %bb.583:
	global_load_ubyte v4, v[2:3], off
	s_movk_i32 s0, 0x7f00
	s_brev_b32 s1, 16
	s_waitcnt vmcnt(0)
	v_lshlrev_b16_e32 v5, 8, v4
	v_lshlrev_b32_e32 v4, 25, v4
	v_lshrrev_b32_e32 v6, 4, v4
	v_and_or_b32 v7, v5, s0, 0.5
	v_or_b32_e32 v6, 0x70000000, v6
	v_add_f32_e32 v7, -0.5, v7
	v_mul_f32_e32 v6, 0x7800000, v6
	v_cmp_gt_u32_e32 vcc, s1, v4
	v_bfe_i32 v5, v5, 0, 16
	v_cndmask_b32_e32 v4, v6, v7, vcc
	s_brev_b32 s0, 1
	v_and_or_b32 v4, v5, s0, v4
	v_cvt_f64_f32_e32 v[4:5], v4
.LBB6_584:
	s_mov_b64 s[28:29], 0
	s_mov_b64 s[0:1], -1
.LBB6_585:
	s_andn2_b64 vcc, exec, s[28:29]
	s_cbranch_vccnz .LBB6_598
; %bb.586:
	v_mov_b32_e32 v4, 14
	v_cmp_gt_i16_sdwa s[28:29], v20, v4 src0_sel:BYTE_0 src1_sel:DWORD
	s_and_b64 vcc, exec, s[28:29]
	s_cbranch_vccz .LBB6_589
; %bb.587:
	v_mov_b32_e32 v4, 15
	v_cmp_eq_u16_sdwa s[26:27], v20, v4 src0_sel:BYTE_0 src1_sel:DWORD
	s_and_b64 vcc, exec, s[26:27]
	s_cbranch_vccz .LBB6_592
; %bb.588:
	global_load_ushort v4, v[2:3], off
	s_mov_b64 s[0:1], -1
	s_mov_b64 s[26:27], 0
	s_waitcnt vmcnt(0)
	v_lshlrev_b32_e32 v4, 16, v4
	v_cvt_f64_f32_e32 v[4:5], v4
	s_branch .LBB6_593
.LBB6_589:
	s_mov_b64 s[28:29], -1
                                        ; implicit-def: $vgpr4_vgpr5
	s_branch .LBB6_594
.LBB6_590:
	s_or_saveexec_b64 s[34:35], s[34:35]
	v_pk_mov_b32 v[4:5], s[28:29], s[28:29] op_sel:[0,1]
	s_xor_b64 exec, exec, s[34:35]
	s_cbranch_execz .LBB6_571
.LBB6_591:
	v_cmp_ne_u16_e32 vcc, 0, v6
	s_andn2_b64 s[0:1], s[0:1], exec
	s_and_b64 s[28:29], vcc, exec
	v_pk_mov_b32 v[4:5], 0, 0
	s_or_b64 s[0:1], s[0:1], s[28:29]
	s_or_b64 exec, exec, s[34:35]
	s_and_saveexec_b64 s[28:29], s[0:1]
	s_cbranch_execnz .LBB6_572
	s_branch .LBB6_573
.LBB6_592:
	s_mov_b64 s[26:27], -1
                                        ; implicit-def: $vgpr4_vgpr5
.LBB6_593:
	s_mov_b64 s[28:29], 0
.LBB6_594:
	s_and_b64 vcc, exec, s[28:29]
	s_cbranch_vccz .LBB6_598
; %bb.595:
	v_mov_b32_e32 v4, 11
	v_cmp_eq_u16_sdwa s[26:27], v20, v4 src0_sel:BYTE_0 src1_sel:DWORD
	s_and_b64 vcc, exec, s[26:27]
	s_cbranch_vccz .LBB6_597
; %bb.596:
	global_load_ubyte v5, v[2:3], off
	v_mov_b32_e32 v6, 0x3ff00000
	v_mov_b32_e32 v4, 0
	s_mov_b64 s[0:1], -1
	s_mov_b64 s[26:27], 0
	s_waitcnt vmcnt(0)
	v_cmp_ne_u16_e32 vcc, 0, v5
	v_cndmask_b32_e32 v5, 0, v6, vcc
	s_branch .LBB6_598
.LBB6_597:
	s_mov_b64 s[26:27], -1
                                        ; implicit-def: $vgpr4_vgpr5
.LBB6_598:
	s_mov_b64 s[28:29], 0
.LBB6_599:
	s_and_b64 vcc, exec, s[28:29]
	s_cbranch_vccz .LBB6_648
; %bb.600:
	v_mov_b32_e32 v4, 5
	v_cmp_lt_i16_sdwa s[0:1], v20, v4 src0_sel:BYTE_0 src1_sel:DWORD
	s_and_b64 vcc, exec, s[0:1]
	s_cbranch_vccnz .LBB6_605
; %bb.601:
	v_mov_b32_e32 v4, 8
	v_cmp_lt_i16_sdwa s[0:1], v20, v4 src0_sel:BYTE_0 src1_sel:DWORD
	s_and_b64 vcc, exec, s[0:1]
	s_cbranch_vccnz .LBB6_606
	;; [unrolled: 5-line block ×3, first 2 shown]
; %bb.603:
	v_cmp_gt_i16_sdwa s[0:1], v20, v4 src0_sel:BYTE_0 src1_sel:DWORD
	s_and_b64 vcc, exec, s[0:1]
	s_cbranch_vccz .LBB6_608
; %bb.604:
	global_load_dwordx2 v[4:5], v[2:3], off
	s_mov_b64 s[0:1], 0
	s_branch .LBB6_609
.LBB6_605:
	s_mov_b64 s[0:1], -1
                                        ; implicit-def: $vgpr4_vgpr5
	s_branch .LBB6_627
.LBB6_606:
	s_mov_b64 s[0:1], -1
                                        ; implicit-def: $vgpr4_vgpr5
	s_branch .LBB6_615
.LBB6_607:
	s_mov_b64 s[0:1], -1
                                        ; implicit-def: $vgpr4_vgpr5
	s_branch .LBB6_612
.LBB6_608:
	s_mov_b64 s[0:1], -1
                                        ; implicit-def: $vgpr4_vgpr5
.LBB6_609:
	s_andn2_b64 vcc, exec, s[0:1]
	s_cbranch_vccnz .LBB6_611
; %bb.610:
	global_load_dword v4, v[2:3], off
	s_waitcnt vmcnt(0)
	v_cvt_f64_f32_e32 v[4:5], v4
.LBB6_611:
	s_mov_b64 s[0:1], 0
.LBB6_612:
	s_andn2_b64 vcc, exec, s[0:1]
	s_cbranch_vccnz .LBB6_614
; %bb.613:
	global_load_dword v4, v[2:3], off
	s_waitcnt vmcnt(0)
	v_cvt_f32_f16_e32 v4, v4
	v_cvt_f64_f32_e32 v[4:5], v4
.LBB6_614:
	s_mov_b64 s[0:1], 0
.LBB6_615:
	s_andn2_b64 vcc, exec, s[0:1]
	s_cbranch_vccnz .LBB6_626
; %bb.616:
	s_waitcnt vmcnt(0)
	v_mov_b32_e32 v4, 6
	v_cmp_lt_i16_sdwa s[0:1], v20, v4 src0_sel:BYTE_0 src1_sel:DWORD
	s_and_b64 vcc, exec, s[0:1]
	s_cbranch_vccnz .LBB6_619
; %bb.617:
	v_cmp_gt_i16_sdwa s[0:1], v20, v4 src0_sel:BYTE_0 src1_sel:DWORD
	s_and_b64 vcc, exec, s[0:1]
	s_cbranch_vccz .LBB6_620
; %bb.618:
	global_load_dwordx2 v[4:5], v[2:3], off
	s_mov_b64 s[0:1], 0
	s_branch .LBB6_621
.LBB6_619:
	s_mov_b64 s[0:1], -1
                                        ; implicit-def: $vgpr4_vgpr5
	s_branch .LBB6_624
.LBB6_620:
	s_mov_b64 s[0:1], -1
                                        ; implicit-def: $vgpr4_vgpr5
.LBB6_621:
	s_andn2_b64 vcc, exec, s[0:1]
	s_cbranch_vccnz .LBB6_623
; %bb.622:
	global_load_dword v4, v[2:3], off
	s_waitcnt vmcnt(0)
	v_cvt_f64_f32_e32 v[4:5], v4
.LBB6_623:
	s_mov_b64 s[0:1], 0
.LBB6_624:
	s_andn2_b64 vcc, exec, s[0:1]
	s_cbranch_vccnz .LBB6_626
; %bb.625:
	global_load_ushort v4, v[2:3], off
	s_waitcnt vmcnt(0)
	v_cvt_f32_f16_e32 v4, v4
	v_cvt_f64_f32_e32 v[4:5], v4
.LBB6_626:
	s_mov_b64 s[0:1], 0
.LBB6_627:
	s_andn2_b64 vcc, exec, s[0:1]
	s_cbranch_vccnz .LBB6_647
; %bb.628:
	s_waitcnt vmcnt(0)
	v_mov_b32_e32 v4, 2
	v_cmp_lt_i16_sdwa s[0:1], v20, v4 src0_sel:BYTE_0 src1_sel:DWORD
	s_and_b64 vcc, exec, s[0:1]
	s_cbranch_vccnz .LBB6_632
; %bb.629:
	v_mov_b32_e32 v4, 3
	v_cmp_lt_i16_sdwa s[0:1], v20, v4 src0_sel:BYTE_0 src1_sel:DWORD
	s_and_b64 vcc, exec, s[0:1]
	s_cbranch_vccnz .LBB6_633
; %bb.630:
	v_cmp_gt_i16_sdwa s[0:1], v20, v4 src0_sel:BYTE_0 src1_sel:DWORD
	s_and_b64 vcc, exec, s[0:1]
	s_cbranch_vccz .LBB6_634
; %bb.631:
	global_load_dwordx2 v[4:5], v[2:3], off
	s_mov_b64 s[0:1], 0
	s_waitcnt vmcnt(0)
	v_cvt_f64_i32_e32 v[6:7], v5
	v_cvt_f64_u32_e32 v[4:5], v4
	v_ldexp_f64 v[6:7], v[6:7], 32
	v_add_f64 v[4:5], v[6:7], v[4:5]
	s_branch .LBB6_635
.LBB6_632:
	s_mov_b64 s[0:1], -1
                                        ; implicit-def: $vgpr4_vgpr5
	s_branch .LBB6_641
.LBB6_633:
	s_mov_b64 s[0:1], -1
                                        ; implicit-def: $vgpr4_vgpr5
	s_branch .LBB6_638
.LBB6_634:
	s_mov_b64 s[0:1], -1
                                        ; implicit-def: $vgpr4_vgpr5
.LBB6_635:
	s_andn2_b64 vcc, exec, s[0:1]
	s_cbranch_vccnz .LBB6_637
; %bb.636:
	global_load_dword v4, v[2:3], off
	s_waitcnt vmcnt(0)
	v_cvt_f64_i32_e32 v[4:5], v4
.LBB6_637:
	s_mov_b64 s[0:1], 0
.LBB6_638:
	s_andn2_b64 vcc, exec, s[0:1]
	s_cbranch_vccnz .LBB6_640
; %bb.639:
	global_load_sshort v4, v[2:3], off
	s_waitcnt vmcnt(0)
	v_cvt_f64_i32_e32 v[4:5], v4
.LBB6_640:
	s_mov_b64 s[0:1], 0
.LBB6_641:
	s_andn2_b64 vcc, exec, s[0:1]
	s_cbranch_vccnz .LBB6_647
; %bb.642:
	v_mov_b32_e32 v4, 0
	v_cmp_gt_i16_sdwa s[0:1], v20, v4 src0_sel:BYTE_0 src1_sel:DWORD
	s_and_b64 vcc, exec, s[0:1]
	s_cbranch_vccz .LBB6_644
; %bb.643:
	global_load_sbyte v4, v[2:3], off
	s_mov_b64 s[0:1], 0
	s_waitcnt vmcnt(0)
	v_cvt_f64_i32_e32 v[4:5], v4
	s_branch .LBB6_645
.LBB6_644:
	s_mov_b64 s[0:1], -1
                                        ; implicit-def: $vgpr4_vgpr5
.LBB6_645:
	s_andn2_b64 vcc, exec, s[0:1]
	s_cbranch_vccnz .LBB6_647
; %bb.646:
	global_load_ubyte v2, v[2:3], off
	s_waitcnt vmcnt(0)
	v_cvt_f64_u32_e32 v[4:5], v2
.LBB6_647:
	s_mov_b64 s[0:1], -1
.LBB6_648:
	s_andn2_b64 vcc, exec, s[0:1]
	s_cbranch_vccnz .LBB6_656
; %bb.649:
	s_waitcnt vmcnt(0)
	v_div_scale_f64 v[2:3], s[0:1], v[4:5], v[4:5], v[0:1]
	v_rcp_f64_e32 v[6:7], v[2:3]
	v_div_scale_f64 v[8:9], vcc, v[0:1], v[4:5], v[0:1]
	s_mov_b32 s0, 0
	v_fma_f64 v[10:11], -v[2:3], v[6:7], 1.0
	v_fmac_f64_e32 v[6:7], v[6:7], v[10:11]
	v_fma_f64 v[10:11], -v[2:3], v[6:7], 1.0
	v_fmac_f64_e32 v[6:7], v[6:7], v[10:11]
	v_mul_f64 v[10:11], v[8:9], v[6:7]
	v_fma_f64 v[2:3], -v[2:3], v[10:11], v[8:9]
	v_div_fmas_f64 v[2:3], v[2:3], v[6:7], v[10:11]
	v_div_fixup_f64 v[0:1], v[2:3], v[4:5], v[0:1]
	s_mov_b32 s1, 0x100000
	v_mov_b32_e32 v2, 0x100000
	v_cmp_ngt_f64_e32 vcc, s[0:1], v[0:1]
	s_mov_b32 s0, -2
	v_cndmask_b32_e32 v1, v2, v1, vcc
	v_cndmask_b32_e32 v0, 0, v0, vcc
	s_mov_b32 s1, 0x3fefffff
	v_mov_b32_e32 v2, 0x3fefffff
	v_cmp_nlt_f64_e32 vcc, s[0:1], v[0:1]
	v_cndmask_b32_e32 v1, v2, v1, vcc
	v_mul_lo_u32 v2, v19, s12
	v_cndmask_b32_e32 v0, -2, v0, vcc
	v_ashrrev_i32_e32 v3, 31, v2
	v_mov_b32_e32 v5, s9
	v_add_co_u32_e32 v4, vcc, s8, v2
	v_mov_b32_e32 v2, 11
	v_addc_co_u32_e32 v5, vcc, v5, v3, vcc
	v_cmp_lt_i16_sdwa s[0:1], v18, v2 src0_sel:BYTE_0 src1_sel:DWORD
	s_and_b64 vcc, exec, s[0:1]
	s_cbranch_vccnz .LBB6_657
; %bb.650:
	v_mov_b32_e32 v2, 25
	v_cmp_gt_i16_sdwa s[0:1], v18, v2 src0_sel:BYTE_0 src1_sel:DWORD
	s_and_b64 vcc, exec, s[0:1]
	s_cbranch_vccz .LBB6_658
; %bb.651:
	v_mov_b32_e32 v2, 28
	v_cmp_gt_i16_sdwa s[0:1], v18, v2 src0_sel:BYTE_0 src1_sel:DWORD
	s_and_b64 vcc, exec, s[0:1]
	s_cbranch_vccz .LBB6_659
	;; [unrolled: 5-line block ×4, first 2 shown]
; %bb.654:
	v_mov_b32_e32 v2, 46
	v_cmp_eq_u16_sdwa s[28:29], v18, v2 src0_sel:BYTE_0 src1_sel:DWORD
	s_mov_b64 s[34:35], 0
	s_mov_b64 s[0:1], -1
	s_and_b64 vcc, exec, s[28:29]
	s_mov_b64 s[28:29], 0
	s_cbranch_vccz .LBB6_662
; %bb.655:
	v_cvt_f32_f64_e32 v2, v[0:1]
	v_bfe_u32 v3, v2, 16, 1
	s_movk_i32 s0, 0x7fff
	v_add3_u32 v3, v2, v3, s0
	v_lshrrev_b32_e32 v3, 16, v3
	v_mov_b32_e32 v6, 0x7fc0
	v_cmp_o_f32_e32 vcc, v2, v2
	v_cndmask_b32_e32 v2, v6, v3, vcc
	global_store_dword v[4:5], v2, off
	s_mov_b64 s[28:29], -1
	s_mov_b64 s[0:1], 0
	s_branch .LBB6_662
.LBB6_656:
	s_mov_b64 s[34:35], 0
                                        ; implicit-def: $vgpr19
	s_mov_b64 s[0:1], s[6:7]
	s_branch .LBB6_772
.LBB6_657:
	s_mov_b64 s[34:35], -1
	s_mov_b64 s[28:29], 0
	s_mov_b64 s[0:1], s[6:7]
	s_branch .LBB6_731
.LBB6_658:
	s_mov_b64 s[34:35], -1
	s_mov_b64 s[28:29], 0
	s_mov_b64 s[0:1], s[6:7]
	s_branch .LBB6_689
.LBB6_659:
	s_mov_b64 s[34:35], -1
	s_mov_b64 s[28:29], 0
	s_mov_b64 s[0:1], s[6:7]
	s_branch .LBB6_672
.LBB6_660:
	s_mov_b64 s[34:35], -1
	s_mov_b64 s[28:29], 0
	s_mov_b64 s[0:1], s[6:7]
	s_branch .LBB6_668
.LBB6_661:
	s_mov_b64 s[34:35], -1
	s_mov_b64 s[28:29], 0
	s_mov_b64 s[0:1], s[6:7]
.LBB6_662:
	s_and_b64 vcc, exec, s[34:35]
	s_cbranch_vccz .LBB6_667
; %bb.663:
	v_mov_b32_e32 v2, 44
	v_cmp_eq_u16_sdwa s[34:35], v18, v2 src0_sel:BYTE_0 src1_sel:DWORD
	s_mov_b64 s[0:1], -1
	s_and_b64 vcc, exec, s[34:35]
	s_cbranch_vccz .LBB6_667
; %bb.664:
	v_cvt_f32_f64_e32 v2, v[0:1]
	v_bfe_u32 v3, v2, 23, 8
	s_movk_i32 s0, 0xff
	v_cmp_ne_u32_e32 vcc, s0, v3
	v_mov_b32_e32 v6, 0xff
	s_and_saveexec_b64 s[28:29], vcc
; %bb.665:
	s_mov_b32 s0, 0x3fffff
	v_lshrrev_b32_e32 v6, 23, v2
	v_and_b32_e32 v7, 0x400000, v2
	v_and_or_b32 v2, v2, s0, v3
	v_cmp_ne_u32_e32 vcc, 0, v7
	v_cmp_ne_u32_e64 s[0:1], 0, v2
	s_and_b64 s[0:1], vcc, s[0:1]
	v_cndmask_b32_e64 v2, 0, 1, s[0:1]
	v_add_u32_e32 v6, v6, v2
; %bb.666:
	s_or_b64 exec, exec, s[28:29]
	s_mov_b64 s[28:29], -1
	s_mov_b64 s[0:1], 0
	global_store_byte v[4:5], v6, off
.LBB6_667:
	s_mov_b64 s[34:35], 0
.LBB6_668:
	s_and_b64 vcc, exec, s[34:35]
	s_cbranch_vccz .LBB6_671
; %bb.669:
	v_mov_b32_e32 v2, 29
	v_cmp_eq_u16_sdwa s[34:35], v18, v2 src0_sel:BYTE_0 src1_sel:DWORD
	s_mov_b64 s[0:1], -1
	s_and_b64 vcc, exec, s[34:35]
	s_cbranch_vccz .LBB6_671
; %bb.670:
	v_trunc_f64_e32 v[2:3], v[0:1]
	s_movk_i32 s0, 0xffe0
	v_ldexp_f64 v[6:7], v[2:3], s0
	v_floor_f64_e32 v[6:7], v[6:7]
	v_fmac_f64_e32 v[2:3], 0xc1f00000, v[6:7]
	v_cvt_u32_f64_e32 v9, v[6:7]
	v_cvt_u32_f64_e32 v8, v[2:3]
	global_store_dwordx2 v[4:5], v[8:9], off
	s_mov_b64 s[28:29], -1
	s_mov_b64 s[0:1], 0
.LBB6_671:
	s_mov_b64 s[34:35], 0
.LBB6_672:
	s_and_b64 vcc, exec, s[34:35]
	s_cbranch_vccz .LBB6_688
; %bb.673:
	v_mov_b32_e32 v2, 27
	v_cmp_lt_i16_sdwa s[34:35], v18, v2 src0_sel:BYTE_0 src1_sel:DWORD
	s_mov_b64 s[28:29], -1
	s_and_b64 vcc, exec, s[34:35]
	s_cbranch_vccnz .LBB6_679
; %bb.674:
	v_cmp_gt_i16_sdwa s[34:35], v18, v2 src0_sel:BYTE_0 src1_sel:DWORD
	s_and_b64 vcc, exec, s[34:35]
	v_cvt_u32_f64_e32 v2, v[0:1]
	s_cbranch_vccz .LBB6_676
; %bb.675:
	s_mov_b64 s[28:29], 0
	global_store_dword v[4:5], v2, off
.LBB6_676:
	s_andn2_b64 vcc, exec, s[28:29]
	s_cbranch_vccnz .LBB6_678
; %bb.677:
	global_store_short v[4:5], v2, off
.LBB6_678:
	s_mov_b64 s[28:29], 0
.LBB6_679:
	s_andn2_b64 vcc, exec, s[28:29]
	s_cbranch_vccnz .LBB6_687
; %bb.680:
	v_cvt_f32_f64_e32 v2, v[0:1]
	v_and_b32_e32 v3, 0x7fffffff, v2
	s_mov_b32 s15, 0x43800000
	v_cmp_gt_u32_e32 vcc, s15, v3
	v_mov_b32_e32 v6, 0x80
	s_and_saveexec_b64 s[28:29], vcc
	s_cbranch_execz .LBB6_686
; %bb.681:
	s_mov_b32 s15, 0x3bffffff
	v_cmp_lt_u32_e32 vcc, s15, v3
	s_mov_b64 s[34:35], 0
                                        ; implicit-def: $vgpr3
	s_and_saveexec_b64 s[36:37], vcc
	s_xor_b64 s[36:37], exec, s[36:37]
	s_cbranch_execz .LBB6_788
; %bb.682:
	v_bfe_u32 v3, v2, 20, 1
	s_mov_b32 s15, 0x487ffff
	v_add3_u32 v3, v2, v3, s15
	s_mov_b64 s[34:35], exec
	v_lshrrev_b32_e32 v3, 20, v3
	s_or_saveexec_b64 s[36:37], s[36:37]
                                        ; implicit-def: $sgpr15
	s_xor_b64 exec, exec, s[36:37]
	s_cbranch_execnz .LBB6_789
.LBB6_683:
	s_or_b64 exec, exec, s[36:37]
	v_mov_b32_e32 v6, s15
	s_and_saveexec_b64 s[36:37], s[34:35]
.LBB6_684:
	v_lshrrev_b32_e32 v2, 24, v2
	s_movk_i32 s15, 0x80
	v_and_or_b32 v6, v2, s15, v3
.LBB6_685:
	s_or_b64 exec, exec, s[36:37]
.LBB6_686:
	s_or_b64 exec, exec, s[28:29]
	global_store_byte v[4:5], v6, off
.LBB6_687:
	s_mov_b64 s[28:29], -1
.LBB6_688:
	s_mov_b64 s[34:35], 0
.LBB6_689:
	s_and_b64 vcc, exec, s[34:35]
	s_cbranch_vccz .LBB6_730
; %bb.690:
	v_mov_b32_e32 v2, 22
	v_cmp_gt_i16_sdwa s[36:37], v18, v2 src0_sel:BYTE_0 src1_sel:DWORD
	s_mov_b64 s[34:35], -1
	s_and_b64 vcc, exec, s[36:37]
	s_cbranch_vccz .LBB6_722
; %bb.691:
	v_mov_b32_e32 v2, 24
	v_cmp_lt_i16_sdwa s[34:35], v18, v2 src0_sel:BYTE_0 src1_sel:DWORD
	s_mov_b64 s[28:29], -1
	s_and_b64 vcc, exec, s[34:35]
	s_cbranch_vccnz .LBB6_711
; %bb.692:
	v_cmp_gt_i16_sdwa s[34:35], v18, v2 src0_sel:BYTE_0 src1_sel:DWORD
	s_and_b64 vcc, exec, s[34:35]
	s_cbranch_vccz .LBB6_700
; %bb.693:
	v_cvt_f32_f64_e32 v2, v[0:1]
	v_and_b32_e32 v3, 0x7fffffff, v2
	s_mov_b32 s15, 0x47800000
	v_cmp_gt_u32_e32 vcc, s15, v3
	v_mov_b32_e32 v6, 0x80
	s_and_saveexec_b64 s[28:29], vcc
	s_cbranch_execz .LBB6_699
; %bb.694:
	s_mov_b32 s15, 0x37ffffff
	v_cmp_lt_u32_e32 vcc, s15, v3
	s_mov_b64 s[34:35], 0
                                        ; implicit-def: $vgpr3
	s_and_saveexec_b64 s[36:37], vcc
	s_xor_b64 s[36:37], exec, s[36:37]
	s_cbranch_execz .LBB6_920
; %bb.695:
	v_bfe_u32 v3, v2, 21, 1
	s_mov_b32 s15, 0x88fffff
	v_add3_u32 v3, v2, v3, s15
	s_mov_b64 s[34:35], exec
	v_lshrrev_b32_e32 v3, 21, v3
	s_or_saveexec_b64 s[36:37], s[36:37]
                                        ; implicit-def: $sgpr15
	s_xor_b64 exec, exec, s[36:37]
	s_cbranch_execnz .LBB6_921
.LBB6_696:
	s_or_b64 exec, exec, s[36:37]
	v_mov_b32_e32 v6, s15
	s_and_saveexec_b64 s[36:37], s[34:35]
.LBB6_697:
	v_lshrrev_b32_e32 v2, 24, v2
	s_movk_i32 s15, 0x80
	v_and_or_b32 v6, v2, s15, v3
.LBB6_698:
	s_or_b64 exec, exec, s[36:37]
.LBB6_699:
	s_or_b64 exec, exec, s[28:29]
	s_mov_b64 s[28:29], 0
	global_store_byte v[4:5], v6, off
.LBB6_700:
	s_and_b64 vcc, exec, s[28:29]
	s_cbranch_vccz .LBB6_710
; %bb.701:
	v_cvt_f32_f64_e32 v2, v[0:1]
	v_and_b32_e32 v6, 0x7fffffff, v2
	s_mov_b32 s15, 0x43f00000
	v_cmp_gt_u32_e32 vcc, s15, v6
                                        ; implicit-def: $vgpr3
	s_and_saveexec_b64 s[28:29], vcc
	s_xor_b64 s[28:29], exec, s[28:29]
	s_cbranch_execz .LBB6_707
; %bb.702:
	s_mov_b32 s15, 0x3c7fffff
	v_cmp_lt_u32_e32 vcc, s15, v6
                                        ; implicit-def: $vgpr3
	s_and_saveexec_b64 s[34:35], vcc
	s_xor_b64 s[34:35], exec, s[34:35]
; %bb.703:
	v_bfe_u32 v3, v2, 20, 1
	s_mov_b32 s15, 0x407ffff
	v_add3_u32 v3, v2, v3, s15
	v_lshrrev_b32_e32 v6, 20, v3
	v_and_b32_e32 v3, 0xff00000, v3
	s_mov_b32 s15, 0x7f00000
	v_mov_b32_e32 v7, 0x7e
	v_cmp_ne_u32_e32 vcc, s15, v3
	v_cndmask_b32_e32 v3, v7, v6, vcc
; %bb.704:
	s_andn2_saveexec_b64 s[34:35], s[34:35]
; %bb.705:
	s_mov_b32 s15, 0x46800000
	v_add_f32_e64 v3, |v2|, s15
; %bb.706:
	s_or_b64 exec, exec, s[34:35]
                                        ; implicit-def: $vgpr6
.LBB6_707:
	s_andn2_saveexec_b64 s[28:29], s[28:29]
; %bb.708:
	s_mov_b32 s15, 0x7f800000
	v_mov_b32_e32 v3, 0x7e
	v_mov_b32_e32 v7, 0x7f
	v_cmp_lt_u32_e32 vcc, s15, v6
	v_cndmask_b32_e32 v3, v3, v7, vcc
; %bb.709:
	s_or_b64 exec, exec, s[28:29]
	v_lshrrev_b32_e32 v2, 24, v2
	s_movk_i32 s15, 0x80
	v_and_or_b32 v2, v2, s15, v3
	global_store_byte v[4:5], v2, off
.LBB6_710:
	s_mov_b64 s[28:29], 0
.LBB6_711:
	s_andn2_b64 vcc, exec, s[28:29]
	s_cbranch_vccnz .LBB6_721
; %bb.712:
	v_cvt_f32_f64_e32 v2, v[0:1]
	v_and_b32_e32 v6, 0x7fffffff, v2
	s_mov_b32 s15, 0x47800000
	v_cmp_gt_u32_e32 vcc, s15, v6
                                        ; implicit-def: $vgpr3
	s_and_saveexec_b64 s[28:29], vcc
	s_xor_b64 s[28:29], exec, s[28:29]
	s_cbranch_execz .LBB6_718
; %bb.713:
	s_mov_b32 s15, 0x387fffff
	v_cmp_lt_u32_e32 vcc, s15, v6
                                        ; implicit-def: $vgpr3
	s_and_saveexec_b64 s[34:35], vcc
	s_xor_b64 s[34:35], exec, s[34:35]
; %bb.714:
	v_bfe_u32 v3, v2, 21, 1
	s_mov_b32 s15, 0x80fffff
	v_add3_u32 v3, v2, v3, s15
	v_lshrrev_b32_e32 v3, 21, v3
; %bb.715:
	s_andn2_saveexec_b64 s[34:35], s[34:35]
; %bb.716:
	s_mov_b32 s15, 0x43000000
	v_add_f32_e64 v3, |v2|, s15
; %bb.717:
	s_or_b64 exec, exec, s[34:35]
                                        ; implicit-def: $vgpr6
.LBB6_718:
	s_andn2_saveexec_b64 s[28:29], s[28:29]
; %bb.719:
	s_mov_b32 s15, 0x7f800000
	v_mov_b32_e32 v3, 0x7c
	v_mov_b32_e32 v7, 0x7f
	v_cmp_lt_u32_e32 vcc, s15, v6
	v_cndmask_b32_e32 v3, v3, v7, vcc
; %bb.720:
	s_or_b64 exec, exec, s[28:29]
	v_lshrrev_b32_e32 v2, 24, v2
	s_movk_i32 s15, 0x80
	v_and_or_b32 v2, v2, s15, v3
	global_store_byte v[4:5], v2, off
.LBB6_721:
	s_mov_b64 s[34:35], 0
	s_mov_b64 s[28:29], -1
.LBB6_722:
	s_andn2_b64 vcc, exec, s[34:35]
	s_cbranch_vccnz .LBB6_730
; %bb.723:
	v_mov_b32_e32 v2, 14
	v_cmp_gt_i16_sdwa s[36:37], v18, v2 src0_sel:BYTE_0 src1_sel:DWORD
	s_mov_b64 s[34:35], -1
	s_and_b64 vcc, exec, s[36:37]
	s_cbranch_vccz .LBB6_727
; %bb.724:
	v_mov_b32_e32 v2, 15
	v_cmp_eq_u16_sdwa s[34:35], v18, v2 src0_sel:BYTE_0 src1_sel:DWORD
	s_mov_b64 s[0:1], -1
	s_and_b64 vcc, exec, s[34:35]
	s_cbranch_vccz .LBB6_726
; %bb.725:
	v_cvt_f32_f64_e32 v2, v[0:1]
	v_bfe_u32 v3, v2, 16, 1
	s_movk_i32 s0, 0x7fff
	v_add3_u32 v3, v2, v3, s0
	v_lshrrev_b32_e32 v3, 16, v3
	v_mov_b32_e32 v6, 0x7fc0
	v_cmp_o_f32_e32 vcc, v2, v2
	v_cndmask_b32_e32 v2, v6, v3, vcc
	global_store_short v[4:5], v2, off
	s_mov_b64 s[28:29], -1
	s_mov_b64 s[0:1], 0
.LBB6_726:
	s_mov_b64 s[34:35], 0
.LBB6_727:
	s_and_b64 vcc, exec, s[34:35]
	s_cbranch_vccz .LBB6_730
; %bb.728:
	v_mov_b32_e32 v2, 11
	v_cmp_eq_u16_sdwa s[34:35], v18, v2 src0_sel:BYTE_0 src1_sel:DWORD
	s_mov_b64 s[0:1], -1
	s_and_b64 vcc, exec, s[34:35]
	s_cbranch_vccz .LBB6_730
; %bb.729:
	v_mov_b32_e32 v2, 1
	s_mov_b64 s[28:29], -1
	s_mov_b64 s[0:1], 0
	global_store_byte v[4:5], v2, off
.LBB6_730:
	s_mov_b64 s[34:35], 0
.LBB6_731:
	s_and_b64 vcc, exec, s[34:35]
	s_cbranch_vccz .LBB6_770
; %bb.732:
	v_mov_b32_e32 v2, 5
	v_cmp_lt_i16_sdwa s[34:35], v18, v2 src0_sel:BYTE_0 src1_sel:DWORD
	s_mov_b64 s[28:29], -1
	s_and_b64 vcc, exec, s[34:35]
	s_cbranch_vccnz .LBB6_753
; %bb.733:
	v_mov_b32_e32 v2, 8
	v_cmp_lt_i16_sdwa s[34:35], v18, v2 src0_sel:BYTE_0 src1_sel:DWORD
	s_and_b64 vcc, exec, s[34:35]
	s_cbranch_vccnz .LBB6_743
; %bb.734:
	v_mov_b32_e32 v2, 9
	v_cmp_lt_i16_sdwa s[34:35], v18, v2 src0_sel:BYTE_0 src1_sel:DWORD
	s_and_b64 vcc, exec, s[34:35]
	s_cbranch_vccnz .LBB6_740
; %bb.735:
	v_cmp_gt_i16_sdwa s[34:35], v18, v2 src0_sel:BYTE_0 src1_sel:DWORD
	s_and_b64 vcc, exec, s[34:35]
	s_cbranch_vccz .LBB6_737
; %bb.736:
	v_mov_b32_e32 v2, 0
	v_mov_b32_e32 v3, v2
	s_mov_b64 s[28:29], 0
	global_store_dwordx4 v[4:5], v[0:3], off
.LBB6_737:
	s_andn2_b64 vcc, exec, s[28:29]
	s_cbranch_vccnz .LBB6_739
; %bb.738:
	v_cvt_f32_f64_e32 v2, v[0:1]
	v_mov_b32_e32 v3, 0
	global_store_dwordx2 v[4:5], v[2:3], off
.LBB6_739:
	s_mov_b64 s[28:29], 0
.LBB6_740:
	s_andn2_b64 vcc, exec, s[28:29]
	s_cbranch_vccnz .LBB6_742
; %bb.741:
	v_cvt_f32_f64_e32 v2, v[0:1]
	v_cvt_f16_f32_e32 v2, v2
	global_store_dword v[4:5], v2, off
.LBB6_742:
	s_mov_b64 s[28:29], 0
.LBB6_743:
	s_andn2_b64 vcc, exec, s[28:29]
	s_cbranch_vccnz .LBB6_752
; %bb.744:
	v_mov_b32_e32 v2, 6
	v_cmp_lt_i16_sdwa s[34:35], v18, v2 src0_sel:BYTE_0 src1_sel:DWORD
	s_mov_b64 s[28:29], -1
	s_and_b64 vcc, exec, s[34:35]
	s_cbranch_vccnz .LBB6_750
; %bb.745:
	v_cmp_gt_i16_sdwa s[34:35], v18, v2 src0_sel:BYTE_0 src1_sel:DWORD
	s_and_b64 vcc, exec, s[34:35]
	s_cbranch_vccz .LBB6_747
; %bb.746:
	s_mov_b64 s[28:29], 0
	global_store_dwordx2 v[4:5], v[0:1], off
.LBB6_747:
	s_andn2_b64 vcc, exec, s[28:29]
	s_cbranch_vccnz .LBB6_749
; %bb.748:
	v_cvt_f32_f64_e32 v2, v[0:1]
	global_store_dword v[4:5], v2, off
.LBB6_749:
	s_mov_b64 s[28:29], 0
.LBB6_750:
	s_andn2_b64 vcc, exec, s[28:29]
	s_cbranch_vccnz .LBB6_752
; %bb.751:
	v_cvt_f32_f64_e32 v2, v[0:1]
	v_cvt_f16_f32_e32 v2, v2
	global_store_short v[4:5], v2, off
.LBB6_752:
	s_mov_b64 s[28:29], 0
.LBB6_753:
	s_andn2_b64 vcc, exec, s[28:29]
	s_cbranch_vccnz .LBB6_769
; %bb.754:
	v_mov_b32_e32 v2, 2
	v_cmp_lt_i16_sdwa s[34:35], v18, v2 src0_sel:BYTE_0 src1_sel:DWORD
	s_mov_b64 s[28:29], -1
	s_and_b64 vcc, exec, s[34:35]
	s_cbranch_vccnz .LBB6_764
; %bb.755:
	v_mov_b32_e32 v2, 3
	v_cmp_lt_i16_sdwa s[34:35], v18, v2 src0_sel:BYTE_0 src1_sel:DWORD
	s_and_b64 vcc, exec, s[34:35]
	s_cbranch_vccnz .LBB6_761
; %bb.756:
	v_cmp_gt_i16_sdwa s[34:35], v18, v2 src0_sel:BYTE_0 src1_sel:DWORD
	s_and_b64 vcc, exec, s[34:35]
	s_cbranch_vccz .LBB6_758
; %bb.757:
	v_trunc_f64_e32 v[2:3], v[0:1]
	s_movk_i32 s15, 0xffe0
	v_ldexp_f64 v[6:7], v[2:3], s15
	v_floor_f64_e32 v[6:7], v[6:7]
	v_fmac_f64_e32 v[2:3], 0xc1f00000, v[6:7]
	v_cvt_i32_f64_e32 v9, v[6:7]
	v_cvt_u32_f64_e32 v8, v[2:3]
	s_mov_b64 s[28:29], 0
	global_store_dwordx2 v[4:5], v[8:9], off
.LBB6_758:
	s_andn2_b64 vcc, exec, s[28:29]
	s_cbranch_vccnz .LBB6_760
; %bb.759:
	v_cvt_i32_f64_e32 v2, v[0:1]
	global_store_dword v[4:5], v2, off
.LBB6_760:
	s_mov_b64 s[28:29], 0
.LBB6_761:
	s_andn2_b64 vcc, exec, s[28:29]
	s_cbranch_vccnz .LBB6_763
; %bb.762:
	v_cvt_i32_f64_e32 v2, v[0:1]
	global_store_short v[4:5], v2, off
.LBB6_763:
	s_mov_b64 s[28:29], 0
.LBB6_764:
	s_andn2_b64 vcc, exec, s[28:29]
	s_cbranch_vccnz .LBB6_769
; %bb.765:
	v_mov_b32_e32 v2, 0
	v_cmp_gt_i16_sdwa s[34:35], v18, v2 src0_sel:BYTE_0 src1_sel:DWORD
	s_mov_b64 s[28:29], -1
	s_and_b64 vcc, exec, s[34:35]
	s_cbranch_vccz .LBB6_767
; %bb.766:
	v_cvt_i32_f64_e32 v2, v[0:1]
	s_mov_b64 s[28:29], 0
	global_store_byte v[4:5], v2, off
.LBB6_767:
	s_andn2_b64 vcc, exec, s[28:29]
	s_cbranch_vccnz .LBB6_769
; %bb.768:
	v_trunc_f64_e32 v[0:1], v[0:1]
	s_movk_i32 s15, 0xffe0
	v_ldexp_f64 v[2:3], v[0:1], s15
	v_floor_f64_e32 v[2:3], v[2:3]
	v_fmac_f64_e32 v[0:1], 0xc1f00000, v[2:3]
	v_cvt_u32_f64_e32 v0, v[0:1]
	global_store_byte v[4:5], v0, off
.LBB6_769:
	s_mov_b64 s[28:29], -1
.LBB6_770:
	s_andn2_b64 vcc, exec, s[28:29]
	s_cbranch_vccnz .LBB6_783
; %bb.771:
	v_add_u32_e32 v19, 0x80, v19
	s_mov_b64 s[34:35], -1
.LBB6_772:
	s_andn2_b64 s[28:29], s[6:7], exec
	s_and_b64 s[0:1], s[0:1], exec
	s_or_b64 s[28:29], s[28:29], s[0:1]
	s_andn2_b64 s[0:1], s[18:19], exec
	s_and_b64 s[26:27], s[26:27], exec
	s_or_b64 s[26:27], s[0:1], s[26:27]
	;; [unrolled: 3-line block ×3, first 2 shown]
	s_orn2_b64 s[0:1], s[34:35], exec
.LBB6_773:
	s_or_b64 exec, exec, s[30:31]
	s_mov_b64 s[34:35], 0
	s_mov_b64 s[36:37], 0
	;; [unrolled: 1-line block ×3, first 2 shown]
                                        ; implicit-def: $vgpr4
                                        ; implicit-def: $vgpr0_vgpr1
                                        ; implicit-def: $vgpr2_vgpr3
	s_and_saveexec_b64 s[30:31], s[0:1]
	s_cbranch_execz .LBB6_1247
; %bb.774:
	v_cmp_gt_i32_e32 vcc, s33, v19
	s_mov_b64 s[46:47], -1
	s_mov_b64 s[0:1], s[24:25]
	s_mov_b64 s[38:39], s[26:27]
	s_mov_b64 s[40:41], s[28:29]
	s_and_saveexec_b64 s[34:35], vcc
	s_cbranch_execz .LBB6_1162
; %bb.775:
	s_waitcnt vmcnt(0)
	v_mul_lo_u32 v0, v19, s13
	v_ashrrev_i32_e32 v1, 31, v0
	v_mov_b32_e32 v3, s11
	v_add_co_u32_e32 v2, vcc, s10, v0
	v_mov_b32_e32 v0, 11
	v_addc_co_u32_e32 v3, vcc, v3, v1, vcc
	v_cmp_lt_i16_sdwa s[0:1], v16, v0 src0_sel:BYTE_0 src1_sel:DWORD
	s_and_b64 vcc, exec, s[0:1]
	s_cbranch_vccnz .LBB6_782
; %bb.776:
	v_mov_b32_e32 v0, 25
	v_cmp_gt_i16_sdwa s[0:1], v16, v0 src0_sel:BYTE_0 src1_sel:DWORD
	s_and_b64 vcc, exec, s[0:1]
	s_cbranch_vccz .LBB6_784
; %bb.777:
	v_mov_b32_e32 v0, 28
	v_cmp_gt_i16_sdwa s[0:1], v16, v0 src0_sel:BYTE_0 src1_sel:DWORD
	s_and_b64 vcc, exec, s[0:1]
	s_cbranch_vccz .LBB6_785
; %bb.778:
	v_mov_b32_e32 v0, 43
	v_cmp_gt_i16_sdwa s[0:1], v16, v0 src0_sel:BYTE_0 src1_sel:DWORD
	s_and_b64 vcc, exec, s[0:1]
	s_cbranch_vccz .LBB6_786
; %bb.779:
	v_mov_b32_e32 v0, 45
	v_cmp_gt_i16_sdwa s[0:1], v16, v0 src0_sel:BYTE_0 src1_sel:DWORD
	s_and_b64 vcc, exec, s[0:1]
	s_cbranch_vccz .LBB6_787
; %bb.780:
	v_mov_b32_e32 v0, 46
	v_cmp_eq_u16_sdwa s[0:1], v16, v0 src0_sel:BYTE_0 src1_sel:DWORD
	s_mov_b64 s[38:39], 0
	s_and_b64 vcc, exec, s[0:1]
	s_cbranch_vccz .LBB6_790
; %bb.781:
	global_load_dword v0, v[2:3], off
	s_mov_b64 s[0:1], -1
	s_waitcnt vmcnt(0)
	v_lshlrev_b32_e32 v0, 16, v0
	v_cvt_f64_f32_e32 v[0:1], v0
	s_branch .LBB6_791
.LBB6_782:
	s_mov_b64 s[38:39], -1
	s_mov_b64 s[0:1], 0
                                        ; implicit-def: $vgpr0_vgpr1
	s_mov_b64 s[36:37], s[24:25]
	s_branch .LBB6_856
.LBB6_783:
	s_mov_b64 s[34:35], 0
	s_branch .LBB6_530
.LBB6_784:
	s_mov_b64 s[38:39], -1
	s_mov_b64 s[0:1], 0
	s_mov_b64 s[36:37], s[24:25]
                                        ; implicit-def: $vgpr0_vgpr1
	s_branch .LBB6_820
.LBB6_785:
	s_mov_b64 s[38:39], -1
	s_mov_b64 s[0:1], 0
	s_mov_b64 s[36:37], s[24:25]
                                        ; implicit-def: $vgpr0_vgpr1
	s_branch .LBB6_801
.LBB6_786:
	s_mov_b64 s[38:39], -1
	s_mov_b64 s[0:1], 0
	s_mov_b64 s[36:37], s[24:25]
                                        ; implicit-def: $vgpr0_vgpr1
	s_branch .LBB6_796
.LBB6_787:
	s_mov_b64 s[38:39], -1
	s_mov_b64 s[0:1], 0
	s_mov_b64 s[36:37], s[24:25]
                                        ; implicit-def: $vgpr0_vgpr1
	s_branch .LBB6_791
.LBB6_788:
	s_or_saveexec_b64 s[36:37], s[36:37]
                                        ; implicit-def: $sgpr15
	s_xor_b64 exec, exec, s[36:37]
	s_cbranch_execz .LBB6_683
.LBB6_789:
	s_mov_b32 s15, 0x46000000
	v_add_f32_e64 v3, |v2|, s15
	v_and_b32_e32 v3, 0xff, v3
	v_cmp_ne_u32_e32 vcc, 0, v3
	s_andn2_b64 s[34:35], s[34:35], exec
	s_and_b64 s[38:39], vcc, exec
	s_mov_b32 s15, 0
	s_or_b64 s[34:35], s[34:35], s[38:39]
	s_or_b64 exec, exec, s[36:37]
	v_mov_b32_e32 v6, s15
	s_and_saveexec_b64 s[36:37], s[34:35]
	s_cbranch_execnz .LBB6_684
	s_branch .LBB6_685
.LBB6_790:
	s_mov_b64 s[36:37], -1
                                        ; implicit-def: $vgpr0_vgpr1
	s_mov_b64 s[0:1], 0
.LBB6_791:
	s_and_b64 vcc, exec, s[38:39]
	s_cbranch_vccz .LBB6_795
; %bb.792:
	v_mov_b32_e32 v0, 44
	v_cmp_eq_u16_sdwa s[36:37], v16, v0 src0_sel:BYTE_0 src1_sel:DWORD
	s_and_b64 vcc, exec, s[36:37]
	s_cbranch_vccz .LBB6_794
; %bb.793:
	global_load_ubyte v4, v[2:3], off
	s_movk_i32 s15, 0xff
	v_bfrev_b32_e32 v5, 4
	v_mov_b32_e32 v6, 0x7ff80000
	v_bfrev_b32_e32 v7, 28
	s_mov_b64 s[0:1], -1
	s_mov_b64 s[36:37], 0
	s_waitcnt vmcnt(0)
	v_lshlrev_b32_e32 v0, 23, v4
	v_cvt_f64_f32_e32 v[0:1], v0
	v_cmp_ne_u32_e32 vcc, s15, v4
	v_cndmask_b32_e32 v0, v5, v0, vcc
	v_cndmask_b32_e32 v1, v6, v1, vcc
	v_cmp_ne_u32_e32 vcc, 0, v4
	v_cndmask_b32_e32 v1, v7, v1, vcc
	v_cndmask_b32_e32 v0, 0, v0, vcc
	s_branch .LBB6_795
.LBB6_794:
	s_mov_b64 s[36:37], -1
                                        ; implicit-def: $vgpr0_vgpr1
.LBB6_795:
	s_mov_b64 s[38:39], 0
.LBB6_796:
	s_and_b64 vcc, exec, s[38:39]
	s_cbranch_vccz .LBB6_800
; %bb.797:
	v_mov_b32_e32 v0, 29
	v_cmp_eq_u16_sdwa s[36:37], v16, v0 src0_sel:BYTE_0 src1_sel:DWORD
	s_and_b64 vcc, exec, s[36:37]
	s_cbranch_vccz .LBB6_799
; %bb.798:
	global_load_dwordx2 v[0:1], v[2:3], off
	s_mov_b64 s[0:1], -1
	s_mov_b64 s[36:37], 0
	s_mov_b64 s[38:39], 0
	s_waitcnt vmcnt(0)
	v_cvt_f64_u32_e32 v[4:5], v1
	v_cvt_f64_u32_e32 v[0:1], v0
	v_ldexp_f64 v[4:5], v[4:5], 32
	v_add_f64 v[0:1], v[4:5], v[0:1]
	s_branch .LBB6_801
.LBB6_799:
	s_mov_b64 s[36:37], -1
                                        ; implicit-def: $vgpr0_vgpr1
.LBB6_800:
	s_mov_b64 s[38:39], 0
.LBB6_801:
	s_and_b64 vcc, exec, s[38:39]
	s_cbranch_vccz .LBB6_819
; %bb.802:
	v_mov_b32_e32 v0, 27
	v_cmp_lt_i16_sdwa s[0:1], v16, v0 src0_sel:BYTE_0 src1_sel:DWORD
	s_and_b64 vcc, exec, s[0:1]
	s_cbranch_vccnz .LBB6_805
; %bb.803:
	v_cmp_gt_i16_sdwa s[0:1], v16, v0 src0_sel:BYTE_0 src1_sel:DWORD
	s_and_b64 vcc, exec, s[0:1]
	s_cbranch_vccz .LBB6_806
; %bb.804:
	global_load_dword v0, v[2:3], off
	s_mov_b64 s[0:1], 0
	s_waitcnt vmcnt(0)
	v_cvt_f64_u32_e32 v[0:1], v0
	s_branch .LBB6_807
.LBB6_805:
	s_mov_b64 s[0:1], -1
                                        ; implicit-def: $vgpr0_vgpr1
	s_branch .LBB6_810
.LBB6_806:
	s_mov_b64 s[0:1], -1
                                        ; implicit-def: $vgpr0_vgpr1
.LBB6_807:
	s_andn2_b64 vcc, exec, s[0:1]
	s_cbranch_vccnz .LBB6_809
; %bb.808:
	global_load_ushort v0, v[2:3], off
	s_waitcnt vmcnt(0)
	v_cvt_f64_u32_e32 v[0:1], v0
.LBB6_809:
	s_mov_b64 s[0:1], 0
.LBB6_810:
	s_andn2_b64 vcc, exec, s[0:1]
	s_cbranch_vccnz .LBB6_818
; %bb.811:
	global_load_ubyte v4, v[2:3], off
	s_movk_i32 s0, 0x7f
                                        ; implicit-def: $sgpr38_sgpr39
	s_waitcnt vmcnt(0)
	v_cmp_lt_i16_e32 vcc, s0, v4
	s_mov_b64 s[0:1], 0
	s_and_saveexec_b64 s[40:41], vcc
	s_xor_b64 s[40:41], exec, s[40:41]
	s_cbranch_execz .LBB6_832
; %bb.812:
	s_movk_i32 s0, 0x80
	v_cmp_eq_u16_e32 vcc, s0, v4
	s_mov_b64 s[42:43], -1
                                        ; implicit-def: $sgpr38_sgpr39
	s_and_saveexec_b64 s[0:1], vcc
; %bb.813:
	s_mov_b32 s39, 0x7ff80000
	s_brev_b32 s38, 4
	s_xor_b64 s[42:43], exec, -1
; %bb.814:
	s_or_b64 exec, exec, s[0:1]
	s_and_b64 s[0:1], s[42:43], exec
	s_or_saveexec_b64 s[40:41], s[40:41]
	v_pk_mov_b32 v[0:1], s[38:39], s[38:39] op_sel:[0,1]
	s_xor_b64 exec, exec, s[40:41]
	s_cbranch_execnz .LBB6_833
.LBB6_815:
	s_or_b64 exec, exec, s[40:41]
	s_and_saveexec_b64 s[38:39], s[0:1]
	s_cbranch_execz .LBB6_817
.LBB6_816:
	v_and_b32_e32 v1, 0xffff, v4
	v_lshlrev_b32_e32 v0, 24, v4
	v_and_b32_e32 v4, 7, v1
	v_ffbh_u32_e32 v6, v4
	v_min_u32_e32 v6, 32, v6
	v_subrev_u32_e32 v7, 28, v6
	v_bfe_u32 v5, v1, 3, 4
	v_lshlrev_b32_e32 v1, v7, v1
	v_sub_u32_e32 v6, 29, v6
	v_and_b32_e32 v1, 7, v1
	v_cmp_eq_u32_e32 vcc, 0, v5
	v_cndmask_b32_e32 v5, v5, v6, vcc
	v_cndmask_b32_e32 v1, v4, v1, vcc
	v_mov_b32_e32 v4, 0x3b800000
	v_lshlrev_b32_e32 v1, 20, v1
	v_and_b32_e32 v0, 0x80000000, v0
	v_lshl_add_u32 v4, v5, 23, v4
	v_or3_b32 v0, v0, v4, v1
	v_cvt_f64_f32_e32 v[0:1], v0
.LBB6_817:
	s_or_b64 exec, exec, s[38:39]
.LBB6_818:
	s_mov_b64 s[0:1], -1
.LBB6_819:
	s_mov_b64 s[38:39], 0
.LBB6_820:
	s_and_b64 vcc, exec, s[38:39]
	s_cbranch_vccz .LBB6_855
; %bb.821:
	v_mov_b32_e32 v0, 22
	v_cmp_gt_i16_sdwa s[38:39], v16, v0 src0_sel:BYTE_0 src1_sel:DWORD
	s_and_b64 vcc, exec, s[38:39]
	s_cbranch_vccz .LBB6_831
; %bb.822:
	v_mov_b32_e32 v0, 24
	v_cmp_lt_i16_sdwa s[0:1], v16, v0 src0_sel:BYTE_0 src1_sel:DWORD
	s_and_b64 vcc, exec, s[0:1]
	s_cbranch_vccnz .LBB6_834
; %bb.823:
	v_cmp_gt_i16_sdwa s[0:1], v16, v0 src0_sel:BYTE_0 src1_sel:DWORD
	s_and_b64 vcc, exec, s[0:1]
	s_cbranch_vccz .LBB6_835
; %bb.824:
	global_load_ubyte v4, v[2:3], off
	s_movk_i32 s0, 0x7f
                                        ; implicit-def: $sgpr38_sgpr39
	s_waitcnt vmcnt(0)
	v_cmp_lt_i16_e32 vcc, s0, v4
	s_mov_b64 s[0:1], 0
	s_and_saveexec_b64 s[40:41], vcc
	s_xor_b64 s[40:41], exec, s[40:41]
	s_cbranch_execz .LBB6_847
; %bb.825:
	s_movk_i32 s0, 0x80
	v_cmp_eq_u16_e32 vcc, s0, v4
	s_mov_b64 s[42:43], -1
                                        ; implicit-def: $sgpr38_sgpr39
	s_and_saveexec_b64 s[0:1], vcc
; %bb.826:
	s_mov_b32 s39, 0x7ff80000
	s_brev_b32 s38, 4
	s_xor_b64 s[42:43], exec, -1
; %bb.827:
	s_or_b64 exec, exec, s[0:1]
	s_and_b64 s[0:1], s[42:43], exec
	s_or_saveexec_b64 s[40:41], s[40:41]
	v_pk_mov_b32 v[0:1], s[38:39], s[38:39] op_sel:[0,1]
	s_xor_b64 exec, exec, s[40:41]
	s_cbranch_execnz .LBB6_848
.LBB6_828:
	s_or_b64 exec, exec, s[40:41]
	s_and_saveexec_b64 s[38:39], s[0:1]
	s_cbranch_execz .LBB6_830
.LBB6_829:
	v_and_b32_e32 v1, 0xffff, v4
	v_lshlrev_b32_e32 v0, 24, v4
	v_and_b32_e32 v4, 3, v1
	v_ffbh_u32_e32 v6, v4
	v_min_u32_e32 v6, 32, v6
	v_subrev_u32_e32 v7, 29, v6
	v_bfe_u32 v5, v1, 2, 5
	v_lshlrev_b32_e32 v1, v7, v1
	v_sub_u32_e32 v6, 30, v6
	v_and_b32_e32 v1, 3, v1
	v_cmp_eq_u32_e32 vcc, 0, v5
	v_cndmask_b32_e32 v5, v5, v6, vcc
	v_cndmask_b32_e32 v1, v4, v1, vcc
	v_mov_b32_e32 v4, 0x37800000
	v_lshlrev_b32_e32 v1, 21, v1
	v_and_b32_e32 v0, 0x80000000, v0
	v_lshl_add_u32 v4, v5, 23, v4
	v_or3_b32 v0, v0, v4, v1
	v_cvt_f64_f32_e32 v[0:1], v0
.LBB6_830:
	s_or_b64 exec, exec, s[38:39]
	s_mov_b64 s[0:1], 0
	s_branch .LBB6_836
.LBB6_831:
	s_mov_b64 s[38:39], -1
                                        ; implicit-def: $vgpr0_vgpr1
	s_branch .LBB6_842
.LBB6_832:
	s_or_saveexec_b64 s[40:41], s[40:41]
	v_pk_mov_b32 v[0:1], s[38:39], s[38:39] op_sel:[0,1]
	s_xor_b64 exec, exec, s[40:41]
	s_cbranch_execz .LBB6_815
.LBB6_833:
	v_cmp_ne_u16_e32 vcc, 0, v4
	s_andn2_b64 s[0:1], s[0:1], exec
	s_and_b64 s[38:39], vcc, exec
	v_pk_mov_b32 v[0:1], 0, 0
	s_or_b64 s[0:1], s[0:1], s[38:39]
	s_or_b64 exec, exec, s[40:41]
	s_and_saveexec_b64 s[38:39], s[0:1]
	s_cbranch_execnz .LBB6_816
	s_branch .LBB6_817
.LBB6_834:
	s_mov_b64 s[0:1], -1
                                        ; implicit-def: $vgpr0_vgpr1
	s_branch .LBB6_839
.LBB6_835:
	s_mov_b64 s[0:1], -1
                                        ; implicit-def: $vgpr0_vgpr1
.LBB6_836:
	s_and_b64 vcc, exec, s[0:1]
	s_cbranch_vccz .LBB6_838
; %bb.837:
	global_load_ubyte v0, v[2:3], off
	s_mov_b32 s0, 0x7f800000
	s_waitcnt vmcnt(0)
	v_lshlrev_b32_e32 v0, 24, v0
	v_and_b32_e32 v1, 0x7f000000, v0
	v_ffbh_u32_e32 v4, v1
	v_min_u32_e32 v4, 32, v4
	v_sub_u32_e64 v4, v4, 4 clamp
	v_lshlrev_b32_e32 v6, v4, v1
	v_lshlrev_b32_e32 v4, 23, v4
	v_lshrrev_b32_e32 v6, 4, v6
	v_add_u32_e32 v5, 0x1000000, v1
	v_sub_u32_e32 v4, v6, v4
	v_ashrrev_i32_e32 v5, 8, v5
	v_add_u32_e32 v4, 0x3c000000, v4
	v_and_or_b32 v4, v5, s0, v4
	v_cmp_ne_u32_e32 vcc, 0, v1
	v_cndmask_b32_e32 v1, 0, v4, vcc
	s_brev_b32 s0, 1
	v_and_or_b32 v0, v0, s0, v1
	v_cvt_f64_f32_e32 v[0:1], v0
.LBB6_838:
	s_mov_b64 s[0:1], 0
.LBB6_839:
	s_andn2_b64 vcc, exec, s[0:1]
	s_cbranch_vccnz .LBB6_841
; %bb.840:
	global_load_ubyte v0, v[2:3], off
	s_movk_i32 s0, 0x7f00
	s_brev_b32 s1, 16
	s_waitcnt vmcnt(0)
	v_lshlrev_b16_e32 v1, 8, v0
	v_lshlrev_b32_e32 v0, 25, v0
	v_lshrrev_b32_e32 v4, 4, v0
	v_and_or_b32 v5, v1, s0, 0.5
	v_or_b32_e32 v4, 0x70000000, v4
	v_add_f32_e32 v5, -0.5, v5
	v_mul_f32_e32 v4, 0x7800000, v4
	v_cmp_gt_u32_e32 vcc, s1, v0
	v_bfe_i32 v1, v1, 0, 16
	v_cndmask_b32_e32 v0, v4, v5, vcc
	s_brev_b32 s0, 1
	v_and_or_b32 v0, v1, s0, v0
	v_cvt_f64_f32_e32 v[0:1], v0
.LBB6_841:
	s_mov_b64 s[38:39], 0
	s_mov_b64 s[0:1], -1
.LBB6_842:
	s_andn2_b64 vcc, exec, s[38:39]
	s_cbranch_vccnz .LBB6_855
; %bb.843:
	v_mov_b32_e32 v0, 14
	v_cmp_gt_i16_sdwa s[38:39], v16, v0 src0_sel:BYTE_0 src1_sel:DWORD
	s_and_b64 vcc, exec, s[38:39]
	s_cbranch_vccz .LBB6_846
; %bb.844:
	v_mov_b32_e32 v0, 15
	v_cmp_eq_u16_sdwa s[36:37], v16, v0 src0_sel:BYTE_0 src1_sel:DWORD
	s_and_b64 vcc, exec, s[36:37]
	s_cbranch_vccz .LBB6_849
; %bb.845:
	global_load_ushort v0, v[2:3], off
	s_mov_b64 s[0:1], -1
	s_mov_b64 s[36:37], 0
	s_waitcnt vmcnt(0)
	v_lshlrev_b32_e32 v0, 16, v0
	v_cvt_f64_f32_e32 v[0:1], v0
	s_branch .LBB6_850
.LBB6_846:
	s_mov_b64 s[38:39], -1
                                        ; implicit-def: $vgpr0_vgpr1
	s_branch .LBB6_851
.LBB6_847:
	s_or_saveexec_b64 s[40:41], s[40:41]
	v_pk_mov_b32 v[0:1], s[38:39], s[38:39] op_sel:[0,1]
	s_xor_b64 exec, exec, s[40:41]
	s_cbranch_execz .LBB6_828
.LBB6_848:
	v_cmp_ne_u16_e32 vcc, 0, v4
	s_andn2_b64 s[0:1], s[0:1], exec
	s_and_b64 s[38:39], vcc, exec
	v_pk_mov_b32 v[0:1], 0, 0
	s_or_b64 s[0:1], s[0:1], s[38:39]
	s_or_b64 exec, exec, s[40:41]
	s_and_saveexec_b64 s[38:39], s[0:1]
	s_cbranch_execnz .LBB6_829
	s_branch .LBB6_830
.LBB6_849:
	s_mov_b64 s[36:37], -1
                                        ; implicit-def: $vgpr0_vgpr1
.LBB6_850:
	s_mov_b64 s[38:39], 0
.LBB6_851:
	s_and_b64 vcc, exec, s[38:39]
	s_cbranch_vccz .LBB6_855
; %bb.852:
	v_mov_b32_e32 v0, 11
	v_cmp_eq_u16_sdwa s[36:37], v16, v0 src0_sel:BYTE_0 src1_sel:DWORD
	s_and_b64 vcc, exec, s[36:37]
	s_cbranch_vccz .LBB6_854
; %bb.853:
	global_load_ubyte v1, v[2:3], off
	v_mov_b32_e32 v4, 0x3ff00000
	v_mov_b32_e32 v0, 0
	s_mov_b64 s[0:1], -1
	s_mov_b64 s[36:37], 0
	s_waitcnt vmcnt(0)
	v_cmp_ne_u16_e32 vcc, 0, v1
	v_cndmask_b32_e32 v1, 0, v4, vcc
	s_branch .LBB6_855
.LBB6_854:
	s_mov_b64 s[36:37], -1
                                        ; implicit-def: $vgpr0_vgpr1
.LBB6_855:
	s_mov_b64 s[38:39], 0
.LBB6_856:
	s_and_b64 vcc, exec, s[38:39]
	s_cbranch_vccz .LBB6_905
; %bb.857:
	v_mov_b32_e32 v0, 5
	v_cmp_lt_i16_sdwa s[0:1], v16, v0 src0_sel:BYTE_0 src1_sel:DWORD
	s_and_b64 vcc, exec, s[0:1]
	s_cbranch_vccnz .LBB6_862
; %bb.858:
	v_mov_b32_e32 v0, 8
	v_cmp_lt_i16_sdwa s[0:1], v16, v0 src0_sel:BYTE_0 src1_sel:DWORD
	s_and_b64 vcc, exec, s[0:1]
	s_cbranch_vccnz .LBB6_863
	;; [unrolled: 5-line block ×3, first 2 shown]
; %bb.860:
	v_cmp_gt_i16_sdwa s[0:1], v16, v0 src0_sel:BYTE_0 src1_sel:DWORD
	s_and_b64 vcc, exec, s[0:1]
	s_cbranch_vccz .LBB6_865
; %bb.861:
	global_load_dwordx2 v[0:1], v[2:3], off
	s_mov_b64 s[0:1], 0
	s_branch .LBB6_866
.LBB6_862:
	s_mov_b64 s[0:1], -1
                                        ; implicit-def: $vgpr0_vgpr1
	s_branch .LBB6_884
.LBB6_863:
	s_mov_b64 s[0:1], -1
                                        ; implicit-def: $vgpr0_vgpr1
	s_branch .LBB6_872
.LBB6_864:
	s_mov_b64 s[0:1], -1
                                        ; implicit-def: $vgpr0_vgpr1
	s_branch .LBB6_869
.LBB6_865:
	s_mov_b64 s[0:1], -1
                                        ; implicit-def: $vgpr0_vgpr1
.LBB6_866:
	s_andn2_b64 vcc, exec, s[0:1]
	s_cbranch_vccnz .LBB6_868
; %bb.867:
	global_load_dword v0, v[2:3], off
	s_waitcnt vmcnt(0)
	v_cvt_f64_f32_e32 v[0:1], v0
.LBB6_868:
	s_mov_b64 s[0:1], 0
.LBB6_869:
	s_andn2_b64 vcc, exec, s[0:1]
	s_cbranch_vccnz .LBB6_871
; %bb.870:
	global_load_dword v0, v[2:3], off
	s_waitcnt vmcnt(0)
	v_cvt_f32_f16_e32 v0, v0
	v_cvt_f64_f32_e32 v[0:1], v0
.LBB6_871:
	s_mov_b64 s[0:1], 0
.LBB6_872:
	s_andn2_b64 vcc, exec, s[0:1]
	s_cbranch_vccnz .LBB6_883
; %bb.873:
	s_waitcnt vmcnt(0)
	v_mov_b32_e32 v0, 6
	v_cmp_lt_i16_sdwa s[0:1], v16, v0 src0_sel:BYTE_0 src1_sel:DWORD
	s_and_b64 vcc, exec, s[0:1]
	s_cbranch_vccnz .LBB6_876
; %bb.874:
	v_cmp_gt_i16_sdwa s[0:1], v16, v0 src0_sel:BYTE_0 src1_sel:DWORD
	s_and_b64 vcc, exec, s[0:1]
	s_cbranch_vccz .LBB6_877
; %bb.875:
	global_load_dwordx2 v[0:1], v[2:3], off
	s_mov_b64 s[0:1], 0
	s_branch .LBB6_878
.LBB6_876:
	s_mov_b64 s[0:1], -1
                                        ; implicit-def: $vgpr0_vgpr1
	s_branch .LBB6_881
.LBB6_877:
	s_mov_b64 s[0:1], -1
                                        ; implicit-def: $vgpr0_vgpr1
.LBB6_878:
	s_andn2_b64 vcc, exec, s[0:1]
	s_cbranch_vccnz .LBB6_880
; %bb.879:
	global_load_dword v0, v[2:3], off
	s_waitcnt vmcnt(0)
	v_cvt_f64_f32_e32 v[0:1], v0
.LBB6_880:
	s_mov_b64 s[0:1], 0
.LBB6_881:
	s_andn2_b64 vcc, exec, s[0:1]
	s_cbranch_vccnz .LBB6_883
; %bb.882:
	global_load_ushort v0, v[2:3], off
	s_waitcnt vmcnt(0)
	v_cvt_f32_f16_e32 v0, v0
	v_cvt_f64_f32_e32 v[0:1], v0
.LBB6_883:
	s_mov_b64 s[0:1], 0
.LBB6_884:
	s_andn2_b64 vcc, exec, s[0:1]
	s_cbranch_vccnz .LBB6_904
; %bb.885:
	s_waitcnt vmcnt(0)
	v_mov_b32_e32 v0, 2
	v_cmp_lt_i16_sdwa s[0:1], v16, v0 src0_sel:BYTE_0 src1_sel:DWORD
	s_and_b64 vcc, exec, s[0:1]
	s_cbranch_vccnz .LBB6_889
; %bb.886:
	v_mov_b32_e32 v0, 3
	v_cmp_lt_i16_sdwa s[0:1], v16, v0 src0_sel:BYTE_0 src1_sel:DWORD
	s_and_b64 vcc, exec, s[0:1]
	s_cbranch_vccnz .LBB6_890
; %bb.887:
	v_cmp_gt_i16_sdwa s[0:1], v16, v0 src0_sel:BYTE_0 src1_sel:DWORD
	s_and_b64 vcc, exec, s[0:1]
	s_cbranch_vccz .LBB6_891
; %bb.888:
	global_load_dwordx2 v[0:1], v[2:3], off
	s_mov_b64 s[0:1], 0
	s_waitcnt vmcnt(0)
	v_cvt_f64_i32_e32 v[4:5], v1
	v_cvt_f64_u32_e32 v[0:1], v0
	v_ldexp_f64 v[4:5], v[4:5], 32
	v_add_f64 v[0:1], v[4:5], v[0:1]
	s_branch .LBB6_892
.LBB6_889:
	s_mov_b64 s[0:1], -1
                                        ; implicit-def: $vgpr0_vgpr1
	s_branch .LBB6_898
.LBB6_890:
	s_mov_b64 s[0:1], -1
                                        ; implicit-def: $vgpr0_vgpr1
	s_branch .LBB6_895
.LBB6_891:
	s_mov_b64 s[0:1], -1
                                        ; implicit-def: $vgpr0_vgpr1
.LBB6_892:
	s_andn2_b64 vcc, exec, s[0:1]
	s_cbranch_vccnz .LBB6_894
; %bb.893:
	global_load_dword v0, v[2:3], off
	s_waitcnt vmcnt(0)
	v_cvt_f64_i32_e32 v[0:1], v0
.LBB6_894:
	s_mov_b64 s[0:1], 0
.LBB6_895:
	s_andn2_b64 vcc, exec, s[0:1]
	s_cbranch_vccnz .LBB6_897
; %bb.896:
	global_load_sshort v0, v[2:3], off
	s_waitcnt vmcnt(0)
	v_cvt_f64_i32_e32 v[0:1], v0
.LBB6_897:
	s_mov_b64 s[0:1], 0
.LBB6_898:
	s_andn2_b64 vcc, exec, s[0:1]
	s_cbranch_vccnz .LBB6_904
; %bb.899:
	v_mov_b32_e32 v0, 0
	v_cmp_gt_i16_sdwa s[0:1], v16, v0 src0_sel:BYTE_0 src1_sel:DWORD
	s_and_b64 vcc, exec, s[0:1]
	s_cbranch_vccz .LBB6_901
; %bb.900:
	global_load_sbyte v0, v[2:3], off
	s_mov_b64 s[0:1], 0
	s_waitcnt vmcnt(0)
	v_cvt_f64_i32_e32 v[0:1], v0
	s_branch .LBB6_902
.LBB6_901:
	s_mov_b64 s[0:1], -1
                                        ; implicit-def: $vgpr0_vgpr1
.LBB6_902:
	s_andn2_b64 vcc, exec, s[0:1]
	s_cbranch_vccnz .LBB6_904
; %bb.903:
	global_load_ubyte v0, v[2:3], off
	s_waitcnt vmcnt(0)
	v_cvt_f64_u32_e32 v[0:1], v0
.LBB6_904:
	s_mov_b64 s[0:1], -1
.LBB6_905:
	s_andn2_b64 vcc, exec, s[0:1]
	s_cbranch_vccnz .LBB6_913
; %bb.906:
	v_mul_lo_u32 v2, v19, s14
	v_ashrrev_i32_e32 v3, 31, v2
	v_mov_b32_e32 v4, s3
	v_add_co_u32_e32 v2, vcc, s2, v2
	v_addc_co_u32_e32 v3, vcc, v4, v3, vcc
	v_mov_b32_e32 v4, 11
	v_cmp_lt_i16_sdwa s[0:1], v20, v4 src0_sel:BYTE_0 src1_sel:DWORD
	s_and_b64 vcc, exec, s[0:1]
	s_cbranch_vccnz .LBB6_915
; %bb.907:
	v_mov_b32_e32 v4, 25
	v_cmp_gt_i16_sdwa s[0:1], v20, v4 src0_sel:BYTE_0 src1_sel:DWORD
	s_and_b64 vcc, exec, s[0:1]
	s_cbranch_vccz .LBB6_916
; %bb.908:
	v_mov_b32_e32 v4, 28
	v_cmp_gt_i16_sdwa s[0:1], v20, v4 src0_sel:BYTE_0 src1_sel:DWORD
	s_and_b64 vcc, exec, s[0:1]
	s_cbranch_vccz .LBB6_917
	;; [unrolled: 5-line block ×4, first 2 shown]
; %bb.911:
	v_mov_b32_e32 v4, 46
	v_cmp_eq_u16_sdwa s[0:1], v20, v4 src0_sel:BYTE_0 src1_sel:DWORD
	s_mov_b64 s[40:41], 0
	s_and_b64 vcc, exec, s[0:1]
	s_cbranch_vccz .LBB6_922
; %bb.912:
	global_load_dword v4, v[2:3], off
	s_mov_b64 s[0:1], -1
	s_mov_b64 s[38:39], 0
	s_waitcnt vmcnt(0)
	v_lshlrev_b32_e32 v4, 16, v4
	v_cvt_f64_f32_e32 v[4:5], v4
	s_branch .LBB6_923
.LBB6_913:
	s_mov_b64 s[42:43], 0
	s_mov_b64 s[0:1], s[28:29]
	;; [unrolled: 1-line block ×3, first 2 shown]
.LBB6_914:
                                        ; implicit-def: $vgpr19
	s_branch .LBB6_1161
.LBB6_915:
	s_mov_b64 s[40:41], -1
	s_mov_b64 s[0:1], 0
                                        ; implicit-def: $vgpr4_vgpr5
	s_mov_b64 s[38:39], s[26:27]
	s_branch .LBB6_988
.LBB6_916:
	s_mov_b64 s[40:41], -1
	s_mov_b64 s[0:1], 0
	s_mov_b64 s[38:39], s[26:27]
                                        ; implicit-def: $vgpr4_vgpr5
	s_branch .LBB6_952
.LBB6_917:
	s_mov_b64 s[40:41], -1
	s_mov_b64 s[0:1], 0
	s_mov_b64 s[38:39], s[26:27]
                                        ; implicit-def: $vgpr4_vgpr5
	s_branch .LBB6_933
.LBB6_918:
	s_mov_b64 s[40:41], -1
	s_mov_b64 s[0:1], 0
	s_mov_b64 s[38:39], s[26:27]
                                        ; implicit-def: $vgpr4_vgpr5
	s_branch .LBB6_928
.LBB6_919:
	s_mov_b64 s[40:41], -1
	s_mov_b64 s[0:1], 0
	s_mov_b64 s[38:39], s[26:27]
                                        ; implicit-def: $vgpr4_vgpr5
	s_branch .LBB6_923
.LBB6_920:
	s_or_saveexec_b64 s[36:37], s[36:37]
                                        ; implicit-def: $sgpr15
	s_xor_b64 exec, exec, s[36:37]
	s_cbranch_execz .LBB6_696
.LBB6_921:
	s_mov_b32 s15, 0x42800000
	v_add_f32_e64 v3, |v2|, s15
	v_and_b32_e32 v3, 0xff, v3
	v_cmp_ne_u32_e32 vcc, 0, v3
	s_andn2_b64 s[34:35], s[34:35], exec
	s_and_b64 s[38:39], vcc, exec
	s_mov_b32 s15, 0
	s_or_b64 s[34:35], s[34:35], s[38:39]
	s_or_b64 exec, exec, s[36:37]
	v_mov_b32_e32 v6, s15
	s_and_saveexec_b64 s[36:37], s[34:35]
	s_cbranch_execnz .LBB6_697
	s_branch .LBB6_698
.LBB6_922:
	s_mov_b64 s[38:39], -1
                                        ; implicit-def: $vgpr4_vgpr5
	s_mov_b64 s[0:1], 0
.LBB6_923:
	s_and_b64 vcc, exec, s[40:41]
	s_cbranch_vccz .LBB6_927
; %bb.924:
	v_mov_b32_e32 v4, 44
	v_cmp_eq_u16_sdwa s[38:39], v20, v4 src0_sel:BYTE_0 src1_sel:DWORD
	s_and_b64 vcc, exec, s[38:39]
	s_cbranch_vccz .LBB6_926
; %bb.925:
	global_load_ubyte v6, v[2:3], off
	s_movk_i32 s15, 0xff
	v_bfrev_b32_e32 v7, 4
	v_mov_b32_e32 v8, 0x7ff80000
	v_bfrev_b32_e32 v9, 28
	s_mov_b64 s[0:1], -1
	s_mov_b64 s[38:39], 0
	s_waitcnt vmcnt(0)
	v_lshlrev_b32_e32 v4, 23, v6
	v_cvt_f64_f32_e32 v[4:5], v4
	v_cmp_ne_u32_e32 vcc, s15, v6
	v_cndmask_b32_e32 v4, v7, v4, vcc
	v_cndmask_b32_e32 v5, v8, v5, vcc
	v_cmp_ne_u32_e32 vcc, 0, v6
	v_cndmask_b32_e32 v5, v9, v5, vcc
	v_cndmask_b32_e32 v4, 0, v4, vcc
	s_branch .LBB6_927
.LBB6_926:
	s_mov_b64 s[38:39], -1
                                        ; implicit-def: $vgpr4_vgpr5
.LBB6_927:
	s_mov_b64 s[40:41], 0
.LBB6_928:
	s_and_b64 vcc, exec, s[40:41]
	s_cbranch_vccz .LBB6_932
; %bb.929:
	v_mov_b32_e32 v4, 29
	v_cmp_eq_u16_sdwa s[38:39], v20, v4 src0_sel:BYTE_0 src1_sel:DWORD
	s_and_b64 vcc, exec, s[38:39]
	s_cbranch_vccz .LBB6_931
; %bb.930:
	global_load_dwordx2 v[4:5], v[2:3], off
	s_mov_b64 s[0:1], -1
	s_mov_b64 s[38:39], 0
	s_mov_b64 s[40:41], 0
	s_waitcnt vmcnt(0)
	v_cvt_f64_u32_e32 v[6:7], v5
	v_cvt_f64_u32_e32 v[4:5], v4
	v_ldexp_f64 v[6:7], v[6:7], 32
	v_add_f64 v[4:5], v[6:7], v[4:5]
	s_branch .LBB6_933
.LBB6_931:
	s_mov_b64 s[38:39], -1
                                        ; implicit-def: $vgpr4_vgpr5
.LBB6_932:
	s_mov_b64 s[40:41], 0
.LBB6_933:
	s_and_b64 vcc, exec, s[40:41]
	s_cbranch_vccz .LBB6_951
; %bb.934:
	v_mov_b32_e32 v4, 27
	v_cmp_lt_i16_sdwa s[0:1], v20, v4 src0_sel:BYTE_0 src1_sel:DWORD
	s_and_b64 vcc, exec, s[0:1]
	s_cbranch_vccnz .LBB6_937
; %bb.935:
	v_cmp_gt_i16_sdwa s[0:1], v20, v4 src0_sel:BYTE_0 src1_sel:DWORD
	s_and_b64 vcc, exec, s[0:1]
	s_cbranch_vccz .LBB6_938
; %bb.936:
	global_load_dword v4, v[2:3], off
	s_mov_b64 s[0:1], 0
	s_waitcnt vmcnt(0)
	v_cvt_f64_u32_e32 v[4:5], v4
	s_branch .LBB6_939
.LBB6_937:
	s_mov_b64 s[0:1], -1
                                        ; implicit-def: $vgpr4_vgpr5
	s_branch .LBB6_942
.LBB6_938:
	s_mov_b64 s[0:1], -1
                                        ; implicit-def: $vgpr4_vgpr5
.LBB6_939:
	s_andn2_b64 vcc, exec, s[0:1]
	s_cbranch_vccnz .LBB6_941
; %bb.940:
	global_load_ushort v4, v[2:3], off
	s_waitcnt vmcnt(0)
	v_cvt_f64_u32_e32 v[4:5], v4
.LBB6_941:
	s_mov_b64 s[0:1], 0
.LBB6_942:
	s_andn2_b64 vcc, exec, s[0:1]
	s_cbranch_vccnz .LBB6_950
; %bb.943:
	global_load_ubyte v6, v[2:3], off
	s_movk_i32 s0, 0x7f
                                        ; implicit-def: $sgpr40_sgpr41
	s_waitcnt vmcnt(0)
	v_cmp_lt_i16_e32 vcc, s0, v6
	s_mov_b64 s[0:1], 0
	s_and_saveexec_b64 s[42:43], vcc
	s_xor_b64 s[42:43], exec, s[42:43]
	s_cbranch_execz .LBB6_964
; %bb.944:
	s_movk_i32 s0, 0x80
	v_cmp_eq_u16_e32 vcc, s0, v6
	s_mov_b64 s[44:45], -1
                                        ; implicit-def: $sgpr40_sgpr41
	s_and_saveexec_b64 s[0:1], vcc
; %bb.945:
	s_mov_b32 s41, 0x7ff80000
	s_brev_b32 s40, 4
	s_xor_b64 s[44:45], exec, -1
; %bb.946:
	s_or_b64 exec, exec, s[0:1]
	s_and_b64 s[0:1], s[44:45], exec
	s_or_saveexec_b64 s[42:43], s[42:43]
	v_pk_mov_b32 v[4:5], s[40:41], s[40:41] op_sel:[0,1]
	s_xor_b64 exec, exec, s[42:43]
	s_cbranch_execnz .LBB6_965
.LBB6_947:
	s_or_b64 exec, exec, s[42:43]
	s_and_saveexec_b64 s[40:41], s[0:1]
	s_cbranch_execz .LBB6_949
.LBB6_948:
	v_and_b32_e32 v5, 0xffff, v6
	v_lshlrev_b32_e32 v4, 24, v6
	v_and_b32_e32 v6, 7, v5
	v_ffbh_u32_e32 v8, v6
	v_min_u32_e32 v8, 32, v8
	v_subrev_u32_e32 v9, 28, v8
	v_bfe_u32 v7, v5, 3, 4
	v_lshlrev_b32_e32 v5, v9, v5
	v_sub_u32_e32 v8, 29, v8
	v_and_b32_e32 v5, 7, v5
	v_cmp_eq_u32_e32 vcc, 0, v7
	v_cndmask_b32_e32 v7, v7, v8, vcc
	v_cndmask_b32_e32 v5, v6, v5, vcc
	v_mov_b32_e32 v6, 0x3b800000
	v_lshlrev_b32_e32 v5, 20, v5
	v_and_b32_e32 v4, 0x80000000, v4
	v_lshl_add_u32 v6, v7, 23, v6
	v_or3_b32 v4, v4, v6, v5
	v_cvt_f64_f32_e32 v[4:5], v4
.LBB6_949:
	s_or_b64 exec, exec, s[40:41]
.LBB6_950:
	s_mov_b64 s[0:1], -1
.LBB6_951:
	s_mov_b64 s[40:41], 0
.LBB6_952:
	s_and_b64 vcc, exec, s[40:41]
	s_cbranch_vccz .LBB6_987
; %bb.953:
	v_mov_b32_e32 v4, 22
	v_cmp_gt_i16_sdwa s[40:41], v20, v4 src0_sel:BYTE_0 src1_sel:DWORD
	s_and_b64 vcc, exec, s[40:41]
	s_cbranch_vccz .LBB6_963
; %bb.954:
	v_mov_b32_e32 v4, 24
	v_cmp_lt_i16_sdwa s[0:1], v20, v4 src0_sel:BYTE_0 src1_sel:DWORD
	s_and_b64 vcc, exec, s[0:1]
	s_cbranch_vccnz .LBB6_966
; %bb.955:
	v_cmp_gt_i16_sdwa s[0:1], v20, v4 src0_sel:BYTE_0 src1_sel:DWORD
	s_and_b64 vcc, exec, s[0:1]
	s_cbranch_vccz .LBB6_967
; %bb.956:
	global_load_ubyte v6, v[2:3], off
	s_movk_i32 s0, 0x7f
                                        ; implicit-def: $sgpr40_sgpr41
	s_waitcnt vmcnt(0)
	v_cmp_lt_i16_e32 vcc, s0, v6
	s_mov_b64 s[0:1], 0
	s_and_saveexec_b64 s[42:43], vcc
	s_xor_b64 s[42:43], exec, s[42:43]
	s_cbranch_execz .LBB6_979
; %bb.957:
	s_movk_i32 s0, 0x80
	v_cmp_eq_u16_e32 vcc, s0, v6
	s_mov_b64 s[44:45], -1
                                        ; implicit-def: $sgpr40_sgpr41
	s_and_saveexec_b64 s[0:1], vcc
; %bb.958:
	s_mov_b32 s41, 0x7ff80000
	s_brev_b32 s40, 4
	s_xor_b64 s[44:45], exec, -1
; %bb.959:
	s_or_b64 exec, exec, s[0:1]
	s_and_b64 s[0:1], s[44:45], exec
	s_or_saveexec_b64 s[42:43], s[42:43]
	v_pk_mov_b32 v[4:5], s[40:41], s[40:41] op_sel:[0,1]
	s_xor_b64 exec, exec, s[42:43]
	s_cbranch_execnz .LBB6_980
.LBB6_960:
	s_or_b64 exec, exec, s[42:43]
	s_and_saveexec_b64 s[40:41], s[0:1]
	s_cbranch_execz .LBB6_962
.LBB6_961:
	v_and_b32_e32 v5, 0xffff, v6
	v_lshlrev_b32_e32 v4, 24, v6
	v_and_b32_e32 v6, 3, v5
	v_ffbh_u32_e32 v8, v6
	v_min_u32_e32 v8, 32, v8
	v_subrev_u32_e32 v9, 29, v8
	v_bfe_u32 v7, v5, 2, 5
	v_lshlrev_b32_e32 v5, v9, v5
	v_sub_u32_e32 v8, 30, v8
	v_and_b32_e32 v5, 3, v5
	v_cmp_eq_u32_e32 vcc, 0, v7
	v_cndmask_b32_e32 v7, v7, v8, vcc
	v_cndmask_b32_e32 v5, v6, v5, vcc
	v_mov_b32_e32 v6, 0x37800000
	v_lshlrev_b32_e32 v5, 21, v5
	v_and_b32_e32 v4, 0x80000000, v4
	v_lshl_add_u32 v6, v7, 23, v6
	v_or3_b32 v4, v4, v6, v5
	v_cvt_f64_f32_e32 v[4:5], v4
.LBB6_962:
	s_or_b64 exec, exec, s[40:41]
	s_mov_b64 s[0:1], 0
	s_branch .LBB6_968
.LBB6_963:
	s_mov_b64 s[40:41], -1
                                        ; implicit-def: $vgpr4_vgpr5
	s_branch .LBB6_974
.LBB6_964:
	s_or_saveexec_b64 s[42:43], s[42:43]
	v_pk_mov_b32 v[4:5], s[40:41], s[40:41] op_sel:[0,1]
	s_xor_b64 exec, exec, s[42:43]
	s_cbranch_execz .LBB6_947
.LBB6_965:
	v_cmp_ne_u16_e32 vcc, 0, v6
	s_andn2_b64 s[0:1], s[0:1], exec
	s_and_b64 s[40:41], vcc, exec
	v_pk_mov_b32 v[4:5], 0, 0
	s_or_b64 s[0:1], s[0:1], s[40:41]
	s_or_b64 exec, exec, s[42:43]
	s_and_saveexec_b64 s[40:41], s[0:1]
	s_cbranch_execnz .LBB6_948
	s_branch .LBB6_949
.LBB6_966:
	s_mov_b64 s[0:1], -1
                                        ; implicit-def: $vgpr4_vgpr5
	s_branch .LBB6_971
.LBB6_967:
	s_mov_b64 s[0:1], -1
                                        ; implicit-def: $vgpr4_vgpr5
.LBB6_968:
	s_and_b64 vcc, exec, s[0:1]
	s_cbranch_vccz .LBB6_970
; %bb.969:
	global_load_ubyte v4, v[2:3], off
	s_mov_b32 s0, 0x7f800000
	s_waitcnt vmcnt(0)
	v_lshlrev_b32_e32 v4, 24, v4
	v_and_b32_e32 v5, 0x7f000000, v4
	v_ffbh_u32_e32 v6, v5
	v_min_u32_e32 v6, 32, v6
	v_sub_u32_e64 v6, v6, 4 clamp
	v_lshlrev_b32_e32 v8, v6, v5
	v_lshlrev_b32_e32 v6, 23, v6
	v_lshrrev_b32_e32 v8, 4, v8
	v_add_u32_e32 v7, 0x1000000, v5
	v_sub_u32_e32 v6, v8, v6
	v_ashrrev_i32_e32 v7, 8, v7
	v_add_u32_e32 v6, 0x3c000000, v6
	v_and_or_b32 v6, v7, s0, v6
	v_cmp_ne_u32_e32 vcc, 0, v5
	v_cndmask_b32_e32 v5, 0, v6, vcc
	s_brev_b32 s0, 1
	v_and_or_b32 v4, v4, s0, v5
	v_cvt_f64_f32_e32 v[4:5], v4
.LBB6_970:
	s_mov_b64 s[0:1], 0
.LBB6_971:
	s_andn2_b64 vcc, exec, s[0:1]
	s_cbranch_vccnz .LBB6_973
; %bb.972:
	global_load_ubyte v4, v[2:3], off
	s_movk_i32 s0, 0x7f00
	s_brev_b32 s1, 16
	s_waitcnt vmcnt(0)
	v_lshlrev_b16_e32 v5, 8, v4
	v_lshlrev_b32_e32 v4, 25, v4
	v_lshrrev_b32_e32 v6, 4, v4
	v_and_or_b32 v7, v5, s0, 0.5
	v_or_b32_e32 v6, 0x70000000, v6
	v_add_f32_e32 v7, -0.5, v7
	v_mul_f32_e32 v6, 0x7800000, v6
	v_cmp_gt_u32_e32 vcc, s1, v4
	v_bfe_i32 v5, v5, 0, 16
	v_cndmask_b32_e32 v4, v6, v7, vcc
	s_brev_b32 s0, 1
	v_and_or_b32 v4, v5, s0, v4
	v_cvt_f64_f32_e32 v[4:5], v4
.LBB6_973:
	s_mov_b64 s[40:41], 0
	s_mov_b64 s[0:1], -1
.LBB6_974:
	s_andn2_b64 vcc, exec, s[40:41]
	s_cbranch_vccnz .LBB6_987
; %bb.975:
	v_mov_b32_e32 v4, 14
	v_cmp_gt_i16_sdwa s[40:41], v20, v4 src0_sel:BYTE_0 src1_sel:DWORD
	s_and_b64 vcc, exec, s[40:41]
	s_cbranch_vccz .LBB6_978
; %bb.976:
	v_mov_b32_e32 v4, 15
	v_cmp_eq_u16_sdwa s[38:39], v20, v4 src0_sel:BYTE_0 src1_sel:DWORD
	s_and_b64 vcc, exec, s[38:39]
	s_cbranch_vccz .LBB6_981
; %bb.977:
	global_load_ushort v4, v[2:3], off
	s_mov_b64 s[0:1], -1
	s_mov_b64 s[38:39], 0
	s_waitcnt vmcnt(0)
	v_lshlrev_b32_e32 v4, 16, v4
	v_cvt_f64_f32_e32 v[4:5], v4
	s_branch .LBB6_982
.LBB6_978:
	s_mov_b64 s[40:41], -1
                                        ; implicit-def: $vgpr4_vgpr5
	s_branch .LBB6_983
.LBB6_979:
	s_or_saveexec_b64 s[42:43], s[42:43]
	v_pk_mov_b32 v[4:5], s[40:41], s[40:41] op_sel:[0,1]
	s_xor_b64 exec, exec, s[42:43]
	s_cbranch_execz .LBB6_960
.LBB6_980:
	v_cmp_ne_u16_e32 vcc, 0, v6
	s_andn2_b64 s[0:1], s[0:1], exec
	s_and_b64 s[40:41], vcc, exec
	v_pk_mov_b32 v[4:5], 0, 0
	s_or_b64 s[0:1], s[0:1], s[40:41]
	s_or_b64 exec, exec, s[42:43]
	s_and_saveexec_b64 s[40:41], s[0:1]
	s_cbranch_execnz .LBB6_961
	s_branch .LBB6_962
.LBB6_981:
	s_mov_b64 s[38:39], -1
                                        ; implicit-def: $vgpr4_vgpr5
.LBB6_982:
	s_mov_b64 s[40:41], 0
.LBB6_983:
	s_and_b64 vcc, exec, s[40:41]
	s_cbranch_vccz .LBB6_987
; %bb.984:
	v_mov_b32_e32 v4, 11
	v_cmp_eq_u16_sdwa s[38:39], v20, v4 src0_sel:BYTE_0 src1_sel:DWORD
	s_and_b64 vcc, exec, s[38:39]
	s_cbranch_vccz .LBB6_986
; %bb.985:
	global_load_ubyte v5, v[2:3], off
	v_mov_b32_e32 v6, 0x3ff00000
	v_mov_b32_e32 v4, 0
	s_mov_b64 s[0:1], -1
	s_mov_b64 s[38:39], 0
	s_waitcnt vmcnt(0)
	v_cmp_ne_u16_e32 vcc, 0, v5
	v_cndmask_b32_e32 v5, 0, v6, vcc
	s_branch .LBB6_987
.LBB6_986:
	s_mov_b64 s[38:39], -1
                                        ; implicit-def: $vgpr4_vgpr5
.LBB6_987:
	s_mov_b64 s[40:41], 0
.LBB6_988:
	s_and_b64 vcc, exec, s[40:41]
	s_cbranch_vccz .LBB6_1037
; %bb.989:
	v_mov_b32_e32 v4, 5
	v_cmp_lt_i16_sdwa s[0:1], v20, v4 src0_sel:BYTE_0 src1_sel:DWORD
	s_and_b64 vcc, exec, s[0:1]
	s_cbranch_vccnz .LBB6_994
; %bb.990:
	v_mov_b32_e32 v4, 8
	v_cmp_lt_i16_sdwa s[0:1], v20, v4 src0_sel:BYTE_0 src1_sel:DWORD
	s_and_b64 vcc, exec, s[0:1]
	s_cbranch_vccnz .LBB6_995
	;; [unrolled: 5-line block ×3, first 2 shown]
; %bb.992:
	v_cmp_gt_i16_sdwa s[0:1], v20, v4 src0_sel:BYTE_0 src1_sel:DWORD
	s_and_b64 vcc, exec, s[0:1]
	s_cbranch_vccz .LBB6_997
; %bb.993:
	global_load_dwordx2 v[4:5], v[2:3], off
	s_mov_b64 s[0:1], 0
	s_branch .LBB6_998
.LBB6_994:
	s_mov_b64 s[0:1], -1
                                        ; implicit-def: $vgpr4_vgpr5
	s_branch .LBB6_1016
.LBB6_995:
	s_mov_b64 s[0:1], -1
                                        ; implicit-def: $vgpr4_vgpr5
	s_branch .LBB6_1004
.LBB6_996:
	s_mov_b64 s[0:1], -1
                                        ; implicit-def: $vgpr4_vgpr5
	s_branch .LBB6_1001
.LBB6_997:
	s_mov_b64 s[0:1], -1
                                        ; implicit-def: $vgpr4_vgpr5
.LBB6_998:
	s_andn2_b64 vcc, exec, s[0:1]
	s_cbranch_vccnz .LBB6_1000
; %bb.999:
	global_load_dword v4, v[2:3], off
	s_waitcnt vmcnt(0)
	v_cvt_f64_f32_e32 v[4:5], v4
.LBB6_1000:
	s_mov_b64 s[0:1], 0
.LBB6_1001:
	s_andn2_b64 vcc, exec, s[0:1]
	s_cbranch_vccnz .LBB6_1003
; %bb.1002:
	global_load_dword v4, v[2:3], off
	s_waitcnt vmcnt(0)
	v_cvt_f32_f16_e32 v4, v4
	v_cvt_f64_f32_e32 v[4:5], v4
.LBB6_1003:
	s_mov_b64 s[0:1], 0
.LBB6_1004:
	s_andn2_b64 vcc, exec, s[0:1]
	s_cbranch_vccnz .LBB6_1015
; %bb.1005:
	s_waitcnt vmcnt(0)
	v_mov_b32_e32 v4, 6
	v_cmp_lt_i16_sdwa s[0:1], v20, v4 src0_sel:BYTE_0 src1_sel:DWORD
	s_and_b64 vcc, exec, s[0:1]
	s_cbranch_vccnz .LBB6_1008
; %bb.1006:
	v_cmp_gt_i16_sdwa s[0:1], v20, v4 src0_sel:BYTE_0 src1_sel:DWORD
	s_and_b64 vcc, exec, s[0:1]
	s_cbranch_vccz .LBB6_1009
; %bb.1007:
	global_load_dwordx2 v[4:5], v[2:3], off
	s_mov_b64 s[0:1], 0
	s_branch .LBB6_1010
.LBB6_1008:
	s_mov_b64 s[0:1], -1
                                        ; implicit-def: $vgpr4_vgpr5
	s_branch .LBB6_1013
.LBB6_1009:
	s_mov_b64 s[0:1], -1
                                        ; implicit-def: $vgpr4_vgpr5
.LBB6_1010:
	s_andn2_b64 vcc, exec, s[0:1]
	s_cbranch_vccnz .LBB6_1012
; %bb.1011:
	global_load_dword v4, v[2:3], off
	s_waitcnt vmcnt(0)
	v_cvt_f64_f32_e32 v[4:5], v4
.LBB6_1012:
	s_mov_b64 s[0:1], 0
.LBB6_1013:
	s_andn2_b64 vcc, exec, s[0:1]
	s_cbranch_vccnz .LBB6_1015
; %bb.1014:
	global_load_ushort v4, v[2:3], off
	s_waitcnt vmcnt(0)
	v_cvt_f32_f16_e32 v4, v4
	v_cvt_f64_f32_e32 v[4:5], v4
.LBB6_1015:
	s_mov_b64 s[0:1], 0
.LBB6_1016:
	s_andn2_b64 vcc, exec, s[0:1]
	s_cbranch_vccnz .LBB6_1036
; %bb.1017:
	s_waitcnt vmcnt(0)
	v_mov_b32_e32 v4, 2
	v_cmp_lt_i16_sdwa s[0:1], v20, v4 src0_sel:BYTE_0 src1_sel:DWORD
	s_and_b64 vcc, exec, s[0:1]
	s_cbranch_vccnz .LBB6_1021
; %bb.1018:
	v_mov_b32_e32 v4, 3
	v_cmp_lt_i16_sdwa s[0:1], v20, v4 src0_sel:BYTE_0 src1_sel:DWORD
	s_and_b64 vcc, exec, s[0:1]
	s_cbranch_vccnz .LBB6_1022
; %bb.1019:
	v_cmp_gt_i16_sdwa s[0:1], v20, v4 src0_sel:BYTE_0 src1_sel:DWORD
	s_and_b64 vcc, exec, s[0:1]
	s_cbranch_vccz .LBB6_1023
; %bb.1020:
	global_load_dwordx2 v[4:5], v[2:3], off
	s_mov_b64 s[0:1], 0
	s_waitcnt vmcnt(0)
	v_cvt_f64_i32_e32 v[6:7], v5
	v_cvt_f64_u32_e32 v[4:5], v4
	v_ldexp_f64 v[6:7], v[6:7], 32
	v_add_f64 v[4:5], v[6:7], v[4:5]
	s_branch .LBB6_1024
.LBB6_1021:
	s_mov_b64 s[0:1], -1
                                        ; implicit-def: $vgpr4_vgpr5
	s_branch .LBB6_1030
.LBB6_1022:
	s_mov_b64 s[0:1], -1
                                        ; implicit-def: $vgpr4_vgpr5
	s_branch .LBB6_1027
.LBB6_1023:
	s_mov_b64 s[0:1], -1
                                        ; implicit-def: $vgpr4_vgpr5
.LBB6_1024:
	s_andn2_b64 vcc, exec, s[0:1]
	s_cbranch_vccnz .LBB6_1026
; %bb.1025:
	global_load_dword v4, v[2:3], off
	s_waitcnt vmcnt(0)
	v_cvt_f64_i32_e32 v[4:5], v4
.LBB6_1026:
	s_mov_b64 s[0:1], 0
.LBB6_1027:
	s_andn2_b64 vcc, exec, s[0:1]
	s_cbranch_vccnz .LBB6_1029
; %bb.1028:
	global_load_sshort v4, v[2:3], off
	s_waitcnt vmcnt(0)
	v_cvt_f64_i32_e32 v[4:5], v4
.LBB6_1029:
	s_mov_b64 s[0:1], 0
.LBB6_1030:
	s_andn2_b64 vcc, exec, s[0:1]
	s_cbranch_vccnz .LBB6_1036
; %bb.1031:
	v_mov_b32_e32 v4, 0
	v_cmp_gt_i16_sdwa s[0:1], v20, v4 src0_sel:BYTE_0 src1_sel:DWORD
	s_and_b64 vcc, exec, s[0:1]
	s_cbranch_vccz .LBB6_1033
; %bb.1032:
	global_load_sbyte v4, v[2:3], off
	s_mov_b64 s[0:1], 0
	s_waitcnt vmcnt(0)
	v_cvt_f64_i32_e32 v[4:5], v4
	s_branch .LBB6_1034
.LBB6_1033:
	s_mov_b64 s[0:1], -1
                                        ; implicit-def: $vgpr4_vgpr5
.LBB6_1034:
	s_andn2_b64 vcc, exec, s[0:1]
	s_cbranch_vccnz .LBB6_1036
; %bb.1035:
	global_load_ubyte v2, v[2:3], off
	s_waitcnt vmcnt(0)
	v_cvt_f64_u32_e32 v[4:5], v2
.LBB6_1036:
	s_mov_b64 s[0:1], -1
.LBB6_1037:
	s_andn2_b64 vcc, exec, s[0:1]
	s_cbranch_vccnz .LBB6_1045
; %bb.1038:
	s_waitcnt vmcnt(0)
	v_div_scale_f64 v[2:3], s[0:1], v[4:5], v[4:5], v[0:1]
	v_rcp_f64_e32 v[6:7], v[2:3]
	v_div_scale_f64 v[8:9], vcc, v[0:1], v[4:5], v[0:1]
	s_mov_b32 s0, 0
	v_fma_f64 v[10:11], -v[2:3], v[6:7], 1.0
	v_fmac_f64_e32 v[6:7], v[6:7], v[10:11]
	v_fma_f64 v[10:11], -v[2:3], v[6:7], 1.0
	v_fmac_f64_e32 v[6:7], v[6:7], v[10:11]
	v_mul_f64 v[10:11], v[8:9], v[6:7]
	v_fma_f64 v[2:3], -v[2:3], v[10:11], v[8:9]
	v_div_fmas_f64 v[2:3], v[2:3], v[6:7], v[10:11]
	v_div_fixup_f64 v[0:1], v[2:3], v[4:5], v[0:1]
	s_mov_b32 s1, 0x100000
	v_mov_b32_e32 v2, 0x100000
	v_cmp_ngt_f64_e32 vcc, s[0:1], v[0:1]
	s_mov_b32 s0, -2
	v_cndmask_b32_e32 v1, v2, v1, vcc
	v_cndmask_b32_e32 v0, 0, v0, vcc
	s_mov_b32 s1, 0x3fefffff
	v_mov_b32_e32 v2, 0x3fefffff
	v_cmp_nlt_f64_e32 vcc, s[0:1], v[0:1]
	v_cndmask_b32_e32 v1, v2, v1, vcc
	v_mul_lo_u32 v2, v19, s12
	v_cndmask_b32_e32 v0, -2, v0, vcc
	v_ashrrev_i32_e32 v3, 31, v2
	v_mov_b32_e32 v5, s9
	v_add_co_u32_e32 v4, vcc, s8, v2
	v_mov_b32_e32 v2, 11
	v_addc_co_u32_e32 v5, vcc, v5, v3, vcc
	v_cmp_lt_i16_sdwa s[0:1], v18, v2 src0_sel:BYTE_0 src1_sel:DWORD
	s_and_b64 vcc, exec, s[0:1]
	s_cbranch_vccnz .LBB6_1046
; %bb.1039:
	v_mov_b32_e32 v2, 25
	v_cmp_gt_i16_sdwa s[0:1], v18, v2 src0_sel:BYTE_0 src1_sel:DWORD
	s_and_b64 vcc, exec, s[0:1]
	s_cbranch_vccz .LBB6_1047
; %bb.1040:
	v_mov_b32_e32 v2, 28
	v_cmp_gt_i16_sdwa s[0:1], v18, v2 src0_sel:BYTE_0 src1_sel:DWORD
	s_and_b64 vcc, exec, s[0:1]
	s_cbranch_vccz .LBB6_1048
	;; [unrolled: 5-line block ×4, first 2 shown]
; %bb.1043:
	v_mov_b32_e32 v2, 46
	v_cmp_eq_u16_sdwa s[40:41], v18, v2 src0_sel:BYTE_0 src1_sel:DWORD
	s_mov_b64 s[42:43], 0
	s_mov_b64 s[0:1], -1
	s_and_b64 vcc, exec, s[40:41]
	s_mov_b64 s[40:41], 0
	s_cbranch_vccz .LBB6_1051
; %bb.1044:
	v_cvt_f32_f64_e32 v2, v[0:1]
	v_bfe_u32 v3, v2, 16, 1
	s_movk_i32 s0, 0x7fff
	v_add3_u32 v3, v2, v3, s0
	v_lshrrev_b32_e32 v3, 16, v3
	v_mov_b32_e32 v6, 0x7fc0
	v_cmp_o_f32_e32 vcc, v2, v2
	v_cndmask_b32_e32 v2, v6, v3, vcc
	global_store_dword v[4:5], v2, off
	s_mov_b64 s[40:41], -1
	s_mov_b64 s[0:1], 0
	s_branch .LBB6_1051
.LBB6_1045:
	s_mov_b64 s[42:43], 0
                                        ; implicit-def: $vgpr19
	s_mov_b64 s[0:1], s[28:29]
	s_branch .LBB6_1161
.LBB6_1046:
	s_mov_b64 s[42:43], -1
	s_mov_b64 s[40:41], 0
	s_mov_b64 s[0:1], s[28:29]
	s_branch .LBB6_1120
.LBB6_1047:
	s_mov_b64 s[42:43], -1
	s_mov_b64 s[40:41], 0
	s_mov_b64 s[0:1], s[28:29]
	s_branch .LBB6_1078
.LBB6_1048:
	s_mov_b64 s[42:43], -1
	s_mov_b64 s[40:41], 0
	s_mov_b64 s[0:1], s[28:29]
	s_branch .LBB6_1061
.LBB6_1049:
	s_mov_b64 s[42:43], -1
	s_mov_b64 s[40:41], 0
	s_mov_b64 s[0:1], s[28:29]
	s_branch .LBB6_1057
.LBB6_1050:
	s_mov_b64 s[42:43], -1
	s_mov_b64 s[40:41], 0
	s_mov_b64 s[0:1], s[28:29]
.LBB6_1051:
	s_and_b64 vcc, exec, s[42:43]
	s_cbranch_vccz .LBB6_1056
; %bb.1052:
	v_mov_b32_e32 v2, 44
	v_cmp_eq_u16_sdwa s[42:43], v18, v2 src0_sel:BYTE_0 src1_sel:DWORD
	s_mov_b64 s[0:1], -1
	s_and_b64 vcc, exec, s[42:43]
	s_cbranch_vccz .LBB6_1056
; %bb.1053:
	v_cvt_f32_f64_e32 v2, v[0:1]
	v_bfe_u32 v3, v2, 23, 8
	s_movk_i32 s0, 0xff
	v_cmp_ne_u32_e32 vcc, s0, v3
	v_mov_b32_e32 v6, 0xff
	s_and_saveexec_b64 s[40:41], vcc
; %bb.1054:
	s_mov_b32 s0, 0x3fffff
	v_lshrrev_b32_e32 v6, 23, v2
	v_and_b32_e32 v7, 0x400000, v2
	v_and_or_b32 v2, v2, s0, v3
	v_cmp_ne_u32_e32 vcc, 0, v7
	v_cmp_ne_u32_e64 s[0:1], 0, v2
	s_and_b64 s[0:1], vcc, s[0:1]
	v_cndmask_b32_e64 v2, 0, 1, s[0:1]
	v_add_u32_e32 v6, v6, v2
; %bb.1055:
	s_or_b64 exec, exec, s[40:41]
	s_mov_b64 s[40:41], -1
	s_mov_b64 s[0:1], 0
	global_store_byte v[4:5], v6, off
.LBB6_1056:
	s_mov_b64 s[42:43], 0
.LBB6_1057:
	s_and_b64 vcc, exec, s[42:43]
	s_cbranch_vccz .LBB6_1060
; %bb.1058:
	v_mov_b32_e32 v2, 29
	v_cmp_eq_u16_sdwa s[42:43], v18, v2 src0_sel:BYTE_0 src1_sel:DWORD
	s_mov_b64 s[0:1], -1
	s_and_b64 vcc, exec, s[42:43]
	s_cbranch_vccz .LBB6_1060
; %bb.1059:
	v_trunc_f64_e32 v[2:3], v[0:1]
	s_movk_i32 s0, 0xffe0
	v_ldexp_f64 v[6:7], v[2:3], s0
	v_floor_f64_e32 v[6:7], v[6:7]
	v_fmac_f64_e32 v[2:3], 0xc1f00000, v[6:7]
	v_cvt_u32_f64_e32 v9, v[6:7]
	v_cvt_u32_f64_e32 v8, v[2:3]
	global_store_dwordx2 v[4:5], v[8:9], off
	s_mov_b64 s[40:41], -1
	s_mov_b64 s[0:1], 0
.LBB6_1060:
	s_mov_b64 s[42:43], 0
.LBB6_1061:
	s_and_b64 vcc, exec, s[42:43]
	s_cbranch_vccz .LBB6_1077
; %bb.1062:
	v_mov_b32_e32 v2, 27
	v_cmp_lt_i16_sdwa s[42:43], v18, v2 src0_sel:BYTE_0 src1_sel:DWORD
	s_mov_b64 s[40:41], -1
	s_and_b64 vcc, exec, s[42:43]
	s_cbranch_vccnz .LBB6_1068
; %bb.1063:
	v_cmp_gt_i16_sdwa s[42:43], v18, v2 src0_sel:BYTE_0 src1_sel:DWORD
	s_and_b64 vcc, exec, s[42:43]
	v_cvt_u32_f64_e32 v2, v[0:1]
	s_cbranch_vccz .LBB6_1065
; %bb.1064:
	s_mov_b64 s[40:41], 0
	global_store_dword v[4:5], v2, off
.LBB6_1065:
	s_andn2_b64 vcc, exec, s[40:41]
	s_cbranch_vccnz .LBB6_1067
; %bb.1066:
	global_store_short v[4:5], v2, off
.LBB6_1067:
	s_mov_b64 s[40:41], 0
.LBB6_1068:
	s_andn2_b64 vcc, exec, s[40:41]
	s_cbranch_vccnz .LBB6_1076
; %bb.1069:
	v_cvt_f32_f64_e32 v2, v[0:1]
	v_and_b32_e32 v3, 0x7fffffff, v2
	s_mov_b32 s15, 0x43800000
	v_cmp_gt_u32_e32 vcc, s15, v3
	v_mov_b32_e32 v6, 0x80
	s_and_saveexec_b64 s[40:41], vcc
	s_cbranch_execz .LBB6_1075
; %bb.1070:
	s_mov_b32 s15, 0x3bffffff
	v_cmp_lt_u32_e32 vcc, s15, v3
	s_mov_b64 s[42:43], 0
                                        ; implicit-def: $vgpr3
	s_and_saveexec_b64 s[44:45], vcc
	s_xor_b64 s[44:45], exec, s[44:45]
	s_cbranch_execz .LBB6_1177
; %bb.1071:
	v_bfe_u32 v3, v2, 20, 1
	s_mov_b32 s15, 0x487ffff
	v_add3_u32 v3, v2, v3, s15
	s_mov_b64 s[42:43], exec
	v_lshrrev_b32_e32 v3, 20, v3
	s_or_saveexec_b64 s[44:45], s[44:45]
                                        ; implicit-def: $sgpr15
	s_xor_b64 exec, exec, s[44:45]
	s_cbranch_execnz .LBB6_1178
.LBB6_1072:
	s_or_b64 exec, exec, s[44:45]
	v_mov_b32_e32 v6, s15
	s_and_saveexec_b64 s[44:45], s[42:43]
.LBB6_1073:
	v_lshrrev_b32_e32 v2, 24, v2
	s_movk_i32 s15, 0x80
	v_and_or_b32 v6, v2, s15, v3
.LBB6_1074:
	s_or_b64 exec, exec, s[44:45]
.LBB6_1075:
	s_or_b64 exec, exec, s[40:41]
	global_store_byte v[4:5], v6, off
.LBB6_1076:
	s_mov_b64 s[40:41], -1
.LBB6_1077:
	s_mov_b64 s[42:43], 0
.LBB6_1078:
	s_and_b64 vcc, exec, s[42:43]
	s_cbranch_vccz .LBB6_1119
; %bb.1079:
	v_mov_b32_e32 v2, 22
	v_cmp_gt_i16_sdwa s[44:45], v18, v2 src0_sel:BYTE_0 src1_sel:DWORD
	s_mov_b64 s[42:43], -1
	s_and_b64 vcc, exec, s[44:45]
	s_cbranch_vccz .LBB6_1111
; %bb.1080:
	v_mov_b32_e32 v2, 24
	v_cmp_lt_i16_sdwa s[42:43], v18, v2 src0_sel:BYTE_0 src1_sel:DWORD
	s_mov_b64 s[40:41], -1
	s_and_b64 vcc, exec, s[42:43]
	s_cbranch_vccnz .LBB6_1100
; %bb.1081:
	v_cmp_gt_i16_sdwa s[42:43], v18, v2 src0_sel:BYTE_0 src1_sel:DWORD
	s_and_b64 vcc, exec, s[42:43]
	s_cbranch_vccz .LBB6_1089
; %bb.1082:
	v_cvt_f32_f64_e32 v2, v[0:1]
	v_and_b32_e32 v3, 0x7fffffff, v2
	s_mov_b32 s15, 0x47800000
	v_cmp_gt_u32_e32 vcc, s15, v3
	v_mov_b32_e32 v6, 0x80
	s_and_saveexec_b64 s[40:41], vcc
	s_cbranch_execz .LBB6_1088
; %bb.1083:
	s_mov_b32 s15, 0x37ffffff
	v_cmp_lt_u32_e32 vcc, s15, v3
	s_mov_b64 s[42:43], 0
                                        ; implicit-def: $vgpr3
	s_and_saveexec_b64 s[44:45], vcc
	s_xor_b64 s[44:45], exec, s[44:45]
	s_cbranch_execz .LBB6_2200
; %bb.1084:
	v_bfe_u32 v3, v2, 21, 1
	s_mov_b32 s15, 0x88fffff
	v_add3_u32 v3, v2, v3, s15
	s_mov_b64 s[42:43], exec
	v_lshrrev_b32_e32 v3, 21, v3
	s_or_saveexec_b64 s[44:45], s[44:45]
                                        ; implicit-def: $sgpr15
	s_xor_b64 exec, exec, s[44:45]
	s_cbranch_execnz .LBB6_2201
.LBB6_1085:
	s_or_b64 exec, exec, s[44:45]
	v_mov_b32_e32 v6, s15
	s_and_saveexec_b64 s[44:45], s[42:43]
.LBB6_1086:
	v_lshrrev_b32_e32 v2, 24, v2
	s_movk_i32 s15, 0x80
	v_and_or_b32 v6, v2, s15, v3
.LBB6_1087:
	s_or_b64 exec, exec, s[44:45]
.LBB6_1088:
	s_or_b64 exec, exec, s[40:41]
	s_mov_b64 s[40:41], 0
	global_store_byte v[4:5], v6, off
.LBB6_1089:
	s_and_b64 vcc, exec, s[40:41]
	s_cbranch_vccz .LBB6_1099
; %bb.1090:
	v_cvt_f32_f64_e32 v2, v[0:1]
	v_and_b32_e32 v6, 0x7fffffff, v2
	s_mov_b32 s15, 0x43f00000
	v_cmp_gt_u32_e32 vcc, s15, v6
                                        ; implicit-def: $vgpr3
	s_and_saveexec_b64 s[40:41], vcc
	s_xor_b64 s[40:41], exec, s[40:41]
	s_cbranch_execz .LBB6_1096
; %bb.1091:
	s_mov_b32 s15, 0x3c7fffff
	v_cmp_lt_u32_e32 vcc, s15, v6
                                        ; implicit-def: $vgpr3
	s_and_saveexec_b64 s[42:43], vcc
	s_xor_b64 s[42:43], exec, s[42:43]
; %bb.1092:
	v_bfe_u32 v3, v2, 20, 1
	s_mov_b32 s15, 0x407ffff
	v_add3_u32 v3, v2, v3, s15
	v_lshrrev_b32_e32 v6, 20, v3
	v_and_b32_e32 v3, 0xff00000, v3
	s_mov_b32 s15, 0x7f00000
	v_mov_b32_e32 v7, 0x7e
	v_cmp_ne_u32_e32 vcc, s15, v3
	v_cndmask_b32_e32 v3, v7, v6, vcc
; %bb.1093:
	s_andn2_saveexec_b64 s[42:43], s[42:43]
; %bb.1094:
	s_mov_b32 s15, 0x46800000
	v_add_f32_e64 v3, |v2|, s15
; %bb.1095:
	s_or_b64 exec, exec, s[42:43]
                                        ; implicit-def: $vgpr6
.LBB6_1096:
	s_andn2_saveexec_b64 s[40:41], s[40:41]
; %bb.1097:
	s_mov_b32 s15, 0x7f800000
	v_mov_b32_e32 v3, 0x7e
	v_mov_b32_e32 v7, 0x7f
	v_cmp_lt_u32_e32 vcc, s15, v6
	v_cndmask_b32_e32 v3, v3, v7, vcc
; %bb.1098:
	s_or_b64 exec, exec, s[40:41]
	v_lshrrev_b32_e32 v2, 24, v2
	s_movk_i32 s15, 0x80
	v_and_or_b32 v2, v2, s15, v3
	global_store_byte v[4:5], v2, off
.LBB6_1099:
	s_mov_b64 s[40:41], 0
.LBB6_1100:
	s_andn2_b64 vcc, exec, s[40:41]
	s_cbranch_vccnz .LBB6_1110
; %bb.1101:
	v_cvt_f32_f64_e32 v2, v[0:1]
	v_and_b32_e32 v6, 0x7fffffff, v2
	s_mov_b32 s15, 0x47800000
	v_cmp_gt_u32_e32 vcc, s15, v6
                                        ; implicit-def: $vgpr3
	s_and_saveexec_b64 s[40:41], vcc
	s_xor_b64 s[40:41], exec, s[40:41]
	s_cbranch_execz .LBB6_1107
; %bb.1102:
	s_mov_b32 s15, 0x387fffff
	v_cmp_lt_u32_e32 vcc, s15, v6
                                        ; implicit-def: $vgpr3
	s_and_saveexec_b64 s[42:43], vcc
	s_xor_b64 s[42:43], exec, s[42:43]
; %bb.1103:
	v_bfe_u32 v3, v2, 21, 1
	s_mov_b32 s15, 0x80fffff
	v_add3_u32 v3, v2, v3, s15
	v_lshrrev_b32_e32 v3, 21, v3
; %bb.1104:
	s_andn2_saveexec_b64 s[42:43], s[42:43]
; %bb.1105:
	s_mov_b32 s15, 0x43000000
	v_add_f32_e64 v3, |v2|, s15
; %bb.1106:
	s_or_b64 exec, exec, s[42:43]
                                        ; implicit-def: $vgpr6
.LBB6_1107:
	s_andn2_saveexec_b64 s[40:41], s[40:41]
; %bb.1108:
	s_mov_b32 s15, 0x7f800000
	v_mov_b32_e32 v3, 0x7c
	v_mov_b32_e32 v7, 0x7f
	v_cmp_lt_u32_e32 vcc, s15, v6
	v_cndmask_b32_e32 v3, v3, v7, vcc
; %bb.1109:
	s_or_b64 exec, exec, s[40:41]
	v_lshrrev_b32_e32 v2, 24, v2
	s_movk_i32 s15, 0x80
	v_and_or_b32 v2, v2, s15, v3
	global_store_byte v[4:5], v2, off
.LBB6_1110:
	s_mov_b64 s[42:43], 0
	s_mov_b64 s[40:41], -1
.LBB6_1111:
	s_andn2_b64 vcc, exec, s[42:43]
	s_cbranch_vccnz .LBB6_1119
; %bb.1112:
	v_mov_b32_e32 v2, 14
	v_cmp_gt_i16_sdwa s[44:45], v18, v2 src0_sel:BYTE_0 src1_sel:DWORD
	s_mov_b64 s[42:43], -1
	s_and_b64 vcc, exec, s[44:45]
	s_cbranch_vccz .LBB6_1116
; %bb.1113:
	v_mov_b32_e32 v2, 15
	v_cmp_eq_u16_sdwa s[42:43], v18, v2 src0_sel:BYTE_0 src1_sel:DWORD
	s_mov_b64 s[0:1], -1
	s_and_b64 vcc, exec, s[42:43]
	s_cbranch_vccz .LBB6_1115
; %bb.1114:
	v_cvt_f32_f64_e32 v2, v[0:1]
	v_bfe_u32 v3, v2, 16, 1
	s_movk_i32 s0, 0x7fff
	v_add3_u32 v3, v2, v3, s0
	v_lshrrev_b32_e32 v3, 16, v3
	v_mov_b32_e32 v6, 0x7fc0
	v_cmp_o_f32_e32 vcc, v2, v2
	v_cndmask_b32_e32 v2, v6, v3, vcc
	global_store_short v[4:5], v2, off
	s_mov_b64 s[40:41], -1
	s_mov_b64 s[0:1], 0
.LBB6_1115:
	s_mov_b64 s[42:43], 0
.LBB6_1116:
	s_and_b64 vcc, exec, s[42:43]
	s_cbranch_vccz .LBB6_1119
; %bb.1117:
	v_mov_b32_e32 v2, 11
	v_cmp_eq_u16_sdwa s[42:43], v18, v2 src0_sel:BYTE_0 src1_sel:DWORD
	s_mov_b64 s[0:1], -1
	s_and_b64 vcc, exec, s[42:43]
	s_cbranch_vccz .LBB6_1119
; %bb.1118:
	v_mov_b32_e32 v2, 1
	s_mov_b64 s[40:41], -1
	s_mov_b64 s[0:1], 0
	global_store_byte v[4:5], v2, off
.LBB6_1119:
	s_mov_b64 s[42:43], 0
.LBB6_1120:
	s_and_b64 vcc, exec, s[42:43]
	s_cbranch_vccz .LBB6_1159
; %bb.1121:
	v_mov_b32_e32 v2, 5
	v_cmp_lt_i16_sdwa s[42:43], v18, v2 src0_sel:BYTE_0 src1_sel:DWORD
	s_mov_b64 s[40:41], -1
	s_and_b64 vcc, exec, s[42:43]
	s_cbranch_vccnz .LBB6_1142
; %bb.1122:
	v_mov_b32_e32 v2, 8
	v_cmp_lt_i16_sdwa s[42:43], v18, v2 src0_sel:BYTE_0 src1_sel:DWORD
	s_and_b64 vcc, exec, s[42:43]
	s_cbranch_vccnz .LBB6_1132
; %bb.1123:
	v_mov_b32_e32 v2, 9
	v_cmp_lt_i16_sdwa s[42:43], v18, v2 src0_sel:BYTE_0 src1_sel:DWORD
	s_and_b64 vcc, exec, s[42:43]
	s_cbranch_vccnz .LBB6_1129
; %bb.1124:
	v_cmp_gt_i16_sdwa s[42:43], v18, v2 src0_sel:BYTE_0 src1_sel:DWORD
	s_and_b64 vcc, exec, s[42:43]
	s_cbranch_vccz .LBB6_1126
; %bb.1125:
	v_mov_b32_e32 v2, 0
	v_mov_b32_e32 v3, v2
	s_mov_b64 s[40:41], 0
	global_store_dwordx4 v[4:5], v[0:3], off
.LBB6_1126:
	s_andn2_b64 vcc, exec, s[40:41]
	s_cbranch_vccnz .LBB6_1128
; %bb.1127:
	v_cvt_f32_f64_e32 v2, v[0:1]
	v_mov_b32_e32 v3, 0
	global_store_dwordx2 v[4:5], v[2:3], off
.LBB6_1128:
	s_mov_b64 s[40:41], 0
.LBB6_1129:
	s_andn2_b64 vcc, exec, s[40:41]
	s_cbranch_vccnz .LBB6_1131
; %bb.1130:
	v_cvt_f32_f64_e32 v2, v[0:1]
	v_cvt_f16_f32_e32 v2, v2
	global_store_dword v[4:5], v2, off
.LBB6_1131:
	s_mov_b64 s[40:41], 0
.LBB6_1132:
	s_andn2_b64 vcc, exec, s[40:41]
	s_cbranch_vccnz .LBB6_1141
; %bb.1133:
	v_mov_b32_e32 v2, 6
	v_cmp_lt_i16_sdwa s[42:43], v18, v2 src0_sel:BYTE_0 src1_sel:DWORD
	s_mov_b64 s[40:41], -1
	s_and_b64 vcc, exec, s[42:43]
	s_cbranch_vccnz .LBB6_1139
; %bb.1134:
	v_cmp_gt_i16_sdwa s[42:43], v18, v2 src0_sel:BYTE_0 src1_sel:DWORD
	s_and_b64 vcc, exec, s[42:43]
	s_cbranch_vccz .LBB6_1136
; %bb.1135:
	s_mov_b64 s[40:41], 0
	global_store_dwordx2 v[4:5], v[0:1], off
.LBB6_1136:
	s_andn2_b64 vcc, exec, s[40:41]
	s_cbranch_vccnz .LBB6_1138
; %bb.1137:
	v_cvt_f32_f64_e32 v2, v[0:1]
	global_store_dword v[4:5], v2, off
.LBB6_1138:
	s_mov_b64 s[40:41], 0
.LBB6_1139:
	s_andn2_b64 vcc, exec, s[40:41]
	s_cbranch_vccnz .LBB6_1141
; %bb.1140:
	v_cvt_f32_f64_e32 v2, v[0:1]
	v_cvt_f16_f32_e32 v2, v2
	global_store_short v[4:5], v2, off
.LBB6_1141:
	s_mov_b64 s[40:41], 0
.LBB6_1142:
	s_andn2_b64 vcc, exec, s[40:41]
	s_cbranch_vccnz .LBB6_1158
; %bb.1143:
	v_mov_b32_e32 v2, 2
	v_cmp_lt_i16_sdwa s[42:43], v18, v2 src0_sel:BYTE_0 src1_sel:DWORD
	s_mov_b64 s[40:41], -1
	s_and_b64 vcc, exec, s[42:43]
	s_cbranch_vccnz .LBB6_1153
; %bb.1144:
	v_mov_b32_e32 v2, 3
	v_cmp_lt_i16_sdwa s[42:43], v18, v2 src0_sel:BYTE_0 src1_sel:DWORD
	s_and_b64 vcc, exec, s[42:43]
	s_cbranch_vccnz .LBB6_1150
; %bb.1145:
	v_cmp_gt_i16_sdwa s[42:43], v18, v2 src0_sel:BYTE_0 src1_sel:DWORD
	s_and_b64 vcc, exec, s[42:43]
	s_cbranch_vccz .LBB6_1147
; %bb.1146:
	v_trunc_f64_e32 v[2:3], v[0:1]
	s_movk_i32 s15, 0xffe0
	v_ldexp_f64 v[6:7], v[2:3], s15
	v_floor_f64_e32 v[6:7], v[6:7]
	v_fmac_f64_e32 v[2:3], 0xc1f00000, v[6:7]
	v_cvt_i32_f64_e32 v9, v[6:7]
	v_cvt_u32_f64_e32 v8, v[2:3]
	s_mov_b64 s[40:41], 0
	global_store_dwordx2 v[4:5], v[8:9], off
.LBB6_1147:
	s_andn2_b64 vcc, exec, s[40:41]
	s_cbranch_vccnz .LBB6_1149
; %bb.1148:
	v_cvt_i32_f64_e32 v2, v[0:1]
	global_store_dword v[4:5], v2, off
.LBB6_1149:
	s_mov_b64 s[40:41], 0
.LBB6_1150:
	s_andn2_b64 vcc, exec, s[40:41]
	s_cbranch_vccnz .LBB6_1152
; %bb.1151:
	v_cvt_i32_f64_e32 v2, v[0:1]
	global_store_short v[4:5], v2, off
.LBB6_1152:
	s_mov_b64 s[40:41], 0
.LBB6_1153:
	s_andn2_b64 vcc, exec, s[40:41]
	s_cbranch_vccnz .LBB6_1158
; %bb.1154:
	v_mov_b32_e32 v2, 0
	v_cmp_gt_i16_sdwa s[42:43], v18, v2 src0_sel:BYTE_0 src1_sel:DWORD
	s_mov_b64 s[40:41], -1
	s_and_b64 vcc, exec, s[42:43]
	s_cbranch_vccz .LBB6_1156
; %bb.1155:
	v_cvt_i32_f64_e32 v2, v[0:1]
	s_mov_b64 s[40:41], 0
	global_store_byte v[4:5], v2, off
.LBB6_1156:
	s_andn2_b64 vcc, exec, s[40:41]
	s_cbranch_vccnz .LBB6_1158
; %bb.1157:
	v_trunc_f64_e32 v[0:1], v[0:1]
	s_movk_i32 s15, 0xffe0
	v_ldexp_f64 v[2:3], v[0:1], s15
	v_floor_f64_e32 v[2:3], v[2:3]
	v_fmac_f64_e32 v[0:1], 0xc1f00000, v[2:3]
	v_cvt_u32_f64_e32 v0, v[0:1]
	global_store_byte v[4:5], v0, off
.LBB6_1158:
	s_mov_b64 s[40:41], -1
.LBB6_1159:
	s_andn2_b64 vcc, exec, s[40:41]
	s_cbranch_vccnz .LBB6_1172
; %bb.1160:
	v_add_u32_e32 v19, 0x80, v19
	s_mov_b64 s[42:43], -1
.LBB6_1161:
	s_andn2_b64 s[40:41], s[28:29], exec
	s_and_b64 s[0:1], s[0:1], exec
	s_or_b64 s[40:41], s[40:41], s[0:1]
	s_andn2_b64 s[0:1], s[26:27], exec
	s_and_b64 s[38:39], s[38:39], exec
	s_or_b64 s[38:39], s[0:1], s[38:39]
	;; [unrolled: 3-line block ×3, first 2 shown]
	s_orn2_b64 s[46:47], s[42:43], exec
.LBB6_1162:
	s_or_b64 exec, exec, s[34:35]
	s_mov_b64 s[42:43], 0
	s_mov_b64 s[36:37], 0
	;; [unrolled: 1-line block ×3, first 2 shown]
                                        ; implicit-def: $vgpr4
                                        ; implicit-def: $vgpr0_vgpr1
                                        ; implicit-def: $vgpr2_vgpr3
	s_and_saveexec_b64 s[34:35], s[46:47]
	s_cbranch_execz .LBB6_1246
; %bb.1163:
	v_cmp_gt_i32_e32 vcc, s33, v19
	s_mov_b64 s[46:47], 0
	s_mov_b64 s[48:49], s[0:1]
	s_mov_b64 s[50:51], 0
	s_mov_b64 s[52:53], 0
                                        ; implicit-def: $vgpr4
                                        ; implicit-def: $vgpr0_vgpr1
                                        ; implicit-def: $vgpr2_vgpr3
	s_and_saveexec_b64 s[36:37], vcc
	s_cbranch_execz .LBB6_1245
; %bb.1164:
	s_waitcnt vmcnt(0)
	v_mul_lo_u32 v0, v19, s13
	v_ashrrev_i32_e32 v1, 31, v0
	v_mov_b32_e32 v2, s11
	v_add_co_u32_e32 v0, vcc, s10, v0
	v_addc_co_u32_e32 v1, vcc, v2, v1, vcc
	v_and_b32_e32 v4, 0xff, v16
	v_cmp_gt_i16_e32 vcc, 11, v4
	s_cbranch_vccnz .LBB6_1171
; %bb.1165:
	v_cmp_lt_i16_e32 vcc, 25, v4
	s_cbranch_vccz .LBB6_1173
; %bb.1166:
	v_cmp_lt_i16_e32 vcc, 28, v4
	s_cbranch_vccz .LBB6_1174
	;; [unrolled: 3-line block ×4, first 2 shown]
; %bb.1169:
	v_cmp_eq_u16_e32 vcc, 46, v4
	s_mov_b64 s[48:49], 0
	s_cbranch_vccz .LBB6_1179
; %bb.1170:
	global_load_dword v2, v[0:1], off
	s_mov_b64 s[46:47], -1
	s_waitcnt vmcnt(0)
	v_lshlrev_b32_e32 v2, 16, v2
	v_cvt_f64_f32_e32 v[2:3], v2
	s_branch .LBB6_1181
.LBB6_1171:
	s_mov_b64 s[48:49], -1
                                        ; implicit-def: $vgpr2_vgpr3
	s_mov_b64 s[42:43], s[0:1]
	s_branch .LBB6_1244
.LBB6_1172:
	s_mov_b64 s[42:43], 0
	s_branch .LBB6_914
.LBB6_1173:
	s_mov_b64 s[48:49], -1
	s_mov_b64 s[42:43], s[0:1]
                                        ; implicit-def: $vgpr2_vgpr3
	s_branch .LBB6_1210
.LBB6_1174:
	s_mov_b64 s[48:49], -1
	s_mov_b64 s[42:43], s[0:1]
                                        ; implicit-def: $vgpr2_vgpr3
	s_branch .LBB6_1191
.LBB6_1175:
	s_mov_b64 s[48:49], -1
	s_mov_b64 s[42:43], s[0:1]
                                        ; implicit-def: $vgpr2_vgpr3
	s_branch .LBB6_1186
.LBB6_1176:
	s_mov_b64 s[48:49], -1
	s_mov_b64 s[42:43], s[0:1]
	s_branch .LBB6_1180
.LBB6_1177:
	s_or_saveexec_b64 s[44:45], s[44:45]
                                        ; implicit-def: $sgpr15
	s_xor_b64 exec, exec, s[44:45]
	s_cbranch_execz .LBB6_1072
.LBB6_1178:
	s_mov_b32 s15, 0x46000000
	v_add_f32_e64 v3, |v2|, s15
	v_and_b32_e32 v3, 0xff, v3
	v_cmp_ne_u32_e32 vcc, 0, v3
	s_andn2_b64 s[42:43], s[42:43], exec
	s_and_b64 s[46:47], vcc, exec
	s_mov_b32 s15, 0
	s_or_b64 s[42:43], s[42:43], s[46:47]
	s_or_b64 exec, exec, s[44:45]
	v_mov_b32_e32 v6, s15
	s_and_saveexec_b64 s[44:45], s[42:43]
	s_cbranch_execnz .LBB6_1073
	s_branch .LBB6_1074
.LBB6_1179:
	s_mov_b64 s[42:43], -1
.LBB6_1180:
                                        ; implicit-def: $vgpr2_vgpr3
.LBB6_1181:
	s_and_b64 vcc, exec, s[48:49]
	s_cbranch_vccz .LBB6_1185
; %bb.1182:
	v_cmp_eq_u16_e32 vcc, 44, v4
	s_cbranch_vccz .LBB6_1184
; %bb.1183:
	global_load_ubyte v5, v[0:1], off
	s_movk_i32 s15, 0xff
	v_bfrev_b32_e32 v6, 4
	v_mov_b32_e32 v7, 0x7ff80000
	v_bfrev_b32_e32 v8, 28
	s_mov_b64 s[42:43], 0
	s_mov_b64 s[46:47], -1
	s_waitcnt vmcnt(0)
	v_lshlrev_b32_e32 v2, 23, v5
	v_cvt_f64_f32_e32 v[2:3], v2
	v_cmp_ne_u32_e32 vcc, s15, v5
	v_cndmask_b32_e32 v2, v6, v2, vcc
	v_cndmask_b32_e32 v3, v7, v3, vcc
	v_cmp_ne_u32_e32 vcc, 0, v5
	v_cndmask_b32_e32 v3, v8, v3, vcc
	v_cndmask_b32_e32 v2, 0, v2, vcc
	s_branch .LBB6_1185
.LBB6_1184:
	s_mov_b64 s[42:43], -1
                                        ; implicit-def: $vgpr2_vgpr3
.LBB6_1185:
	s_mov_b64 s[48:49], 0
.LBB6_1186:
	s_and_b64 vcc, exec, s[48:49]
	s_cbranch_vccz .LBB6_1190
; %bb.1187:
	v_cmp_eq_u16_e32 vcc, 29, v4
	s_cbranch_vccz .LBB6_1189
; %bb.1188:
	global_load_dwordx2 v[2:3], v[0:1], off
	s_mov_b64 s[42:43], 0
	s_mov_b64 s[46:47], -1
	s_mov_b64 s[48:49], 0
	s_waitcnt vmcnt(0)
	v_cvt_f64_u32_e32 v[6:7], v3
	v_cvt_f64_u32_e32 v[2:3], v2
	v_ldexp_f64 v[6:7], v[6:7], 32
	v_add_f64 v[2:3], v[6:7], v[2:3]
	s_branch .LBB6_1191
.LBB6_1189:
	s_mov_b64 s[42:43], -1
                                        ; implicit-def: $vgpr2_vgpr3
.LBB6_1190:
	s_mov_b64 s[48:49], 0
.LBB6_1191:
	s_and_b64 vcc, exec, s[48:49]
	s_cbranch_vccz .LBB6_1209
; %bb.1192:
	v_cmp_gt_i16_e32 vcc, 27, v4
	s_cbranch_vccnz .LBB6_1195
; %bb.1193:
	v_cmp_lt_i16_e32 vcc, 27, v4
	s_cbranch_vccz .LBB6_1196
; %bb.1194:
	global_load_dword v2, v[0:1], off
	s_mov_b64 s[46:47], 0
	s_waitcnt vmcnt(0)
	v_cvt_f64_u32_e32 v[2:3], v2
	s_branch .LBB6_1197
.LBB6_1195:
	s_mov_b64 s[46:47], -1
                                        ; implicit-def: $vgpr2_vgpr3
	s_branch .LBB6_1200
.LBB6_1196:
	s_mov_b64 s[46:47], -1
                                        ; implicit-def: $vgpr2_vgpr3
.LBB6_1197:
	s_andn2_b64 vcc, exec, s[46:47]
	s_cbranch_vccnz .LBB6_1199
; %bb.1198:
	global_load_ushort v2, v[0:1], off
	s_waitcnt vmcnt(0)
	v_cvt_f64_u32_e32 v[2:3], v2
.LBB6_1199:
	s_mov_b64 s[46:47], 0
.LBB6_1200:
	s_andn2_b64 vcc, exec, s[46:47]
	s_cbranch_vccnz .LBB6_1208
; %bb.1201:
	global_load_ubyte v5, v[0:1], off
	s_movk_i32 s15, 0x7f
	s_mov_b64 s[46:47], 0
                                        ; implicit-def: $sgpr48_sgpr49
	s_waitcnt vmcnt(0)
	v_cmp_lt_i16_e32 vcc, s15, v5
	s_and_saveexec_b64 s[50:51], vcc
	s_xor_b64 s[50:51], exec, s[50:51]
	s_cbranch_execz .LBB6_1222
; %bb.1202:
	s_movk_i32 s15, 0x80
	v_cmp_eq_u16_e32 vcc, s15, v5
	s_mov_b64 s[52:53], -1
                                        ; implicit-def: $sgpr48_sgpr49
	s_and_saveexec_b64 s[46:47], vcc
; %bb.1203:
	s_mov_b32 s49, 0x7ff80000
	s_brev_b32 s48, 4
	s_xor_b64 s[52:53], exec, -1
; %bb.1204:
	s_or_b64 exec, exec, s[46:47]
	s_and_b64 s[46:47], s[52:53], exec
	s_or_saveexec_b64 s[50:51], s[50:51]
	v_pk_mov_b32 v[2:3], s[48:49], s[48:49] op_sel:[0,1]
	s_xor_b64 exec, exec, s[50:51]
	s_cbranch_execnz .LBB6_1223
.LBB6_1205:
	s_or_b64 exec, exec, s[50:51]
	s_and_saveexec_b64 s[48:49], s[46:47]
	s_cbranch_execz .LBB6_1207
.LBB6_1206:
	v_and_b32_e32 v3, 0xffff, v5
	v_lshlrev_b32_e32 v2, 24, v5
	v_and_b32_e32 v5, 7, v3
	v_ffbh_u32_e32 v7, v5
	v_min_u32_e32 v7, 32, v7
	v_subrev_u32_e32 v8, 28, v7
	v_bfe_u32 v6, v3, 3, 4
	v_lshlrev_b32_e32 v3, v8, v3
	v_sub_u32_e32 v7, 29, v7
	v_and_b32_e32 v3, 7, v3
	v_cmp_eq_u32_e32 vcc, 0, v6
	v_cndmask_b32_e32 v6, v6, v7, vcc
	v_cndmask_b32_e32 v3, v5, v3, vcc
	v_mov_b32_e32 v5, 0x3b800000
	v_lshlrev_b32_e32 v3, 20, v3
	v_and_b32_e32 v2, 0x80000000, v2
	v_lshl_add_u32 v5, v6, 23, v5
	v_or3_b32 v2, v2, v5, v3
	v_cvt_f64_f32_e32 v[2:3], v2
.LBB6_1207:
	s_or_b64 exec, exec, s[48:49]
.LBB6_1208:
	s_mov_b64 s[46:47], -1
.LBB6_1209:
	s_mov_b64 s[48:49], 0
.LBB6_1210:
	s_and_b64 vcc, exec, s[48:49]
	s_cbranch_vccz .LBB6_1243
; %bb.1211:
	v_cmp_lt_i16_e32 vcc, 22, v4
	s_cbranch_vccz .LBB6_1221
; %bb.1212:
	v_cmp_gt_i16_e32 vcc, 24, v4
	s_cbranch_vccnz .LBB6_1224
; %bb.1213:
	v_cmp_lt_i16_e32 vcc, 24, v4
	s_cbranch_vccz .LBB6_1225
; %bb.1214:
	global_load_ubyte v5, v[0:1], off
	s_movk_i32 s15, 0x7f
                                        ; implicit-def: $sgpr46_sgpr47
	s_waitcnt vmcnt(0)
	v_cmp_lt_i16_e32 vcc, s15, v5
	s_and_saveexec_b64 s[48:49], vcc
	s_xor_b64 s[48:49], exec, s[48:49]
	s_cbranch_execz .LBB6_1237
; %bb.1215:
	s_movk_i32 s15, 0x80
	v_cmp_eq_u16_e32 vcc, s15, v5
	s_mov_b64 s[50:51], -1
                                        ; implicit-def: $sgpr46_sgpr47
	s_and_saveexec_b64 s[44:45], vcc
; %bb.1216:
	s_mov_b32 s47, 0x7ff80000
	s_brev_b32 s46, 4
	s_xor_b64 s[50:51], exec, -1
; %bb.1217:
	s_or_b64 exec, exec, s[44:45]
	s_and_b64 s[44:45], s[50:51], exec
	s_or_saveexec_b64 s[48:49], s[48:49]
	v_pk_mov_b32 v[2:3], s[46:47], s[46:47] op_sel:[0,1]
	s_xor_b64 exec, exec, s[48:49]
	s_cbranch_execnz .LBB6_1238
.LBB6_1218:
	s_or_b64 exec, exec, s[48:49]
	s_and_saveexec_b64 s[46:47], s[44:45]
	s_cbranch_execz .LBB6_1220
.LBB6_1219:
	v_and_b32_e32 v3, 0xffff, v5
	v_lshlrev_b32_e32 v2, 24, v5
	v_and_b32_e32 v5, 3, v3
	v_ffbh_u32_e32 v7, v5
	v_min_u32_e32 v7, 32, v7
	v_subrev_u32_e32 v8, 29, v7
	v_bfe_u32 v6, v3, 2, 5
	v_lshlrev_b32_e32 v3, v8, v3
	v_sub_u32_e32 v7, 30, v7
	v_and_b32_e32 v3, 3, v3
	v_cmp_eq_u32_e32 vcc, 0, v6
	v_cndmask_b32_e32 v6, v6, v7, vcc
	v_cndmask_b32_e32 v3, v5, v3, vcc
	v_mov_b32_e32 v5, 0x37800000
	v_lshlrev_b32_e32 v3, 21, v3
	v_and_b32_e32 v2, 0x80000000, v2
	v_lshl_add_u32 v5, v6, 23, v5
	v_or3_b32 v2, v2, v5, v3
	v_cvt_f64_f32_e32 v[2:3], v2
.LBB6_1220:
	s_or_b64 exec, exec, s[46:47]
	s_mov_b64 s[44:45], 0
	s_branch .LBB6_1226
.LBB6_1221:
	s_mov_b64 s[44:45], -1
                                        ; implicit-def: $vgpr2_vgpr3
	s_branch .LBB6_1232
.LBB6_1222:
	s_or_saveexec_b64 s[50:51], s[50:51]
	v_pk_mov_b32 v[2:3], s[48:49], s[48:49] op_sel:[0,1]
	s_xor_b64 exec, exec, s[50:51]
	s_cbranch_execz .LBB6_1205
.LBB6_1223:
	v_cmp_ne_u16_e32 vcc, 0, v5
	s_andn2_b64 s[46:47], s[46:47], exec
	s_and_b64 s[48:49], vcc, exec
	v_pk_mov_b32 v[2:3], 0, 0
	s_or_b64 s[46:47], s[46:47], s[48:49]
	s_or_b64 exec, exec, s[50:51]
	s_and_saveexec_b64 s[48:49], s[46:47]
	s_cbranch_execnz .LBB6_1206
	s_branch .LBB6_1207
.LBB6_1224:
	s_mov_b64 s[44:45], -1
                                        ; implicit-def: $vgpr2_vgpr3
	s_branch .LBB6_1229
.LBB6_1225:
	s_mov_b64 s[44:45], -1
                                        ; implicit-def: $vgpr2_vgpr3
.LBB6_1226:
	s_and_b64 vcc, exec, s[44:45]
	s_cbranch_vccz .LBB6_1228
; %bb.1227:
	global_load_ubyte v2, v[0:1], off
	s_mov_b32 s15, 0x7f800000
	s_waitcnt vmcnt(0)
	v_lshlrev_b32_e32 v2, 24, v2
	v_and_b32_e32 v3, 0x7f000000, v2
	v_ffbh_u32_e32 v5, v3
	v_min_u32_e32 v5, 32, v5
	v_sub_u32_e64 v5, v5, 4 clamp
	v_lshlrev_b32_e32 v7, v5, v3
	v_lshlrev_b32_e32 v5, 23, v5
	v_lshrrev_b32_e32 v7, 4, v7
	v_add_u32_e32 v6, 0x1000000, v3
	v_sub_u32_e32 v5, v7, v5
	v_ashrrev_i32_e32 v6, 8, v6
	v_add_u32_e32 v5, 0x3c000000, v5
	v_and_or_b32 v5, v6, s15, v5
	v_cmp_ne_u32_e32 vcc, 0, v3
	v_cndmask_b32_e32 v3, 0, v5, vcc
	s_brev_b32 s15, 1
	v_and_or_b32 v2, v2, s15, v3
	v_cvt_f64_f32_e32 v[2:3], v2
.LBB6_1228:
	s_mov_b64 s[44:45], 0
.LBB6_1229:
	s_andn2_b64 vcc, exec, s[44:45]
	s_cbranch_vccnz .LBB6_1231
; %bb.1230:
	global_load_ubyte v2, v[0:1], off
	s_movk_i32 s15, 0x7f00
	s_brev_b32 s33, 16
	s_waitcnt vmcnt(0)
	v_lshlrev_b16_e32 v3, 8, v2
	v_lshlrev_b32_e32 v2, 25, v2
	v_lshrrev_b32_e32 v5, 4, v2
	v_and_or_b32 v6, v3, s15, 0.5
	v_or_b32_e32 v5, 0x70000000, v5
	v_add_f32_e32 v6, -0.5, v6
	v_mul_f32_e32 v5, 0x7800000, v5
	v_cmp_gt_u32_e32 vcc, s33, v2
	v_bfe_i32 v3, v3, 0, 16
	v_cndmask_b32_e32 v2, v5, v6, vcc
	s_brev_b32 s15, 1
	v_and_or_b32 v2, v3, s15, v2
	v_cvt_f64_f32_e32 v[2:3], v2
.LBB6_1231:
	s_mov_b64 s[44:45], 0
	s_mov_b64 s[46:47], -1
.LBB6_1232:
	s_andn2_b64 vcc, exec, s[44:45]
	s_mov_b64 s[44:45], 0
	s_cbranch_vccnz .LBB6_1243
; %bb.1233:
	v_cmp_lt_i16_e32 vcc, 14, v4
	s_cbranch_vccz .LBB6_1236
; %bb.1234:
	v_cmp_eq_u16_e32 vcc, 15, v4
	s_cbranch_vccz .LBB6_1239
; %bb.1235:
	global_load_ushort v2, v[0:1], off
	s_mov_b64 s[42:43], 0
	s_mov_b64 s[46:47], -1
	s_waitcnt vmcnt(0)
	v_lshlrev_b32_e32 v2, 16, v2
	v_cvt_f64_f32_e32 v[2:3], v2
	s_branch .LBB6_1240
.LBB6_1236:
	s_mov_b64 s[48:49], -1
                                        ; implicit-def: $vgpr2_vgpr3
	s_branch .LBB6_1241
.LBB6_1237:
	s_or_saveexec_b64 s[48:49], s[48:49]
	v_pk_mov_b32 v[2:3], s[46:47], s[46:47] op_sel:[0,1]
	s_xor_b64 exec, exec, s[48:49]
	s_cbranch_execz .LBB6_1218
.LBB6_1238:
	v_cmp_ne_u16_e32 vcc, 0, v5
	s_andn2_b64 s[44:45], s[44:45], exec
	s_and_b64 s[46:47], vcc, exec
	v_pk_mov_b32 v[2:3], 0, 0
	s_or_b64 s[44:45], s[44:45], s[46:47]
	s_or_b64 exec, exec, s[48:49]
	s_and_saveexec_b64 s[46:47], s[44:45]
	s_cbranch_execnz .LBB6_1219
	s_branch .LBB6_1220
.LBB6_1239:
	s_mov_b64 s[42:43], -1
                                        ; implicit-def: $vgpr2_vgpr3
.LBB6_1240:
	s_mov_b64 s[48:49], 0
.LBB6_1241:
	s_and_b64 vcc, exec, s[48:49]
	s_cbranch_vccz .LBB6_1243
; %bb.1242:
	v_cmp_ne_u16_e32 vcc, 11, v4
	s_andn2_b64 s[42:43], s[42:43], exec
	s_and_b64 s[48:49], vcc, exec
	s_mov_b64 s[44:45], -1
	s_or_b64 s[42:43], s[42:43], s[48:49]
                                        ; implicit-def: $vgpr2_vgpr3
.LBB6_1243:
	s_mov_b64 s[48:49], 0
.LBB6_1244:
	s_and_b64 s[52:53], s[46:47], exec
	s_and_b64 s[46:47], s[44:45], exec
	s_andn2_b64 s[44:45], s[0:1], exec
	s_and_b64 s[42:43], s[42:43], exec
	s_and_b64 s[50:51], s[48:49], exec
	s_or_b64 s[48:49], s[44:45], s[42:43]
.LBB6_1245:
	s_or_b64 exec, exec, s[36:37]
	s_and_b64 s[42:43], s[46:47], exec
	s_andn2_b64 s[0:1], s[0:1], exec
	s_and_b64 s[46:47], s[48:49], exec
	s_and_b64 s[44:45], s[52:53], exec
	s_and_b64 s[36:37], s[50:51], exec
	s_or_b64 s[0:1], s[0:1], s[46:47]
.LBB6_1246:
	s_or_b64 exec, exec, s[34:35]
	s_andn2_b64 s[28:29], s[28:29], exec
	s_and_b64 s[34:35], s[40:41], exec
	s_or_b64 s[28:29], s[28:29], s[34:35]
	s_andn2_b64 s[26:27], s[26:27], exec
	s_and_b64 s[34:35], s[38:39], exec
	s_andn2_b64 s[24:25], s[24:25], exec
	s_and_b64 s[0:1], s[0:1], exec
	s_or_b64 s[26:27], s[26:27], s[34:35]
	s_and_b64 s[38:39], s[44:45], exec
	s_and_b64 s[36:37], s[36:37], exec
	;; [unrolled: 1-line block ×3, first 2 shown]
	s_or_b64 s[24:25], s[24:25], s[0:1]
.LBB6_1247:
	s_or_b64 exec, exec, s[30:31]
	s_andn2_b64 s[0:1], s[6:7], exec
	s_and_b64 s[6:7], s[28:29], exec
	s_or_b64 s[6:7], s[0:1], s[6:7]
	s_andn2_b64 s[0:1], s[18:19], exec
	s_and_b64 s[18:19], s[26:27], exec
	s_or_b64 s[18:19], s[0:1], s[18:19]
	s_andn2_b64 s[0:1], s[20:21], exec
	s_and_b64 s[20:21], s[24:25], exec
	s_and_b64 s[28:29], s[38:39], exec
	;; [unrolled: 1-line block ×4, first 2 shown]
	s_or_b64 s[20:21], s[0:1], s[20:21]
	s_or_b64 exec, exec, s[22:23]
	s_mov_b64 s[22:23], 0
	s_and_saveexec_b64 s[0:1], s[20:21]
	s_cbranch_execz .LBB6_393
.LBB6_1248:
	s_mov_b64 s[22:23], exec
	s_andn2_b64 s[26:27], s[26:27], exec
	s_trap 2
                                        ; implicit-def: $vgpr2_vgpr3
	s_or_b64 exec, exec, s[0:1]
	s_and_saveexec_b64 s[0:1], s[26:27]
	s_xor_b64 s[0:1], exec, s[0:1]
	s_cbranch_execnz .LBB6_394
.LBB6_1249:
	s_or_b64 exec, exec, s[0:1]
	s_and_saveexec_b64 s[0:1], s[30:31]
	s_cbranch_execz .LBB6_1295
.LBB6_1250:
	s_waitcnt vmcnt(0)
	v_cmp_gt_i16_e32 vcc, 5, v4
	s_cbranch_vccnz .LBB6_1255
; %bb.1251:
	v_cmp_gt_i16_e32 vcc, 8, v4
	s_cbranch_vccnz .LBB6_1256
; %bb.1252:
	;; [unrolled: 3-line block ×3, first 2 shown]
	v_cmp_lt_i16_e32 vcc, 9, v4
	s_cbranch_vccz .LBB6_1258
; %bb.1254:
	global_load_dwordx2 v[2:3], v[0:1], off
	s_mov_b64 s[20:21], 0
	s_branch .LBB6_1259
.LBB6_1255:
                                        ; implicit-def: $vgpr2_vgpr3
	s_branch .LBB6_1276
.LBB6_1256:
                                        ; implicit-def: $vgpr2_vgpr3
	s_branch .LBB6_1265
.LBB6_1257:
	s_mov_b64 s[20:21], -1
                                        ; implicit-def: $vgpr2_vgpr3
	s_branch .LBB6_1262
.LBB6_1258:
	s_mov_b64 s[20:21], -1
                                        ; implicit-def: $vgpr2_vgpr3
.LBB6_1259:
	s_andn2_b64 vcc, exec, s[20:21]
	s_cbranch_vccnz .LBB6_1261
; %bb.1260:
	global_load_dword v2, v[0:1], off
	s_waitcnt vmcnt(0)
	v_cvt_f64_f32_e32 v[2:3], v2
.LBB6_1261:
	s_mov_b64 s[20:21], 0
.LBB6_1262:
	s_andn2_b64 vcc, exec, s[20:21]
	s_cbranch_vccnz .LBB6_1264
; %bb.1263:
	global_load_dword v2, v[0:1], off
	s_waitcnt vmcnt(0)
	v_cvt_f32_f16_e32 v2, v2
	v_cvt_f64_f32_e32 v[2:3], v2
.LBB6_1264:
	s_cbranch_execnz .LBB6_1275
.LBB6_1265:
	v_cmp_gt_i16_e32 vcc, 6, v4
	s_cbranch_vccnz .LBB6_1268
; %bb.1266:
	v_cmp_lt_i16_e32 vcc, 6, v4
	s_cbranch_vccz .LBB6_1269
; %bb.1267:
	global_load_dwordx2 v[2:3], v[0:1], off
	s_mov_b64 s[20:21], 0
	s_branch .LBB6_1270
.LBB6_1268:
	s_mov_b64 s[20:21], -1
                                        ; implicit-def: $vgpr2_vgpr3
	s_branch .LBB6_1273
.LBB6_1269:
	s_mov_b64 s[20:21], -1
                                        ; implicit-def: $vgpr2_vgpr3
.LBB6_1270:
	s_andn2_b64 vcc, exec, s[20:21]
	s_cbranch_vccnz .LBB6_1272
; %bb.1271:
	global_load_dword v2, v[0:1], off
	s_waitcnt vmcnt(0)
	v_cvt_f64_f32_e32 v[2:3], v2
.LBB6_1272:
	s_mov_b64 s[20:21], 0
.LBB6_1273:
	s_andn2_b64 vcc, exec, s[20:21]
	s_cbranch_vccnz .LBB6_1275
; %bb.1274:
	global_load_ushort v2, v[0:1], off
	s_waitcnt vmcnt(0)
	v_cvt_f32_f16_e32 v2, v2
	v_cvt_f64_f32_e32 v[2:3], v2
.LBB6_1275:
	s_cbranch_execnz .LBB6_1294
.LBB6_1276:
	v_cmp_gt_i16_e32 vcc, 2, v4
	s_cbranch_vccnz .LBB6_1280
; %bb.1277:
	v_cmp_gt_i16_e32 vcc, 3, v4
	s_cbranch_vccnz .LBB6_1281
; %bb.1278:
	v_cmp_lt_i16_e32 vcc, 3, v4
	s_cbranch_vccz .LBB6_1282
; %bb.1279:
	global_load_dwordx2 v[2:3], v[0:1], off
	s_mov_b64 s[20:21], 0
	s_waitcnt vmcnt(0)
	v_cvt_f64_i32_e32 v[6:7], v3
	v_cvt_f64_u32_e32 v[2:3], v2
	v_ldexp_f64 v[6:7], v[6:7], 32
	v_add_f64 v[2:3], v[6:7], v[2:3]
	s_branch .LBB6_1283
.LBB6_1280:
                                        ; implicit-def: $vgpr2_vgpr3
	s_branch .LBB6_1289
.LBB6_1281:
	s_mov_b64 s[20:21], -1
                                        ; implicit-def: $vgpr2_vgpr3
	s_branch .LBB6_1286
.LBB6_1282:
	s_mov_b64 s[20:21], -1
                                        ; implicit-def: $vgpr2_vgpr3
.LBB6_1283:
	s_andn2_b64 vcc, exec, s[20:21]
	s_cbranch_vccnz .LBB6_1285
; %bb.1284:
	global_load_dword v2, v[0:1], off
	s_waitcnt vmcnt(0)
	v_cvt_f64_i32_e32 v[2:3], v2
.LBB6_1285:
	s_mov_b64 s[20:21], 0
.LBB6_1286:
	s_andn2_b64 vcc, exec, s[20:21]
	s_cbranch_vccnz .LBB6_1288
; %bb.1287:
	global_load_sshort v2, v[0:1], off
	s_waitcnt vmcnt(0)
	v_cvt_f64_i32_e32 v[2:3], v2
.LBB6_1288:
	s_cbranch_execnz .LBB6_1294
.LBB6_1289:
	v_cmp_lt_i16_e32 vcc, 0, v4
	s_cbranch_vccz .LBB6_1291
; %bb.1290:
	global_load_sbyte v2, v[0:1], off
	s_mov_b64 s[20:21], 0
	s_waitcnt vmcnt(0)
	v_cvt_f64_i32_e32 v[2:3], v2
	s_branch .LBB6_1292
.LBB6_1291:
	s_mov_b64 s[20:21], -1
                                        ; implicit-def: $vgpr2_vgpr3
.LBB6_1292:
	s_andn2_b64 vcc, exec, s[20:21]
	s_cbranch_vccnz .LBB6_1294
; %bb.1293:
	global_load_ubyte v0, v[0:1], off
	s_waitcnt vmcnt(0)
	v_cvt_f64_u32_e32 v[2:3], v0
.LBB6_1294:
	s_or_b64 s[28:29], s[28:29], exec
.LBB6_1295:
	s_or_b64 exec, exec, s[0:1]
	s_mov_b64 s[24:25], 0
	s_mov_b64 s[30:31], 0
	;; [unrolled: 1-line block ×3, first 2 shown]
                                        ; implicit-def: $vgpr4
                                        ; implicit-def: $vgpr0_vgpr1
                                        ; implicit-def: $vgpr6_vgpr7
	s_and_saveexec_b64 s[0:1], s[28:29]
	s_cbranch_execz .LBB6_1303
; %bb.1296:
	s_waitcnt vmcnt(0)
	v_mul_lo_u32 v0, v19, s14
	v_ashrrev_i32_e32 v1, 31, v0
	v_mov_b32_e32 v4, s3
	v_add_co_u32_e32 v0, vcc, s2, v0
	v_addc_co_u32_e32 v1, vcc, v4, v1, vcc
	v_and_b32_e32 v4, 0xff, v20
	v_cmp_gt_i16_e32 vcc, 11, v4
	s_cbranch_vccnz .LBB6_1306
; %bb.1297:
	v_cmp_lt_i16_e32 vcc, 25, v4
	s_cbranch_vccz .LBB6_1307
; %bb.1298:
	v_cmp_lt_i16_e32 vcc, 28, v4
	s_cbranch_vccz .LBB6_1308
	;; [unrolled: 3-line block ×4, first 2 shown]
; %bb.1301:
	v_cmp_eq_u16_e32 vcc, 46, v4
	s_mov_b64 s[28:29], 0
	s_cbranch_vccz .LBB6_1311
; %bb.1302:
	global_load_dword v5, v[0:1], off
	s_mov_b64 s[20:21], 0
	s_mov_b64 s[26:27], -1
	s_waitcnt vmcnt(0)
	v_lshlrev_b32_e32 v5, 16, v5
	v_cvt_f64_f32_e32 v[6:7], v5
	s_branch .LBB6_1313
.LBB6_1303:
	s_or_b64 exec, exec, s[0:1]
	s_and_saveexec_b64 s[0:1], s[18:19]
	s_cbranch_execnz .LBB6_1376
.LBB6_1304:
	s_or_b64 exec, exec, s[0:1]
	s_and_saveexec_b64 s[0:1], s[24:25]
	s_xor_b64 s[0:1], exec, s[0:1]
	s_cbranch_execz .LBB6_1377
.LBB6_1305:
	s_waitcnt vmcnt(0)
	global_load_ubyte v5, v[0:1], off
	v_mov_b32_e32 v7, 0x3ff00000
	v_mov_b32_e32 v6, 0
	s_or_b64 s[26:27], s[26:27], exec
	s_waitcnt vmcnt(0)
	v_cmp_ne_u16_e32 vcc, 0, v5
	v_cndmask_b32_e32 v7, 0, v7, vcc
	s_or_b64 exec, exec, s[0:1]
	s_and_saveexec_b64 s[0:1], s[30:31]
	s_cbranch_execz .LBB6_1423
	s_branch .LBB6_1378
.LBB6_1306:
	s_mov_b64 s[28:29], -1
                                        ; implicit-def: $vgpr6_vgpr7
	s_mov_b64 s[20:21], s[18:19]
	s_branch .LBB6_1375
.LBB6_1307:
	s_mov_b64 s[20:21], s[18:19]
                                        ; implicit-def: $vgpr6_vgpr7
	s_cbranch_execnz .LBB6_1342
	s_branch .LBB6_1374
.LBB6_1308:
	s_mov_b64 s[28:29], -1
	s_mov_b64 s[20:21], s[18:19]
                                        ; implicit-def: $vgpr6_vgpr7
	s_branch .LBB6_1323
.LBB6_1309:
	s_mov_b64 s[28:29], -1
	s_mov_b64 s[20:21], s[18:19]
                                        ; implicit-def: $vgpr6_vgpr7
	s_branch .LBB6_1318
.LBB6_1310:
	s_mov_b64 s[28:29], -1
	s_mov_b64 s[20:21], s[18:19]
	s_branch .LBB6_1312
.LBB6_1311:
	s_mov_b64 s[20:21], -1
.LBB6_1312:
                                        ; implicit-def: $vgpr6_vgpr7
.LBB6_1313:
	s_and_b64 vcc, exec, s[28:29]
	s_cbranch_vccz .LBB6_1317
; %bb.1314:
	v_cmp_eq_u16_e32 vcc, 44, v4
	s_cbranch_vccz .LBB6_1316
; %bb.1315:
	global_load_ubyte v5, v[0:1], off
	s_movk_i32 s15, 0xff
	v_bfrev_b32_e32 v8, 4
	v_mov_b32_e32 v9, 0x7ff80000
	v_bfrev_b32_e32 v10, 28
	s_mov_b64 s[20:21], 0
	s_mov_b64 s[26:27], -1
	s_waitcnt vmcnt(0)
	v_lshlrev_b32_e32 v6, 23, v5
	v_cvt_f64_f32_e32 v[6:7], v6
	v_cmp_ne_u32_e32 vcc, s15, v5
	v_cndmask_b32_e32 v6, v8, v6, vcc
	v_cndmask_b32_e32 v7, v9, v7, vcc
	v_cmp_ne_u32_e32 vcc, 0, v5
	v_cndmask_b32_e32 v7, v10, v7, vcc
	v_cndmask_b32_e32 v6, 0, v6, vcc
	s_branch .LBB6_1317
.LBB6_1316:
	s_mov_b64 s[20:21], -1
                                        ; implicit-def: $vgpr6_vgpr7
.LBB6_1317:
	s_mov_b64 s[28:29], 0
.LBB6_1318:
	s_and_b64 vcc, exec, s[28:29]
	s_cbranch_vccz .LBB6_1322
; %bb.1319:
	v_cmp_eq_u16_e32 vcc, 29, v4
	s_cbranch_vccz .LBB6_1321
; %bb.1320:
	global_load_dwordx2 v[6:7], v[0:1], off
	s_mov_b64 s[20:21], 0
	s_mov_b64 s[26:27], -1
	s_mov_b64 s[28:29], 0
	s_waitcnt vmcnt(0)
	v_cvt_f64_u32_e32 v[8:9], v7
	v_cvt_f64_u32_e32 v[6:7], v6
	v_ldexp_f64 v[8:9], v[8:9], 32
	v_add_f64 v[6:7], v[8:9], v[6:7]
	s_branch .LBB6_1323
.LBB6_1321:
	s_mov_b64 s[20:21], -1
                                        ; implicit-def: $vgpr6_vgpr7
.LBB6_1322:
	s_mov_b64 s[28:29], 0
.LBB6_1323:
	s_and_b64 vcc, exec, s[28:29]
	s_cbranch_vccz .LBB6_1341
; %bb.1324:
	v_cmp_gt_i16_e32 vcc, 27, v4
	s_cbranch_vccnz .LBB6_1327
; %bb.1325:
	v_cmp_lt_i16_e32 vcc, 27, v4
	s_cbranch_vccz .LBB6_1328
; %bb.1326:
	global_load_dword v5, v[0:1], off
	s_mov_b64 s[26:27], 0
	s_waitcnt vmcnt(0)
	v_cvt_f64_u32_e32 v[6:7], v5
	s_branch .LBB6_1329
.LBB6_1327:
	s_mov_b64 s[26:27], -1
                                        ; implicit-def: $vgpr6_vgpr7
	s_branch .LBB6_1332
.LBB6_1328:
	s_mov_b64 s[26:27], -1
                                        ; implicit-def: $vgpr6_vgpr7
.LBB6_1329:
	s_andn2_b64 vcc, exec, s[26:27]
	s_cbranch_vccnz .LBB6_1331
; %bb.1330:
	global_load_ushort v5, v[0:1], off
	s_waitcnt vmcnt(0)
	v_cvt_f64_u32_e32 v[6:7], v5
.LBB6_1331:
	s_mov_b64 s[26:27], 0
.LBB6_1332:
	s_andn2_b64 vcc, exec, s[26:27]
	s_cbranch_vccnz .LBB6_1340
; %bb.1333:
	global_load_ubyte v5, v[0:1], off
	s_movk_i32 s15, 0x7f
	s_mov_b64 s[26:27], 0
                                        ; implicit-def: $sgpr28_sgpr29
	s_waitcnt vmcnt(0)
	v_cmp_lt_i16_e32 vcc, s15, v5
	s_and_saveexec_b64 s[30:31], vcc
	s_xor_b64 s[30:31], exec, s[30:31]
	s_cbranch_execz .LBB6_1353
; %bb.1334:
	s_movk_i32 s15, 0x80
	v_cmp_eq_u16_e32 vcc, s15, v5
	s_mov_b64 s[34:35], -1
                                        ; implicit-def: $sgpr28_sgpr29
	s_and_saveexec_b64 s[26:27], vcc
; %bb.1335:
	s_mov_b32 s29, 0x7ff80000
	s_brev_b32 s28, 4
	s_xor_b64 s[34:35], exec, -1
; %bb.1336:
	s_or_b64 exec, exec, s[26:27]
	s_and_b64 s[26:27], s[34:35], exec
	s_or_saveexec_b64 s[30:31], s[30:31]
	v_pk_mov_b32 v[6:7], s[28:29], s[28:29] op_sel:[0,1]
	s_xor_b64 exec, exec, s[30:31]
	s_cbranch_execnz .LBB6_1354
.LBB6_1337:
	s_or_b64 exec, exec, s[30:31]
	s_and_saveexec_b64 s[28:29], s[26:27]
	s_cbranch_execz .LBB6_1339
.LBB6_1338:
	v_lshlrev_b32_e32 v6, 24, v5
	v_and_b32_e32 v5, 0xffff, v5
	v_and_b32_e32 v7, 7, v5
	v_ffbh_u32_e32 v9, v7
	v_min_u32_e32 v9, 32, v9
	v_subrev_u32_e32 v10, 28, v9
	v_bfe_u32 v8, v5, 3, 4
	v_lshlrev_b32_e32 v5, v10, v5
	v_sub_u32_e32 v9, 29, v9
	v_and_b32_e32 v5, 7, v5
	v_cmp_eq_u32_e32 vcc, 0, v8
	v_cndmask_b32_e32 v8, v8, v9, vcc
	v_cndmask_b32_e32 v5, v7, v5, vcc
	v_mov_b32_e32 v7, 0x3b800000
	v_lshlrev_b32_e32 v5, 20, v5
	v_and_b32_e32 v6, 0x80000000, v6
	v_lshl_add_u32 v7, v8, 23, v7
	v_or3_b32 v5, v6, v7, v5
	v_cvt_f64_f32_e32 v[6:7], v5
.LBB6_1339:
	s_or_b64 exec, exec, s[28:29]
.LBB6_1340:
	s_mov_b64 s[26:27], -1
.LBB6_1341:
	s_branch .LBB6_1374
.LBB6_1342:
	v_cmp_lt_i16_e32 vcc, 22, v4
	s_cbranch_vccz .LBB6_1352
; %bb.1343:
	v_cmp_gt_i16_e32 vcc, 24, v4
	s_cbranch_vccnz .LBB6_1355
; %bb.1344:
	v_cmp_lt_i16_e32 vcc, 24, v4
	s_cbranch_vccz .LBB6_1356
; %bb.1345:
	global_load_ubyte v5, v[0:1], off
	s_movk_i32 s15, 0x7f
                                        ; implicit-def: $sgpr26_sgpr27
	s_waitcnt vmcnt(0)
	v_cmp_lt_i16_e32 vcc, s15, v5
	s_and_saveexec_b64 s[28:29], vcc
	s_xor_b64 s[28:29], exec, s[28:29]
	s_cbranch_execz .LBB6_1368
; %bb.1346:
	s_movk_i32 s15, 0x80
	v_cmp_eq_u16_e32 vcc, s15, v5
	s_mov_b64 s[30:31], -1
                                        ; implicit-def: $sgpr26_sgpr27
	s_and_saveexec_b64 s[24:25], vcc
; %bb.1347:
	s_mov_b32 s27, 0x7ff80000
	s_brev_b32 s26, 4
	s_xor_b64 s[30:31], exec, -1
; %bb.1348:
	s_or_b64 exec, exec, s[24:25]
	s_and_b64 s[24:25], s[30:31], exec
	s_or_saveexec_b64 s[28:29], s[28:29]
	v_pk_mov_b32 v[6:7], s[26:27], s[26:27] op_sel:[0,1]
	s_xor_b64 exec, exec, s[28:29]
	s_cbranch_execnz .LBB6_1369
.LBB6_1349:
	s_or_b64 exec, exec, s[28:29]
	s_and_saveexec_b64 s[26:27], s[24:25]
	s_cbranch_execz .LBB6_1351
.LBB6_1350:
	v_lshlrev_b32_e32 v6, 24, v5
	v_and_b32_e32 v5, 0xffff, v5
	v_and_b32_e32 v7, 3, v5
	v_ffbh_u32_e32 v9, v7
	v_min_u32_e32 v9, 32, v9
	v_subrev_u32_e32 v10, 29, v9
	v_bfe_u32 v8, v5, 2, 5
	v_lshlrev_b32_e32 v5, v10, v5
	v_sub_u32_e32 v9, 30, v9
	v_and_b32_e32 v5, 3, v5
	v_cmp_eq_u32_e32 vcc, 0, v8
	v_cndmask_b32_e32 v8, v8, v9, vcc
	v_cndmask_b32_e32 v5, v7, v5, vcc
	v_mov_b32_e32 v7, 0x37800000
	v_lshlrev_b32_e32 v5, 21, v5
	v_and_b32_e32 v6, 0x80000000, v6
	v_lshl_add_u32 v7, v8, 23, v7
	v_or3_b32 v5, v6, v7, v5
	v_cvt_f64_f32_e32 v[6:7], v5
.LBB6_1351:
	s_or_b64 exec, exec, s[26:27]
	s_mov_b64 s[24:25], 0
	s_branch .LBB6_1357
.LBB6_1352:
	s_mov_b64 s[24:25], -1
                                        ; implicit-def: $vgpr6_vgpr7
	s_branch .LBB6_1363
.LBB6_1353:
	s_or_saveexec_b64 s[30:31], s[30:31]
	v_pk_mov_b32 v[6:7], s[28:29], s[28:29] op_sel:[0,1]
	s_xor_b64 exec, exec, s[30:31]
	s_cbranch_execz .LBB6_1337
.LBB6_1354:
	v_cmp_ne_u16_e32 vcc, 0, v5
	s_andn2_b64 s[26:27], s[26:27], exec
	s_and_b64 s[28:29], vcc, exec
	v_pk_mov_b32 v[6:7], 0, 0
	s_or_b64 s[26:27], s[26:27], s[28:29]
	s_or_b64 exec, exec, s[30:31]
	s_and_saveexec_b64 s[28:29], s[26:27]
	s_cbranch_execnz .LBB6_1338
	s_branch .LBB6_1339
.LBB6_1355:
	s_mov_b64 s[24:25], -1
                                        ; implicit-def: $vgpr6_vgpr7
	s_branch .LBB6_1360
.LBB6_1356:
	s_mov_b64 s[24:25], -1
                                        ; implicit-def: $vgpr6_vgpr7
.LBB6_1357:
	s_and_b64 vcc, exec, s[24:25]
	s_cbranch_vccz .LBB6_1359
; %bb.1358:
	global_load_ubyte v5, v[0:1], off
	s_mov_b32 s15, 0x7f800000
	s_waitcnt vmcnt(0)
	v_lshlrev_b32_e32 v5, 24, v5
	v_and_b32_e32 v6, 0x7f000000, v5
	v_ffbh_u32_e32 v7, v6
	v_min_u32_e32 v7, 32, v7
	v_sub_u32_e64 v7, v7, 4 clamp
	v_lshlrev_b32_e32 v9, v7, v6
	v_lshlrev_b32_e32 v7, 23, v7
	v_lshrrev_b32_e32 v9, 4, v9
	v_add_u32_e32 v8, 0x1000000, v6
	v_sub_u32_e32 v7, v9, v7
	v_ashrrev_i32_e32 v8, 8, v8
	v_add_u32_e32 v7, 0x3c000000, v7
	v_and_or_b32 v7, v8, s15, v7
	v_cmp_ne_u32_e32 vcc, 0, v6
	v_cndmask_b32_e32 v6, 0, v7, vcc
	s_brev_b32 s15, 1
	v_and_or_b32 v5, v5, s15, v6
	v_cvt_f64_f32_e32 v[6:7], v5
.LBB6_1359:
	s_mov_b64 s[24:25], 0
.LBB6_1360:
	s_andn2_b64 vcc, exec, s[24:25]
	s_cbranch_vccnz .LBB6_1362
; %bb.1361:
	global_load_ubyte v5, v[0:1], off
	s_movk_i32 s15, 0x7f00
	s_brev_b32 s24, 16
	s_waitcnt vmcnt(0)
	v_lshlrev_b16_e32 v6, 8, v5
	v_lshlrev_b32_e32 v5, 25, v5
	v_lshrrev_b32_e32 v7, 4, v5
	v_and_or_b32 v8, v6, s15, 0.5
	v_or_b32_e32 v7, 0x70000000, v7
	v_add_f32_e32 v8, -0.5, v8
	v_mul_f32_e32 v7, 0x7800000, v7
	v_cmp_gt_u32_e32 vcc, s24, v5
	v_bfe_i32 v6, v6, 0, 16
	v_cndmask_b32_e32 v5, v7, v8, vcc
	s_brev_b32 s15, 1
	v_and_or_b32 v5, v6, s15, v5
	v_cvt_f64_f32_e32 v[6:7], v5
.LBB6_1362:
	s_mov_b64 s[24:25], 0
	s_mov_b64 s[26:27], -1
.LBB6_1363:
	s_andn2_b64 vcc, exec, s[24:25]
	s_mov_b64 s[24:25], 0
	s_cbranch_vccnz .LBB6_1374
; %bb.1364:
	v_cmp_lt_i16_e32 vcc, 14, v4
	s_cbranch_vccz .LBB6_1367
; %bb.1365:
	v_cmp_eq_u16_e32 vcc, 15, v4
	s_cbranch_vccz .LBB6_1370
; %bb.1366:
	global_load_ushort v5, v[0:1], off
	s_mov_b64 s[20:21], 0
	s_mov_b64 s[26:27], -1
	s_waitcnt vmcnt(0)
	v_lshlrev_b32_e32 v5, 16, v5
	v_cvt_f64_f32_e32 v[6:7], v5
	s_branch .LBB6_1371
.LBB6_1367:
	s_mov_b64 s[28:29], -1
                                        ; implicit-def: $vgpr6_vgpr7
	s_branch .LBB6_1372
.LBB6_1368:
	s_or_saveexec_b64 s[28:29], s[28:29]
	v_pk_mov_b32 v[6:7], s[26:27], s[26:27] op_sel:[0,1]
	s_xor_b64 exec, exec, s[28:29]
	s_cbranch_execz .LBB6_1349
.LBB6_1369:
	v_cmp_ne_u16_e32 vcc, 0, v5
	s_andn2_b64 s[24:25], s[24:25], exec
	s_and_b64 s[26:27], vcc, exec
	v_pk_mov_b32 v[6:7], 0, 0
	s_or_b64 s[24:25], s[24:25], s[26:27]
	s_or_b64 exec, exec, s[28:29]
	s_and_saveexec_b64 s[26:27], s[24:25]
	s_cbranch_execnz .LBB6_1350
	s_branch .LBB6_1351
.LBB6_1370:
	s_mov_b64 s[20:21], -1
                                        ; implicit-def: $vgpr6_vgpr7
.LBB6_1371:
	s_mov_b64 s[28:29], 0
.LBB6_1372:
	s_and_b64 vcc, exec, s[28:29]
	s_cbranch_vccz .LBB6_1374
; %bb.1373:
	v_cmp_ne_u16_e32 vcc, 11, v4
	s_andn2_b64 s[20:21], s[20:21], exec
	s_and_b64 s[28:29], vcc, exec
	s_mov_b64 s[24:25], -1
	s_or_b64 s[20:21], s[20:21], s[28:29]
                                        ; implicit-def: $vgpr6_vgpr7
.LBB6_1374:
	s_mov_b64 s[28:29], 0
.LBB6_1375:
	s_andn2_b64 s[18:19], s[18:19], exec
	s_and_b64 s[20:21], s[20:21], exec
	s_and_b64 s[26:27], s[26:27], exec
	;; [unrolled: 1-line block ×4, first 2 shown]
	s_or_b64 s[18:19], s[18:19], s[20:21]
	s_or_b64 exec, exec, s[0:1]
	s_and_saveexec_b64 s[0:1], s[18:19]
	s_cbranch_execz .LBB6_1304
.LBB6_1376:
	s_or_b64 s[22:23], s[22:23], exec
	s_andn2_b64 s[24:25], s[24:25], exec
	s_trap 2
                                        ; implicit-def: $vgpr6_vgpr7
	s_or_b64 exec, exec, s[0:1]
	s_and_saveexec_b64 s[0:1], s[24:25]
	s_xor_b64 s[0:1], exec, s[0:1]
	s_cbranch_execnz .LBB6_1305
.LBB6_1377:
	s_or_b64 exec, exec, s[0:1]
	s_and_saveexec_b64 s[0:1], s[30:31]
	s_cbranch_execz .LBB6_1423
.LBB6_1378:
	s_waitcnt vmcnt(0)
	v_cmp_gt_i16_e32 vcc, 5, v4
	s_cbranch_vccnz .LBB6_1383
; %bb.1379:
	v_cmp_gt_i16_e32 vcc, 8, v4
	s_cbranch_vccnz .LBB6_1384
; %bb.1380:
	;; [unrolled: 3-line block ×3, first 2 shown]
	v_cmp_lt_i16_e32 vcc, 9, v4
	s_cbranch_vccz .LBB6_1386
; %bb.1382:
	global_load_dwordx2 v[6:7], v[0:1], off
	s_mov_b64 s[18:19], 0
	s_branch .LBB6_1387
.LBB6_1383:
                                        ; implicit-def: $vgpr6_vgpr7
	s_branch .LBB6_1404
.LBB6_1384:
                                        ; implicit-def: $vgpr6_vgpr7
	s_branch .LBB6_1393
.LBB6_1385:
	s_mov_b64 s[18:19], -1
                                        ; implicit-def: $vgpr6_vgpr7
	s_branch .LBB6_1390
.LBB6_1386:
	s_mov_b64 s[18:19], -1
                                        ; implicit-def: $vgpr6_vgpr7
.LBB6_1387:
	s_andn2_b64 vcc, exec, s[18:19]
	s_cbranch_vccnz .LBB6_1389
; %bb.1388:
	global_load_dword v5, v[0:1], off
	s_waitcnt vmcnt(0)
	v_cvt_f64_f32_e32 v[6:7], v5
.LBB6_1389:
	s_mov_b64 s[18:19], 0
.LBB6_1390:
	s_andn2_b64 vcc, exec, s[18:19]
	s_cbranch_vccnz .LBB6_1392
; %bb.1391:
	global_load_dword v5, v[0:1], off
	s_waitcnt vmcnt(0)
	v_cvt_f32_f16_e32 v5, v5
	v_cvt_f64_f32_e32 v[6:7], v5
.LBB6_1392:
	s_cbranch_execnz .LBB6_1403
.LBB6_1393:
	v_cmp_gt_i16_e32 vcc, 6, v4
	s_cbranch_vccnz .LBB6_1396
; %bb.1394:
	v_cmp_lt_i16_e32 vcc, 6, v4
	s_cbranch_vccz .LBB6_1397
; %bb.1395:
	global_load_dwordx2 v[6:7], v[0:1], off
	s_mov_b64 s[18:19], 0
	s_branch .LBB6_1398
.LBB6_1396:
	s_mov_b64 s[18:19], -1
                                        ; implicit-def: $vgpr6_vgpr7
	s_branch .LBB6_1401
.LBB6_1397:
	s_mov_b64 s[18:19], -1
                                        ; implicit-def: $vgpr6_vgpr7
.LBB6_1398:
	s_andn2_b64 vcc, exec, s[18:19]
	s_cbranch_vccnz .LBB6_1400
; %bb.1399:
	global_load_dword v5, v[0:1], off
	s_waitcnt vmcnt(0)
	v_cvt_f64_f32_e32 v[6:7], v5
.LBB6_1400:
	s_mov_b64 s[18:19], 0
.LBB6_1401:
	s_andn2_b64 vcc, exec, s[18:19]
	s_cbranch_vccnz .LBB6_1403
; %bb.1402:
	global_load_ushort v5, v[0:1], off
	s_waitcnt vmcnt(0)
	v_cvt_f32_f16_e32 v5, v5
	v_cvt_f64_f32_e32 v[6:7], v5
.LBB6_1403:
	s_cbranch_execnz .LBB6_1422
.LBB6_1404:
	v_cmp_gt_i16_e32 vcc, 2, v4
	s_cbranch_vccnz .LBB6_1408
; %bb.1405:
	v_cmp_gt_i16_e32 vcc, 3, v4
	s_cbranch_vccnz .LBB6_1409
; %bb.1406:
	v_cmp_lt_i16_e32 vcc, 3, v4
	s_cbranch_vccz .LBB6_1410
; %bb.1407:
	global_load_dwordx2 v[6:7], v[0:1], off
	s_mov_b64 s[18:19], 0
	s_waitcnt vmcnt(0)
	v_cvt_f64_i32_e32 v[8:9], v7
	v_cvt_f64_u32_e32 v[6:7], v6
	v_ldexp_f64 v[8:9], v[8:9], 32
	v_add_f64 v[6:7], v[8:9], v[6:7]
	s_branch .LBB6_1411
.LBB6_1408:
                                        ; implicit-def: $vgpr6_vgpr7
	s_branch .LBB6_1417
.LBB6_1409:
	s_mov_b64 s[18:19], -1
                                        ; implicit-def: $vgpr6_vgpr7
	s_branch .LBB6_1414
.LBB6_1410:
	s_mov_b64 s[18:19], -1
                                        ; implicit-def: $vgpr6_vgpr7
.LBB6_1411:
	s_andn2_b64 vcc, exec, s[18:19]
	s_cbranch_vccnz .LBB6_1413
; %bb.1412:
	global_load_dword v5, v[0:1], off
	s_waitcnt vmcnt(0)
	v_cvt_f64_i32_e32 v[6:7], v5
.LBB6_1413:
	s_mov_b64 s[18:19], 0
.LBB6_1414:
	s_andn2_b64 vcc, exec, s[18:19]
	s_cbranch_vccnz .LBB6_1416
; %bb.1415:
	global_load_sshort v5, v[0:1], off
	s_waitcnt vmcnt(0)
	v_cvt_f64_i32_e32 v[6:7], v5
.LBB6_1416:
	s_cbranch_execnz .LBB6_1422
.LBB6_1417:
	v_cmp_lt_i16_e32 vcc, 0, v4
	s_cbranch_vccz .LBB6_1419
; %bb.1418:
	global_load_sbyte v4, v[0:1], off
	s_mov_b64 s[18:19], 0
	s_waitcnt vmcnt(0)
	v_cvt_f64_i32_e32 v[6:7], v4
	s_branch .LBB6_1420
.LBB6_1419:
	s_mov_b64 s[18:19], -1
                                        ; implicit-def: $vgpr6_vgpr7
.LBB6_1420:
	s_andn2_b64 vcc, exec, s[18:19]
	s_cbranch_vccnz .LBB6_1422
; %bb.1421:
	global_load_ubyte v0, v[0:1], off
	s_waitcnt vmcnt(0)
	v_cvt_f64_u32_e32 v[6:7], v0
.LBB6_1422:
	s_or_b64 s[26:27], s[26:27], exec
.LBB6_1423:
	s_or_b64 exec, exec, s[0:1]
	s_mov_b64 s[24:25], 0
	s_mov_b64 s[20:21], 0
                                        ; implicit-def: $vgpr8
                                        ; implicit-def: $vgpr4_vgpr5
                                        ; implicit-def: $vgpr0_vgpr1
	s_and_saveexec_b64 s[18:19], s[26:27]
	s_cbranch_execz .LBB6_1498
; %bb.1424:
	s_waitcnt vmcnt(0)
	v_div_scale_f64 v[0:1], s[0:1], v[6:7], v[6:7], v[2:3]
	v_rcp_f64_e32 v[4:5], v[0:1]
	v_div_scale_f64 v[8:9], vcc, v[2:3], v[6:7], v[2:3]
	s_mov_b32 s0, 0
	v_fma_f64 v[10:11], -v[0:1], v[4:5], 1.0
	v_fmac_f64_e32 v[4:5], v[4:5], v[10:11]
	v_fma_f64 v[10:11], -v[0:1], v[4:5], 1.0
	v_fmac_f64_e32 v[4:5], v[4:5], v[10:11]
	v_mul_f64 v[10:11], v[8:9], v[4:5]
	v_fma_f64 v[0:1], -v[0:1], v[10:11], v[8:9]
	v_div_fmas_f64 v[0:1], v[0:1], v[4:5], v[10:11]
	v_div_fixup_f64 v[0:1], v[0:1], v[6:7], v[2:3]
	s_mov_b32 s1, 0x100000
	v_mov_b32_e32 v2, 0x100000
	v_cmp_ngt_f64_e32 vcc, s[0:1], v[0:1]
	s_mov_b32 s0, -2
	v_cndmask_b32_e32 v1, v2, v1, vcc
	v_cndmask_b32_e32 v0, 0, v0, vcc
	s_mov_b32 s1, 0x3fefffff
	v_mov_b32_e32 v2, 0x3fefffff
	v_cmp_nlt_f64_e32 vcc, s[0:1], v[0:1]
	v_cndmask_b32_e32 v1, v2, v1, vcc
	v_mul_lo_u32 v2, v19, s12
	v_cndmask_b32_e32 v0, -2, v0, vcc
	v_ashrrev_i32_e32 v3, 31, v2
	v_mov_b32_e32 v5, s9
	v_add_co_u32_e32 v4, vcc, s8, v2
	v_addc_co_u32_e32 v5, vcc, v5, v3, vcc
	v_and_b32_e32 v8, 0xff, v18
	v_cmp_gt_i16_e32 vcc, 11, v8
	s_cbranch_vccnz .LBB6_1501
; %bb.1425:
	v_cmp_lt_i16_e32 vcc, 25, v8
	s_mov_b64 s[24:25], -1
	s_mov_b64 s[0:1], s[6:7]
	s_cbranch_vccz .LBB6_1458
; %bb.1426:
	v_cmp_lt_i16_e32 vcc, 28, v8
	s_mov_b64 s[20:21], -1
	s_mov_b64 s[0:1], s[6:7]
	s_cbranch_vccz .LBB6_1442
; %bb.1427:
	v_cmp_lt_i16_e32 vcc, 43, v8
	s_mov_b64 s[0:1], s[6:7]
	s_cbranch_vccz .LBB6_1438
; %bb.1428:
	v_cmp_lt_i16_e32 vcc, 45, v8
	s_mov_b64 s[0:1], s[6:7]
	s_cbranch_vccz .LBB6_1432
; %bb.1429:
	v_cmp_eq_u16_e32 vcc, 46, v8
	s_mov_b64 s[0:1], -1
	s_cbranch_vccz .LBB6_1431
; %bb.1430:
	v_cvt_f32_f64_e32 v2, v[0:1]
	v_bfe_u32 v3, v2, 16, 1
	s_movk_i32 s0, 0x7fff
	v_add3_u32 v3, v2, v3, s0
	v_lshrrev_b32_e32 v3, 16, v3
	v_mov_b32_e32 v6, 0x7fc0
	v_cmp_o_f32_e32 vcc, v2, v2
	v_cndmask_b32_e32 v2, v6, v3, vcc
	global_store_dword v[4:5], v2, off
	s_mov_b64 s[0:1], 0
.LBB6_1431:
	s_mov_b64 s[20:21], 0
.LBB6_1432:
	s_and_b64 vcc, exec, s[20:21]
	s_cbranch_vccz .LBB6_1437
; %bb.1433:
	v_cmp_eq_u16_e32 vcc, 44, v8
	s_mov_b64 s[0:1], -1
	s_cbranch_vccz .LBB6_1437
; %bb.1434:
	v_cvt_f32_f64_e32 v2, v[0:1]
	v_bfe_u32 v3, v2, 23, 8
	s_movk_i32 s0, 0xff
	v_cmp_ne_u32_e32 vcc, s0, v3
	v_mov_b32_e32 v6, 0xff
	s_and_saveexec_b64 s[20:21], vcc
; %bb.1435:
	s_mov_b32 s0, 0x3fffff
	v_lshrrev_b32_e32 v6, 23, v2
	v_and_b32_e32 v7, 0x400000, v2
	v_and_or_b32 v2, v2, s0, v3
	v_cmp_ne_u32_e32 vcc, 0, v7
	v_cmp_ne_u32_e64 s[0:1], 0, v2
	s_and_b64 s[0:1], vcc, s[0:1]
	v_cndmask_b32_e64 v2, 0, 1, s[0:1]
	v_add_u32_e32 v6, v6, v2
; %bb.1436:
	s_or_b64 exec, exec, s[20:21]
	s_mov_b64 s[0:1], 0
	global_store_byte v[4:5], v6, off
.LBB6_1437:
	s_mov_b64 s[20:21], 0
.LBB6_1438:
	s_and_b64 vcc, exec, s[20:21]
	s_cbranch_vccz .LBB6_1441
; %bb.1439:
	v_cmp_eq_u16_e32 vcc, 29, v8
	s_mov_b64 s[0:1], -1
	s_cbranch_vccz .LBB6_1441
; %bb.1440:
	v_trunc_f64_e32 v[2:3], v[0:1]
	s_movk_i32 s0, 0xffe0
	v_ldexp_f64 v[6:7], v[2:3], s0
	v_floor_f64_e32 v[6:7], v[6:7]
	v_fmac_f64_e32 v[2:3], 0xc1f00000, v[6:7]
	v_cvt_u32_f64_e32 v11, v[6:7]
	v_cvt_u32_f64_e32 v10, v[2:3]
	global_store_dwordx2 v[4:5], v[10:11], off
	s_mov_b64 s[0:1], 0
.LBB6_1441:
	s_mov_b64 s[20:21], 0
.LBB6_1442:
	s_and_b64 vcc, exec, s[20:21]
	s_cbranch_vccz .LBB6_1457
; %bb.1443:
	v_cmp_gt_i16_e32 vcc, 27, v8
	s_mov_b64 s[20:21], -1
	s_cbranch_vccnz .LBB6_1449
; %bb.1444:
	v_cmp_lt_i16_e32 vcc, 27, v8
	v_cvt_u32_f64_e32 v2, v[0:1]
	s_cbranch_vccz .LBB6_1446
; %bb.1445:
	s_mov_b64 s[20:21], 0
	global_store_dword v[4:5], v2, off
.LBB6_1446:
	s_andn2_b64 vcc, exec, s[20:21]
	s_cbranch_vccnz .LBB6_1448
; %bb.1447:
	global_store_short v[4:5], v2, off
.LBB6_1448:
	s_mov_b64 s[20:21], 0
.LBB6_1449:
	s_andn2_b64 vcc, exec, s[20:21]
	s_cbranch_vccnz .LBB6_1457
; %bb.1450:
	v_cvt_f32_f64_e32 v2, v[0:1]
	v_and_b32_e32 v3, 0x7fffffff, v2
	s_mov_b32 s15, 0x43800000
	v_cmp_gt_u32_e32 vcc, s15, v3
	v_mov_b32_e32 v6, 0x80
	s_and_saveexec_b64 s[20:21], vcc
	s_cbranch_execz .LBB6_1456
; %bb.1451:
	s_mov_b32 s15, 0x3bffffff
	v_cmp_lt_u32_e32 vcc, s15, v3
	s_mov_b64 s[24:25], 0
                                        ; implicit-def: $vgpr3
	s_and_saveexec_b64 s[26:27], vcc
	s_xor_b64 s[26:27], exec, s[26:27]
	s_cbranch_execz .LBB6_1558
; %bb.1452:
	v_bfe_u32 v3, v2, 20, 1
	s_mov_b32 s15, 0x487ffff
	v_add3_u32 v3, v2, v3, s15
	s_mov_b64 s[24:25], exec
	v_lshrrev_b32_e32 v3, 20, v3
	s_or_saveexec_b64 s[26:27], s[26:27]
                                        ; implicit-def: $sgpr15
	s_xor_b64 exec, exec, s[26:27]
	s_cbranch_execnz .LBB6_1559
.LBB6_1453:
	s_or_b64 exec, exec, s[26:27]
	v_mov_b32_e32 v6, s15
	s_and_saveexec_b64 s[26:27], s[24:25]
.LBB6_1454:
	v_lshrrev_b32_e32 v2, 24, v2
	s_movk_i32 s15, 0x80
	v_and_or_b32 v6, v2, s15, v3
.LBB6_1455:
	s_or_b64 exec, exec, s[26:27]
.LBB6_1456:
	s_or_b64 exec, exec, s[20:21]
	global_store_byte v[4:5], v6, off
.LBB6_1457:
	s_mov_b64 s[24:25], 0
.LBB6_1458:
	s_mov_b64 s[20:21], 0
	s_and_b64 vcc, exec, s[24:25]
	s_cbranch_vccz .LBB6_1502
; %bb.1459:
	v_cmp_lt_i16_e32 vcc, 22, v8
	s_mov_b64 s[24:25], -1
	s_cbranch_vccz .LBB6_1491
; %bb.1460:
	v_cmp_gt_i16_e32 vcc, 24, v8
	s_cbranch_vccnz .LBB6_1480
; %bb.1461:
	v_cmp_lt_i16_e32 vcc, 24, v8
	s_cbranch_vccz .LBB6_1469
; %bb.1462:
	v_cvt_f32_f64_e32 v2, v[0:1]
	v_and_b32_e32 v3, 0x7fffffff, v2
	s_mov_b32 s15, 0x47800000
	v_cmp_gt_u32_e32 vcc, s15, v3
	v_mov_b32_e32 v6, 0x80
	s_and_saveexec_b64 s[24:25], vcc
	s_cbranch_execz .LBB6_1468
; %bb.1463:
	s_mov_b32 s15, 0x37ffffff
	v_cmp_lt_u32_e32 vcc, s15, v3
	s_mov_b64 s[26:27], 0
                                        ; implicit-def: $vgpr3
	s_and_saveexec_b64 s[28:29], vcc
	s_xor_b64 s[28:29], exec, s[28:29]
	s_cbranch_execz .LBB6_1683
; %bb.1464:
	v_bfe_u32 v3, v2, 21, 1
	s_mov_b32 s15, 0x88fffff
	v_add3_u32 v3, v2, v3, s15
	s_mov_b64 s[26:27], exec
	v_lshrrev_b32_e32 v3, 21, v3
	s_or_saveexec_b64 s[28:29], s[28:29]
                                        ; implicit-def: $sgpr15
	s_xor_b64 exec, exec, s[28:29]
	s_cbranch_execnz .LBB6_1684
.LBB6_1465:
	s_or_b64 exec, exec, s[28:29]
	v_mov_b32_e32 v6, s15
	s_and_saveexec_b64 s[28:29], s[26:27]
.LBB6_1466:
	v_lshrrev_b32_e32 v2, 24, v2
	s_movk_i32 s15, 0x80
	v_and_or_b32 v6, v2, s15, v3
.LBB6_1467:
	s_or_b64 exec, exec, s[28:29]
.LBB6_1468:
	s_or_b64 exec, exec, s[24:25]
	s_mov_b64 s[24:25], 0
	global_store_byte v[4:5], v6, off
.LBB6_1469:
	s_and_b64 vcc, exec, s[24:25]
	s_cbranch_vccz .LBB6_1479
; %bb.1470:
	v_cvt_f32_f64_e32 v2, v[0:1]
	v_and_b32_e32 v6, 0x7fffffff, v2
	s_mov_b32 s15, 0x43f00000
	v_cmp_gt_u32_e32 vcc, s15, v6
                                        ; implicit-def: $vgpr3
	s_and_saveexec_b64 s[24:25], vcc
	s_xor_b64 s[24:25], exec, s[24:25]
	s_cbranch_execz .LBB6_1476
; %bb.1471:
	s_mov_b32 s15, 0x3c7fffff
	v_cmp_lt_u32_e32 vcc, s15, v6
                                        ; implicit-def: $vgpr3
	s_and_saveexec_b64 s[26:27], vcc
	s_xor_b64 s[26:27], exec, s[26:27]
; %bb.1472:
	v_bfe_u32 v3, v2, 20, 1
	s_mov_b32 s15, 0x407ffff
	v_add3_u32 v3, v2, v3, s15
	v_lshrrev_b32_e32 v6, 20, v3
	v_and_b32_e32 v3, 0xff00000, v3
	s_mov_b32 s15, 0x7f00000
	v_mov_b32_e32 v7, 0x7e
	v_cmp_ne_u32_e32 vcc, s15, v3
	v_cndmask_b32_e32 v3, v7, v6, vcc
; %bb.1473:
	s_andn2_saveexec_b64 s[26:27], s[26:27]
; %bb.1474:
	s_mov_b32 s15, 0x46800000
	v_add_f32_e64 v3, |v2|, s15
; %bb.1475:
	s_or_b64 exec, exec, s[26:27]
                                        ; implicit-def: $vgpr6
.LBB6_1476:
	s_andn2_saveexec_b64 s[24:25], s[24:25]
; %bb.1477:
	s_mov_b32 s15, 0x7f800000
	v_mov_b32_e32 v3, 0x7e
	v_mov_b32_e32 v7, 0x7f
	v_cmp_lt_u32_e32 vcc, s15, v6
	v_cndmask_b32_e32 v3, v3, v7, vcc
; %bb.1478:
	s_or_b64 exec, exec, s[24:25]
	v_lshrrev_b32_e32 v2, 24, v2
	s_movk_i32 s15, 0x80
	v_and_or_b32 v2, v2, s15, v3
	global_store_byte v[4:5], v2, off
.LBB6_1479:
	s_mov_b64 s[24:25], 0
.LBB6_1480:
	s_andn2_b64 vcc, exec, s[24:25]
	s_cbranch_vccnz .LBB6_1490
; %bb.1481:
	v_cvt_f32_f64_e32 v2, v[0:1]
	v_and_b32_e32 v6, 0x7fffffff, v2
	s_mov_b32 s15, 0x47800000
	v_cmp_gt_u32_e32 vcc, s15, v6
                                        ; implicit-def: $vgpr3
	s_and_saveexec_b64 s[24:25], vcc
	s_xor_b64 s[24:25], exec, s[24:25]
	s_cbranch_execz .LBB6_1487
; %bb.1482:
	s_mov_b32 s15, 0x387fffff
	v_cmp_lt_u32_e32 vcc, s15, v6
                                        ; implicit-def: $vgpr3
	s_and_saveexec_b64 s[26:27], vcc
	s_xor_b64 s[26:27], exec, s[26:27]
; %bb.1483:
	v_bfe_u32 v3, v2, 21, 1
	s_mov_b32 s15, 0x80fffff
	v_add3_u32 v3, v2, v3, s15
	v_lshrrev_b32_e32 v3, 21, v3
; %bb.1484:
	s_andn2_saveexec_b64 s[26:27], s[26:27]
; %bb.1485:
	s_mov_b32 s15, 0x43000000
	v_add_f32_e64 v3, |v2|, s15
; %bb.1486:
	s_or_b64 exec, exec, s[26:27]
                                        ; implicit-def: $vgpr6
.LBB6_1487:
	s_andn2_saveexec_b64 s[24:25], s[24:25]
; %bb.1488:
	s_mov_b32 s15, 0x7f800000
	v_mov_b32_e32 v3, 0x7c
	v_mov_b32_e32 v7, 0x7f
	v_cmp_lt_u32_e32 vcc, s15, v6
	v_cndmask_b32_e32 v3, v3, v7, vcc
; %bb.1489:
	s_or_b64 exec, exec, s[24:25]
	v_lshrrev_b32_e32 v2, 24, v2
	s_movk_i32 s15, 0x80
	v_and_or_b32 v2, v2, s15, v3
	global_store_byte v[4:5], v2, off
.LBB6_1490:
	s_mov_b64 s[24:25], 0
.LBB6_1491:
	s_andn2_b64 vcc, exec, s[24:25]
	s_mov_b64 s[24:25], 0
	s_cbranch_vccnz .LBB6_1503
; %bb.1492:
	v_cmp_lt_i16_e32 vcc, 14, v8
	s_mov_b64 s[26:27], -1
	s_cbranch_vccz .LBB6_1496
; %bb.1493:
	v_cmp_eq_u16_e32 vcc, 15, v8
	s_mov_b64 s[0:1], -1
	s_cbranch_vccz .LBB6_1495
; %bb.1494:
	v_cvt_f32_f64_e32 v2, v[0:1]
	v_bfe_u32 v3, v2, 16, 1
	s_movk_i32 s0, 0x7fff
	v_add3_u32 v3, v2, v3, s0
	v_lshrrev_b32_e32 v3, 16, v3
	v_mov_b32_e32 v6, 0x7fc0
	v_cmp_o_f32_e32 vcc, v2, v2
	v_cndmask_b32_e32 v2, v6, v3, vcc
	global_store_short v[4:5], v2, off
	s_mov_b64 s[0:1], 0
.LBB6_1495:
	s_mov_b64 s[26:27], 0
.LBB6_1496:
	s_and_b64 vcc, exec, s[26:27]
	s_cbranch_vccz .LBB6_1503
; %bb.1497:
	v_cmp_ne_u16_e32 vcc, 11, v8
	s_andn2_b64 s[0:1], s[0:1], exec
	s_and_b64 s[26:27], vcc, exec
	s_mov_b64 s[24:25], -1
	s_or_b64 s[0:1], s[0:1], s[26:27]
	s_branch .LBB6_1503
.LBB6_1498:
	s_or_b64 exec, exec, s[18:19]
	s_and_saveexec_b64 s[0:1], s[6:7]
	s_cbranch_execnz .LBB6_1504
.LBB6_1499:
	s_or_b64 exec, exec, s[0:1]
	s_and_saveexec_b64 s[0:1], s[24:25]
	s_xor_b64 s[0:1], exec, s[0:1]
	s_cbranch_execz .LBB6_1505
.LBB6_1500:
	s_waitcnt vmcnt(0)
	v_mov_b32_e32 v2, 1
	global_store_byte v[4:5], v2, off
	s_or_b64 exec, exec, s[0:1]
	s_and_saveexec_b64 s[0:1], s[20:21]
	s_xor_b64 s[0:1], exec, s[0:1]
	s_cbranch_execz .LBB6_1543
	s_branch .LBB6_1506
.LBB6_1501:
	s_mov_b64 s[20:21], -1
	s_mov_b64 s[0:1], s[6:7]
	s_branch .LBB6_1503
.LBB6_1502:
	s_mov_b64 s[24:25], 0
.LBB6_1503:
	s_andn2_b64 s[6:7], s[6:7], exec
	s_and_b64 s[0:1], s[0:1], exec
	s_and_b64 s[20:21], s[20:21], exec
	;; [unrolled: 1-line block ×3, first 2 shown]
	s_or_b64 s[6:7], s[6:7], s[0:1]
	s_or_b64 exec, exec, s[18:19]
	s_and_saveexec_b64 s[0:1], s[6:7]
	s_cbranch_execz .LBB6_1499
.LBB6_1504:
	s_or_b64 s[22:23], s[22:23], exec
	s_andn2_b64 s[24:25], s[24:25], exec
	s_trap 2
	s_or_b64 exec, exec, s[0:1]
	s_and_saveexec_b64 s[0:1], s[24:25]
	s_xor_b64 s[0:1], exec, s[0:1]
	s_cbranch_execnz .LBB6_1500
.LBB6_1505:
	s_or_b64 exec, exec, s[0:1]
	s_and_saveexec_b64 s[0:1], s[20:21]
	s_xor_b64 s[0:1], exec, s[0:1]
	s_cbranch_execz .LBB6_1543
.LBB6_1506:
	v_cmp_gt_i16_e32 vcc, 5, v8
	s_mov_b64 s[6:7], -1
	s_cbranch_vccnz .LBB6_1527
; %bb.1507:
	v_cmp_gt_i16_e32 vcc, 8, v8
	s_cbranch_vccnz .LBB6_1517
; %bb.1508:
	v_cmp_gt_i16_e32 vcc, 9, v8
	s_cbranch_vccnz .LBB6_1514
; %bb.1509:
	v_cmp_lt_i16_e32 vcc, 9, v8
	s_cbranch_vccz .LBB6_1511
; %bb.1510:
	s_waitcnt vmcnt(0)
	v_mov_b32_e32 v2, 0
	v_mov_b32_e32 v3, v2
	s_mov_b64 s[6:7], 0
	global_store_dwordx4 v[4:5], v[0:3], off
.LBB6_1511:
	s_andn2_b64 vcc, exec, s[6:7]
	s_cbranch_vccnz .LBB6_1513
; %bb.1512:
	s_waitcnt vmcnt(0)
	v_cvt_f32_f64_e32 v2, v[0:1]
	v_mov_b32_e32 v3, 0
	global_store_dwordx2 v[4:5], v[2:3], off
.LBB6_1513:
	s_mov_b64 s[6:7], 0
.LBB6_1514:
	s_andn2_b64 vcc, exec, s[6:7]
	s_cbranch_vccnz .LBB6_1516
; %bb.1515:
	s_waitcnt vmcnt(0)
	v_cvt_f32_f64_e32 v2, v[0:1]
	v_cvt_f16_f32_e32 v2, v2
	global_store_dword v[4:5], v2, off
.LBB6_1516:
	s_mov_b64 s[6:7], 0
.LBB6_1517:
	s_andn2_b64 vcc, exec, s[6:7]
	s_cbranch_vccnz .LBB6_1526
; %bb.1518:
	v_cmp_gt_i16_e32 vcc, 6, v8
	s_mov_b64 s[6:7], -1
	s_cbranch_vccnz .LBB6_1524
; %bb.1519:
	v_cmp_lt_i16_e32 vcc, 6, v8
	s_cbranch_vccz .LBB6_1521
; %bb.1520:
	s_mov_b64 s[6:7], 0
	s_waitcnt vmcnt(0)
	global_store_dwordx2 v[4:5], v[0:1], off
.LBB6_1521:
	s_andn2_b64 vcc, exec, s[6:7]
	s_cbranch_vccnz .LBB6_1523
; %bb.1522:
	s_waitcnt vmcnt(0)
	v_cvt_f32_f64_e32 v2, v[0:1]
	global_store_dword v[4:5], v2, off
.LBB6_1523:
	s_mov_b64 s[6:7], 0
.LBB6_1524:
	s_andn2_b64 vcc, exec, s[6:7]
	s_cbranch_vccnz .LBB6_1526
; %bb.1525:
	s_waitcnt vmcnt(0)
	v_cvt_f32_f64_e32 v2, v[0:1]
	v_cvt_f16_f32_e32 v2, v2
	global_store_short v[4:5], v2, off
.LBB6_1526:
	s_mov_b64 s[6:7], 0
.LBB6_1527:
	s_andn2_b64 vcc, exec, s[6:7]
	s_cbranch_vccnz .LBB6_1543
; %bb.1528:
	v_cmp_gt_i16_e32 vcc, 2, v8
	s_mov_b64 s[6:7], -1
	s_cbranch_vccnz .LBB6_1538
; %bb.1529:
	v_cmp_gt_i16_e32 vcc, 3, v8
	s_cbranch_vccnz .LBB6_1535
; %bb.1530:
	v_cmp_lt_i16_e32 vcc, 3, v8
	s_cbranch_vccz .LBB6_1532
; %bb.1531:
	s_waitcnt vmcnt(0)
	v_trunc_f64_e32 v[2:3], v[0:1]
	s_movk_i32 s6, 0xffe0
	v_ldexp_f64 v[6:7], v[2:3], s6
	v_floor_f64_e32 v[6:7], v[6:7]
	v_fmac_f64_e32 v[2:3], 0xc1f00000, v[6:7]
	v_cvt_i32_f64_e32 v11, v[6:7]
	v_cvt_u32_f64_e32 v10, v[2:3]
	s_mov_b64 s[6:7], 0
	global_store_dwordx2 v[4:5], v[10:11], off
.LBB6_1532:
	s_andn2_b64 vcc, exec, s[6:7]
	s_cbranch_vccnz .LBB6_1534
; %bb.1533:
	s_waitcnt vmcnt(0)
	v_cvt_i32_f64_e32 v2, v[0:1]
	global_store_dword v[4:5], v2, off
.LBB6_1534:
	s_mov_b64 s[6:7], 0
.LBB6_1535:
	s_andn2_b64 vcc, exec, s[6:7]
	s_cbranch_vccnz .LBB6_1537
; %bb.1536:
	s_waitcnt vmcnt(0)
	v_cvt_i32_f64_e32 v2, v[0:1]
	global_store_short v[4:5], v2, off
.LBB6_1537:
	s_mov_b64 s[6:7], 0
.LBB6_1538:
	s_andn2_b64 vcc, exec, s[6:7]
	s_cbranch_vccnz .LBB6_1543
; %bb.1539:
	v_cmp_lt_i16_e32 vcc, 0, v8
	s_mov_b64 s[6:7], -1
	s_cbranch_vccz .LBB6_1541
; %bb.1540:
	s_waitcnt vmcnt(0)
	v_cvt_i32_f64_e32 v2, v[0:1]
	s_mov_b64 s[6:7], 0
	global_store_byte v[4:5], v2, off
.LBB6_1541:
	s_andn2_b64 vcc, exec, s[6:7]
	s_cbranch_vccnz .LBB6_1543
; %bb.1542:
	s_waitcnt vmcnt(0)
	v_trunc_f64_e32 v[0:1], v[0:1]
	s_movk_i32 s6, 0xffe0
	v_ldexp_f64 v[2:3], v[0:1], s6
	v_floor_f64_e32 v[2:3], v[2:3]
	v_fmac_f64_e32 v[0:1], 0xc1f00000, v[2:3]
	v_cvt_u32_f64_e32 v0, v[0:1]
	global_store_byte v[4:5], v0, off
.LBB6_1543:
	s_or_b64 exec, exec, s[0:1]
	s_and_b64 s[6:7], s[22:23], exec
                                        ; implicit-def: $vgpr19
                                        ; implicit-def: $vgpr16
                                        ; implicit-def: $vgpr20
                                        ; implicit-def: $vgpr18
.LBB6_1544:
	s_or_saveexec_b64 s[4:5], s[4:5]
	s_mov_b64 s[0:1], 0
                                        ; implicit-def: $vgpr6
                                        ; implicit-def: $vgpr4_vgpr5
                                        ; implicit-def: $vgpr0_vgpr1
	s_xor_b64 exec, exec, s[4:5]
	s_cbranch_execz .LBB6_3034
; %bb.1545:
	s_waitcnt vmcnt(0)
	v_mul_lo_u32 v6, s13, v19
	v_ashrrev_i32_e32 v0, 31, v6
	v_mov_b32_e32 v1, s11
	v_add_co_u32_e32 v2, vcc, s10, v6
	v_addc_co_u32_e32 v3, vcc, v1, v0, vcc
	v_mov_b32_e32 v0, 11
	v_cmp_lt_i16_sdwa s[0:1], v16, v0 src0_sel:BYTE_0 src1_sel:DWORD
	s_and_b64 vcc, exec, s[0:1]
	s_cbranch_vccnz .LBB6_1552
; %bb.1546:
	v_mov_b32_e32 v0, 25
	v_cmp_gt_i16_sdwa s[0:1], v16, v0 src0_sel:BYTE_0 src1_sel:DWORD
	s_and_b64 vcc, exec, s[0:1]
	s_cbranch_vccz .LBB6_1554
; %bb.1547:
	v_mov_b32_e32 v0, 28
	v_cmp_gt_i16_sdwa s[0:1], v16, v0 src0_sel:BYTE_0 src1_sel:DWORD
	s_and_b64 vcc, exec, s[0:1]
	s_cbranch_vccz .LBB6_1555
	;; [unrolled: 5-line block ×4, first 2 shown]
; %bb.1550:
	v_mov_b32_e32 v0, 46
	v_cmp_eq_u16_sdwa s[0:1], v16, v0 src0_sel:BYTE_0 src1_sel:DWORD
	s_mov_b64 s[18:19], 0
	s_and_b64 vcc, exec, s[0:1]
	s_cbranch_vccz .LBB6_1560
; %bb.1551:
	global_load_dword v0, v[2:3], off
	s_mov_b64 s[0:1], 0
	s_mov_b64 s[20:21], -1
	s_waitcnt vmcnt(0)
	v_lshlrev_b32_e32 v0, 16, v0
	v_cvt_f64_f32_e32 v[0:1], v0
	s_branch .LBB6_1561
.LBB6_1552:
	s_mov_b64 s[20:21], 0
                                        ; implicit-def: $vgpr0_vgpr1
	s_mov_b64 s[18:19], s[6:7]
	s_cbranch_execnz .LBB6_1624
.LBB6_1553:
	s_andn2_b64 vcc, exec, s[20:21]
                                        ; implicit-def: $vgpr2_vgpr3
	s_cbranch_vccz .LBB6_1669
	s_branch .LBB6_3032
.LBB6_1554:
	s_mov_b64 s[20:21], 0
	s_mov_b64 s[0:1], 0
                                        ; implicit-def: $vgpr0_vgpr1
	s_cbranch_execnz .LBB6_1589
	s_branch .LBB6_1620
.LBB6_1555:
	s_mov_b64 s[18:19], -1
	s_mov_b64 s[20:21], 0
	s_mov_b64 s[0:1], 0
                                        ; implicit-def: $vgpr0_vgpr1
	s_branch .LBB6_1570
.LBB6_1556:
	s_mov_b64 s[20:21], 0
	s_mov_b64 s[0:1], 0
                                        ; implicit-def: $vgpr0_vgpr1
	s_cbranch_execnz .LBB6_1566
	s_branch .LBB6_1569
.LBB6_1557:
	s_mov_b64 s[18:19], -1
	s_mov_b64 s[20:21], 0
	s_mov_b64 s[0:1], 0
                                        ; implicit-def: $vgpr0_vgpr1
	s_branch .LBB6_1561
.LBB6_1558:
	s_or_saveexec_b64 s[26:27], s[26:27]
                                        ; implicit-def: $sgpr15
	s_xor_b64 exec, exec, s[26:27]
	s_cbranch_execz .LBB6_1453
.LBB6_1559:
	s_mov_b32 s15, 0x46000000
	v_add_f32_e64 v3, |v2|, s15
	v_and_b32_e32 v3, 0xff, v3
	v_cmp_ne_u32_e32 vcc, 0, v3
	s_andn2_b64 s[24:25], s[24:25], exec
	s_and_b64 s[28:29], vcc, exec
	s_mov_b32 s15, 0
	s_or_b64 s[24:25], s[24:25], s[28:29]
	s_or_b64 exec, exec, s[26:27]
	v_mov_b32_e32 v6, s15
	s_and_saveexec_b64 s[26:27], s[24:25]
	s_cbranch_execnz .LBB6_1454
	s_branch .LBB6_1455
.LBB6_1560:
	s_mov_b64 s[0:1], -1
                                        ; implicit-def: $vgpr0_vgpr1
	s_mov_b64 s[20:21], 0
.LBB6_1561:
	s_and_b64 vcc, exec, s[18:19]
	s_cbranch_vccz .LBB6_1564
; %bb.1562:
	v_mov_b32_e32 v0, 44
	v_cmp_eq_u16_sdwa s[0:1], v16, v0 src0_sel:BYTE_0 src1_sel:DWORD
	s_and_b64 vcc, exec, s[0:1]
	s_cbranch_vccz .LBB6_1565
; %bb.1563:
	global_load_ubyte v4, v[2:3], off
	s_movk_i32 s15, 0xff
	v_bfrev_b32_e32 v5, 4
	v_mov_b32_e32 v7, 0x7ff80000
	v_bfrev_b32_e32 v8, 28
	s_mov_b64 s[0:1], 0
	s_mov_b64 s[20:21], -1
	s_waitcnt vmcnt(0)
	v_lshlrev_b32_e32 v0, 23, v4
	v_cvt_f64_f32_e32 v[0:1], v0
	v_cmp_ne_u32_e32 vcc, s15, v4
	v_cndmask_b32_e32 v0, v5, v0, vcc
	v_cndmask_b32_e32 v1, v7, v1, vcc
	v_cmp_ne_u32_e32 vcc, 0, v4
	v_cndmask_b32_e32 v1, v8, v1, vcc
	v_cndmask_b32_e32 v0, 0, v0, vcc
.LBB6_1564:
	s_branch .LBB6_1569
.LBB6_1565:
	s_mov_b64 s[0:1], -1
                                        ; implicit-def: $vgpr0_vgpr1
	s_branch .LBB6_1569
.LBB6_1566:
	v_mov_b32_e32 v0, 29
	v_cmp_eq_u16_sdwa s[0:1], v16, v0 src0_sel:BYTE_0 src1_sel:DWORD
	s_and_b64 vcc, exec, s[0:1]
	s_cbranch_vccz .LBB6_1568
; %bb.1567:
	global_load_dwordx2 v[0:1], v[2:3], off
	s_mov_b64 s[0:1], 0
	s_mov_b64 s[20:21], -1
	s_mov_b64 s[18:19], 0
	s_waitcnt vmcnt(0)
	v_cvt_f64_u32_e32 v[4:5], v1
	v_cvt_f64_u32_e32 v[0:1], v0
	v_ldexp_f64 v[4:5], v[4:5], 32
	v_add_f64 v[0:1], v[4:5], v[0:1]
	s_branch .LBB6_1570
.LBB6_1568:
	s_mov_b64 s[0:1], -1
                                        ; implicit-def: $vgpr0_vgpr1
.LBB6_1569:
	s_mov_b64 s[18:19], 0
.LBB6_1570:
	s_and_b64 vcc, exec, s[18:19]
	s_cbranch_vccz .LBB6_1588
; %bb.1571:
	v_mov_b32_e32 v0, 27
	v_cmp_lt_i16_sdwa s[18:19], v16, v0 src0_sel:BYTE_0 src1_sel:DWORD
	s_and_b64 vcc, exec, s[18:19]
	s_cbranch_vccnz .LBB6_1574
; %bb.1572:
	v_cmp_gt_i16_sdwa s[18:19], v16, v0 src0_sel:BYTE_0 src1_sel:DWORD
	s_and_b64 vcc, exec, s[18:19]
	s_cbranch_vccz .LBB6_1575
; %bb.1573:
	global_load_dword v0, v[2:3], off
	s_mov_b64 s[18:19], 0
	s_waitcnt vmcnt(0)
	v_cvt_f64_u32_e32 v[0:1], v0
	s_branch .LBB6_1576
.LBB6_1574:
	s_mov_b64 s[18:19], -1
                                        ; implicit-def: $vgpr0_vgpr1
	s_branch .LBB6_1579
.LBB6_1575:
	s_mov_b64 s[18:19], -1
                                        ; implicit-def: $vgpr0_vgpr1
.LBB6_1576:
	s_andn2_b64 vcc, exec, s[18:19]
	s_cbranch_vccnz .LBB6_1578
; %bb.1577:
	global_load_ushort v0, v[2:3], off
	s_waitcnt vmcnt(0)
	v_cvt_f64_u32_e32 v[0:1], v0
.LBB6_1578:
	s_mov_b64 s[18:19], 0
.LBB6_1579:
	s_andn2_b64 vcc, exec, s[18:19]
	s_cbranch_vccnz .LBB6_1587
; %bb.1580:
	global_load_ubyte v4, v[2:3], off
	s_movk_i32 s15, 0x7f
	s_mov_b64 s[18:19], 0
                                        ; implicit-def: $sgpr20_sgpr21
	s_waitcnt vmcnt(0)
	v_cmp_lt_i16_e32 vcc, s15, v4
	s_and_saveexec_b64 s[22:23], vcc
	s_xor_b64 s[22:23], exec, s[22:23]
	s_cbranch_execz .LBB6_1600
; %bb.1581:
	s_movk_i32 s15, 0x80
	v_cmp_eq_u16_e32 vcc, s15, v4
	s_mov_b64 s[24:25], -1
                                        ; implicit-def: $sgpr20_sgpr21
	s_and_saveexec_b64 s[18:19], vcc
; %bb.1582:
	s_mov_b32 s21, 0x7ff80000
	s_brev_b32 s20, 4
	s_xor_b64 s[24:25], exec, -1
; %bb.1583:
	s_or_b64 exec, exec, s[18:19]
	s_and_b64 s[18:19], s[24:25], exec
	s_or_saveexec_b64 s[22:23], s[22:23]
	v_pk_mov_b32 v[0:1], s[20:21], s[20:21] op_sel:[0,1]
	s_xor_b64 exec, exec, s[22:23]
	s_cbranch_execnz .LBB6_1601
.LBB6_1584:
	s_or_b64 exec, exec, s[22:23]
	s_and_saveexec_b64 s[20:21], s[18:19]
	s_cbranch_execz .LBB6_1586
.LBB6_1585:
	v_and_b32_e32 v1, 0xffff, v4
	v_lshlrev_b32_e32 v0, 24, v4
	v_and_b32_e32 v4, 7, v1
	v_ffbh_u32_e32 v7, v4
	v_min_u32_e32 v7, 32, v7
	v_subrev_u32_e32 v8, 28, v7
	v_bfe_u32 v5, v1, 3, 4
	v_lshlrev_b32_e32 v1, v8, v1
	v_sub_u32_e32 v7, 29, v7
	v_and_b32_e32 v1, 7, v1
	v_cmp_eq_u32_e32 vcc, 0, v5
	v_cndmask_b32_e32 v5, v5, v7, vcc
	v_cndmask_b32_e32 v1, v4, v1, vcc
	v_mov_b32_e32 v4, 0x3b800000
	v_lshlrev_b32_e32 v1, 20, v1
	v_and_b32_e32 v0, 0x80000000, v0
	v_lshl_add_u32 v4, v5, 23, v4
	v_or3_b32 v0, v0, v4, v1
	v_cvt_f64_f32_e32 v[0:1], v0
.LBB6_1586:
	s_or_b64 exec, exec, s[20:21]
.LBB6_1587:
	s_mov_b64 s[20:21], -1
.LBB6_1588:
	s_branch .LBB6_1620
.LBB6_1589:
	v_mov_b32_e32 v0, 22
	v_cmp_gt_i16_sdwa s[16:17], v16, v0 src0_sel:BYTE_0 src1_sel:DWORD
	s_and_b64 vcc, exec, s[16:17]
	s_cbranch_vccz .LBB6_1599
; %bb.1590:
	v_mov_b32_e32 v0, 24
	v_cmp_lt_i16_sdwa s[16:17], v16, v0 src0_sel:BYTE_0 src1_sel:DWORD
	s_and_b64 vcc, exec, s[16:17]
	s_cbranch_vccnz .LBB6_1602
; %bb.1591:
	v_cmp_gt_i16_sdwa s[16:17], v16, v0 src0_sel:BYTE_0 src1_sel:DWORD
	s_and_b64 vcc, exec, s[16:17]
	s_cbranch_vccz .LBB6_1603
; %bb.1592:
	global_load_ubyte v4, v[2:3], off
	s_movk_i32 s15, 0x7f
	s_mov_b64 s[16:17], 0
                                        ; implicit-def: $sgpr18_sgpr19
	s_waitcnt vmcnt(0)
	v_cmp_lt_i16_e32 vcc, s15, v4
	s_and_saveexec_b64 s[20:21], vcc
	s_xor_b64 s[20:21], exec, s[20:21]
	s_cbranch_execz .LBB6_1614
; %bb.1593:
	s_movk_i32 s15, 0x80
	v_cmp_eq_u16_e32 vcc, s15, v4
	s_mov_b64 s[22:23], -1
                                        ; implicit-def: $sgpr18_sgpr19
	s_and_saveexec_b64 s[16:17], vcc
; %bb.1594:
	s_mov_b32 s19, 0x7ff80000
	s_brev_b32 s18, 4
	s_xor_b64 s[22:23], exec, -1
; %bb.1595:
	s_or_b64 exec, exec, s[16:17]
	s_and_b64 s[16:17], s[22:23], exec
	s_or_saveexec_b64 s[20:21], s[20:21]
	v_pk_mov_b32 v[0:1], s[18:19], s[18:19] op_sel:[0,1]
	s_xor_b64 exec, exec, s[20:21]
	s_cbranch_execnz .LBB6_1615
.LBB6_1596:
	s_or_b64 exec, exec, s[20:21]
	s_and_saveexec_b64 s[18:19], s[16:17]
	s_cbranch_execz .LBB6_1598
.LBB6_1597:
	v_and_b32_e32 v1, 0xffff, v4
	v_lshlrev_b32_e32 v0, 24, v4
	v_and_b32_e32 v4, 3, v1
	v_ffbh_u32_e32 v7, v4
	v_min_u32_e32 v7, 32, v7
	v_subrev_u32_e32 v8, 29, v7
	v_bfe_u32 v5, v1, 2, 5
	v_lshlrev_b32_e32 v1, v8, v1
	v_sub_u32_e32 v7, 30, v7
	v_and_b32_e32 v1, 3, v1
	v_cmp_eq_u32_e32 vcc, 0, v5
	v_cndmask_b32_e32 v5, v5, v7, vcc
	v_cndmask_b32_e32 v1, v4, v1, vcc
	v_mov_b32_e32 v4, 0x37800000
	v_lshlrev_b32_e32 v1, 21, v1
	v_and_b32_e32 v0, 0x80000000, v0
	v_lshl_add_u32 v4, v5, 23, v4
	v_or3_b32 v0, v0, v4, v1
	v_cvt_f64_f32_e32 v[0:1], v0
.LBB6_1598:
	s_or_b64 exec, exec, s[18:19]
	s_mov_b64 s[16:17], 0
	s_branch .LBB6_1604
.LBB6_1599:
                                        ; implicit-def: $vgpr0_vgpr1
	s_mov_b64 s[16:17], 0
	s_branch .LBB6_1610
.LBB6_1600:
	s_or_saveexec_b64 s[22:23], s[22:23]
	v_pk_mov_b32 v[0:1], s[20:21], s[20:21] op_sel:[0,1]
	s_xor_b64 exec, exec, s[22:23]
	s_cbranch_execz .LBB6_1584
.LBB6_1601:
	v_cmp_ne_u16_e32 vcc, 0, v4
	s_andn2_b64 s[18:19], s[18:19], exec
	s_and_b64 s[20:21], vcc, exec
	v_pk_mov_b32 v[0:1], 0, 0
	s_or_b64 s[18:19], s[18:19], s[20:21]
	s_or_b64 exec, exec, s[22:23]
	s_and_saveexec_b64 s[20:21], s[18:19]
	s_cbranch_execnz .LBB6_1585
	s_branch .LBB6_1586
.LBB6_1602:
	s_mov_b64 s[16:17], -1
                                        ; implicit-def: $vgpr0_vgpr1
	s_branch .LBB6_1607
.LBB6_1603:
	s_mov_b64 s[16:17], -1
                                        ; implicit-def: $vgpr0_vgpr1
.LBB6_1604:
	s_and_b64 vcc, exec, s[16:17]
	s_cbranch_vccz .LBB6_1606
; %bb.1605:
	global_load_ubyte v0, v[2:3], off
	s_mov_b32 s15, 0x7f800000
	s_waitcnt vmcnt(0)
	v_lshlrev_b32_e32 v0, 24, v0
	v_and_b32_e32 v1, 0x7f000000, v0
	v_ffbh_u32_e32 v4, v1
	v_min_u32_e32 v4, 32, v4
	v_sub_u32_e64 v4, v4, 4 clamp
	v_lshlrev_b32_e32 v7, v4, v1
	v_lshlrev_b32_e32 v4, 23, v4
	v_lshrrev_b32_e32 v7, 4, v7
	v_add_u32_e32 v5, 0x1000000, v1
	v_sub_u32_e32 v4, v7, v4
	v_ashrrev_i32_e32 v5, 8, v5
	v_add_u32_e32 v4, 0x3c000000, v4
	v_and_or_b32 v4, v5, s15, v4
	v_cmp_ne_u32_e32 vcc, 0, v1
	v_cndmask_b32_e32 v1, 0, v4, vcc
	s_brev_b32 s15, 1
	v_and_or_b32 v0, v0, s15, v1
	v_cvt_f64_f32_e32 v[0:1], v0
.LBB6_1606:
	s_mov_b64 s[16:17], 0
.LBB6_1607:
	s_andn2_b64 vcc, exec, s[16:17]
	s_cbranch_vccnz .LBB6_1609
; %bb.1608:
	global_load_ubyte v0, v[2:3], off
	s_movk_i32 s15, 0x7f00
	s_brev_b32 s16, 16
	s_waitcnt vmcnt(0)
	v_lshlrev_b16_e32 v1, 8, v0
	v_lshlrev_b32_e32 v0, 25, v0
	v_lshrrev_b32_e32 v4, 4, v0
	v_and_or_b32 v5, v1, s15, 0.5
	v_or_b32_e32 v4, 0x70000000, v4
	v_add_f32_e32 v5, -0.5, v5
	v_mul_f32_e32 v4, 0x7800000, v4
	v_cmp_gt_u32_e32 vcc, s16, v0
	v_bfe_i32 v1, v1, 0, 16
	v_cndmask_b32_e32 v0, v4, v5, vcc
	s_brev_b32 s15, 1
	v_and_or_b32 v0, v1, s15, v0
	v_cvt_f64_f32_e32 v[0:1], v0
.LBB6_1609:
	s_mov_b64 s[20:21], -1
	s_mov_b64 s[16:17], 0
	s_cbranch_execnz .LBB6_1620
.LBB6_1610:
	v_mov_b32_e32 v0, 14
	v_cmp_gt_i16_sdwa s[16:17], v16, v0 src0_sel:BYTE_0 src1_sel:DWORD
	s_and_b64 vcc, exec, s[16:17]
	s_cbranch_vccz .LBB6_1613
; %bb.1611:
	v_mov_b32_e32 v0, 15
	v_cmp_eq_u16_sdwa s[0:1], v16, v0 src0_sel:BYTE_0 src1_sel:DWORD
	s_and_b64 vcc, exec, s[0:1]
	s_cbranch_vccz .LBB6_1616
; %bb.1612:
	global_load_ushort v0, v[2:3], off
	s_mov_b64 s[0:1], 0
	s_mov_b64 s[20:21], -1
	s_waitcnt vmcnt(0)
	v_lshlrev_b32_e32 v0, 16, v0
	v_cvt_f64_f32_e32 v[0:1], v0
	s_branch .LBB6_1617
.LBB6_1613:
	s_mov_b64 s[18:19], -1
                                        ; implicit-def: $vgpr0_vgpr1
	s_branch .LBB6_1618
.LBB6_1614:
	s_or_saveexec_b64 s[20:21], s[20:21]
	v_pk_mov_b32 v[0:1], s[18:19], s[18:19] op_sel:[0,1]
	s_xor_b64 exec, exec, s[20:21]
	s_cbranch_execz .LBB6_1596
.LBB6_1615:
	v_cmp_ne_u16_e32 vcc, 0, v4
	s_andn2_b64 s[16:17], s[16:17], exec
	s_and_b64 s[18:19], vcc, exec
	v_pk_mov_b32 v[0:1], 0, 0
	s_or_b64 s[16:17], s[16:17], s[18:19]
	s_or_b64 exec, exec, s[20:21]
	s_and_saveexec_b64 s[18:19], s[16:17]
	s_cbranch_execnz .LBB6_1597
	s_branch .LBB6_1598
.LBB6_1616:
	s_mov_b64 s[0:1], -1
                                        ; implicit-def: $vgpr0_vgpr1
.LBB6_1617:
	s_mov_b64 s[18:19], 0
.LBB6_1618:
	s_mov_b64 s[16:17], 0
	s_and_b64 vcc, exec, s[18:19]
	s_cbranch_vccz .LBB6_1620
; %bb.1619:
	v_mov_b32_e32 v0, 11
	v_cmp_ne_u16_sdwa s[0:1], v16, v0 src0_sel:BYTE_0 src1_sel:DWORD
	s_mov_b64 s[16:17], -1
                                        ; implicit-def: $vgpr0_vgpr1
.LBB6_1620:
	s_and_b64 vcc, exec, s[0:1]
	s_mov_b64 s[18:19], s[6:7]
	s_cbranch_vccnz .LBB6_1681
; %bb.1621:
	s_andn2_b64 vcc, exec, s[16:17]
	s_cbranch_vccnz .LBB6_1623
.LBB6_1622:
	global_load_ubyte v1, v[2:3], off
	v_mov_b32_e32 v4, 0x3ff00000
	v_mov_b32_e32 v0, 0
	s_mov_b64 s[20:21], -1
	s_waitcnt vmcnt(0)
	v_cmp_ne_u16_e32 vcc, 0, v1
	v_cndmask_b32_e32 v1, 0, v4, vcc
.LBB6_1623:
	s_branch .LBB6_1553
.LBB6_1624:
	v_mov_b32_e32 v0, 5
	v_cmp_lt_i16_sdwa s[0:1], v16, v0 src0_sel:BYTE_0 src1_sel:DWORD
	s_and_b64 vcc, exec, s[0:1]
	s_cbranch_vccnz .LBB6_1629
; %bb.1625:
	v_mov_b32_e32 v0, 8
	v_cmp_lt_i16_sdwa s[0:1], v16, v0 src0_sel:BYTE_0 src1_sel:DWORD
	s_and_b64 vcc, exec, s[0:1]
	s_cbranch_vccnz .LBB6_1630
; %bb.1626:
	;; [unrolled: 5-line block ×3, first 2 shown]
	v_cmp_gt_i16_sdwa s[0:1], v16, v0 src0_sel:BYTE_0 src1_sel:DWORD
	s_and_b64 vcc, exec, s[0:1]
	s_cbranch_vccz .LBB6_1632
; %bb.1628:
	global_load_dwordx2 v[0:1], v[2:3], off
	s_mov_b64 s[0:1], 0
	s_branch .LBB6_1633
.LBB6_1629:
                                        ; implicit-def: $vgpr0_vgpr1
	s_branch .LBB6_1650
.LBB6_1630:
                                        ; implicit-def: $vgpr0_vgpr1
	s_branch .LBB6_1639
.LBB6_1631:
	s_mov_b64 s[0:1], -1
                                        ; implicit-def: $vgpr0_vgpr1
	s_branch .LBB6_1636
.LBB6_1632:
	s_mov_b64 s[0:1], -1
                                        ; implicit-def: $vgpr0_vgpr1
.LBB6_1633:
	s_andn2_b64 vcc, exec, s[0:1]
	s_cbranch_vccnz .LBB6_1635
; %bb.1634:
	global_load_dword v0, v[2:3], off
	s_waitcnt vmcnt(0)
	v_cvt_f64_f32_e32 v[0:1], v0
.LBB6_1635:
	s_mov_b64 s[0:1], 0
.LBB6_1636:
	s_andn2_b64 vcc, exec, s[0:1]
	s_cbranch_vccnz .LBB6_1638
; %bb.1637:
	global_load_dword v0, v[2:3], off
	s_waitcnt vmcnt(0)
	v_cvt_f32_f16_e32 v0, v0
	v_cvt_f64_f32_e32 v[0:1], v0
.LBB6_1638:
	s_cbranch_execnz .LBB6_1649
.LBB6_1639:
	s_waitcnt vmcnt(0)
	v_mov_b32_e32 v0, 6
	v_cmp_lt_i16_sdwa s[0:1], v16, v0 src0_sel:BYTE_0 src1_sel:DWORD
	s_and_b64 vcc, exec, s[0:1]
	s_cbranch_vccnz .LBB6_1642
; %bb.1640:
	v_cmp_gt_i16_sdwa s[0:1], v16, v0 src0_sel:BYTE_0 src1_sel:DWORD
	s_and_b64 vcc, exec, s[0:1]
	s_cbranch_vccz .LBB6_1643
; %bb.1641:
	global_load_dwordx2 v[0:1], v[2:3], off
	s_mov_b64 s[0:1], 0
	s_branch .LBB6_1644
.LBB6_1642:
	s_mov_b64 s[0:1], -1
                                        ; implicit-def: $vgpr0_vgpr1
	s_branch .LBB6_1647
.LBB6_1643:
	s_mov_b64 s[0:1], -1
                                        ; implicit-def: $vgpr0_vgpr1
.LBB6_1644:
	s_andn2_b64 vcc, exec, s[0:1]
	s_cbranch_vccnz .LBB6_1646
; %bb.1645:
	global_load_dword v0, v[2:3], off
	s_waitcnt vmcnt(0)
	v_cvt_f64_f32_e32 v[0:1], v0
.LBB6_1646:
	s_mov_b64 s[0:1], 0
.LBB6_1647:
	s_andn2_b64 vcc, exec, s[0:1]
	s_cbranch_vccnz .LBB6_1649
; %bb.1648:
	global_load_ushort v0, v[2:3], off
	s_waitcnt vmcnt(0)
	v_cvt_f32_f16_e32 v0, v0
	v_cvt_f64_f32_e32 v[0:1], v0
.LBB6_1649:
	s_cbranch_execnz .LBB6_1668
.LBB6_1650:
	s_waitcnt vmcnt(0)
	v_mov_b32_e32 v0, 2
	v_cmp_lt_i16_sdwa s[0:1], v16, v0 src0_sel:BYTE_0 src1_sel:DWORD
	s_and_b64 vcc, exec, s[0:1]
	s_cbranch_vccnz .LBB6_1654
; %bb.1651:
	v_mov_b32_e32 v0, 3
	v_cmp_lt_i16_sdwa s[0:1], v16, v0 src0_sel:BYTE_0 src1_sel:DWORD
	s_and_b64 vcc, exec, s[0:1]
	s_cbranch_vccnz .LBB6_1655
; %bb.1652:
	v_cmp_gt_i16_sdwa s[0:1], v16, v0 src0_sel:BYTE_0 src1_sel:DWORD
	s_and_b64 vcc, exec, s[0:1]
	s_cbranch_vccz .LBB6_1656
; %bb.1653:
	global_load_dwordx2 v[0:1], v[2:3], off
	s_mov_b64 s[0:1], 0
	s_waitcnt vmcnt(0)
	v_cvt_f64_i32_e32 v[4:5], v1
	v_cvt_f64_u32_e32 v[0:1], v0
	v_ldexp_f64 v[4:5], v[4:5], 32
	v_add_f64 v[0:1], v[4:5], v[0:1]
	s_branch .LBB6_1657
.LBB6_1654:
                                        ; implicit-def: $vgpr0_vgpr1
	s_branch .LBB6_1663
.LBB6_1655:
	s_mov_b64 s[0:1], -1
                                        ; implicit-def: $vgpr0_vgpr1
	s_branch .LBB6_1660
.LBB6_1656:
	s_mov_b64 s[0:1], -1
                                        ; implicit-def: $vgpr0_vgpr1
.LBB6_1657:
	s_andn2_b64 vcc, exec, s[0:1]
	s_cbranch_vccnz .LBB6_1659
; %bb.1658:
	global_load_dword v0, v[2:3], off
	s_waitcnt vmcnt(0)
	v_cvt_f64_i32_e32 v[0:1], v0
.LBB6_1659:
	s_mov_b64 s[0:1], 0
.LBB6_1660:
	s_andn2_b64 vcc, exec, s[0:1]
	s_cbranch_vccnz .LBB6_1662
; %bb.1661:
	global_load_sshort v0, v[2:3], off
	s_waitcnt vmcnt(0)
	v_cvt_f64_i32_e32 v[0:1], v0
.LBB6_1662:
	s_cbranch_execnz .LBB6_1668
.LBB6_1663:
	v_mov_b32_e32 v0, 0
	v_cmp_gt_i16_sdwa s[0:1], v16, v0 src0_sel:BYTE_0 src1_sel:DWORD
	s_and_b64 vcc, exec, s[0:1]
	s_cbranch_vccz .LBB6_1665
; %bb.1664:
	global_load_sbyte v0, v[2:3], off
	s_mov_b64 s[0:1], 0
	s_waitcnt vmcnt(0)
	v_cvt_f64_i32_e32 v[0:1], v0
	s_branch .LBB6_1666
.LBB6_1665:
	s_mov_b64 s[0:1], -1
                                        ; implicit-def: $vgpr0_vgpr1
.LBB6_1666:
	s_andn2_b64 vcc, exec, s[0:1]
	s_cbranch_vccnz .LBB6_1668
; %bb.1667:
	global_load_ubyte v0, v[2:3], off
	s_waitcnt vmcnt(0)
	v_cvt_f64_u32_e32 v[0:1], v0
.LBB6_1668:
                                        ; implicit-def: $vgpr2_vgpr3
.LBB6_1669:
	v_mul_lo_u32 v8, s14, v19
	v_ashrrev_i32_e32 v2, 31, v8
	v_mov_b32_e32 v3, s3
	v_add_co_u32_e32 v4, vcc, s2, v8
	v_addc_co_u32_e32 v5, vcc, v3, v2, vcc
	v_mov_b32_e32 v2, 11
	v_cmp_lt_i16_sdwa s[0:1], v20, v2 src0_sel:BYTE_0 src1_sel:DWORD
	s_and_b64 vcc, exec, s[0:1]
	s_cbranch_vccnz .LBB6_1676
; %bb.1670:
	v_mov_b32_e32 v2, 25
	v_cmp_gt_i16_sdwa s[0:1], v20, v2 src0_sel:BYTE_0 src1_sel:DWORD
	s_mov_b64 s[16:17], 0
	s_and_b64 vcc, exec, s[0:1]
	s_cbranch_vccz .LBB6_1678
; %bb.1671:
	v_mov_b32_e32 v2, 28
	v_cmp_gt_i16_sdwa s[0:1], v20, v2 src0_sel:BYTE_0 src1_sel:DWORD
	s_and_b64 vcc, exec, s[0:1]
	s_cbranch_vccz .LBB6_1679
; %bb.1672:
	v_mov_b32_e32 v2, 43
	v_cmp_gt_i16_sdwa s[0:1], v20, v2 src0_sel:BYTE_0 src1_sel:DWORD
	;; [unrolled: 5-line block ×3, first 2 shown]
	s_and_b64 vcc, exec, s[0:1]
	s_cbranch_vccz .LBB6_1682
; %bb.1674:
	v_mov_b32_e32 v2, 46
	v_cmp_eq_u16_sdwa s[0:1], v20, v2 src0_sel:BYTE_0 src1_sel:DWORD
	s_mov_b64 s[22:23], 0
	s_and_b64 vcc, exec, s[0:1]
	s_cbranch_vccz .LBB6_1685
; %bb.1675:
	global_load_dword v2, v[4:5], off
	s_mov_b64 s[0:1], 0
	s_mov_b64 s[20:21], -1
	s_waitcnt vmcnt(0)
	v_lshlrev_b32_e32 v2, 16, v2
	v_cvt_f64_f32_e32 v[2:3], v2
	s_branch .LBB6_1686
.LBB6_1676:
	s_mov_b64 s[20:21], 0
                                        ; implicit-def: $vgpr2_vgpr3
	s_cbranch_execnz .LBB6_1751
.LBB6_1677:
	s_andn2_b64 vcc, exec, s[20:21]
	s_cbranch_vccnz .LBB6_3032
	s_branch .LBB6_1798
.LBB6_1678:
	s_mov_b64 s[20:21], 0
	s_mov_b64 s[0:1], 0
                                        ; implicit-def: $vgpr2_vgpr3
	s_cbranch_execnz .LBB6_1715
	s_branch .LBB6_1747
.LBB6_1679:
	s_mov_b64 s[22:23], -1
	s_mov_b64 s[20:21], 0
	s_mov_b64 s[0:1], 0
                                        ; implicit-def: $vgpr2_vgpr3
	s_branch .LBB6_1696
.LBB6_1680:
	s_mov_b64 s[22:23], -1
	s_mov_b64 s[20:21], 0
	s_mov_b64 s[0:1], 0
                                        ; implicit-def: $vgpr2_vgpr3
	s_branch .LBB6_1691
.LBB6_1681:
	s_or_b64 s[18:19], s[6:7], exec
	s_trap 2
                                        ; implicit-def: $vgpr0_vgpr1
	s_cbranch_execz .LBB6_1622
	s_branch .LBB6_1623
.LBB6_1682:
	s_mov_b64 s[22:23], -1
	s_mov_b64 s[20:21], 0
	s_mov_b64 s[0:1], 0
                                        ; implicit-def: $vgpr2_vgpr3
	s_branch .LBB6_1686
.LBB6_1683:
	s_or_saveexec_b64 s[28:29], s[28:29]
                                        ; implicit-def: $sgpr15
	s_xor_b64 exec, exec, s[28:29]
	s_cbranch_execz .LBB6_1465
.LBB6_1684:
	s_mov_b32 s15, 0x42800000
	v_add_f32_e64 v3, |v2|, s15
	v_and_b32_e32 v3, 0xff, v3
	v_cmp_ne_u32_e32 vcc, 0, v3
	s_andn2_b64 s[26:27], s[26:27], exec
	s_and_b64 s[30:31], vcc, exec
	s_mov_b32 s15, 0
	s_or_b64 s[26:27], s[26:27], s[30:31]
	s_or_b64 exec, exec, s[28:29]
	v_mov_b32_e32 v6, s15
	s_and_saveexec_b64 s[28:29], s[26:27]
	s_cbranch_execnz .LBB6_1466
	s_branch .LBB6_1467
.LBB6_1685:
	s_mov_b64 s[0:1], -1
                                        ; implicit-def: $vgpr2_vgpr3
	s_mov_b64 s[20:21], 0
.LBB6_1686:
	s_and_b64 vcc, exec, s[22:23]
	s_cbranch_vccz .LBB6_1690
; %bb.1687:
	v_mov_b32_e32 v2, 44
	v_cmp_eq_u16_sdwa s[0:1], v20, v2 src0_sel:BYTE_0 src1_sel:DWORD
	s_and_b64 vcc, exec, s[0:1]
	s_cbranch_vccz .LBB6_1689
; %bb.1688:
	global_load_ubyte v7, v[4:5], off
	s_movk_i32 s15, 0xff
	v_bfrev_b32_e32 v9, 4
	v_mov_b32_e32 v10, 0x7ff80000
	v_bfrev_b32_e32 v11, 28
	s_mov_b64 s[0:1], 0
	s_mov_b64 s[20:21], -1
	s_waitcnt vmcnt(0)
	v_lshlrev_b32_e32 v2, 23, v7
	v_cvt_f64_f32_e32 v[2:3], v2
	v_cmp_ne_u32_e32 vcc, s15, v7
	v_cndmask_b32_e32 v2, v9, v2, vcc
	v_cndmask_b32_e32 v3, v10, v3, vcc
	v_cmp_ne_u32_e32 vcc, 0, v7
	v_cndmask_b32_e32 v3, v11, v3, vcc
	v_cndmask_b32_e32 v2, 0, v2, vcc
	s_branch .LBB6_1690
.LBB6_1689:
	s_mov_b64 s[0:1], -1
                                        ; implicit-def: $vgpr2_vgpr3
.LBB6_1690:
	s_mov_b64 s[22:23], 0
.LBB6_1691:
	s_and_b64 vcc, exec, s[22:23]
	s_cbranch_vccz .LBB6_1695
; %bb.1692:
	v_mov_b32_e32 v2, 29
	v_cmp_eq_u16_sdwa s[0:1], v20, v2 src0_sel:BYTE_0 src1_sel:DWORD
	s_and_b64 vcc, exec, s[0:1]
	s_cbranch_vccz .LBB6_1694
; %bb.1693:
	global_load_dwordx2 v[2:3], v[4:5], off
	s_mov_b64 s[0:1], 0
	s_mov_b64 s[20:21], -1
	s_mov_b64 s[22:23], 0
	s_waitcnt vmcnt(0)
	v_cvt_f64_u32_e32 v[10:11], v3
	v_cvt_f64_u32_e32 v[2:3], v2
	v_ldexp_f64 v[10:11], v[10:11], 32
	v_add_f64 v[2:3], v[10:11], v[2:3]
	s_branch .LBB6_1696
.LBB6_1694:
	s_mov_b64 s[0:1], -1
                                        ; implicit-def: $vgpr2_vgpr3
.LBB6_1695:
	s_mov_b64 s[22:23], 0
.LBB6_1696:
	s_and_b64 vcc, exec, s[22:23]
	s_cbranch_vccz .LBB6_1714
; %bb.1697:
	v_mov_b32_e32 v2, 27
	v_cmp_lt_i16_sdwa s[20:21], v20, v2 src0_sel:BYTE_0 src1_sel:DWORD
	s_and_b64 vcc, exec, s[20:21]
	s_cbranch_vccnz .LBB6_1700
; %bb.1698:
	v_cmp_gt_i16_sdwa s[20:21], v20, v2 src0_sel:BYTE_0 src1_sel:DWORD
	s_and_b64 vcc, exec, s[20:21]
	s_cbranch_vccz .LBB6_1701
; %bb.1699:
	global_load_dword v2, v[4:5], off
	s_mov_b64 s[20:21], 0
	s_waitcnt vmcnt(0)
	v_cvt_f64_u32_e32 v[2:3], v2
	s_branch .LBB6_1702
.LBB6_1700:
	s_mov_b64 s[20:21], -1
                                        ; implicit-def: $vgpr2_vgpr3
	s_branch .LBB6_1705
.LBB6_1701:
	s_mov_b64 s[20:21], -1
                                        ; implicit-def: $vgpr2_vgpr3
.LBB6_1702:
	s_andn2_b64 vcc, exec, s[20:21]
	s_cbranch_vccnz .LBB6_1704
; %bb.1703:
	global_load_ushort v2, v[4:5], off
	s_waitcnt vmcnt(0)
	v_cvt_f64_u32_e32 v[2:3], v2
.LBB6_1704:
	s_mov_b64 s[20:21], 0
.LBB6_1705:
	s_andn2_b64 vcc, exec, s[20:21]
	s_cbranch_vccnz .LBB6_1713
; %bb.1706:
	global_load_ubyte v7, v[4:5], off
	s_movk_i32 s15, 0x7f
	s_mov_b64 s[20:21], 0
                                        ; implicit-def: $sgpr22_sgpr23
	s_waitcnt vmcnt(0)
	v_cmp_lt_i16_e32 vcc, s15, v7
	s_and_saveexec_b64 s[24:25], vcc
	s_xor_b64 s[24:25], exec, s[24:25]
	s_cbranch_execz .LBB6_1726
; %bb.1707:
	s_movk_i32 s15, 0x80
	v_cmp_eq_u16_e32 vcc, s15, v7
	s_mov_b64 s[26:27], -1
                                        ; implicit-def: $sgpr22_sgpr23
	s_and_saveexec_b64 s[20:21], vcc
; %bb.1708:
	s_mov_b32 s23, 0x7ff80000
	s_brev_b32 s22, 4
	s_xor_b64 s[26:27], exec, -1
; %bb.1709:
	s_or_b64 exec, exec, s[20:21]
	s_and_b64 s[20:21], s[26:27], exec
	s_or_saveexec_b64 s[24:25], s[24:25]
	v_pk_mov_b32 v[2:3], s[22:23], s[22:23] op_sel:[0,1]
	s_xor_b64 exec, exec, s[24:25]
	s_cbranch_execnz .LBB6_1727
.LBB6_1710:
	s_or_b64 exec, exec, s[24:25]
	s_and_saveexec_b64 s[22:23], s[20:21]
	s_cbranch_execz .LBB6_1712
.LBB6_1711:
	v_and_b32_e32 v3, 0xffff, v7
	v_lshlrev_b32_e32 v2, 24, v7
	v_and_b32_e32 v7, 7, v3
	v_ffbh_u32_e32 v10, v7
	v_min_u32_e32 v10, 32, v10
	v_subrev_u32_e32 v11, 28, v10
	v_bfe_u32 v9, v3, 3, 4
	v_lshlrev_b32_e32 v3, v11, v3
	v_sub_u32_e32 v10, 29, v10
	v_and_b32_e32 v3, 7, v3
	v_cmp_eq_u32_e32 vcc, 0, v9
	v_cndmask_b32_e32 v9, v9, v10, vcc
	v_cndmask_b32_e32 v3, v7, v3, vcc
	v_mov_b32_e32 v7, 0x3b800000
	v_lshlrev_b32_e32 v3, 20, v3
	v_and_b32_e32 v2, 0x80000000, v2
	v_lshl_add_u32 v7, v9, 23, v7
	v_or3_b32 v2, v2, v7, v3
	v_cvt_f64_f32_e32 v[2:3], v2
.LBB6_1712:
	s_or_b64 exec, exec, s[22:23]
.LBB6_1713:
	s_mov_b64 s[20:21], -1
.LBB6_1714:
	s_branch .LBB6_1747
.LBB6_1715:
	v_mov_b32_e32 v2, 22
	v_cmp_gt_i16_sdwa s[16:17], v20, v2 src0_sel:BYTE_0 src1_sel:DWORD
	s_and_b64 vcc, exec, s[16:17]
	s_cbranch_vccz .LBB6_1725
; %bb.1716:
	v_mov_b32_e32 v2, 24
	v_cmp_lt_i16_sdwa s[16:17], v20, v2 src0_sel:BYTE_0 src1_sel:DWORD
	s_and_b64 vcc, exec, s[16:17]
	s_cbranch_vccnz .LBB6_1728
; %bb.1717:
	v_cmp_gt_i16_sdwa s[16:17], v20, v2 src0_sel:BYTE_0 src1_sel:DWORD
	s_and_b64 vcc, exec, s[16:17]
	s_cbranch_vccz .LBB6_1729
; %bb.1718:
	global_load_ubyte v7, v[4:5], off
	s_movk_i32 s15, 0x7f
	s_mov_b64 s[16:17], 0
                                        ; implicit-def: $sgpr20_sgpr21
	s_waitcnt vmcnt(0)
	v_cmp_lt_i16_e32 vcc, s15, v7
	s_and_saveexec_b64 s[22:23], vcc
	s_xor_b64 s[22:23], exec, s[22:23]
	s_cbranch_execz .LBB6_1741
; %bb.1719:
	s_movk_i32 s15, 0x80
	v_cmp_eq_u16_e32 vcc, s15, v7
	s_mov_b64 s[24:25], -1
                                        ; implicit-def: $sgpr20_sgpr21
	s_and_saveexec_b64 s[16:17], vcc
; %bb.1720:
	s_mov_b32 s21, 0x7ff80000
	s_brev_b32 s20, 4
	s_xor_b64 s[24:25], exec, -1
; %bb.1721:
	s_or_b64 exec, exec, s[16:17]
	s_and_b64 s[16:17], s[24:25], exec
	s_or_saveexec_b64 s[22:23], s[22:23]
	v_pk_mov_b32 v[2:3], s[20:21], s[20:21] op_sel:[0,1]
	s_xor_b64 exec, exec, s[22:23]
	s_cbranch_execnz .LBB6_1742
.LBB6_1722:
	s_or_b64 exec, exec, s[22:23]
	s_and_saveexec_b64 s[20:21], s[16:17]
	s_cbranch_execz .LBB6_1724
.LBB6_1723:
	v_and_b32_e32 v3, 0xffff, v7
	v_lshlrev_b32_e32 v2, 24, v7
	v_and_b32_e32 v7, 3, v3
	v_ffbh_u32_e32 v10, v7
	v_min_u32_e32 v10, 32, v10
	v_subrev_u32_e32 v11, 29, v10
	v_bfe_u32 v9, v3, 2, 5
	v_lshlrev_b32_e32 v3, v11, v3
	v_sub_u32_e32 v10, 30, v10
	v_and_b32_e32 v3, 3, v3
	v_cmp_eq_u32_e32 vcc, 0, v9
	v_cndmask_b32_e32 v9, v9, v10, vcc
	v_cndmask_b32_e32 v3, v7, v3, vcc
	v_mov_b32_e32 v7, 0x37800000
	v_lshlrev_b32_e32 v3, 21, v3
	v_and_b32_e32 v2, 0x80000000, v2
	v_lshl_add_u32 v7, v9, 23, v7
	v_or3_b32 v2, v2, v7, v3
	v_cvt_f64_f32_e32 v[2:3], v2
.LBB6_1724:
	s_or_b64 exec, exec, s[20:21]
	s_mov_b64 s[16:17], 0
	s_branch .LBB6_1730
.LBB6_1725:
	s_mov_b64 s[16:17], -1
                                        ; implicit-def: $vgpr2_vgpr3
	s_branch .LBB6_1736
.LBB6_1726:
	s_or_saveexec_b64 s[24:25], s[24:25]
	v_pk_mov_b32 v[2:3], s[22:23], s[22:23] op_sel:[0,1]
	s_xor_b64 exec, exec, s[24:25]
	s_cbranch_execz .LBB6_1710
.LBB6_1727:
	v_cmp_ne_u16_e32 vcc, 0, v7
	s_andn2_b64 s[20:21], s[20:21], exec
	s_and_b64 s[22:23], vcc, exec
	v_pk_mov_b32 v[2:3], 0, 0
	s_or_b64 s[20:21], s[20:21], s[22:23]
	s_or_b64 exec, exec, s[24:25]
	s_and_saveexec_b64 s[22:23], s[20:21]
	s_cbranch_execnz .LBB6_1711
	s_branch .LBB6_1712
.LBB6_1728:
	s_mov_b64 s[16:17], -1
                                        ; implicit-def: $vgpr2_vgpr3
	s_branch .LBB6_1733
.LBB6_1729:
	s_mov_b64 s[16:17], -1
                                        ; implicit-def: $vgpr2_vgpr3
.LBB6_1730:
	s_and_b64 vcc, exec, s[16:17]
	s_cbranch_vccz .LBB6_1732
; %bb.1731:
	global_load_ubyte v2, v[4:5], off
	s_mov_b32 s15, 0x7f800000
	s_waitcnt vmcnt(0)
	v_lshlrev_b32_e32 v2, 24, v2
	v_and_b32_e32 v3, 0x7f000000, v2
	v_ffbh_u32_e32 v7, v3
	v_min_u32_e32 v7, 32, v7
	v_sub_u32_e64 v7, v7, 4 clamp
	v_lshlrev_b32_e32 v10, v7, v3
	v_lshlrev_b32_e32 v7, 23, v7
	v_lshrrev_b32_e32 v10, 4, v10
	v_add_u32_e32 v9, 0x1000000, v3
	v_sub_u32_e32 v7, v10, v7
	v_ashrrev_i32_e32 v9, 8, v9
	v_add_u32_e32 v7, 0x3c000000, v7
	v_and_or_b32 v7, v9, s15, v7
	v_cmp_ne_u32_e32 vcc, 0, v3
	v_cndmask_b32_e32 v3, 0, v7, vcc
	s_brev_b32 s15, 1
	v_and_or_b32 v2, v2, s15, v3
	v_cvt_f64_f32_e32 v[2:3], v2
.LBB6_1732:
	s_mov_b64 s[16:17], 0
.LBB6_1733:
	s_andn2_b64 vcc, exec, s[16:17]
	s_cbranch_vccnz .LBB6_1735
; %bb.1734:
	global_load_ubyte v2, v[4:5], off
	s_movk_i32 s15, 0x7f00
	s_brev_b32 s16, 16
	s_waitcnt vmcnt(0)
	v_lshlrev_b16_e32 v3, 8, v2
	v_lshlrev_b32_e32 v2, 25, v2
	v_lshrrev_b32_e32 v7, 4, v2
	v_and_or_b32 v9, v3, s15, 0.5
	v_or_b32_e32 v7, 0x70000000, v7
	v_add_f32_e32 v9, -0.5, v9
	v_mul_f32_e32 v7, 0x7800000, v7
	v_cmp_gt_u32_e32 vcc, s16, v2
	v_bfe_i32 v3, v3, 0, 16
	v_cndmask_b32_e32 v2, v7, v9, vcc
	s_brev_b32 s15, 1
	v_and_or_b32 v2, v3, s15, v2
	v_cvt_f64_f32_e32 v[2:3], v2
.LBB6_1735:
	s_mov_b64 s[16:17], 0
	s_mov_b64 s[20:21], -1
.LBB6_1736:
	s_andn2_b64 vcc, exec, s[16:17]
	s_mov_b64 s[16:17], 0
	s_cbranch_vccnz .LBB6_1747
; %bb.1737:
	v_mov_b32_e32 v2, 14
	v_cmp_gt_i16_sdwa s[16:17], v20, v2 src0_sel:BYTE_0 src1_sel:DWORD
	s_and_b64 vcc, exec, s[16:17]
	s_cbranch_vccz .LBB6_1740
; %bb.1738:
	v_mov_b32_e32 v2, 15
	v_cmp_eq_u16_sdwa s[0:1], v20, v2 src0_sel:BYTE_0 src1_sel:DWORD
	s_and_b64 vcc, exec, s[0:1]
	s_cbranch_vccz .LBB6_1743
; %bb.1739:
	global_load_ushort v2, v[4:5], off
	s_mov_b64 s[0:1], 0
	s_mov_b64 s[20:21], -1
	s_waitcnt vmcnt(0)
	v_lshlrev_b32_e32 v2, 16, v2
	v_cvt_f64_f32_e32 v[2:3], v2
	s_branch .LBB6_1744
.LBB6_1740:
	s_mov_b64 s[22:23], -1
                                        ; implicit-def: $vgpr2_vgpr3
	s_branch .LBB6_1745
.LBB6_1741:
	s_or_saveexec_b64 s[22:23], s[22:23]
	v_pk_mov_b32 v[2:3], s[20:21], s[20:21] op_sel:[0,1]
	s_xor_b64 exec, exec, s[22:23]
	s_cbranch_execz .LBB6_1722
.LBB6_1742:
	v_cmp_ne_u16_e32 vcc, 0, v7
	s_andn2_b64 s[16:17], s[16:17], exec
	s_and_b64 s[20:21], vcc, exec
	v_pk_mov_b32 v[2:3], 0, 0
	s_or_b64 s[16:17], s[16:17], s[20:21]
	s_or_b64 exec, exec, s[22:23]
	s_and_saveexec_b64 s[20:21], s[16:17]
	s_cbranch_execnz .LBB6_1723
	s_branch .LBB6_1724
.LBB6_1743:
	s_mov_b64 s[0:1], -1
                                        ; implicit-def: $vgpr2_vgpr3
.LBB6_1744:
	s_mov_b64 s[22:23], 0
.LBB6_1745:
	s_mov_b64 s[16:17], 0
	s_and_b64 vcc, exec, s[22:23]
	s_cbranch_vccz .LBB6_1747
; %bb.1746:
	v_mov_b32_e32 v2, 11
	v_cmp_ne_u16_sdwa s[0:1], v20, v2 src0_sel:BYTE_0 src1_sel:DWORD
	s_mov_b64 s[16:17], -1
                                        ; implicit-def: $vgpr2_vgpr3
.LBB6_1747:
	s_and_b64 vcc, exec, s[0:1]
	s_cbranch_vccnz .LBB6_1810
; %bb.1748:
	s_andn2_b64 vcc, exec, s[16:17]
	s_cbranch_vccnz .LBB6_1750
.LBB6_1749:
	global_load_ubyte v3, v[4:5], off
	v_mov_b32_e32 v7, 0x3ff00000
	v_mov_b32_e32 v2, 0
	s_mov_b64 s[20:21], -1
	s_waitcnt vmcnt(0)
	v_cmp_ne_u16_e32 vcc, 0, v3
	v_cndmask_b32_e32 v3, 0, v7, vcc
.LBB6_1750:
	s_branch .LBB6_1677
.LBB6_1751:
	v_mov_b32_e32 v2, 5
	v_cmp_lt_i16_sdwa s[0:1], v20, v2 src0_sel:BYTE_0 src1_sel:DWORD
	s_and_b64 vcc, exec, s[0:1]
	s_cbranch_vccnz .LBB6_1756
; %bb.1752:
	v_mov_b32_e32 v2, 8
	v_cmp_lt_i16_sdwa s[0:1], v20, v2 src0_sel:BYTE_0 src1_sel:DWORD
	s_and_b64 vcc, exec, s[0:1]
	s_cbranch_vccnz .LBB6_1757
; %bb.1753:
	;; [unrolled: 5-line block ×3, first 2 shown]
	v_cmp_gt_i16_sdwa s[0:1], v20, v2 src0_sel:BYTE_0 src1_sel:DWORD
	s_and_b64 vcc, exec, s[0:1]
	s_cbranch_vccz .LBB6_1759
; %bb.1755:
	global_load_dwordx2 v[2:3], v[4:5], off
	s_mov_b64 s[0:1], 0
	s_branch .LBB6_1760
.LBB6_1756:
                                        ; implicit-def: $vgpr2_vgpr3
	s_branch .LBB6_1778
.LBB6_1757:
	s_mov_b64 s[0:1], -1
                                        ; implicit-def: $vgpr2_vgpr3
	s_branch .LBB6_1766
.LBB6_1758:
	s_mov_b64 s[0:1], -1
                                        ; implicit-def: $vgpr2_vgpr3
	s_branch .LBB6_1763
.LBB6_1759:
	s_mov_b64 s[0:1], -1
                                        ; implicit-def: $vgpr2_vgpr3
.LBB6_1760:
	s_andn2_b64 vcc, exec, s[0:1]
	s_cbranch_vccnz .LBB6_1762
; %bb.1761:
	global_load_dword v2, v[4:5], off
	s_waitcnt vmcnt(0)
	v_cvt_f64_f32_e32 v[2:3], v2
.LBB6_1762:
	s_mov_b64 s[0:1], 0
.LBB6_1763:
	s_andn2_b64 vcc, exec, s[0:1]
	s_cbranch_vccnz .LBB6_1765
; %bb.1764:
	global_load_dword v2, v[4:5], off
	s_waitcnt vmcnt(0)
	v_cvt_f32_f16_e32 v2, v2
	v_cvt_f64_f32_e32 v[2:3], v2
.LBB6_1765:
	s_mov_b64 s[0:1], 0
.LBB6_1766:
	s_andn2_b64 vcc, exec, s[0:1]
	s_cbranch_vccnz .LBB6_1777
; %bb.1767:
	s_waitcnt vmcnt(0)
	v_mov_b32_e32 v2, 6
	v_cmp_lt_i16_sdwa s[0:1], v20, v2 src0_sel:BYTE_0 src1_sel:DWORD
	s_and_b64 vcc, exec, s[0:1]
	s_cbranch_vccnz .LBB6_1770
; %bb.1768:
	v_cmp_gt_i16_sdwa s[0:1], v20, v2 src0_sel:BYTE_0 src1_sel:DWORD
	s_and_b64 vcc, exec, s[0:1]
	s_cbranch_vccz .LBB6_1771
; %bb.1769:
	global_load_dwordx2 v[2:3], v[4:5], off
	s_mov_b64 s[0:1], 0
	s_branch .LBB6_1772
.LBB6_1770:
	s_mov_b64 s[0:1], -1
                                        ; implicit-def: $vgpr2_vgpr3
	s_branch .LBB6_1775
.LBB6_1771:
	s_mov_b64 s[0:1], -1
                                        ; implicit-def: $vgpr2_vgpr3
.LBB6_1772:
	s_andn2_b64 vcc, exec, s[0:1]
	s_cbranch_vccnz .LBB6_1774
; %bb.1773:
	global_load_dword v2, v[4:5], off
	s_waitcnt vmcnt(0)
	v_cvt_f64_f32_e32 v[2:3], v2
.LBB6_1774:
	s_mov_b64 s[0:1], 0
.LBB6_1775:
	s_andn2_b64 vcc, exec, s[0:1]
	s_cbranch_vccnz .LBB6_1777
; %bb.1776:
	global_load_ushort v2, v[4:5], off
	s_waitcnt vmcnt(0)
	v_cvt_f32_f16_e32 v2, v2
	v_cvt_f64_f32_e32 v[2:3], v2
.LBB6_1777:
	s_cbranch_execnz .LBB6_1797
.LBB6_1778:
	s_waitcnt vmcnt(0)
	v_mov_b32_e32 v2, 2
	v_cmp_lt_i16_sdwa s[0:1], v20, v2 src0_sel:BYTE_0 src1_sel:DWORD
	s_and_b64 vcc, exec, s[0:1]
	s_cbranch_vccnz .LBB6_1782
; %bb.1779:
	v_mov_b32_e32 v2, 3
	v_cmp_lt_i16_sdwa s[0:1], v20, v2 src0_sel:BYTE_0 src1_sel:DWORD
	s_and_b64 vcc, exec, s[0:1]
	s_cbranch_vccnz .LBB6_1783
; %bb.1780:
	v_cmp_gt_i16_sdwa s[0:1], v20, v2 src0_sel:BYTE_0 src1_sel:DWORD
	s_and_b64 vcc, exec, s[0:1]
	s_cbranch_vccz .LBB6_1784
; %bb.1781:
	global_load_dwordx2 v[2:3], v[4:5], off
	s_mov_b64 s[0:1], 0
	s_waitcnt vmcnt(0)
	v_cvt_f64_i32_e32 v[10:11], v3
	v_cvt_f64_u32_e32 v[2:3], v2
	v_ldexp_f64 v[10:11], v[10:11], 32
	v_add_f64 v[2:3], v[10:11], v[2:3]
	s_branch .LBB6_1785
.LBB6_1782:
	s_mov_b64 s[0:1], -1
                                        ; implicit-def: $vgpr2_vgpr3
	s_branch .LBB6_1791
.LBB6_1783:
	s_mov_b64 s[0:1], -1
                                        ; implicit-def: $vgpr2_vgpr3
	s_branch .LBB6_1788
.LBB6_1784:
	s_mov_b64 s[0:1], -1
                                        ; implicit-def: $vgpr2_vgpr3
.LBB6_1785:
	s_andn2_b64 vcc, exec, s[0:1]
	s_cbranch_vccnz .LBB6_1787
; %bb.1786:
	global_load_dword v2, v[4:5], off
	s_waitcnt vmcnt(0)
	v_cvt_f64_i32_e32 v[2:3], v2
.LBB6_1787:
	s_mov_b64 s[0:1], 0
.LBB6_1788:
	s_andn2_b64 vcc, exec, s[0:1]
	s_cbranch_vccnz .LBB6_1790
; %bb.1789:
	global_load_sshort v2, v[4:5], off
	s_waitcnt vmcnt(0)
	v_cvt_f64_i32_e32 v[2:3], v2
.LBB6_1790:
	s_mov_b64 s[0:1], 0
.LBB6_1791:
	s_andn2_b64 vcc, exec, s[0:1]
	s_cbranch_vccnz .LBB6_1797
; %bb.1792:
	v_mov_b32_e32 v2, 0
	v_cmp_gt_i16_sdwa s[0:1], v20, v2 src0_sel:BYTE_0 src1_sel:DWORD
	s_and_b64 vcc, exec, s[0:1]
	s_cbranch_vccz .LBB6_1794
; %bb.1793:
	global_load_sbyte v2, v[4:5], off
	s_mov_b64 s[0:1], 0
	s_waitcnt vmcnt(0)
	v_cvt_f64_i32_e32 v[2:3], v2
	s_branch .LBB6_1795
.LBB6_1794:
	s_mov_b64 s[0:1], -1
                                        ; implicit-def: $vgpr2_vgpr3
.LBB6_1795:
	s_andn2_b64 vcc, exec, s[0:1]
	s_cbranch_vccnz .LBB6_1797
; %bb.1796:
	global_load_ubyte v2, v[4:5], off
	s_waitcnt vmcnt(0)
	v_cvt_f64_u32_e32 v[2:3], v2
.LBB6_1797:
.LBB6_1798:
	s_lshl_b32 s13, s13, 7
	v_add_u32_e32 v10, s13, v6
	v_ashrrev_i32_e32 v4, 31, v10
	v_mov_b32_e32 v5, s11
	v_add_co_u32_e32 v6, vcc, s10, v10
	v_addc_co_u32_e32 v7, vcc, v5, v4, vcc
	v_mov_b32_e32 v4, 11
	v_cmp_lt_i16_sdwa s[0:1], v16, v4 src0_sel:BYTE_0 src1_sel:DWORD
	s_and_b64 vcc, exec, s[0:1]
	s_cbranch_vccnz .LBB6_1805
; %bb.1799:
	v_mov_b32_e32 v4, 25
	v_cmp_gt_i16_sdwa s[0:1], v16, v4 src0_sel:BYTE_0 src1_sel:DWORD
	s_mov_b64 s[16:17], 0
	s_and_b64 vcc, exec, s[0:1]
	s_cbranch_vccz .LBB6_1807
; %bb.1800:
	v_mov_b32_e32 v4, 28
	v_cmp_gt_i16_sdwa s[0:1], v16, v4 src0_sel:BYTE_0 src1_sel:DWORD
	s_and_b64 vcc, exec, s[0:1]
	s_cbranch_vccz .LBB6_1808
; %bb.1801:
	v_mov_b32_e32 v4, 43
	v_cmp_gt_i16_sdwa s[0:1], v16, v4 src0_sel:BYTE_0 src1_sel:DWORD
	;; [unrolled: 5-line block ×3, first 2 shown]
	s_and_b64 vcc, exec, s[0:1]
	s_cbranch_vccz .LBB6_1811
; %bb.1803:
	v_mov_b32_e32 v4, 46
	v_cmp_eq_u16_sdwa s[0:1], v16, v4 src0_sel:BYTE_0 src1_sel:DWORD
	s_mov_b64 s[22:23], 0
	s_and_b64 vcc, exec, s[0:1]
	s_cbranch_vccz .LBB6_1812
; %bb.1804:
	global_load_dword v4, v[6:7], off
	s_mov_b64 s[0:1], 0
	s_mov_b64 s[20:21], -1
	s_waitcnt vmcnt(0)
	v_lshlrev_b32_e32 v4, 16, v4
	v_cvt_f64_f32_e32 v[4:5], v4
	s_branch .LBB6_1813
.LBB6_1805:
	s_mov_b64 s[20:21], 0
                                        ; implicit-def: $vgpr4_vgpr5
	s_cbranch_execnz .LBB6_1879
.LBB6_1806:
	s_andn2_b64 vcc, exec, s[20:21]
	s_cbranch_vccnz .LBB6_3032
	s_branch .LBB6_1927
.LBB6_1807:
	s_mov_b64 s[22:23], -1
	s_mov_b64 s[20:21], 0
	s_mov_b64 s[0:1], 0
                                        ; implicit-def: $vgpr4_vgpr5
	s_branch .LBB6_1842
.LBB6_1808:
	s_mov_b64 s[22:23], -1
	s_mov_b64 s[20:21], 0
	s_mov_b64 s[0:1], 0
                                        ; implicit-def: $vgpr4_vgpr5
	s_branch .LBB6_1823
.LBB6_1809:
	s_mov_b64 s[22:23], -1
	s_mov_b64 s[20:21], 0
	s_mov_b64 s[0:1], 0
                                        ; implicit-def: $vgpr4_vgpr5
	s_branch .LBB6_1818
.LBB6_1810:
	s_trap 2
	s_or_b64 s[18:19], s[18:19], exec
                                        ; implicit-def: $vgpr2_vgpr3
	s_cbranch_execz .LBB6_1749
	s_branch .LBB6_1750
.LBB6_1811:
	s_mov_b64 s[22:23], -1
	s_mov_b64 s[20:21], 0
	s_mov_b64 s[0:1], 0
                                        ; implicit-def: $vgpr4_vgpr5
	s_branch .LBB6_1813
.LBB6_1812:
	s_mov_b64 s[0:1], -1
                                        ; implicit-def: $vgpr4_vgpr5
	s_mov_b64 s[20:21], 0
.LBB6_1813:
	s_and_b64 vcc, exec, s[22:23]
	s_cbranch_vccz .LBB6_1817
; %bb.1814:
	v_mov_b32_e32 v4, 44
	v_cmp_eq_u16_sdwa s[0:1], v16, v4 src0_sel:BYTE_0 src1_sel:DWORD
	s_and_b64 vcc, exec, s[0:1]
	s_cbranch_vccz .LBB6_1816
; %bb.1815:
	global_load_ubyte v9, v[6:7], off
	s_movk_i32 s15, 0xff
	v_bfrev_b32_e32 v11, 4
	v_mov_b32_e32 v12, 0x7ff80000
	v_bfrev_b32_e32 v13, 28
	s_mov_b64 s[0:1], 0
	s_mov_b64 s[20:21], -1
	s_waitcnt vmcnt(0)
	v_lshlrev_b32_e32 v4, 23, v9
	v_cvt_f64_f32_e32 v[4:5], v4
	v_cmp_ne_u32_e32 vcc, s15, v9
	v_cndmask_b32_e32 v4, v11, v4, vcc
	v_cndmask_b32_e32 v5, v12, v5, vcc
	v_cmp_ne_u32_e32 vcc, 0, v9
	v_cndmask_b32_e32 v5, v13, v5, vcc
	v_cndmask_b32_e32 v4, 0, v4, vcc
	s_branch .LBB6_1817
.LBB6_1816:
	s_mov_b64 s[0:1], -1
                                        ; implicit-def: $vgpr4_vgpr5
.LBB6_1817:
	s_mov_b64 s[22:23], 0
.LBB6_1818:
	s_and_b64 vcc, exec, s[22:23]
	s_cbranch_vccz .LBB6_1822
; %bb.1819:
	v_mov_b32_e32 v4, 29
	v_cmp_eq_u16_sdwa s[0:1], v16, v4 src0_sel:BYTE_0 src1_sel:DWORD
	s_and_b64 vcc, exec, s[0:1]
	s_cbranch_vccz .LBB6_1821
; %bb.1820:
	global_load_dwordx2 v[4:5], v[6:7], off
	s_mov_b64 s[0:1], 0
	s_mov_b64 s[20:21], -1
	s_mov_b64 s[22:23], 0
	s_waitcnt vmcnt(0)
	v_cvt_f64_u32_e32 v[12:13], v5
	v_cvt_f64_u32_e32 v[4:5], v4
	v_ldexp_f64 v[12:13], v[12:13], 32
	v_add_f64 v[4:5], v[12:13], v[4:5]
	s_branch .LBB6_1823
.LBB6_1821:
	s_mov_b64 s[0:1], -1
                                        ; implicit-def: $vgpr4_vgpr5
.LBB6_1822:
	s_mov_b64 s[22:23], 0
.LBB6_1823:
	s_and_b64 vcc, exec, s[22:23]
	s_cbranch_vccz .LBB6_1841
; %bb.1824:
	v_mov_b32_e32 v4, 27
	v_cmp_lt_i16_sdwa s[20:21], v16, v4 src0_sel:BYTE_0 src1_sel:DWORD
	s_and_b64 vcc, exec, s[20:21]
	s_cbranch_vccnz .LBB6_1827
; %bb.1825:
	v_cmp_gt_i16_sdwa s[20:21], v16, v4 src0_sel:BYTE_0 src1_sel:DWORD
	s_and_b64 vcc, exec, s[20:21]
	s_cbranch_vccz .LBB6_1828
; %bb.1826:
	global_load_dword v4, v[6:7], off
	s_mov_b64 s[20:21], 0
	s_waitcnt vmcnt(0)
	v_cvt_f64_u32_e32 v[4:5], v4
	s_branch .LBB6_1829
.LBB6_1827:
	s_mov_b64 s[20:21], -1
                                        ; implicit-def: $vgpr4_vgpr5
	s_branch .LBB6_1832
.LBB6_1828:
	s_mov_b64 s[20:21], -1
                                        ; implicit-def: $vgpr4_vgpr5
.LBB6_1829:
	s_andn2_b64 vcc, exec, s[20:21]
	s_cbranch_vccnz .LBB6_1831
; %bb.1830:
	global_load_ushort v4, v[6:7], off
	s_waitcnt vmcnt(0)
	v_cvt_f64_u32_e32 v[4:5], v4
.LBB6_1831:
	s_mov_b64 s[20:21], 0
.LBB6_1832:
	s_andn2_b64 vcc, exec, s[20:21]
	s_cbranch_vccnz .LBB6_1840
; %bb.1833:
	global_load_ubyte v9, v[6:7], off
	s_movk_i32 s15, 0x7f
	s_mov_b64 s[20:21], 0
                                        ; implicit-def: $sgpr22_sgpr23
	s_waitcnt vmcnt(0)
	v_cmp_lt_i16_e32 vcc, s15, v9
	s_and_saveexec_b64 s[24:25], vcc
	s_xor_b64 s[24:25], exec, s[24:25]
	s_cbranch_execz .LBB6_1854
; %bb.1834:
	s_movk_i32 s15, 0x80
	v_cmp_eq_u16_e32 vcc, s15, v9
	s_mov_b64 s[26:27], -1
                                        ; implicit-def: $sgpr22_sgpr23
	s_and_saveexec_b64 s[20:21], vcc
; %bb.1835:
	s_mov_b32 s23, 0x7ff80000
	s_brev_b32 s22, 4
	s_xor_b64 s[26:27], exec, -1
; %bb.1836:
	s_or_b64 exec, exec, s[20:21]
	s_and_b64 s[20:21], s[26:27], exec
	s_or_saveexec_b64 s[24:25], s[24:25]
	v_pk_mov_b32 v[4:5], s[22:23], s[22:23] op_sel:[0,1]
	s_xor_b64 exec, exec, s[24:25]
	s_cbranch_execnz .LBB6_1855
.LBB6_1837:
	s_or_b64 exec, exec, s[24:25]
	s_and_saveexec_b64 s[22:23], s[20:21]
	s_cbranch_execz .LBB6_1839
.LBB6_1838:
	v_and_b32_e32 v5, 0xffff, v9
	v_lshlrev_b32_e32 v4, 24, v9
	v_and_b32_e32 v9, 7, v5
	v_ffbh_u32_e32 v12, v9
	v_min_u32_e32 v12, 32, v12
	v_subrev_u32_e32 v13, 28, v12
	v_bfe_u32 v11, v5, 3, 4
	v_lshlrev_b32_e32 v5, v13, v5
	v_sub_u32_e32 v12, 29, v12
	v_and_b32_e32 v5, 7, v5
	v_cmp_eq_u32_e32 vcc, 0, v11
	v_cndmask_b32_e32 v11, v11, v12, vcc
	v_cndmask_b32_e32 v5, v9, v5, vcc
	v_mov_b32_e32 v9, 0x3b800000
	v_lshlrev_b32_e32 v5, 20, v5
	v_and_b32_e32 v4, 0x80000000, v4
	v_lshl_add_u32 v9, v11, 23, v9
	v_or3_b32 v4, v4, v9, v5
	v_cvt_f64_f32_e32 v[4:5], v4
.LBB6_1839:
	s_or_b64 exec, exec, s[22:23]
.LBB6_1840:
	s_mov_b64 s[20:21], -1
.LBB6_1841:
	s_mov_b64 s[22:23], 0
.LBB6_1842:
	s_and_b64 vcc, exec, s[22:23]
	s_cbranch_vccz .LBB6_1875
; %bb.1843:
	v_mov_b32_e32 v4, 22
	v_cmp_gt_i16_sdwa s[16:17], v16, v4 src0_sel:BYTE_0 src1_sel:DWORD
	s_and_b64 vcc, exec, s[16:17]
	s_cbranch_vccz .LBB6_1853
; %bb.1844:
	v_mov_b32_e32 v4, 24
	v_cmp_lt_i16_sdwa s[16:17], v16, v4 src0_sel:BYTE_0 src1_sel:DWORD
	s_and_b64 vcc, exec, s[16:17]
	s_cbranch_vccnz .LBB6_1856
; %bb.1845:
	v_cmp_gt_i16_sdwa s[16:17], v16, v4 src0_sel:BYTE_0 src1_sel:DWORD
	s_and_b64 vcc, exec, s[16:17]
	s_cbranch_vccz .LBB6_1857
; %bb.1846:
	global_load_ubyte v9, v[6:7], off
	s_movk_i32 s15, 0x7f
	s_mov_b64 s[16:17], 0
                                        ; implicit-def: $sgpr20_sgpr21
	s_waitcnt vmcnt(0)
	v_cmp_lt_i16_e32 vcc, s15, v9
	s_and_saveexec_b64 s[22:23], vcc
	s_xor_b64 s[22:23], exec, s[22:23]
	s_cbranch_execz .LBB6_1869
; %bb.1847:
	s_movk_i32 s15, 0x80
	v_cmp_eq_u16_e32 vcc, s15, v9
	s_mov_b64 s[24:25], -1
                                        ; implicit-def: $sgpr20_sgpr21
	s_and_saveexec_b64 s[16:17], vcc
; %bb.1848:
	s_mov_b32 s21, 0x7ff80000
	s_brev_b32 s20, 4
	s_xor_b64 s[24:25], exec, -1
; %bb.1849:
	s_or_b64 exec, exec, s[16:17]
	s_and_b64 s[16:17], s[24:25], exec
	s_or_saveexec_b64 s[22:23], s[22:23]
	v_pk_mov_b32 v[4:5], s[20:21], s[20:21] op_sel:[0,1]
	s_xor_b64 exec, exec, s[22:23]
	s_cbranch_execnz .LBB6_1870
.LBB6_1850:
	s_or_b64 exec, exec, s[22:23]
	s_and_saveexec_b64 s[20:21], s[16:17]
	s_cbranch_execz .LBB6_1852
.LBB6_1851:
	v_and_b32_e32 v5, 0xffff, v9
	v_lshlrev_b32_e32 v4, 24, v9
	v_and_b32_e32 v9, 3, v5
	v_ffbh_u32_e32 v12, v9
	v_min_u32_e32 v12, 32, v12
	v_subrev_u32_e32 v13, 29, v12
	v_bfe_u32 v11, v5, 2, 5
	v_lshlrev_b32_e32 v5, v13, v5
	v_sub_u32_e32 v12, 30, v12
	v_and_b32_e32 v5, 3, v5
	v_cmp_eq_u32_e32 vcc, 0, v11
	v_cndmask_b32_e32 v11, v11, v12, vcc
	v_cndmask_b32_e32 v5, v9, v5, vcc
	v_mov_b32_e32 v9, 0x37800000
	v_lshlrev_b32_e32 v5, 21, v5
	v_and_b32_e32 v4, 0x80000000, v4
	v_lshl_add_u32 v9, v11, 23, v9
	v_or3_b32 v4, v4, v9, v5
	v_cvt_f64_f32_e32 v[4:5], v4
.LBB6_1852:
	s_or_b64 exec, exec, s[20:21]
	s_mov_b64 s[16:17], 0
	s_branch .LBB6_1858
.LBB6_1853:
	s_mov_b64 s[16:17], -1
                                        ; implicit-def: $vgpr4_vgpr5
	s_branch .LBB6_1864
.LBB6_1854:
	s_or_saveexec_b64 s[24:25], s[24:25]
	v_pk_mov_b32 v[4:5], s[22:23], s[22:23] op_sel:[0,1]
	s_xor_b64 exec, exec, s[24:25]
	s_cbranch_execz .LBB6_1837
.LBB6_1855:
	v_cmp_ne_u16_e32 vcc, 0, v9
	s_andn2_b64 s[20:21], s[20:21], exec
	s_and_b64 s[22:23], vcc, exec
	v_pk_mov_b32 v[4:5], 0, 0
	s_or_b64 s[20:21], s[20:21], s[22:23]
	s_or_b64 exec, exec, s[24:25]
	s_and_saveexec_b64 s[22:23], s[20:21]
	s_cbranch_execnz .LBB6_1838
	s_branch .LBB6_1839
.LBB6_1856:
	s_mov_b64 s[16:17], -1
                                        ; implicit-def: $vgpr4_vgpr5
	s_branch .LBB6_1861
.LBB6_1857:
	s_mov_b64 s[16:17], -1
                                        ; implicit-def: $vgpr4_vgpr5
.LBB6_1858:
	s_and_b64 vcc, exec, s[16:17]
	s_cbranch_vccz .LBB6_1860
; %bb.1859:
	global_load_ubyte v4, v[6:7], off
	s_mov_b32 s15, 0x7f800000
	s_waitcnt vmcnt(0)
	v_lshlrev_b32_e32 v4, 24, v4
	v_and_b32_e32 v5, 0x7f000000, v4
	v_ffbh_u32_e32 v9, v5
	v_min_u32_e32 v9, 32, v9
	v_sub_u32_e64 v9, v9, 4 clamp
	v_lshlrev_b32_e32 v12, v9, v5
	v_lshlrev_b32_e32 v9, 23, v9
	v_lshrrev_b32_e32 v12, 4, v12
	v_add_u32_e32 v11, 0x1000000, v5
	v_sub_u32_e32 v9, v12, v9
	v_ashrrev_i32_e32 v11, 8, v11
	v_add_u32_e32 v9, 0x3c000000, v9
	v_and_or_b32 v9, v11, s15, v9
	v_cmp_ne_u32_e32 vcc, 0, v5
	v_cndmask_b32_e32 v5, 0, v9, vcc
	s_brev_b32 s15, 1
	v_and_or_b32 v4, v4, s15, v5
	v_cvt_f64_f32_e32 v[4:5], v4
.LBB6_1860:
	s_mov_b64 s[16:17], 0
.LBB6_1861:
	s_andn2_b64 vcc, exec, s[16:17]
	s_cbranch_vccnz .LBB6_1863
; %bb.1862:
	global_load_ubyte v4, v[6:7], off
	s_movk_i32 s15, 0x7f00
	s_brev_b32 s16, 16
	s_waitcnt vmcnt(0)
	v_lshlrev_b16_e32 v5, 8, v4
	v_lshlrev_b32_e32 v4, 25, v4
	v_lshrrev_b32_e32 v9, 4, v4
	v_and_or_b32 v11, v5, s15, 0.5
	v_or_b32_e32 v9, 0x70000000, v9
	v_add_f32_e32 v11, -0.5, v11
	v_mul_f32_e32 v9, 0x7800000, v9
	v_cmp_gt_u32_e32 vcc, s16, v4
	v_bfe_i32 v5, v5, 0, 16
	v_cndmask_b32_e32 v4, v9, v11, vcc
	s_brev_b32 s15, 1
	v_and_or_b32 v4, v5, s15, v4
	v_cvt_f64_f32_e32 v[4:5], v4
.LBB6_1863:
	s_mov_b64 s[16:17], 0
	s_mov_b64 s[20:21], -1
.LBB6_1864:
	s_andn2_b64 vcc, exec, s[16:17]
	s_mov_b64 s[16:17], 0
	s_cbranch_vccnz .LBB6_1875
; %bb.1865:
	v_mov_b32_e32 v4, 14
	v_cmp_gt_i16_sdwa s[16:17], v16, v4 src0_sel:BYTE_0 src1_sel:DWORD
	s_and_b64 vcc, exec, s[16:17]
	s_cbranch_vccz .LBB6_1868
; %bb.1866:
	v_mov_b32_e32 v4, 15
	v_cmp_eq_u16_sdwa s[0:1], v16, v4 src0_sel:BYTE_0 src1_sel:DWORD
	s_and_b64 vcc, exec, s[0:1]
	s_cbranch_vccz .LBB6_1871
; %bb.1867:
	global_load_ushort v4, v[6:7], off
	s_mov_b64 s[0:1], 0
	s_mov_b64 s[20:21], -1
	s_waitcnt vmcnt(0)
	v_lshlrev_b32_e32 v4, 16, v4
	v_cvt_f64_f32_e32 v[4:5], v4
	s_branch .LBB6_1872
.LBB6_1868:
	s_mov_b64 s[22:23], -1
                                        ; implicit-def: $vgpr4_vgpr5
	s_branch .LBB6_1873
.LBB6_1869:
	s_or_saveexec_b64 s[22:23], s[22:23]
	v_pk_mov_b32 v[4:5], s[20:21], s[20:21] op_sel:[0,1]
	s_xor_b64 exec, exec, s[22:23]
	s_cbranch_execz .LBB6_1850
.LBB6_1870:
	v_cmp_ne_u16_e32 vcc, 0, v9
	s_andn2_b64 s[16:17], s[16:17], exec
	s_and_b64 s[20:21], vcc, exec
	v_pk_mov_b32 v[4:5], 0, 0
	s_or_b64 s[16:17], s[16:17], s[20:21]
	s_or_b64 exec, exec, s[22:23]
	s_and_saveexec_b64 s[20:21], s[16:17]
	s_cbranch_execnz .LBB6_1851
	s_branch .LBB6_1852
.LBB6_1871:
	s_mov_b64 s[0:1], -1
                                        ; implicit-def: $vgpr4_vgpr5
.LBB6_1872:
	s_mov_b64 s[22:23], 0
.LBB6_1873:
	s_mov_b64 s[16:17], 0
	s_and_b64 vcc, exec, s[22:23]
	s_cbranch_vccz .LBB6_1875
; %bb.1874:
	v_mov_b32_e32 v4, 11
	v_cmp_ne_u16_sdwa s[0:1], v16, v4 src0_sel:BYTE_0 src1_sel:DWORD
	s_mov_b64 s[16:17], -1
                                        ; implicit-def: $vgpr4_vgpr5
.LBB6_1875:
	s_and_b64 vcc, exec, s[0:1]
	s_cbranch_vccnz .LBB6_1938
; %bb.1876:
	s_andn2_b64 vcc, exec, s[16:17]
	s_cbranch_vccnz .LBB6_1878
.LBB6_1877:
	global_load_ubyte v5, v[6:7], off
	v_mov_b32_e32 v9, 0x3ff00000
	v_mov_b32_e32 v4, 0
	s_mov_b64 s[20:21], -1
	s_waitcnt vmcnt(0)
	v_cmp_ne_u16_e32 vcc, 0, v5
	v_cndmask_b32_e32 v5, 0, v9, vcc
.LBB6_1878:
	s_branch .LBB6_1806
.LBB6_1879:
	v_mov_b32_e32 v4, 5
	v_cmp_lt_i16_sdwa s[0:1], v16, v4 src0_sel:BYTE_0 src1_sel:DWORD
	s_and_b64 vcc, exec, s[0:1]
	s_cbranch_vccnz .LBB6_1884
; %bb.1880:
	v_mov_b32_e32 v4, 8
	v_cmp_lt_i16_sdwa s[0:1], v16, v4 src0_sel:BYTE_0 src1_sel:DWORD
	s_and_b64 vcc, exec, s[0:1]
	s_cbranch_vccnz .LBB6_1885
; %bb.1881:
	;; [unrolled: 5-line block ×3, first 2 shown]
	v_cmp_gt_i16_sdwa s[0:1], v16, v4 src0_sel:BYTE_0 src1_sel:DWORD
	s_and_b64 vcc, exec, s[0:1]
	s_cbranch_vccz .LBB6_1887
; %bb.1883:
	global_load_dwordx2 v[4:5], v[6:7], off
	s_mov_b64 s[0:1], 0
	s_branch .LBB6_1888
.LBB6_1884:
	s_mov_b64 s[0:1], -1
                                        ; implicit-def: $vgpr4_vgpr5
	s_branch .LBB6_1906
.LBB6_1885:
	s_mov_b64 s[0:1], -1
                                        ; implicit-def: $vgpr4_vgpr5
	s_branch .LBB6_1894
.LBB6_1886:
	s_mov_b64 s[0:1], -1
                                        ; implicit-def: $vgpr4_vgpr5
	s_branch .LBB6_1891
.LBB6_1887:
	s_mov_b64 s[0:1], -1
                                        ; implicit-def: $vgpr4_vgpr5
.LBB6_1888:
	s_andn2_b64 vcc, exec, s[0:1]
	s_cbranch_vccnz .LBB6_1890
; %bb.1889:
	global_load_dword v4, v[6:7], off
	s_waitcnt vmcnt(0)
	v_cvt_f64_f32_e32 v[4:5], v4
.LBB6_1890:
	s_mov_b64 s[0:1], 0
.LBB6_1891:
	s_andn2_b64 vcc, exec, s[0:1]
	s_cbranch_vccnz .LBB6_1893
; %bb.1892:
	global_load_dword v4, v[6:7], off
	s_waitcnt vmcnt(0)
	v_cvt_f32_f16_e32 v4, v4
	v_cvt_f64_f32_e32 v[4:5], v4
.LBB6_1893:
	s_mov_b64 s[0:1], 0
.LBB6_1894:
	s_andn2_b64 vcc, exec, s[0:1]
	s_cbranch_vccnz .LBB6_1905
; %bb.1895:
	s_waitcnt vmcnt(0)
	v_mov_b32_e32 v4, 6
	v_cmp_lt_i16_sdwa s[0:1], v16, v4 src0_sel:BYTE_0 src1_sel:DWORD
	s_and_b64 vcc, exec, s[0:1]
	s_cbranch_vccnz .LBB6_1898
; %bb.1896:
	v_cmp_gt_i16_sdwa s[0:1], v16, v4 src0_sel:BYTE_0 src1_sel:DWORD
	s_and_b64 vcc, exec, s[0:1]
	s_cbranch_vccz .LBB6_1899
; %bb.1897:
	global_load_dwordx2 v[4:5], v[6:7], off
	s_mov_b64 s[0:1], 0
	s_branch .LBB6_1900
.LBB6_1898:
	s_mov_b64 s[0:1], -1
                                        ; implicit-def: $vgpr4_vgpr5
	s_branch .LBB6_1903
.LBB6_1899:
	s_mov_b64 s[0:1], -1
                                        ; implicit-def: $vgpr4_vgpr5
.LBB6_1900:
	s_andn2_b64 vcc, exec, s[0:1]
	s_cbranch_vccnz .LBB6_1902
; %bb.1901:
	global_load_dword v4, v[6:7], off
	s_waitcnt vmcnt(0)
	v_cvt_f64_f32_e32 v[4:5], v4
.LBB6_1902:
	s_mov_b64 s[0:1], 0
.LBB6_1903:
	s_andn2_b64 vcc, exec, s[0:1]
	s_cbranch_vccnz .LBB6_1905
; %bb.1904:
	global_load_ushort v4, v[6:7], off
	s_waitcnt vmcnt(0)
	v_cvt_f32_f16_e32 v4, v4
	v_cvt_f64_f32_e32 v[4:5], v4
.LBB6_1905:
	s_mov_b64 s[0:1], 0
.LBB6_1906:
	s_andn2_b64 vcc, exec, s[0:1]
	s_cbranch_vccnz .LBB6_1926
; %bb.1907:
	s_waitcnt vmcnt(0)
	v_mov_b32_e32 v4, 2
	v_cmp_lt_i16_sdwa s[0:1], v16, v4 src0_sel:BYTE_0 src1_sel:DWORD
	s_and_b64 vcc, exec, s[0:1]
	s_cbranch_vccnz .LBB6_1911
; %bb.1908:
	v_mov_b32_e32 v4, 3
	v_cmp_lt_i16_sdwa s[0:1], v16, v4 src0_sel:BYTE_0 src1_sel:DWORD
	s_and_b64 vcc, exec, s[0:1]
	s_cbranch_vccnz .LBB6_1912
; %bb.1909:
	v_cmp_gt_i16_sdwa s[0:1], v16, v4 src0_sel:BYTE_0 src1_sel:DWORD
	s_and_b64 vcc, exec, s[0:1]
	s_cbranch_vccz .LBB6_1913
; %bb.1910:
	global_load_dwordx2 v[4:5], v[6:7], off
	s_mov_b64 s[0:1], 0
	s_waitcnt vmcnt(0)
	v_cvt_f64_i32_e32 v[12:13], v5
	v_cvt_f64_u32_e32 v[4:5], v4
	v_ldexp_f64 v[12:13], v[12:13], 32
	v_add_f64 v[4:5], v[12:13], v[4:5]
	s_branch .LBB6_1914
.LBB6_1911:
	s_mov_b64 s[0:1], -1
                                        ; implicit-def: $vgpr4_vgpr5
	s_branch .LBB6_1920
.LBB6_1912:
	s_mov_b64 s[0:1], -1
                                        ; implicit-def: $vgpr4_vgpr5
	s_branch .LBB6_1917
.LBB6_1913:
	s_mov_b64 s[0:1], -1
                                        ; implicit-def: $vgpr4_vgpr5
.LBB6_1914:
	s_andn2_b64 vcc, exec, s[0:1]
	s_cbranch_vccnz .LBB6_1916
; %bb.1915:
	global_load_dword v4, v[6:7], off
	s_waitcnt vmcnt(0)
	v_cvt_f64_i32_e32 v[4:5], v4
.LBB6_1916:
	s_mov_b64 s[0:1], 0
.LBB6_1917:
	s_andn2_b64 vcc, exec, s[0:1]
	s_cbranch_vccnz .LBB6_1919
; %bb.1918:
	global_load_sshort v4, v[6:7], off
	s_waitcnt vmcnt(0)
	v_cvt_f64_i32_e32 v[4:5], v4
.LBB6_1919:
	s_mov_b64 s[0:1], 0
.LBB6_1920:
	s_andn2_b64 vcc, exec, s[0:1]
	s_cbranch_vccnz .LBB6_1926
; %bb.1921:
	v_mov_b32_e32 v4, 0
	v_cmp_gt_i16_sdwa s[0:1], v16, v4 src0_sel:BYTE_0 src1_sel:DWORD
	s_and_b64 vcc, exec, s[0:1]
	s_cbranch_vccz .LBB6_1923
; %bb.1922:
	global_load_sbyte v4, v[6:7], off
	s_mov_b64 s[0:1], 0
	s_waitcnt vmcnt(0)
	v_cvt_f64_i32_e32 v[4:5], v4
	s_branch .LBB6_1924
.LBB6_1923:
	s_mov_b64 s[0:1], -1
                                        ; implicit-def: $vgpr4_vgpr5
.LBB6_1924:
	s_andn2_b64 vcc, exec, s[0:1]
	s_cbranch_vccnz .LBB6_1926
; %bb.1925:
	global_load_ubyte v4, v[6:7], off
	s_waitcnt vmcnt(0)
	v_cvt_f64_u32_e32 v[4:5], v4
.LBB6_1926:
.LBB6_1927:
	s_lshl_b32 s26, s14, 7
	v_add_u32_e32 v12, s26, v8
	v_ashrrev_i32_e32 v6, 31, v12
	v_mov_b32_e32 v7, s3
	v_add_co_u32_e32 v8, vcc, s2, v12
	v_addc_co_u32_e32 v9, vcc, v7, v6, vcc
	v_mov_b32_e32 v6, 11
	v_cmp_lt_i16_sdwa s[0:1], v20, v6 src0_sel:BYTE_0 src1_sel:DWORD
	s_and_b64 vcc, exec, s[0:1]
	s_cbranch_vccnz .LBB6_1934
; %bb.1928:
	v_mov_b32_e32 v6, 25
	v_cmp_gt_i16_sdwa s[0:1], v20, v6 src0_sel:BYTE_0 src1_sel:DWORD
	s_mov_b64 s[14:15], 0
	s_and_b64 vcc, exec, s[0:1]
	s_cbranch_vccz .LBB6_1935
; %bb.1929:
	v_mov_b32_e32 v6, 28
	v_cmp_gt_i16_sdwa s[0:1], v20, v6 src0_sel:BYTE_0 src1_sel:DWORD
	s_and_b64 vcc, exec, s[0:1]
	s_cbranch_vccz .LBB6_1936
; %bb.1930:
	v_mov_b32_e32 v6, 43
	v_cmp_gt_i16_sdwa s[0:1], v20, v6 src0_sel:BYTE_0 src1_sel:DWORD
	;; [unrolled: 5-line block ×3, first 2 shown]
	s_and_b64 vcc, exec, s[0:1]
	s_cbranch_vccz .LBB6_1939
; %bb.1932:
	v_mov_b32_e32 v6, 46
	v_cmp_eq_u16_sdwa s[0:1], v20, v6 src0_sel:BYTE_0 src1_sel:DWORD
	s_mov_b64 s[20:21], 0
	s_and_b64 vcc, exec, s[0:1]
	s_cbranch_vccz .LBB6_1940
; %bb.1933:
	global_load_dword v6, v[8:9], off
	s_mov_b64 s[0:1], 0
	s_mov_b64 s[16:17], -1
	s_waitcnt vmcnt(0)
	v_lshlrev_b32_e32 v6, 16, v6
	v_cvt_f64_f32_e32 v[6:7], v6
	s_branch .LBB6_1941
.LBB6_1934:
	s_mov_b64 s[0:1], -1
	s_mov_b64 s[16:17], 0
                                        ; implicit-def: $vgpr6_vgpr7
	s_branch .LBB6_2007
.LBB6_1935:
	s_mov_b64 s[20:21], -1
	s_mov_b64 s[16:17], 0
	s_mov_b64 s[0:1], 0
                                        ; implicit-def: $vgpr6_vgpr7
	s_branch .LBB6_1970
.LBB6_1936:
	s_mov_b64 s[20:21], -1
	s_mov_b64 s[16:17], 0
	s_mov_b64 s[0:1], 0
                                        ; implicit-def: $vgpr6_vgpr7
	s_branch .LBB6_1951
.LBB6_1937:
	s_mov_b64 s[20:21], -1
	s_mov_b64 s[16:17], 0
	s_mov_b64 s[0:1], 0
                                        ; implicit-def: $vgpr6_vgpr7
	s_branch .LBB6_1946
.LBB6_1938:
	s_trap 2
	s_or_b64 s[18:19], s[18:19], exec
                                        ; implicit-def: $vgpr4_vgpr5
	s_cbranch_execz .LBB6_1877
	s_branch .LBB6_1878
.LBB6_1939:
	s_mov_b64 s[20:21], -1
	s_mov_b64 s[16:17], 0
	s_mov_b64 s[0:1], 0
                                        ; implicit-def: $vgpr6_vgpr7
	s_branch .LBB6_1941
.LBB6_1940:
	s_mov_b64 s[0:1], -1
                                        ; implicit-def: $vgpr6_vgpr7
	s_mov_b64 s[16:17], 0
.LBB6_1941:
	s_and_b64 vcc, exec, s[20:21]
	s_cbranch_vccz .LBB6_1945
; %bb.1942:
	v_mov_b32_e32 v6, 44
	v_cmp_eq_u16_sdwa s[0:1], v20, v6 src0_sel:BYTE_0 src1_sel:DWORD
	s_and_b64 vcc, exec, s[0:1]
	s_cbranch_vccz .LBB6_1944
; %bb.1943:
	global_load_ubyte v11, v[8:9], off
	s_movk_i32 s16, 0xff
	v_bfrev_b32_e32 v13, 4
	v_mov_b32_e32 v14, 0x7ff80000
	v_bfrev_b32_e32 v15, 28
	s_mov_b64 s[0:1], 0
	s_waitcnt vmcnt(0)
	v_lshlrev_b32_e32 v6, 23, v11
	v_cvt_f64_f32_e32 v[6:7], v6
	v_cmp_ne_u32_e32 vcc, s16, v11
	v_cndmask_b32_e32 v6, v13, v6, vcc
	v_cndmask_b32_e32 v7, v14, v7, vcc
	v_cmp_ne_u32_e32 vcc, 0, v11
	v_cndmask_b32_e32 v7, v15, v7, vcc
	v_cndmask_b32_e32 v6, 0, v6, vcc
	s_mov_b64 s[16:17], -1
	s_branch .LBB6_1945
.LBB6_1944:
	s_mov_b64 s[0:1], -1
                                        ; implicit-def: $vgpr6_vgpr7
.LBB6_1945:
	s_mov_b64 s[20:21], 0
.LBB6_1946:
	s_and_b64 vcc, exec, s[20:21]
	s_cbranch_vccz .LBB6_1950
; %bb.1947:
	v_mov_b32_e32 v6, 29
	v_cmp_eq_u16_sdwa s[0:1], v20, v6 src0_sel:BYTE_0 src1_sel:DWORD
	s_and_b64 vcc, exec, s[0:1]
	s_cbranch_vccz .LBB6_1949
; %bb.1948:
	global_load_dwordx2 v[6:7], v[8:9], off
	s_mov_b64 s[0:1], 0
	s_mov_b64 s[16:17], -1
	s_mov_b64 s[20:21], 0
	s_waitcnt vmcnt(0)
	v_cvt_f64_u32_e32 v[14:15], v7
	v_cvt_f64_u32_e32 v[6:7], v6
	v_ldexp_f64 v[14:15], v[14:15], 32
	v_add_f64 v[6:7], v[14:15], v[6:7]
	s_branch .LBB6_1951
.LBB6_1949:
	s_mov_b64 s[0:1], -1
                                        ; implicit-def: $vgpr6_vgpr7
.LBB6_1950:
	s_mov_b64 s[20:21], 0
.LBB6_1951:
	s_and_b64 vcc, exec, s[20:21]
	s_cbranch_vccz .LBB6_1969
; %bb.1952:
	v_mov_b32_e32 v6, 27
	v_cmp_lt_i16_sdwa s[16:17], v20, v6 src0_sel:BYTE_0 src1_sel:DWORD
	s_and_b64 vcc, exec, s[16:17]
	s_cbranch_vccnz .LBB6_1955
; %bb.1953:
	v_cmp_gt_i16_sdwa s[16:17], v20, v6 src0_sel:BYTE_0 src1_sel:DWORD
	s_and_b64 vcc, exec, s[16:17]
	s_cbranch_vccz .LBB6_1956
; %bb.1954:
	global_load_dword v6, v[8:9], off
	s_mov_b64 s[16:17], 0
	s_waitcnt vmcnt(0)
	v_cvt_f64_u32_e32 v[6:7], v6
	s_branch .LBB6_1957
.LBB6_1955:
	s_mov_b64 s[16:17], -1
                                        ; implicit-def: $vgpr6_vgpr7
	s_branch .LBB6_1960
.LBB6_1956:
	s_mov_b64 s[16:17], -1
                                        ; implicit-def: $vgpr6_vgpr7
.LBB6_1957:
	s_andn2_b64 vcc, exec, s[16:17]
	s_cbranch_vccnz .LBB6_1959
; %bb.1958:
	global_load_ushort v6, v[8:9], off
	s_waitcnt vmcnt(0)
	v_cvt_f64_u32_e32 v[6:7], v6
.LBB6_1959:
	s_mov_b64 s[16:17], 0
.LBB6_1960:
	s_andn2_b64 vcc, exec, s[16:17]
	s_cbranch_vccnz .LBB6_1968
; %bb.1961:
	global_load_ubyte v11, v[8:9], off
	s_movk_i32 s16, 0x7f
                                        ; implicit-def: $sgpr20_sgpr21
	s_waitcnt vmcnt(0)
	v_cmp_lt_i16_e32 vcc, s16, v11
	s_mov_b64 s[16:17], 0
	s_and_saveexec_b64 s[22:23], vcc
	s_xor_b64 s[22:23], exec, s[22:23]
	s_cbranch_execz .LBB6_1982
; %bb.1962:
	s_movk_i32 s16, 0x80
	v_cmp_eq_u16_e32 vcc, s16, v11
	s_mov_b64 s[24:25], -1
                                        ; implicit-def: $sgpr20_sgpr21
	s_and_saveexec_b64 s[16:17], vcc
; %bb.1963:
	s_mov_b32 s21, 0x7ff80000
	s_brev_b32 s20, 4
	s_xor_b64 s[24:25], exec, -1
; %bb.1964:
	s_or_b64 exec, exec, s[16:17]
	s_and_b64 s[16:17], s[24:25], exec
	s_or_saveexec_b64 s[22:23], s[22:23]
	v_pk_mov_b32 v[6:7], s[20:21], s[20:21] op_sel:[0,1]
	s_xor_b64 exec, exec, s[22:23]
	s_cbranch_execnz .LBB6_1983
.LBB6_1965:
	s_or_b64 exec, exec, s[22:23]
	s_and_saveexec_b64 s[20:21], s[16:17]
	s_cbranch_execz .LBB6_1967
.LBB6_1966:
	v_and_b32_e32 v7, 0xffff, v11
	v_lshlrev_b32_e32 v6, 24, v11
	v_and_b32_e32 v11, 7, v7
	v_ffbh_u32_e32 v14, v11
	v_min_u32_e32 v14, 32, v14
	v_subrev_u32_e32 v15, 28, v14
	v_bfe_u32 v13, v7, 3, 4
	v_lshlrev_b32_e32 v7, v15, v7
	v_sub_u32_e32 v14, 29, v14
	v_and_b32_e32 v7, 7, v7
	v_cmp_eq_u32_e32 vcc, 0, v13
	v_cndmask_b32_e32 v13, v13, v14, vcc
	v_cndmask_b32_e32 v7, v11, v7, vcc
	v_mov_b32_e32 v11, 0x3b800000
	v_lshlrev_b32_e32 v7, 20, v7
	v_and_b32_e32 v6, 0x80000000, v6
	v_lshl_add_u32 v11, v13, 23, v11
	v_or3_b32 v6, v6, v11, v7
	v_cvt_f64_f32_e32 v[6:7], v6
.LBB6_1967:
	s_or_b64 exec, exec, s[20:21]
.LBB6_1968:
	s_mov_b64 s[16:17], -1
.LBB6_1969:
	s_mov_b64 s[20:21], 0
.LBB6_1970:
	s_and_b64 vcc, exec, s[20:21]
	s_cbranch_vccz .LBB6_2003
; %bb.1971:
	v_mov_b32_e32 v6, 22
	v_cmp_gt_i16_sdwa s[14:15], v20, v6 src0_sel:BYTE_0 src1_sel:DWORD
	s_and_b64 vcc, exec, s[14:15]
	s_cbranch_vccz .LBB6_1981
; %bb.1972:
	v_mov_b32_e32 v6, 24
	v_cmp_lt_i16_sdwa s[14:15], v20, v6 src0_sel:BYTE_0 src1_sel:DWORD
	s_and_b64 vcc, exec, s[14:15]
	s_cbranch_vccnz .LBB6_1984
; %bb.1973:
	v_cmp_gt_i16_sdwa s[14:15], v20, v6 src0_sel:BYTE_0 src1_sel:DWORD
	s_and_b64 vcc, exec, s[14:15]
	s_cbranch_vccz .LBB6_1985
; %bb.1974:
	global_load_ubyte v11, v[8:9], off
	s_movk_i32 s14, 0x7f
                                        ; implicit-def: $sgpr16_sgpr17
	s_waitcnt vmcnt(0)
	v_cmp_lt_i16_e32 vcc, s14, v11
	s_mov_b64 s[14:15], 0
	s_and_saveexec_b64 s[20:21], vcc
	s_xor_b64 s[20:21], exec, s[20:21]
	s_cbranch_execz .LBB6_1997
; %bb.1975:
	s_movk_i32 s14, 0x80
	v_cmp_eq_u16_e32 vcc, s14, v11
	s_mov_b64 s[22:23], -1
                                        ; implicit-def: $sgpr16_sgpr17
	s_and_saveexec_b64 s[14:15], vcc
; %bb.1976:
	s_mov_b32 s17, 0x7ff80000
	s_brev_b32 s16, 4
	s_xor_b64 s[22:23], exec, -1
; %bb.1977:
	s_or_b64 exec, exec, s[14:15]
	s_and_b64 s[14:15], s[22:23], exec
	s_or_saveexec_b64 s[20:21], s[20:21]
	v_pk_mov_b32 v[6:7], s[16:17], s[16:17] op_sel:[0,1]
	s_xor_b64 exec, exec, s[20:21]
	s_cbranch_execnz .LBB6_1998
.LBB6_1978:
	s_or_b64 exec, exec, s[20:21]
	s_and_saveexec_b64 s[16:17], s[14:15]
	s_cbranch_execz .LBB6_1980
.LBB6_1979:
	v_and_b32_e32 v7, 0xffff, v11
	v_lshlrev_b32_e32 v6, 24, v11
	v_and_b32_e32 v11, 3, v7
	v_ffbh_u32_e32 v14, v11
	v_min_u32_e32 v14, 32, v14
	v_subrev_u32_e32 v15, 29, v14
	v_bfe_u32 v13, v7, 2, 5
	v_lshlrev_b32_e32 v7, v15, v7
	v_sub_u32_e32 v14, 30, v14
	v_and_b32_e32 v7, 3, v7
	v_cmp_eq_u32_e32 vcc, 0, v13
	v_cndmask_b32_e32 v13, v13, v14, vcc
	v_cndmask_b32_e32 v7, v11, v7, vcc
	v_mov_b32_e32 v11, 0x37800000
	v_lshlrev_b32_e32 v7, 21, v7
	v_and_b32_e32 v6, 0x80000000, v6
	v_lshl_add_u32 v11, v13, 23, v11
	v_or3_b32 v6, v6, v11, v7
	v_cvt_f64_f32_e32 v[6:7], v6
.LBB6_1980:
	s_or_b64 exec, exec, s[16:17]
	s_mov_b64 s[14:15], 0
	s_branch .LBB6_1986
.LBB6_1981:
	s_mov_b64 s[14:15], -1
                                        ; implicit-def: $vgpr6_vgpr7
	s_branch .LBB6_1992
.LBB6_1982:
	s_or_saveexec_b64 s[22:23], s[22:23]
	v_pk_mov_b32 v[6:7], s[20:21], s[20:21] op_sel:[0,1]
	s_xor_b64 exec, exec, s[22:23]
	s_cbranch_execz .LBB6_1965
.LBB6_1983:
	v_cmp_ne_u16_e32 vcc, 0, v11
	s_andn2_b64 s[16:17], s[16:17], exec
	s_and_b64 s[20:21], vcc, exec
	v_pk_mov_b32 v[6:7], 0, 0
	s_or_b64 s[16:17], s[16:17], s[20:21]
	s_or_b64 exec, exec, s[22:23]
	s_and_saveexec_b64 s[20:21], s[16:17]
	s_cbranch_execnz .LBB6_1966
	s_branch .LBB6_1967
.LBB6_1984:
	s_mov_b64 s[14:15], -1
                                        ; implicit-def: $vgpr6_vgpr7
	s_branch .LBB6_1989
.LBB6_1985:
	s_mov_b64 s[14:15], -1
                                        ; implicit-def: $vgpr6_vgpr7
.LBB6_1986:
	s_and_b64 vcc, exec, s[14:15]
	s_cbranch_vccz .LBB6_1988
; %bb.1987:
	global_load_ubyte v6, v[8:9], off
	s_mov_b32 s14, 0x7f800000
	s_waitcnt vmcnt(0)
	v_lshlrev_b32_e32 v6, 24, v6
	v_and_b32_e32 v7, 0x7f000000, v6
	v_ffbh_u32_e32 v11, v7
	v_min_u32_e32 v11, 32, v11
	v_sub_u32_e64 v11, v11, 4 clamp
	v_lshlrev_b32_e32 v14, v11, v7
	v_lshlrev_b32_e32 v11, 23, v11
	v_lshrrev_b32_e32 v14, 4, v14
	v_add_u32_e32 v13, 0x1000000, v7
	v_sub_u32_e32 v11, v14, v11
	v_ashrrev_i32_e32 v13, 8, v13
	v_add_u32_e32 v11, 0x3c000000, v11
	v_and_or_b32 v11, v13, s14, v11
	v_cmp_ne_u32_e32 vcc, 0, v7
	v_cndmask_b32_e32 v7, 0, v11, vcc
	s_brev_b32 s14, 1
	v_and_or_b32 v6, v6, s14, v7
	v_cvt_f64_f32_e32 v[6:7], v6
.LBB6_1988:
	s_mov_b64 s[14:15], 0
.LBB6_1989:
	s_andn2_b64 vcc, exec, s[14:15]
	s_cbranch_vccnz .LBB6_1991
; %bb.1990:
	global_load_ubyte v6, v[8:9], off
	s_movk_i32 s14, 0x7f00
	s_brev_b32 s15, 16
	s_waitcnt vmcnt(0)
	v_lshlrev_b16_e32 v7, 8, v6
	v_lshlrev_b32_e32 v6, 25, v6
	v_lshrrev_b32_e32 v11, 4, v6
	v_and_or_b32 v13, v7, s14, 0.5
	v_or_b32_e32 v11, 0x70000000, v11
	v_add_f32_e32 v13, -0.5, v13
	v_mul_f32_e32 v11, 0x7800000, v11
	v_cmp_gt_u32_e32 vcc, s15, v6
	v_bfe_i32 v7, v7, 0, 16
	v_cndmask_b32_e32 v6, v11, v13, vcc
	s_brev_b32 s14, 1
	v_and_or_b32 v6, v7, s14, v6
	v_cvt_f64_f32_e32 v[6:7], v6
.LBB6_1991:
	s_mov_b64 s[14:15], 0
	s_mov_b64 s[16:17], -1
.LBB6_1992:
	s_andn2_b64 vcc, exec, s[14:15]
	s_mov_b64 s[14:15], 0
	s_cbranch_vccnz .LBB6_2003
; %bb.1993:
	v_mov_b32_e32 v6, 14
	v_cmp_gt_i16_sdwa s[14:15], v20, v6 src0_sel:BYTE_0 src1_sel:DWORD
	s_and_b64 vcc, exec, s[14:15]
	s_cbranch_vccz .LBB6_1996
; %bb.1994:
	v_mov_b32_e32 v6, 15
	v_cmp_eq_u16_sdwa s[0:1], v20, v6 src0_sel:BYTE_0 src1_sel:DWORD
	s_and_b64 vcc, exec, s[0:1]
	s_cbranch_vccz .LBB6_1999
; %bb.1995:
	global_load_ushort v6, v[8:9], off
	s_mov_b64 s[0:1], 0
	s_mov_b64 s[16:17], -1
	s_waitcnt vmcnt(0)
	v_lshlrev_b32_e32 v6, 16, v6
	v_cvt_f64_f32_e32 v[6:7], v6
	s_branch .LBB6_2000
.LBB6_1996:
	s_mov_b64 s[20:21], -1
                                        ; implicit-def: $vgpr6_vgpr7
	s_branch .LBB6_2001
.LBB6_1997:
	s_or_saveexec_b64 s[20:21], s[20:21]
	v_pk_mov_b32 v[6:7], s[16:17], s[16:17] op_sel:[0,1]
	s_xor_b64 exec, exec, s[20:21]
	s_cbranch_execz .LBB6_1978
.LBB6_1998:
	v_cmp_ne_u16_e32 vcc, 0, v11
	s_andn2_b64 s[14:15], s[14:15], exec
	s_and_b64 s[16:17], vcc, exec
	v_pk_mov_b32 v[6:7], 0, 0
	s_or_b64 s[14:15], s[14:15], s[16:17]
	s_or_b64 exec, exec, s[20:21]
	s_and_saveexec_b64 s[16:17], s[14:15]
	s_cbranch_execnz .LBB6_1979
	s_branch .LBB6_1980
.LBB6_1999:
	s_mov_b64 s[0:1], -1
                                        ; implicit-def: $vgpr6_vgpr7
.LBB6_2000:
	s_mov_b64 s[20:21], 0
.LBB6_2001:
	s_mov_b64 s[14:15], 0
	s_and_b64 vcc, exec, s[20:21]
	s_cbranch_vccz .LBB6_2003
; %bb.2002:
	v_mov_b32_e32 v6, 11
	v_cmp_ne_u16_sdwa s[0:1], v20, v6 src0_sel:BYTE_0 src1_sel:DWORD
	s_mov_b64 s[14:15], -1
                                        ; implicit-def: $vgpr6_vgpr7
.LBB6_2003:
	s_and_b64 vcc, exec, s[0:1]
	s_cbranch_vccnz .LBB6_2068
; %bb.2004:
	s_andn2_b64 vcc, exec, s[14:15]
	s_cbranch_vccnz .LBB6_2006
.LBB6_2005:
	global_load_ubyte v7, v[8:9], off
	v_mov_b32_e32 v11, 0x3ff00000
	v_mov_b32_e32 v6, 0
	s_mov_b64 s[16:17], -1
	s_waitcnt vmcnt(0)
	v_cmp_ne_u16_e32 vcc, 0, v7
	v_cndmask_b32_e32 v7, 0, v11, vcc
.LBB6_2006:
	s_mov_b64 s[0:1], 0
.LBB6_2007:
	s_and_b64 vcc, exec, s[0:1]
	s_cbranch_vccz .LBB6_2056
; %bb.2008:
	v_mov_b32_e32 v6, 5
	v_cmp_lt_i16_sdwa s[0:1], v20, v6 src0_sel:BYTE_0 src1_sel:DWORD
	s_and_b64 vcc, exec, s[0:1]
	s_cbranch_vccnz .LBB6_2013
; %bb.2009:
	v_mov_b32_e32 v6, 8
	v_cmp_lt_i16_sdwa s[0:1], v20, v6 src0_sel:BYTE_0 src1_sel:DWORD
	s_and_b64 vcc, exec, s[0:1]
	s_cbranch_vccnz .LBB6_2014
	;; [unrolled: 5-line block ×3, first 2 shown]
; %bb.2011:
	v_cmp_gt_i16_sdwa s[0:1], v20, v6 src0_sel:BYTE_0 src1_sel:DWORD
	s_and_b64 vcc, exec, s[0:1]
	s_cbranch_vccz .LBB6_2016
; %bb.2012:
	global_load_dwordx2 v[6:7], v[8:9], off
	s_mov_b64 s[0:1], 0
	s_branch .LBB6_2017
.LBB6_2013:
	s_mov_b64 s[0:1], -1
                                        ; implicit-def: $vgpr6_vgpr7
	s_branch .LBB6_2035
.LBB6_2014:
	s_mov_b64 s[0:1], -1
                                        ; implicit-def: $vgpr6_vgpr7
	s_branch .LBB6_2023
.LBB6_2015:
	s_mov_b64 s[0:1], -1
                                        ; implicit-def: $vgpr6_vgpr7
	s_branch .LBB6_2020
.LBB6_2016:
	s_mov_b64 s[0:1], -1
                                        ; implicit-def: $vgpr6_vgpr7
.LBB6_2017:
	s_andn2_b64 vcc, exec, s[0:1]
	s_cbranch_vccnz .LBB6_2019
; %bb.2018:
	global_load_dword v6, v[8:9], off
	s_waitcnt vmcnt(0)
	v_cvt_f64_f32_e32 v[6:7], v6
.LBB6_2019:
	s_mov_b64 s[0:1], 0
.LBB6_2020:
	s_andn2_b64 vcc, exec, s[0:1]
	s_cbranch_vccnz .LBB6_2022
; %bb.2021:
	global_load_dword v6, v[8:9], off
	s_waitcnt vmcnt(0)
	v_cvt_f32_f16_e32 v6, v6
	v_cvt_f64_f32_e32 v[6:7], v6
.LBB6_2022:
	s_mov_b64 s[0:1], 0
.LBB6_2023:
	s_andn2_b64 vcc, exec, s[0:1]
	s_cbranch_vccnz .LBB6_2034
; %bb.2024:
	s_waitcnt vmcnt(0)
	v_mov_b32_e32 v6, 6
	v_cmp_lt_i16_sdwa s[0:1], v20, v6 src0_sel:BYTE_0 src1_sel:DWORD
	s_and_b64 vcc, exec, s[0:1]
	s_cbranch_vccnz .LBB6_2027
; %bb.2025:
	v_cmp_gt_i16_sdwa s[0:1], v20, v6 src0_sel:BYTE_0 src1_sel:DWORD
	s_and_b64 vcc, exec, s[0:1]
	s_cbranch_vccz .LBB6_2028
; %bb.2026:
	global_load_dwordx2 v[6:7], v[8:9], off
	s_mov_b64 s[0:1], 0
	s_branch .LBB6_2029
.LBB6_2027:
	s_mov_b64 s[0:1], -1
                                        ; implicit-def: $vgpr6_vgpr7
	s_branch .LBB6_2032
.LBB6_2028:
	s_mov_b64 s[0:1], -1
                                        ; implicit-def: $vgpr6_vgpr7
.LBB6_2029:
	s_andn2_b64 vcc, exec, s[0:1]
	s_cbranch_vccnz .LBB6_2031
; %bb.2030:
	global_load_dword v6, v[8:9], off
	s_waitcnt vmcnt(0)
	v_cvt_f64_f32_e32 v[6:7], v6
.LBB6_2031:
	s_mov_b64 s[0:1], 0
.LBB6_2032:
	s_andn2_b64 vcc, exec, s[0:1]
	s_cbranch_vccnz .LBB6_2034
; %bb.2033:
	global_load_ushort v6, v[8:9], off
	s_waitcnt vmcnt(0)
	v_cvt_f32_f16_e32 v6, v6
	v_cvt_f64_f32_e32 v[6:7], v6
.LBB6_2034:
	s_mov_b64 s[0:1], 0
.LBB6_2035:
	s_andn2_b64 vcc, exec, s[0:1]
	s_cbranch_vccnz .LBB6_2055
; %bb.2036:
	s_waitcnt vmcnt(0)
	v_mov_b32_e32 v6, 2
	v_cmp_lt_i16_sdwa s[0:1], v20, v6 src0_sel:BYTE_0 src1_sel:DWORD
	s_and_b64 vcc, exec, s[0:1]
	s_cbranch_vccnz .LBB6_2040
; %bb.2037:
	v_mov_b32_e32 v6, 3
	v_cmp_lt_i16_sdwa s[0:1], v20, v6 src0_sel:BYTE_0 src1_sel:DWORD
	s_and_b64 vcc, exec, s[0:1]
	s_cbranch_vccnz .LBB6_2041
; %bb.2038:
	v_cmp_gt_i16_sdwa s[0:1], v20, v6 src0_sel:BYTE_0 src1_sel:DWORD
	s_and_b64 vcc, exec, s[0:1]
	s_cbranch_vccz .LBB6_2042
; %bb.2039:
	global_load_dwordx2 v[6:7], v[8:9], off
	s_mov_b64 s[0:1], 0
	s_waitcnt vmcnt(0)
	v_cvt_f64_i32_e32 v[14:15], v7
	v_cvt_f64_u32_e32 v[6:7], v6
	v_ldexp_f64 v[14:15], v[14:15], 32
	v_add_f64 v[6:7], v[14:15], v[6:7]
	s_branch .LBB6_2043
.LBB6_2040:
	s_mov_b64 s[0:1], -1
                                        ; implicit-def: $vgpr6_vgpr7
	s_branch .LBB6_2049
.LBB6_2041:
	s_mov_b64 s[0:1], -1
                                        ; implicit-def: $vgpr6_vgpr7
	s_branch .LBB6_2046
.LBB6_2042:
	s_mov_b64 s[0:1], -1
                                        ; implicit-def: $vgpr6_vgpr7
.LBB6_2043:
	s_andn2_b64 vcc, exec, s[0:1]
	s_cbranch_vccnz .LBB6_2045
; %bb.2044:
	global_load_dword v6, v[8:9], off
	s_waitcnt vmcnt(0)
	v_cvt_f64_i32_e32 v[6:7], v6
.LBB6_2045:
	s_mov_b64 s[0:1], 0
.LBB6_2046:
	s_andn2_b64 vcc, exec, s[0:1]
	s_cbranch_vccnz .LBB6_2048
; %bb.2047:
	global_load_sshort v6, v[8:9], off
	s_waitcnt vmcnt(0)
	v_cvt_f64_i32_e32 v[6:7], v6
.LBB6_2048:
	s_mov_b64 s[0:1], 0
.LBB6_2049:
	s_andn2_b64 vcc, exec, s[0:1]
	s_cbranch_vccnz .LBB6_2055
; %bb.2050:
	v_mov_b32_e32 v6, 0
	v_cmp_gt_i16_sdwa s[0:1], v20, v6 src0_sel:BYTE_0 src1_sel:DWORD
	s_and_b64 vcc, exec, s[0:1]
	s_cbranch_vccz .LBB6_2052
; %bb.2051:
	global_load_sbyte v6, v[8:9], off
	s_mov_b64 s[0:1], 0
	s_waitcnt vmcnt(0)
	v_cvt_f64_i32_e32 v[6:7], v6
	s_branch .LBB6_2053
.LBB6_2052:
	s_mov_b64 s[0:1], -1
                                        ; implicit-def: $vgpr6_vgpr7
.LBB6_2053:
	s_andn2_b64 vcc, exec, s[0:1]
	s_cbranch_vccnz .LBB6_2055
; %bb.2054:
	global_load_ubyte v6, v[8:9], off
	s_waitcnt vmcnt(0)
	v_cvt_f64_u32_e32 v[6:7], v6
.LBB6_2055:
	s_mov_b64 s[16:17], -1
.LBB6_2056:
	s_andn2_b64 vcc, exec, s[16:17]
	s_cbranch_vccnz .LBB6_3032
; %bb.2057:
	v_add_u32_e32 v14, s13, v10
	v_ashrrev_i32_e32 v8, 31, v14
	v_mov_b32_e32 v9, s11
	v_add_co_u32_e32 v10, vcc, s10, v14
	v_addc_co_u32_e32 v11, vcc, v9, v8, vcc
	v_mov_b32_e32 v8, 11
	v_cmp_lt_i16_sdwa s[0:1], v16, v8 src0_sel:BYTE_0 src1_sel:DWORD
	s_and_b64 vcc, exec, s[0:1]
	s_cbranch_vccnz .LBB6_2064
; %bb.2058:
	v_mov_b32_e32 v8, 25
	v_cmp_gt_i16_sdwa s[0:1], v16, v8 src0_sel:BYTE_0 src1_sel:DWORD
	s_mov_b64 s[14:15], 0
	s_and_b64 vcc, exec, s[0:1]
	s_cbranch_vccz .LBB6_2065
; %bb.2059:
	v_mov_b32_e32 v8, 28
	v_cmp_gt_i16_sdwa s[0:1], v16, v8 src0_sel:BYTE_0 src1_sel:DWORD
	s_and_b64 vcc, exec, s[0:1]
	s_cbranch_vccz .LBB6_2066
; %bb.2060:
	v_mov_b32_e32 v8, 43
	v_cmp_gt_i16_sdwa s[0:1], v16, v8 src0_sel:BYTE_0 src1_sel:DWORD
	s_and_b64 vcc, exec, s[0:1]
	s_cbranch_vccz .LBB6_2067
; %bb.2061:
	v_mov_b32_e32 v8, 45
	v_cmp_gt_i16_sdwa s[0:1], v16, v8 src0_sel:BYTE_0 src1_sel:DWORD
	s_and_b64 vcc, exec, s[0:1]
	s_cbranch_vccz .LBB6_2069
; %bb.2062:
	v_mov_b32_e32 v8, 46
	v_cmp_eq_u16_sdwa s[0:1], v16, v8 src0_sel:BYTE_0 src1_sel:DWORD
	s_mov_b64 s[20:21], 0
	s_and_b64 vcc, exec, s[0:1]
	s_cbranch_vccz .LBB6_2070
; %bb.2063:
	global_load_dword v8, v[10:11], off
	s_mov_b64 s[0:1], 0
	s_mov_b64 s[16:17], -1
	s_waitcnt vmcnt(0)
	v_lshlrev_b32_e32 v8, 16, v8
	v_cvt_f64_f32_e32 v[8:9], v8
	s_branch .LBB6_2071
.LBB6_2064:
	s_mov_b64 s[0:1], -1
	s_mov_b64 s[16:17], 0
                                        ; implicit-def: $vgpr8_vgpr9
	s_branch .LBB6_2137
.LBB6_2065:
	s_mov_b64 s[20:21], -1
	s_mov_b64 s[16:17], 0
	s_mov_b64 s[0:1], 0
                                        ; implicit-def: $vgpr8_vgpr9
	s_branch .LBB6_2100
.LBB6_2066:
	s_mov_b64 s[20:21], -1
	s_mov_b64 s[16:17], 0
	s_mov_b64 s[0:1], 0
                                        ; implicit-def: $vgpr8_vgpr9
	s_branch .LBB6_2081
.LBB6_2067:
	s_mov_b64 s[20:21], -1
	s_mov_b64 s[16:17], 0
	s_mov_b64 s[0:1], 0
                                        ; implicit-def: $vgpr8_vgpr9
	s_branch .LBB6_2076
.LBB6_2068:
	s_trap 2
	s_or_b64 s[18:19], s[18:19], exec
                                        ; implicit-def: $vgpr6_vgpr7
	s_cbranch_execz .LBB6_2005
	s_branch .LBB6_2006
.LBB6_2069:
	s_mov_b64 s[20:21], -1
	s_mov_b64 s[16:17], 0
	s_mov_b64 s[0:1], 0
                                        ; implicit-def: $vgpr8_vgpr9
	s_branch .LBB6_2071
.LBB6_2070:
	s_mov_b64 s[0:1], -1
                                        ; implicit-def: $vgpr8_vgpr9
	s_mov_b64 s[16:17], 0
.LBB6_2071:
	s_and_b64 vcc, exec, s[20:21]
	s_cbranch_vccz .LBB6_2075
; %bb.2072:
	v_mov_b32_e32 v8, 44
	v_cmp_eq_u16_sdwa s[0:1], v16, v8 src0_sel:BYTE_0 src1_sel:DWORD
	s_and_b64 vcc, exec, s[0:1]
	s_cbranch_vccz .LBB6_2074
; %bb.2073:
	global_load_ubyte v13, v[10:11], off
	s_movk_i32 s16, 0xff
	v_bfrev_b32_e32 v15, 4
	v_mov_b32_e32 v17, 0x7ff80000
	v_bfrev_b32_e32 v21, 28
	s_mov_b64 s[0:1], 0
	s_waitcnt vmcnt(0)
	v_lshlrev_b32_e32 v8, 23, v13
	v_cvt_f64_f32_e32 v[8:9], v8
	v_cmp_ne_u32_e32 vcc, s16, v13
	v_cndmask_b32_e32 v8, v15, v8, vcc
	v_cndmask_b32_e32 v9, v17, v9, vcc
	v_cmp_ne_u32_e32 vcc, 0, v13
	v_cndmask_b32_e32 v9, v21, v9, vcc
	v_cndmask_b32_e32 v8, 0, v8, vcc
	s_mov_b64 s[16:17], -1
	s_branch .LBB6_2075
.LBB6_2074:
	s_mov_b64 s[0:1], -1
                                        ; implicit-def: $vgpr8_vgpr9
.LBB6_2075:
	s_mov_b64 s[20:21], 0
.LBB6_2076:
	s_and_b64 vcc, exec, s[20:21]
	s_cbranch_vccz .LBB6_2080
; %bb.2077:
	v_mov_b32_e32 v8, 29
	v_cmp_eq_u16_sdwa s[0:1], v16, v8 src0_sel:BYTE_0 src1_sel:DWORD
	s_and_b64 vcc, exec, s[0:1]
	s_cbranch_vccz .LBB6_2079
; %bb.2078:
	global_load_dwordx2 v[8:9], v[10:11], off
	s_mov_b64 s[0:1], 0
	s_mov_b64 s[16:17], -1
	s_mov_b64 s[20:21], 0
	s_waitcnt vmcnt(0)
	v_cvt_f64_u32_e32 v[22:23], v9
	v_cvt_f64_u32_e32 v[8:9], v8
	v_ldexp_f64 v[22:23], v[22:23], 32
	v_add_f64 v[8:9], v[22:23], v[8:9]
	s_branch .LBB6_2081
.LBB6_2079:
	s_mov_b64 s[0:1], -1
                                        ; implicit-def: $vgpr8_vgpr9
.LBB6_2080:
	s_mov_b64 s[20:21], 0
.LBB6_2081:
	s_and_b64 vcc, exec, s[20:21]
	s_cbranch_vccz .LBB6_2099
; %bb.2082:
	v_mov_b32_e32 v8, 27
	v_cmp_lt_i16_sdwa s[16:17], v16, v8 src0_sel:BYTE_0 src1_sel:DWORD
	s_and_b64 vcc, exec, s[16:17]
	s_cbranch_vccnz .LBB6_2085
; %bb.2083:
	v_cmp_gt_i16_sdwa s[16:17], v16, v8 src0_sel:BYTE_0 src1_sel:DWORD
	s_and_b64 vcc, exec, s[16:17]
	s_cbranch_vccz .LBB6_2086
; %bb.2084:
	global_load_dword v8, v[10:11], off
	s_mov_b64 s[16:17], 0
	s_waitcnt vmcnt(0)
	v_cvt_f64_u32_e32 v[8:9], v8
	s_branch .LBB6_2087
.LBB6_2085:
	s_mov_b64 s[16:17], -1
                                        ; implicit-def: $vgpr8_vgpr9
	s_branch .LBB6_2090
.LBB6_2086:
	s_mov_b64 s[16:17], -1
                                        ; implicit-def: $vgpr8_vgpr9
.LBB6_2087:
	s_andn2_b64 vcc, exec, s[16:17]
	s_cbranch_vccnz .LBB6_2089
; %bb.2088:
	global_load_ushort v8, v[10:11], off
	s_waitcnt vmcnt(0)
	v_cvt_f64_u32_e32 v[8:9], v8
.LBB6_2089:
	s_mov_b64 s[16:17], 0
.LBB6_2090:
	s_andn2_b64 vcc, exec, s[16:17]
	s_cbranch_vccnz .LBB6_2098
; %bb.2091:
	global_load_ubyte v13, v[10:11], off
	s_movk_i32 s16, 0x7f
                                        ; implicit-def: $sgpr20_sgpr21
	s_waitcnt vmcnt(0)
	v_cmp_lt_i16_e32 vcc, s16, v13
	s_mov_b64 s[16:17], 0
	s_and_saveexec_b64 s[22:23], vcc
	s_xor_b64 s[22:23], exec, s[22:23]
	s_cbranch_execz .LBB6_2112
; %bb.2092:
	s_movk_i32 s16, 0x80
	v_cmp_eq_u16_e32 vcc, s16, v13
	s_mov_b64 s[24:25], -1
                                        ; implicit-def: $sgpr20_sgpr21
	s_and_saveexec_b64 s[16:17], vcc
; %bb.2093:
	s_mov_b32 s21, 0x7ff80000
	s_brev_b32 s20, 4
	s_xor_b64 s[24:25], exec, -1
; %bb.2094:
	s_or_b64 exec, exec, s[16:17]
	s_and_b64 s[16:17], s[24:25], exec
	s_or_saveexec_b64 s[22:23], s[22:23]
	v_pk_mov_b32 v[8:9], s[20:21], s[20:21] op_sel:[0,1]
	s_xor_b64 exec, exec, s[22:23]
	s_cbranch_execnz .LBB6_2113
.LBB6_2095:
	s_or_b64 exec, exec, s[22:23]
	s_and_saveexec_b64 s[20:21], s[16:17]
	s_cbranch_execz .LBB6_2097
.LBB6_2096:
	v_and_b32_e32 v9, 0xffff, v13
	v_lshlrev_b32_e32 v8, 24, v13
	v_and_b32_e32 v13, 7, v9
	v_ffbh_u32_e32 v17, v13
	v_min_u32_e32 v17, 32, v17
	v_subrev_u32_e32 v21, 28, v17
	v_bfe_u32 v15, v9, 3, 4
	v_lshlrev_b32_e32 v9, v21, v9
	v_sub_u32_e32 v17, 29, v17
	v_and_b32_e32 v9, 7, v9
	v_cmp_eq_u32_e32 vcc, 0, v15
	v_cndmask_b32_e32 v15, v15, v17, vcc
	v_cndmask_b32_e32 v9, v13, v9, vcc
	v_mov_b32_e32 v13, 0x3b800000
	v_lshlrev_b32_e32 v9, 20, v9
	v_and_b32_e32 v8, 0x80000000, v8
	v_lshl_add_u32 v13, v15, 23, v13
	v_or3_b32 v8, v8, v13, v9
	v_cvt_f64_f32_e32 v[8:9], v8
.LBB6_2097:
	s_or_b64 exec, exec, s[20:21]
.LBB6_2098:
	s_mov_b64 s[16:17], -1
.LBB6_2099:
	s_mov_b64 s[20:21], 0
.LBB6_2100:
	s_and_b64 vcc, exec, s[20:21]
	s_cbranch_vccz .LBB6_2133
; %bb.2101:
	v_mov_b32_e32 v8, 22
	v_cmp_gt_i16_sdwa s[14:15], v16, v8 src0_sel:BYTE_0 src1_sel:DWORD
	s_and_b64 vcc, exec, s[14:15]
	s_cbranch_vccz .LBB6_2111
; %bb.2102:
	v_mov_b32_e32 v8, 24
	v_cmp_lt_i16_sdwa s[14:15], v16, v8 src0_sel:BYTE_0 src1_sel:DWORD
	s_and_b64 vcc, exec, s[14:15]
	s_cbranch_vccnz .LBB6_2114
; %bb.2103:
	v_cmp_gt_i16_sdwa s[14:15], v16, v8 src0_sel:BYTE_0 src1_sel:DWORD
	s_and_b64 vcc, exec, s[14:15]
	s_cbranch_vccz .LBB6_2115
; %bb.2104:
	global_load_ubyte v13, v[10:11], off
	s_movk_i32 s14, 0x7f
                                        ; implicit-def: $sgpr16_sgpr17
	s_waitcnt vmcnt(0)
	v_cmp_lt_i16_e32 vcc, s14, v13
	s_mov_b64 s[14:15], 0
	s_and_saveexec_b64 s[20:21], vcc
	s_xor_b64 s[20:21], exec, s[20:21]
	s_cbranch_execz .LBB6_2127
; %bb.2105:
	s_movk_i32 s14, 0x80
	v_cmp_eq_u16_e32 vcc, s14, v13
	s_mov_b64 s[22:23], -1
                                        ; implicit-def: $sgpr16_sgpr17
	s_and_saveexec_b64 s[14:15], vcc
; %bb.2106:
	s_mov_b32 s17, 0x7ff80000
	s_brev_b32 s16, 4
	s_xor_b64 s[22:23], exec, -1
; %bb.2107:
	s_or_b64 exec, exec, s[14:15]
	s_and_b64 s[14:15], s[22:23], exec
	s_or_saveexec_b64 s[20:21], s[20:21]
	v_pk_mov_b32 v[8:9], s[16:17], s[16:17] op_sel:[0,1]
	s_xor_b64 exec, exec, s[20:21]
	s_cbranch_execnz .LBB6_2128
.LBB6_2108:
	s_or_b64 exec, exec, s[20:21]
	s_and_saveexec_b64 s[16:17], s[14:15]
	s_cbranch_execz .LBB6_2110
.LBB6_2109:
	v_and_b32_e32 v9, 0xffff, v13
	v_lshlrev_b32_e32 v8, 24, v13
	v_and_b32_e32 v13, 3, v9
	v_ffbh_u32_e32 v17, v13
	v_min_u32_e32 v17, 32, v17
	v_subrev_u32_e32 v21, 29, v17
	v_bfe_u32 v15, v9, 2, 5
	v_lshlrev_b32_e32 v9, v21, v9
	v_sub_u32_e32 v17, 30, v17
	v_and_b32_e32 v9, 3, v9
	v_cmp_eq_u32_e32 vcc, 0, v15
	v_cndmask_b32_e32 v15, v15, v17, vcc
	v_cndmask_b32_e32 v9, v13, v9, vcc
	v_mov_b32_e32 v13, 0x37800000
	v_lshlrev_b32_e32 v9, 21, v9
	v_and_b32_e32 v8, 0x80000000, v8
	v_lshl_add_u32 v13, v15, 23, v13
	v_or3_b32 v8, v8, v13, v9
	v_cvt_f64_f32_e32 v[8:9], v8
.LBB6_2110:
	s_or_b64 exec, exec, s[16:17]
	s_mov_b64 s[14:15], 0
	s_branch .LBB6_2116
.LBB6_2111:
	s_mov_b64 s[14:15], -1
                                        ; implicit-def: $vgpr8_vgpr9
	s_branch .LBB6_2122
.LBB6_2112:
	s_or_saveexec_b64 s[22:23], s[22:23]
	v_pk_mov_b32 v[8:9], s[20:21], s[20:21] op_sel:[0,1]
	s_xor_b64 exec, exec, s[22:23]
	s_cbranch_execz .LBB6_2095
.LBB6_2113:
	v_cmp_ne_u16_e32 vcc, 0, v13
	s_andn2_b64 s[16:17], s[16:17], exec
	s_and_b64 s[20:21], vcc, exec
	v_pk_mov_b32 v[8:9], 0, 0
	s_or_b64 s[16:17], s[16:17], s[20:21]
	s_or_b64 exec, exec, s[22:23]
	s_and_saveexec_b64 s[20:21], s[16:17]
	s_cbranch_execnz .LBB6_2096
	s_branch .LBB6_2097
.LBB6_2114:
	s_mov_b64 s[14:15], -1
                                        ; implicit-def: $vgpr8_vgpr9
	s_branch .LBB6_2119
.LBB6_2115:
	s_mov_b64 s[14:15], -1
                                        ; implicit-def: $vgpr8_vgpr9
.LBB6_2116:
	s_and_b64 vcc, exec, s[14:15]
	s_cbranch_vccz .LBB6_2118
; %bb.2117:
	global_load_ubyte v8, v[10:11], off
	s_mov_b32 s14, 0x7f800000
	s_waitcnt vmcnt(0)
	v_lshlrev_b32_e32 v8, 24, v8
	v_and_b32_e32 v9, 0x7f000000, v8
	v_ffbh_u32_e32 v13, v9
	v_min_u32_e32 v13, 32, v13
	v_sub_u32_e64 v13, v13, 4 clamp
	v_lshlrev_b32_e32 v17, v13, v9
	v_lshlrev_b32_e32 v13, 23, v13
	v_lshrrev_b32_e32 v17, 4, v17
	v_add_u32_e32 v15, 0x1000000, v9
	v_sub_u32_e32 v13, v17, v13
	v_ashrrev_i32_e32 v15, 8, v15
	v_add_u32_e32 v13, 0x3c000000, v13
	v_and_or_b32 v13, v15, s14, v13
	v_cmp_ne_u32_e32 vcc, 0, v9
	v_cndmask_b32_e32 v9, 0, v13, vcc
	s_brev_b32 s14, 1
	v_and_or_b32 v8, v8, s14, v9
	v_cvt_f64_f32_e32 v[8:9], v8
.LBB6_2118:
	s_mov_b64 s[14:15], 0
.LBB6_2119:
	s_andn2_b64 vcc, exec, s[14:15]
	s_cbranch_vccnz .LBB6_2121
; %bb.2120:
	global_load_ubyte v8, v[10:11], off
	s_movk_i32 s14, 0x7f00
	s_brev_b32 s15, 16
	s_waitcnt vmcnt(0)
	v_lshlrev_b16_e32 v9, 8, v8
	v_lshlrev_b32_e32 v8, 25, v8
	v_lshrrev_b32_e32 v13, 4, v8
	v_and_or_b32 v15, v9, s14, 0.5
	v_or_b32_e32 v13, 0x70000000, v13
	v_add_f32_e32 v15, -0.5, v15
	v_mul_f32_e32 v13, 0x7800000, v13
	v_cmp_gt_u32_e32 vcc, s15, v8
	v_bfe_i32 v9, v9, 0, 16
	v_cndmask_b32_e32 v8, v13, v15, vcc
	s_brev_b32 s14, 1
	v_and_or_b32 v8, v9, s14, v8
	v_cvt_f64_f32_e32 v[8:9], v8
.LBB6_2121:
	s_mov_b64 s[14:15], 0
	s_mov_b64 s[16:17], -1
.LBB6_2122:
	s_andn2_b64 vcc, exec, s[14:15]
	s_mov_b64 s[14:15], 0
	s_cbranch_vccnz .LBB6_2133
; %bb.2123:
	v_mov_b32_e32 v8, 14
	v_cmp_gt_i16_sdwa s[14:15], v16, v8 src0_sel:BYTE_0 src1_sel:DWORD
	s_and_b64 vcc, exec, s[14:15]
	s_cbranch_vccz .LBB6_2126
; %bb.2124:
	v_mov_b32_e32 v8, 15
	v_cmp_eq_u16_sdwa s[0:1], v16, v8 src0_sel:BYTE_0 src1_sel:DWORD
	s_and_b64 vcc, exec, s[0:1]
	s_cbranch_vccz .LBB6_2129
; %bb.2125:
	global_load_ushort v8, v[10:11], off
	s_mov_b64 s[0:1], 0
	s_mov_b64 s[16:17], -1
	s_waitcnt vmcnt(0)
	v_lshlrev_b32_e32 v8, 16, v8
	v_cvt_f64_f32_e32 v[8:9], v8
	s_branch .LBB6_2130
.LBB6_2126:
	s_mov_b64 s[20:21], -1
                                        ; implicit-def: $vgpr8_vgpr9
	s_branch .LBB6_2131
.LBB6_2127:
	s_or_saveexec_b64 s[20:21], s[20:21]
	v_pk_mov_b32 v[8:9], s[16:17], s[16:17] op_sel:[0,1]
	s_xor_b64 exec, exec, s[20:21]
	s_cbranch_execz .LBB6_2108
.LBB6_2128:
	v_cmp_ne_u16_e32 vcc, 0, v13
	s_andn2_b64 s[14:15], s[14:15], exec
	s_and_b64 s[16:17], vcc, exec
	v_pk_mov_b32 v[8:9], 0, 0
	s_or_b64 s[14:15], s[14:15], s[16:17]
	s_or_b64 exec, exec, s[20:21]
	s_and_saveexec_b64 s[16:17], s[14:15]
	s_cbranch_execnz .LBB6_2109
	s_branch .LBB6_2110
.LBB6_2129:
	s_mov_b64 s[0:1], -1
                                        ; implicit-def: $vgpr8_vgpr9
.LBB6_2130:
	s_mov_b64 s[20:21], 0
.LBB6_2131:
	s_mov_b64 s[14:15], 0
	s_and_b64 vcc, exec, s[20:21]
	s_cbranch_vccz .LBB6_2133
; %bb.2132:
	v_mov_b32_e32 v8, 11
	v_cmp_ne_u16_sdwa s[0:1], v16, v8 src0_sel:BYTE_0 src1_sel:DWORD
	s_mov_b64 s[14:15], -1
                                        ; implicit-def: $vgpr8_vgpr9
.LBB6_2133:
	s_and_b64 vcc, exec, s[0:1]
	s_cbranch_vccnz .LBB6_2198
; %bb.2134:
	s_andn2_b64 vcc, exec, s[14:15]
	s_cbranch_vccnz .LBB6_2136
.LBB6_2135:
	global_load_ubyte v9, v[10:11], off
	v_mov_b32_e32 v13, 0x3ff00000
	v_mov_b32_e32 v8, 0
	s_mov_b64 s[16:17], -1
	s_waitcnt vmcnt(0)
	v_cmp_ne_u16_e32 vcc, 0, v9
	v_cndmask_b32_e32 v9, 0, v13, vcc
.LBB6_2136:
	s_mov_b64 s[0:1], 0
.LBB6_2137:
	s_and_b64 vcc, exec, s[0:1]
	s_cbranch_vccz .LBB6_2186
; %bb.2138:
	v_mov_b32_e32 v8, 5
	v_cmp_lt_i16_sdwa s[0:1], v16, v8 src0_sel:BYTE_0 src1_sel:DWORD
	s_and_b64 vcc, exec, s[0:1]
	s_cbranch_vccnz .LBB6_2143
; %bb.2139:
	v_mov_b32_e32 v8, 8
	v_cmp_lt_i16_sdwa s[0:1], v16, v8 src0_sel:BYTE_0 src1_sel:DWORD
	s_and_b64 vcc, exec, s[0:1]
	s_cbranch_vccnz .LBB6_2144
	;; [unrolled: 5-line block ×3, first 2 shown]
; %bb.2141:
	v_cmp_gt_i16_sdwa s[0:1], v16, v8 src0_sel:BYTE_0 src1_sel:DWORD
	s_and_b64 vcc, exec, s[0:1]
	s_cbranch_vccz .LBB6_2146
; %bb.2142:
	global_load_dwordx2 v[8:9], v[10:11], off
	s_mov_b64 s[0:1], 0
	s_branch .LBB6_2147
.LBB6_2143:
	s_mov_b64 s[0:1], -1
                                        ; implicit-def: $vgpr8_vgpr9
	s_branch .LBB6_2165
.LBB6_2144:
	s_mov_b64 s[0:1], -1
                                        ; implicit-def: $vgpr8_vgpr9
	s_branch .LBB6_2153
.LBB6_2145:
	s_mov_b64 s[0:1], -1
                                        ; implicit-def: $vgpr8_vgpr9
	s_branch .LBB6_2150
.LBB6_2146:
	s_mov_b64 s[0:1], -1
                                        ; implicit-def: $vgpr8_vgpr9
.LBB6_2147:
	s_andn2_b64 vcc, exec, s[0:1]
	s_cbranch_vccnz .LBB6_2149
; %bb.2148:
	global_load_dword v8, v[10:11], off
	s_waitcnt vmcnt(0)
	v_cvt_f64_f32_e32 v[8:9], v8
.LBB6_2149:
	s_mov_b64 s[0:1], 0
.LBB6_2150:
	s_andn2_b64 vcc, exec, s[0:1]
	s_cbranch_vccnz .LBB6_2152
; %bb.2151:
	global_load_dword v8, v[10:11], off
	s_waitcnt vmcnt(0)
	v_cvt_f32_f16_e32 v8, v8
	v_cvt_f64_f32_e32 v[8:9], v8
.LBB6_2152:
	s_mov_b64 s[0:1], 0
.LBB6_2153:
	s_andn2_b64 vcc, exec, s[0:1]
	s_cbranch_vccnz .LBB6_2164
; %bb.2154:
	s_waitcnt vmcnt(0)
	v_mov_b32_e32 v8, 6
	v_cmp_lt_i16_sdwa s[0:1], v16, v8 src0_sel:BYTE_0 src1_sel:DWORD
	s_and_b64 vcc, exec, s[0:1]
	s_cbranch_vccnz .LBB6_2157
; %bb.2155:
	v_cmp_gt_i16_sdwa s[0:1], v16, v8 src0_sel:BYTE_0 src1_sel:DWORD
	s_and_b64 vcc, exec, s[0:1]
	s_cbranch_vccz .LBB6_2158
; %bb.2156:
	global_load_dwordx2 v[8:9], v[10:11], off
	s_mov_b64 s[0:1], 0
	s_branch .LBB6_2159
.LBB6_2157:
	s_mov_b64 s[0:1], -1
                                        ; implicit-def: $vgpr8_vgpr9
	s_branch .LBB6_2162
.LBB6_2158:
	s_mov_b64 s[0:1], -1
                                        ; implicit-def: $vgpr8_vgpr9
.LBB6_2159:
	s_andn2_b64 vcc, exec, s[0:1]
	s_cbranch_vccnz .LBB6_2161
; %bb.2160:
	global_load_dword v8, v[10:11], off
	s_waitcnt vmcnt(0)
	v_cvt_f64_f32_e32 v[8:9], v8
.LBB6_2161:
	s_mov_b64 s[0:1], 0
.LBB6_2162:
	s_andn2_b64 vcc, exec, s[0:1]
	s_cbranch_vccnz .LBB6_2164
; %bb.2163:
	global_load_ushort v8, v[10:11], off
	s_waitcnt vmcnt(0)
	v_cvt_f32_f16_e32 v8, v8
	v_cvt_f64_f32_e32 v[8:9], v8
.LBB6_2164:
	s_mov_b64 s[0:1], 0
.LBB6_2165:
	s_andn2_b64 vcc, exec, s[0:1]
	s_cbranch_vccnz .LBB6_2185
; %bb.2166:
	s_waitcnt vmcnt(0)
	v_mov_b32_e32 v8, 2
	v_cmp_lt_i16_sdwa s[0:1], v16, v8 src0_sel:BYTE_0 src1_sel:DWORD
	s_and_b64 vcc, exec, s[0:1]
	s_cbranch_vccnz .LBB6_2170
; %bb.2167:
	v_mov_b32_e32 v8, 3
	v_cmp_lt_i16_sdwa s[0:1], v16, v8 src0_sel:BYTE_0 src1_sel:DWORD
	s_and_b64 vcc, exec, s[0:1]
	s_cbranch_vccnz .LBB6_2171
; %bb.2168:
	v_cmp_gt_i16_sdwa s[0:1], v16, v8 src0_sel:BYTE_0 src1_sel:DWORD
	s_and_b64 vcc, exec, s[0:1]
	s_cbranch_vccz .LBB6_2172
; %bb.2169:
	global_load_dwordx2 v[8:9], v[10:11], off
	s_mov_b64 s[0:1], 0
	s_waitcnt vmcnt(0)
	v_cvt_f64_i32_e32 v[22:23], v9
	v_cvt_f64_u32_e32 v[8:9], v8
	v_ldexp_f64 v[22:23], v[22:23], 32
	v_add_f64 v[8:9], v[22:23], v[8:9]
	s_branch .LBB6_2173
.LBB6_2170:
	s_mov_b64 s[0:1], -1
                                        ; implicit-def: $vgpr8_vgpr9
	s_branch .LBB6_2179
.LBB6_2171:
	s_mov_b64 s[0:1], -1
                                        ; implicit-def: $vgpr8_vgpr9
	s_branch .LBB6_2176
.LBB6_2172:
	s_mov_b64 s[0:1], -1
                                        ; implicit-def: $vgpr8_vgpr9
.LBB6_2173:
	s_andn2_b64 vcc, exec, s[0:1]
	s_cbranch_vccnz .LBB6_2175
; %bb.2174:
	global_load_dword v8, v[10:11], off
	s_waitcnt vmcnt(0)
	v_cvt_f64_i32_e32 v[8:9], v8
.LBB6_2175:
	s_mov_b64 s[0:1], 0
.LBB6_2176:
	s_andn2_b64 vcc, exec, s[0:1]
	s_cbranch_vccnz .LBB6_2178
; %bb.2177:
	global_load_sshort v8, v[10:11], off
	s_waitcnt vmcnt(0)
	v_cvt_f64_i32_e32 v[8:9], v8
.LBB6_2178:
	s_mov_b64 s[0:1], 0
.LBB6_2179:
	s_andn2_b64 vcc, exec, s[0:1]
	s_cbranch_vccnz .LBB6_2185
; %bb.2180:
	v_mov_b32_e32 v8, 0
	v_cmp_gt_i16_sdwa s[0:1], v16, v8 src0_sel:BYTE_0 src1_sel:DWORD
	s_and_b64 vcc, exec, s[0:1]
	s_cbranch_vccz .LBB6_2182
; %bb.2181:
	global_load_sbyte v8, v[10:11], off
	s_mov_b64 s[0:1], 0
	s_waitcnt vmcnt(0)
	v_cvt_f64_i32_e32 v[8:9], v8
	s_branch .LBB6_2183
.LBB6_2182:
	s_mov_b64 s[0:1], -1
                                        ; implicit-def: $vgpr8_vgpr9
.LBB6_2183:
	s_andn2_b64 vcc, exec, s[0:1]
	s_cbranch_vccnz .LBB6_2185
; %bb.2184:
	global_load_ubyte v8, v[10:11], off
	s_waitcnt vmcnt(0)
	v_cvt_f64_u32_e32 v[8:9], v8
.LBB6_2185:
	s_mov_b64 s[16:17], -1
.LBB6_2186:
	s_andn2_b64 vcc, exec, s[16:17]
	s_cbranch_vccnz .LBB6_3032
; %bb.2187:
	v_add_u32_e32 v17, s26, v12
	v_ashrrev_i32_e32 v10, 31, v17
	v_mov_b32_e32 v11, s3
	v_add_co_u32_e32 v12, vcc, s2, v17
	v_addc_co_u32_e32 v13, vcc, v11, v10, vcc
	v_mov_b32_e32 v10, 11
	v_cmp_lt_i16_sdwa s[0:1], v20, v10 src0_sel:BYTE_0 src1_sel:DWORD
	s_and_b64 vcc, exec, s[0:1]
	s_cbranch_vccnz .LBB6_2194
; %bb.2188:
	v_mov_b32_e32 v10, 25
	v_cmp_gt_i16_sdwa s[0:1], v20, v10 src0_sel:BYTE_0 src1_sel:DWORD
	s_mov_b64 s[14:15], 0
	s_and_b64 vcc, exec, s[0:1]
	s_cbranch_vccz .LBB6_2195
; %bb.2189:
	v_mov_b32_e32 v10, 28
	v_cmp_gt_i16_sdwa s[0:1], v20, v10 src0_sel:BYTE_0 src1_sel:DWORD
	s_and_b64 vcc, exec, s[0:1]
	s_cbranch_vccz .LBB6_2196
; %bb.2190:
	v_mov_b32_e32 v10, 43
	v_cmp_gt_i16_sdwa s[0:1], v20, v10 src0_sel:BYTE_0 src1_sel:DWORD
	;; [unrolled: 5-line block ×3, first 2 shown]
	s_and_b64 vcc, exec, s[0:1]
	s_cbranch_vccz .LBB6_2199
; %bb.2192:
	v_mov_b32_e32 v10, 46
	v_cmp_eq_u16_sdwa s[0:1], v20, v10 src0_sel:BYTE_0 src1_sel:DWORD
	s_mov_b64 s[20:21], 0
	s_and_b64 vcc, exec, s[0:1]
	s_cbranch_vccz .LBB6_2202
; %bb.2193:
	global_load_dword v10, v[12:13], off
	s_mov_b64 s[0:1], 0
	s_mov_b64 s[16:17], -1
	s_waitcnt vmcnt(0)
	v_lshlrev_b32_e32 v10, 16, v10
	v_cvt_f64_f32_e32 v[10:11], v10
	s_branch .LBB6_2203
.LBB6_2194:
	s_mov_b64 s[0:1], -1
	s_mov_b64 s[16:17], 0
                                        ; implicit-def: $vgpr10_vgpr11
	s_branch .LBB6_2269
.LBB6_2195:
	s_mov_b64 s[20:21], -1
	s_mov_b64 s[16:17], 0
	s_mov_b64 s[0:1], 0
                                        ; implicit-def: $vgpr10_vgpr11
	s_branch .LBB6_2232
.LBB6_2196:
	s_mov_b64 s[20:21], -1
	s_mov_b64 s[16:17], 0
	s_mov_b64 s[0:1], 0
                                        ; implicit-def: $vgpr10_vgpr11
	s_branch .LBB6_2213
.LBB6_2197:
	s_mov_b64 s[20:21], -1
	s_mov_b64 s[16:17], 0
	s_mov_b64 s[0:1], 0
                                        ; implicit-def: $vgpr10_vgpr11
	s_branch .LBB6_2208
.LBB6_2198:
	s_trap 2
	s_or_b64 s[18:19], s[18:19], exec
                                        ; implicit-def: $vgpr8_vgpr9
	s_cbranch_execz .LBB6_2135
	s_branch .LBB6_2136
.LBB6_2199:
	s_mov_b64 s[20:21], -1
	s_mov_b64 s[16:17], 0
	s_mov_b64 s[0:1], 0
                                        ; implicit-def: $vgpr10_vgpr11
	s_branch .LBB6_2203
.LBB6_2200:
	s_or_saveexec_b64 s[44:45], s[44:45]
                                        ; implicit-def: $sgpr15
	s_xor_b64 exec, exec, s[44:45]
	s_cbranch_execz .LBB6_1085
.LBB6_2201:
	s_mov_b32 s15, 0x42800000
	v_add_f32_e64 v3, |v2|, s15
	v_and_b32_e32 v3, 0xff, v3
	v_cmp_ne_u32_e32 vcc, 0, v3
	s_andn2_b64 s[42:43], s[42:43], exec
	s_and_b64 s[46:47], vcc, exec
	s_mov_b32 s15, 0
	s_or_b64 s[42:43], s[42:43], s[46:47]
	s_or_b64 exec, exec, s[44:45]
	v_mov_b32_e32 v6, s15
	s_and_saveexec_b64 s[44:45], s[42:43]
	s_cbranch_execnz .LBB6_1086
	s_branch .LBB6_1087
.LBB6_2202:
	s_mov_b64 s[0:1], -1
                                        ; implicit-def: $vgpr10_vgpr11
	s_mov_b64 s[16:17], 0
.LBB6_2203:
	s_and_b64 vcc, exec, s[20:21]
	s_cbranch_vccz .LBB6_2207
; %bb.2204:
	v_mov_b32_e32 v10, 44
	v_cmp_eq_u16_sdwa s[0:1], v20, v10 src0_sel:BYTE_0 src1_sel:DWORD
	s_and_b64 vcc, exec, s[0:1]
	s_cbranch_vccz .LBB6_2206
; %bb.2205:
	global_load_ubyte v15, v[12:13], off
	s_movk_i32 s16, 0xff
	v_bfrev_b32_e32 v21, 4
	v_mov_b32_e32 v22, 0x7ff80000
	v_bfrev_b32_e32 v23, 28
	s_mov_b64 s[0:1], 0
	s_waitcnt vmcnt(0)
	v_lshlrev_b32_e32 v10, 23, v15
	v_cvt_f64_f32_e32 v[10:11], v10
	v_cmp_ne_u32_e32 vcc, s16, v15
	v_cndmask_b32_e32 v10, v21, v10, vcc
	v_cndmask_b32_e32 v11, v22, v11, vcc
	v_cmp_ne_u32_e32 vcc, 0, v15
	v_cndmask_b32_e32 v11, v23, v11, vcc
	v_cndmask_b32_e32 v10, 0, v10, vcc
	s_mov_b64 s[16:17], -1
	s_branch .LBB6_2207
.LBB6_2206:
	s_mov_b64 s[0:1], -1
                                        ; implicit-def: $vgpr10_vgpr11
.LBB6_2207:
	s_mov_b64 s[20:21], 0
.LBB6_2208:
	s_and_b64 vcc, exec, s[20:21]
	s_cbranch_vccz .LBB6_2212
; %bb.2209:
	v_mov_b32_e32 v10, 29
	v_cmp_eq_u16_sdwa s[0:1], v20, v10 src0_sel:BYTE_0 src1_sel:DWORD
	s_and_b64 vcc, exec, s[0:1]
	s_cbranch_vccz .LBB6_2211
; %bb.2210:
	global_load_dwordx2 v[10:11], v[12:13], off
	s_mov_b64 s[0:1], 0
	s_mov_b64 s[16:17], -1
	s_mov_b64 s[20:21], 0
	s_waitcnt vmcnt(0)
	v_cvt_f64_u32_e32 v[22:23], v11
	v_cvt_f64_u32_e32 v[10:11], v10
	v_ldexp_f64 v[22:23], v[22:23], 32
	v_add_f64 v[10:11], v[22:23], v[10:11]
	s_branch .LBB6_2213
.LBB6_2211:
	s_mov_b64 s[0:1], -1
                                        ; implicit-def: $vgpr10_vgpr11
.LBB6_2212:
	s_mov_b64 s[20:21], 0
.LBB6_2213:
	s_and_b64 vcc, exec, s[20:21]
	s_cbranch_vccz .LBB6_2231
; %bb.2214:
	v_mov_b32_e32 v10, 27
	v_cmp_lt_i16_sdwa s[16:17], v20, v10 src0_sel:BYTE_0 src1_sel:DWORD
	s_and_b64 vcc, exec, s[16:17]
	s_cbranch_vccnz .LBB6_2217
; %bb.2215:
	v_cmp_gt_i16_sdwa s[16:17], v20, v10 src0_sel:BYTE_0 src1_sel:DWORD
	s_and_b64 vcc, exec, s[16:17]
	s_cbranch_vccz .LBB6_2218
; %bb.2216:
	global_load_dword v10, v[12:13], off
	s_mov_b64 s[16:17], 0
	s_waitcnt vmcnt(0)
	v_cvt_f64_u32_e32 v[10:11], v10
	s_branch .LBB6_2219
.LBB6_2217:
	s_mov_b64 s[16:17], -1
                                        ; implicit-def: $vgpr10_vgpr11
	s_branch .LBB6_2222
.LBB6_2218:
	s_mov_b64 s[16:17], -1
                                        ; implicit-def: $vgpr10_vgpr11
.LBB6_2219:
	s_andn2_b64 vcc, exec, s[16:17]
	s_cbranch_vccnz .LBB6_2221
; %bb.2220:
	global_load_ushort v10, v[12:13], off
	s_waitcnt vmcnt(0)
	v_cvt_f64_u32_e32 v[10:11], v10
.LBB6_2221:
	s_mov_b64 s[16:17], 0
.LBB6_2222:
	s_andn2_b64 vcc, exec, s[16:17]
	s_cbranch_vccnz .LBB6_2230
; %bb.2223:
	global_load_ubyte v15, v[12:13], off
	s_movk_i32 s16, 0x7f
                                        ; implicit-def: $sgpr20_sgpr21
	s_waitcnt vmcnt(0)
	v_cmp_lt_i16_e32 vcc, s16, v15
	s_mov_b64 s[16:17], 0
	s_and_saveexec_b64 s[22:23], vcc
	s_xor_b64 s[22:23], exec, s[22:23]
	s_cbranch_execz .LBB6_2244
; %bb.2224:
	s_movk_i32 s16, 0x80
	v_cmp_eq_u16_e32 vcc, s16, v15
	s_mov_b64 s[24:25], -1
                                        ; implicit-def: $sgpr20_sgpr21
	s_and_saveexec_b64 s[16:17], vcc
; %bb.2225:
	s_mov_b32 s21, 0x7ff80000
	s_brev_b32 s20, 4
	s_xor_b64 s[24:25], exec, -1
; %bb.2226:
	s_or_b64 exec, exec, s[16:17]
	s_and_b64 s[16:17], s[24:25], exec
	s_or_saveexec_b64 s[22:23], s[22:23]
	v_pk_mov_b32 v[10:11], s[20:21], s[20:21] op_sel:[0,1]
	s_xor_b64 exec, exec, s[22:23]
	s_cbranch_execnz .LBB6_2245
.LBB6_2227:
	s_or_b64 exec, exec, s[22:23]
	s_and_saveexec_b64 s[20:21], s[16:17]
	s_cbranch_execz .LBB6_2229
.LBB6_2228:
	v_and_b32_e32 v11, 0xffff, v15
	v_lshlrev_b32_e32 v10, 24, v15
	v_and_b32_e32 v15, 7, v11
	v_ffbh_u32_e32 v22, v15
	v_min_u32_e32 v22, 32, v22
	v_subrev_u32_e32 v23, 28, v22
	v_bfe_u32 v21, v11, 3, 4
	v_lshlrev_b32_e32 v11, v23, v11
	v_sub_u32_e32 v22, 29, v22
	v_and_b32_e32 v11, 7, v11
	v_cmp_eq_u32_e32 vcc, 0, v21
	v_cndmask_b32_e32 v21, v21, v22, vcc
	v_cndmask_b32_e32 v11, v15, v11, vcc
	v_mov_b32_e32 v15, 0x3b800000
	v_lshlrev_b32_e32 v11, 20, v11
	v_and_b32_e32 v10, 0x80000000, v10
	v_lshl_add_u32 v15, v21, 23, v15
	v_or3_b32 v10, v10, v15, v11
	v_cvt_f64_f32_e32 v[10:11], v10
.LBB6_2229:
	s_or_b64 exec, exec, s[20:21]
.LBB6_2230:
	s_mov_b64 s[16:17], -1
.LBB6_2231:
	s_mov_b64 s[20:21], 0
.LBB6_2232:
	s_and_b64 vcc, exec, s[20:21]
	s_cbranch_vccz .LBB6_2265
; %bb.2233:
	v_mov_b32_e32 v10, 22
	v_cmp_gt_i16_sdwa s[14:15], v20, v10 src0_sel:BYTE_0 src1_sel:DWORD
	s_and_b64 vcc, exec, s[14:15]
	s_cbranch_vccz .LBB6_2243
; %bb.2234:
	v_mov_b32_e32 v10, 24
	v_cmp_lt_i16_sdwa s[14:15], v20, v10 src0_sel:BYTE_0 src1_sel:DWORD
	s_and_b64 vcc, exec, s[14:15]
	s_cbranch_vccnz .LBB6_2246
; %bb.2235:
	v_cmp_gt_i16_sdwa s[14:15], v20, v10 src0_sel:BYTE_0 src1_sel:DWORD
	s_and_b64 vcc, exec, s[14:15]
	s_cbranch_vccz .LBB6_2247
; %bb.2236:
	global_load_ubyte v15, v[12:13], off
	s_movk_i32 s14, 0x7f
                                        ; implicit-def: $sgpr16_sgpr17
	s_waitcnt vmcnt(0)
	v_cmp_lt_i16_e32 vcc, s14, v15
	s_mov_b64 s[14:15], 0
	s_and_saveexec_b64 s[20:21], vcc
	s_xor_b64 s[20:21], exec, s[20:21]
	s_cbranch_execz .LBB6_2259
; %bb.2237:
	s_movk_i32 s14, 0x80
	v_cmp_eq_u16_e32 vcc, s14, v15
	s_mov_b64 s[22:23], -1
                                        ; implicit-def: $sgpr16_sgpr17
	s_and_saveexec_b64 s[14:15], vcc
; %bb.2238:
	s_mov_b32 s17, 0x7ff80000
	s_brev_b32 s16, 4
	s_xor_b64 s[22:23], exec, -1
; %bb.2239:
	s_or_b64 exec, exec, s[14:15]
	s_and_b64 s[14:15], s[22:23], exec
	s_or_saveexec_b64 s[20:21], s[20:21]
	v_pk_mov_b32 v[10:11], s[16:17], s[16:17] op_sel:[0,1]
	s_xor_b64 exec, exec, s[20:21]
	s_cbranch_execnz .LBB6_2260
.LBB6_2240:
	s_or_b64 exec, exec, s[20:21]
	s_and_saveexec_b64 s[16:17], s[14:15]
	s_cbranch_execz .LBB6_2242
.LBB6_2241:
	v_and_b32_e32 v11, 0xffff, v15
	v_lshlrev_b32_e32 v10, 24, v15
	v_and_b32_e32 v15, 3, v11
	v_ffbh_u32_e32 v22, v15
	v_min_u32_e32 v22, 32, v22
	v_subrev_u32_e32 v23, 29, v22
	v_bfe_u32 v21, v11, 2, 5
	v_lshlrev_b32_e32 v11, v23, v11
	v_sub_u32_e32 v22, 30, v22
	v_and_b32_e32 v11, 3, v11
	v_cmp_eq_u32_e32 vcc, 0, v21
	v_cndmask_b32_e32 v21, v21, v22, vcc
	v_cndmask_b32_e32 v11, v15, v11, vcc
	v_mov_b32_e32 v15, 0x37800000
	v_lshlrev_b32_e32 v11, 21, v11
	v_and_b32_e32 v10, 0x80000000, v10
	v_lshl_add_u32 v15, v21, 23, v15
	v_or3_b32 v10, v10, v15, v11
	v_cvt_f64_f32_e32 v[10:11], v10
.LBB6_2242:
	s_or_b64 exec, exec, s[16:17]
	s_mov_b64 s[14:15], 0
	s_branch .LBB6_2248
.LBB6_2243:
	s_mov_b64 s[14:15], -1
                                        ; implicit-def: $vgpr10_vgpr11
	s_branch .LBB6_2254
.LBB6_2244:
	s_or_saveexec_b64 s[22:23], s[22:23]
	v_pk_mov_b32 v[10:11], s[20:21], s[20:21] op_sel:[0,1]
	s_xor_b64 exec, exec, s[22:23]
	s_cbranch_execz .LBB6_2227
.LBB6_2245:
	v_cmp_ne_u16_e32 vcc, 0, v15
	s_andn2_b64 s[16:17], s[16:17], exec
	s_and_b64 s[20:21], vcc, exec
	v_pk_mov_b32 v[10:11], 0, 0
	s_or_b64 s[16:17], s[16:17], s[20:21]
	s_or_b64 exec, exec, s[22:23]
	s_and_saveexec_b64 s[20:21], s[16:17]
	s_cbranch_execnz .LBB6_2228
	s_branch .LBB6_2229
.LBB6_2246:
	s_mov_b64 s[14:15], -1
                                        ; implicit-def: $vgpr10_vgpr11
	s_branch .LBB6_2251
.LBB6_2247:
	s_mov_b64 s[14:15], -1
                                        ; implicit-def: $vgpr10_vgpr11
.LBB6_2248:
	s_and_b64 vcc, exec, s[14:15]
	s_cbranch_vccz .LBB6_2250
; %bb.2249:
	global_load_ubyte v10, v[12:13], off
	s_mov_b32 s14, 0x7f800000
	s_waitcnt vmcnt(0)
	v_lshlrev_b32_e32 v10, 24, v10
	v_and_b32_e32 v11, 0x7f000000, v10
	v_ffbh_u32_e32 v15, v11
	v_min_u32_e32 v15, 32, v15
	v_sub_u32_e64 v15, v15, 4 clamp
	v_lshlrev_b32_e32 v22, v15, v11
	v_lshlrev_b32_e32 v15, 23, v15
	v_lshrrev_b32_e32 v22, 4, v22
	v_add_u32_e32 v21, 0x1000000, v11
	v_sub_u32_e32 v15, v22, v15
	v_ashrrev_i32_e32 v21, 8, v21
	v_add_u32_e32 v15, 0x3c000000, v15
	v_and_or_b32 v15, v21, s14, v15
	v_cmp_ne_u32_e32 vcc, 0, v11
	v_cndmask_b32_e32 v11, 0, v15, vcc
	s_brev_b32 s14, 1
	v_and_or_b32 v10, v10, s14, v11
	v_cvt_f64_f32_e32 v[10:11], v10
.LBB6_2250:
	s_mov_b64 s[14:15], 0
.LBB6_2251:
	s_andn2_b64 vcc, exec, s[14:15]
	s_cbranch_vccnz .LBB6_2253
; %bb.2252:
	global_load_ubyte v10, v[12:13], off
	s_movk_i32 s14, 0x7f00
	s_brev_b32 s15, 16
	s_waitcnt vmcnt(0)
	v_lshlrev_b16_e32 v11, 8, v10
	v_lshlrev_b32_e32 v10, 25, v10
	v_lshrrev_b32_e32 v15, 4, v10
	v_and_or_b32 v21, v11, s14, 0.5
	v_or_b32_e32 v15, 0x70000000, v15
	v_add_f32_e32 v21, -0.5, v21
	v_mul_f32_e32 v15, 0x7800000, v15
	v_cmp_gt_u32_e32 vcc, s15, v10
	v_bfe_i32 v11, v11, 0, 16
	v_cndmask_b32_e32 v10, v15, v21, vcc
	s_brev_b32 s14, 1
	v_and_or_b32 v10, v11, s14, v10
	v_cvt_f64_f32_e32 v[10:11], v10
.LBB6_2253:
	s_mov_b64 s[14:15], 0
	s_mov_b64 s[16:17], -1
.LBB6_2254:
	s_andn2_b64 vcc, exec, s[14:15]
	s_mov_b64 s[14:15], 0
	s_cbranch_vccnz .LBB6_2265
; %bb.2255:
	v_mov_b32_e32 v10, 14
	v_cmp_gt_i16_sdwa s[14:15], v20, v10 src0_sel:BYTE_0 src1_sel:DWORD
	s_and_b64 vcc, exec, s[14:15]
	s_cbranch_vccz .LBB6_2258
; %bb.2256:
	v_mov_b32_e32 v10, 15
	v_cmp_eq_u16_sdwa s[0:1], v20, v10 src0_sel:BYTE_0 src1_sel:DWORD
	s_and_b64 vcc, exec, s[0:1]
	s_cbranch_vccz .LBB6_2261
; %bb.2257:
	global_load_ushort v10, v[12:13], off
	s_mov_b64 s[0:1], 0
	s_mov_b64 s[16:17], -1
	s_waitcnt vmcnt(0)
	v_lshlrev_b32_e32 v10, 16, v10
	v_cvt_f64_f32_e32 v[10:11], v10
	s_branch .LBB6_2262
.LBB6_2258:
	s_mov_b64 s[20:21], -1
                                        ; implicit-def: $vgpr10_vgpr11
	s_branch .LBB6_2263
.LBB6_2259:
	s_or_saveexec_b64 s[20:21], s[20:21]
	v_pk_mov_b32 v[10:11], s[16:17], s[16:17] op_sel:[0,1]
	s_xor_b64 exec, exec, s[20:21]
	s_cbranch_execz .LBB6_2240
.LBB6_2260:
	v_cmp_ne_u16_e32 vcc, 0, v15
	s_andn2_b64 s[14:15], s[14:15], exec
	s_and_b64 s[16:17], vcc, exec
	v_pk_mov_b32 v[10:11], 0, 0
	s_or_b64 s[14:15], s[14:15], s[16:17]
	s_or_b64 exec, exec, s[20:21]
	s_and_saveexec_b64 s[16:17], s[14:15]
	s_cbranch_execnz .LBB6_2241
	s_branch .LBB6_2242
.LBB6_2261:
	s_mov_b64 s[0:1], -1
                                        ; implicit-def: $vgpr10_vgpr11
.LBB6_2262:
	s_mov_b64 s[20:21], 0
.LBB6_2263:
	s_mov_b64 s[14:15], 0
	s_and_b64 vcc, exec, s[20:21]
	s_cbranch_vccz .LBB6_2265
; %bb.2264:
	v_mov_b32_e32 v10, 11
	v_cmp_ne_u16_sdwa s[0:1], v20, v10 src0_sel:BYTE_0 src1_sel:DWORD
	s_mov_b64 s[14:15], -1
                                        ; implicit-def: $vgpr10_vgpr11
.LBB6_2265:
	s_and_b64 vcc, exec, s[0:1]
	s_cbranch_vccnz .LBB6_2330
; %bb.2266:
	s_andn2_b64 vcc, exec, s[14:15]
	s_cbranch_vccnz .LBB6_2268
.LBB6_2267:
	global_load_ubyte v11, v[12:13], off
	v_mov_b32_e32 v15, 0x3ff00000
	v_mov_b32_e32 v10, 0
	s_mov_b64 s[16:17], -1
	s_waitcnt vmcnt(0)
	v_cmp_ne_u16_e32 vcc, 0, v11
	v_cndmask_b32_e32 v11, 0, v15, vcc
.LBB6_2268:
	s_mov_b64 s[0:1], 0
.LBB6_2269:
	s_and_b64 vcc, exec, s[0:1]
	s_cbranch_vccz .LBB6_2318
; %bb.2270:
	v_mov_b32_e32 v10, 5
	v_cmp_lt_i16_sdwa s[0:1], v20, v10 src0_sel:BYTE_0 src1_sel:DWORD
	s_and_b64 vcc, exec, s[0:1]
	s_cbranch_vccnz .LBB6_2275
; %bb.2271:
	v_mov_b32_e32 v10, 8
	v_cmp_lt_i16_sdwa s[0:1], v20, v10 src0_sel:BYTE_0 src1_sel:DWORD
	s_and_b64 vcc, exec, s[0:1]
	s_cbranch_vccnz .LBB6_2276
	;; [unrolled: 5-line block ×3, first 2 shown]
; %bb.2273:
	v_cmp_gt_i16_sdwa s[0:1], v20, v10 src0_sel:BYTE_0 src1_sel:DWORD
	s_and_b64 vcc, exec, s[0:1]
	s_cbranch_vccz .LBB6_2278
; %bb.2274:
	global_load_dwordx2 v[10:11], v[12:13], off
	s_mov_b64 s[0:1], 0
	s_branch .LBB6_2279
.LBB6_2275:
	s_mov_b64 s[0:1], -1
                                        ; implicit-def: $vgpr10_vgpr11
	s_branch .LBB6_2297
.LBB6_2276:
	s_mov_b64 s[0:1], -1
                                        ; implicit-def: $vgpr10_vgpr11
	s_branch .LBB6_2285
.LBB6_2277:
	s_mov_b64 s[0:1], -1
                                        ; implicit-def: $vgpr10_vgpr11
	s_branch .LBB6_2282
.LBB6_2278:
	s_mov_b64 s[0:1], -1
                                        ; implicit-def: $vgpr10_vgpr11
.LBB6_2279:
	s_andn2_b64 vcc, exec, s[0:1]
	s_cbranch_vccnz .LBB6_2281
; %bb.2280:
	global_load_dword v10, v[12:13], off
	s_waitcnt vmcnt(0)
	v_cvt_f64_f32_e32 v[10:11], v10
.LBB6_2281:
	s_mov_b64 s[0:1], 0
.LBB6_2282:
	s_andn2_b64 vcc, exec, s[0:1]
	s_cbranch_vccnz .LBB6_2284
; %bb.2283:
	global_load_dword v10, v[12:13], off
	s_waitcnt vmcnt(0)
	v_cvt_f32_f16_e32 v10, v10
	v_cvt_f64_f32_e32 v[10:11], v10
.LBB6_2284:
	s_mov_b64 s[0:1], 0
.LBB6_2285:
	s_andn2_b64 vcc, exec, s[0:1]
	s_cbranch_vccnz .LBB6_2296
; %bb.2286:
	s_waitcnt vmcnt(0)
	v_mov_b32_e32 v10, 6
	v_cmp_lt_i16_sdwa s[0:1], v20, v10 src0_sel:BYTE_0 src1_sel:DWORD
	s_and_b64 vcc, exec, s[0:1]
	s_cbranch_vccnz .LBB6_2289
; %bb.2287:
	v_cmp_gt_i16_sdwa s[0:1], v20, v10 src0_sel:BYTE_0 src1_sel:DWORD
	s_and_b64 vcc, exec, s[0:1]
	s_cbranch_vccz .LBB6_2290
; %bb.2288:
	global_load_dwordx2 v[10:11], v[12:13], off
	s_mov_b64 s[0:1], 0
	s_branch .LBB6_2291
.LBB6_2289:
	s_mov_b64 s[0:1], -1
                                        ; implicit-def: $vgpr10_vgpr11
	s_branch .LBB6_2294
.LBB6_2290:
	s_mov_b64 s[0:1], -1
                                        ; implicit-def: $vgpr10_vgpr11
.LBB6_2291:
	s_andn2_b64 vcc, exec, s[0:1]
	s_cbranch_vccnz .LBB6_2293
; %bb.2292:
	global_load_dword v10, v[12:13], off
	s_waitcnt vmcnt(0)
	v_cvt_f64_f32_e32 v[10:11], v10
.LBB6_2293:
	s_mov_b64 s[0:1], 0
.LBB6_2294:
	s_andn2_b64 vcc, exec, s[0:1]
	s_cbranch_vccnz .LBB6_2296
; %bb.2295:
	global_load_ushort v10, v[12:13], off
	s_waitcnt vmcnt(0)
	v_cvt_f32_f16_e32 v10, v10
	v_cvt_f64_f32_e32 v[10:11], v10
.LBB6_2296:
	s_mov_b64 s[0:1], 0
.LBB6_2297:
	s_andn2_b64 vcc, exec, s[0:1]
	s_cbranch_vccnz .LBB6_2317
; %bb.2298:
	s_waitcnt vmcnt(0)
	v_mov_b32_e32 v10, 2
	v_cmp_lt_i16_sdwa s[0:1], v20, v10 src0_sel:BYTE_0 src1_sel:DWORD
	s_and_b64 vcc, exec, s[0:1]
	s_cbranch_vccnz .LBB6_2302
; %bb.2299:
	v_mov_b32_e32 v10, 3
	v_cmp_lt_i16_sdwa s[0:1], v20, v10 src0_sel:BYTE_0 src1_sel:DWORD
	s_and_b64 vcc, exec, s[0:1]
	s_cbranch_vccnz .LBB6_2303
; %bb.2300:
	v_cmp_gt_i16_sdwa s[0:1], v20, v10 src0_sel:BYTE_0 src1_sel:DWORD
	s_and_b64 vcc, exec, s[0:1]
	s_cbranch_vccz .LBB6_2304
; %bb.2301:
	global_load_dwordx2 v[10:11], v[12:13], off
	s_mov_b64 s[0:1], 0
	s_waitcnt vmcnt(0)
	v_cvt_f64_i32_e32 v[22:23], v11
	v_cvt_f64_u32_e32 v[10:11], v10
	v_ldexp_f64 v[22:23], v[22:23], 32
	v_add_f64 v[10:11], v[22:23], v[10:11]
	s_branch .LBB6_2305
.LBB6_2302:
	s_mov_b64 s[0:1], -1
                                        ; implicit-def: $vgpr10_vgpr11
	s_branch .LBB6_2311
.LBB6_2303:
	s_mov_b64 s[0:1], -1
                                        ; implicit-def: $vgpr10_vgpr11
	s_branch .LBB6_2308
.LBB6_2304:
	s_mov_b64 s[0:1], -1
                                        ; implicit-def: $vgpr10_vgpr11
.LBB6_2305:
	s_andn2_b64 vcc, exec, s[0:1]
	s_cbranch_vccnz .LBB6_2307
; %bb.2306:
	global_load_dword v10, v[12:13], off
	s_waitcnt vmcnt(0)
	v_cvt_f64_i32_e32 v[10:11], v10
.LBB6_2307:
	s_mov_b64 s[0:1], 0
.LBB6_2308:
	s_andn2_b64 vcc, exec, s[0:1]
	s_cbranch_vccnz .LBB6_2310
; %bb.2309:
	global_load_sshort v10, v[12:13], off
	s_waitcnt vmcnt(0)
	v_cvt_f64_i32_e32 v[10:11], v10
.LBB6_2310:
	s_mov_b64 s[0:1], 0
.LBB6_2311:
	s_andn2_b64 vcc, exec, s[0:1]
	s_cbranch_vccnz .LBB6_2317
; %bb.2312:
	v_mov_b32_e32 v10, 0
	v_cmp_gt_i16_sdwa s[0:1], v20, v10 src0_sel:BYTE_0 src1_sel:DWORD
	s_and_b64 vcc, exec, s[0:1]
	s_cbranch_vccz .LBB6_2314
; %bb.2313:
	global_load_sbyte v10, v[12:13], off
	s_mov_b64 s[0:1], 0
	s_waitcnt vmcnt(0)
	v_cvt_f64_i32_e32 v[10:11], v10
	s_branch .LBB6_2315
.LBB6_2314:
	s_mov_b64 s[0:1], -1
                                        ; implicit-def: $vgpr10_vgpr11
.LBB6_2315:
	s_andn2_b64 vcc, exec, s[0:1]
	s_cbranch_vccnz .LBB6_2317
; %bb.2316:
	global_load_ubyte v10, v[12:13], off
	s_waitcnt vmcnt(0)
	v_cvt_f64_u32_e32 v[10:11], v10
.LBB6_2317:
	s_mov_b64 s[16:17], -1
.LBB6_2318:
	s_andn2_b64 vcc, exec, s[16:17]
	s_cbranch_vccnz .LBB6_3032
; %bb.2319:
	v_add_u32_e32 v12, s13, v14
	v_ashrrev_i32_e32 v13, 31, v12
	v_mov_b32_e32 v15, s11
	v_add_co_u32_e32 v14, vcc, s10, v12
	v_mov_b32_e32 v12, 11
	v_addc_co_u32_e32 v15, vcc, v15, v13, vcc
	v_cmp_lt_i16_sdwa s[0:1], v16, v12 src0_sel:BYTE_0 src1_sel:DWORD
	s_and_b64 vcc, exec, s[0:1]
	s_cbranch_vccnz .LBB6_2326
; %bb.2320:
	v_mov_b32_e32 v12, 25
	v_cmp_gt_i16_sdwa s[0:1], v16, v12 src0_sel:BYTE_0 src1_sel:DWORD
	s_mov_b64 s[10:11], 0
	s_and_b64 vcc, exec, s[0:1]
	s_cbranch_vccz .LBB6_2327
; %bb.2321:
	v_mov_b32_e32 v12, 28
	v_cmp_gt_i16_sdwa s[0:1], v16, v12 src0_sel:BYTE_0 src1_sel:DWORD
	s_and_b64 vcc, exec, s[0:1]
	s_cbranch_vccz .LBB6_2328
; %bb.2322:
	v_mov_b32_e32 v12, 43
	v_cmp_gt_i16_sdwa s[0:1], v16, v12 src0_sel:BYTE_0 src1_sel:DWORD
	;; [unrolled: 5-line block ×3, first 2 shown]
	s_and_b64 vcc, exec, s[0:1]
	s_cbranch_vccz .LBB6_2331
; %bb.2324:
	v_mov_b32_e32 v12, 46
	v_cmp_eq_u16_sdwa s[0:1], v16, v12 src0_sel:BYTE_0 src1_sel:DWORD
	s_mov_b64 s[16:17], 0
	s_and_b64 vcc, exec, s[0:1]
	s_cbranch_vccz .LBB6_2332
; %bb.2325:
	global_load_dword v12, v[14:15], off
	s_mov_b64 s[0:1], 0
	s_mov_b64 s[14:15], -1
	s_waitcnt vmcnt(0)
	v_lshlrev_b32_e32 v12, 16, v12
	v_cvt_f64_f32_e32 v[12:13], v12
	s_branch .LBB6_2333
.LBB6_2326:
	s_mov_b64 s[0:1], -1
	s_mov_b64 s[14:15], 0
                                        ; implicit-def: $vgpr12_vgpr13
	s_branch .LBB6_2399
.LBB6_2327:
	s_mov_b64 s[16:17], -1
	s_mov_b64 s[14:15], 0
	s_mov_b64 s[0:1], 0
                                        ; implicit-def: $vgpr12_vgpr13
	s_branch .LBB6_2362
.LBB6_2328:
	s_mov_b64 s[16:17], -1
	s_mov_b64 s[14:15], 0
	s_mov_b64 s[0:1], 0
                                        ; implicit-def: $vgpr12_vgpr13
	s_branch .LBB6_2343
.LBB6_2329:
	s_mov_b64 s[16:17], -1
	s_mov_b64 s[14:15], 0
	s_mov_b64 s[0:1], 0
                                        ; implicit-def: $vgpr12_vgpr13
	s_branch .LBB6_2338
.LBB6_2330:
	s_trap 2
	s_or_b64 s[18:19], s[18:19], exec
                                        ; implicit-def: $vgpr10_vgpr11
	s_cbranch_execz .LBB6_2267
	s_branch .LBB6_2268
.LBB6_2331:
	s_mov_b64 s[16:17], -1
	s_mov_b64 s[14:15], 0
	s_mov_b64 s[0:1], 0
                                        ; implicit-def: $vgpr12_vgpr13
	s_branch .LBB6_2333
.LBB6_2332:
	s_mov_b64 s[0:1], -1
                                        ; implicit-def: $vgpr12_vgpr13
	s_mov_b64 s[14:15], 0
.LBB6_2333:
	s_and_b64 vcc, exec, s[16:17]
	s_cbranch_vccz .LBB6_2337
; %bb.2334:
	v_mov_b32_e32 v12, 44
	v_cmp_eq_u16_sdwa s[0:1], v16, v12 src0_sel:BYTE_0 src1_sel:DWORD
	s_and_b64 vcc, exec, s[0:1]
	s_cbranch_vccz .LBB6_2336
; %bb.2335:
	global_load_ubyte v21, v[14:15], off
	s_movk_i32 s13, 0xff
	v_bfrev_b32_e32 v22, 4
	v_mov_b32_e32 v23, 0x7ff80000
	v_bfrev_b32_e32 v24, 28
	s_mov_b64 s[0:1], 0
	s_mov_b64 s[14:15], -1
	s_waitcnt vmcnt(0)
	v_lshlrev_b32_e32 v12, 23, v21
	v_cvt_f64_f32_e32 v[12:13], v12
	v_cmp_ne_u32_e32 vcc, s13, v21
	v_cndmask_b32_e32 v12, v22, v12, vcc
	v_cndmask_b32_e32 v13, v23, v13, vcc
	v_cmp_ne_u32_e32 vcc, 0, v21
	v_cndmask_b32_e32 v13, v24, v13, vcc
	v_cndmask_b32_e32 v12, 0, v12, vcc
	s_branch .LBB6_2337
.LBB6_2336:
	s_mov_b64 s[0:1], -1
                                        ; implicit-def: $vgpr12_vgpr13
.LBB6_2337:
	s_mov_b64 s[16:17], 0
.LBB6_2338:
	s_and_b64 vcc, exec, s[16:17]
	s_cbranch_vccz .LBB6_2342
; %bb.2339:
	v_mov_b32_e32 v12, 29
	v_cmp_eq_u16_sdwa s[0:1], v16, v12 src0_sel:BYTE_0 src1_sel:DWORD
	s_and_b64 vcc, exec, s[0:1]
	s_cbranch_vccz .LBB6_2341
; %bb.2340:
	global_load_dwordx2 v[12:13], v[14:15], off
	s_mov_b64 s[0:1], 0
	s_mov_b64 s[14:15], -1
	s_mov_b64 s[16:17], 0
	s_waitcnt vmcnt(0)
	v_cvt_f64_u32_e32 v[22:23], v13
	v_cvt_f64_u32_e32 v[12:13], v12
	v_ldexp_f64 v[22:23], v[22:23], 32
	v_add_f64 v[12:13], v[22:23], v[12:13]
	s_branch .LBB6_2343
.LBB6_2341:
	s_mov_b64 s[0:1], -1
                                        ; implicit-def: $vgpr12_vgpr13
.LBB6_2342:
	s_mov_b64 s[16:17], 0
.LBB6_2343:
	s_and_b64 vcc, exec, s[16:17]
	s_cbranch_vccz .LBB6_2361
; %bb.2344:
	v_mov_b32_e32 v12, 27
	v_cmp_lt_i16_sdwa s[14:15], v16, v12 src0_sel:BYTE_0 src1_sel:DWORD
	s_and_b64 vcc, exec, s[14:15]
	s_cbranch_vccnz .LBB6_2347
; %bb.2345:
	v_cmp_gt_i16_sdwa s[14:15], v16, v12 src0_sel:BYTE_0 src1_sel:DWORD
	s_and_b64 vcc, exec, s[14:15]
	s_cbranch_vccz .LBB6_2348
; %bb.2346:
	global_load_dword v12, v[14:15], off
	s_mov_b64 s[14:15], 0
	s_waitcnt vmcnt(0)
	v_cvt_f64_u32_e32 v[12:13], v12
	s_branch .LBB6_2349
.LBB6_2347:
	s_mov_b64 s[14:15], -1
                                        ; implicit-def: $vgpr12_vgpr13
	s_branch .LBB6_2352
.LBB6_2348:
	s_mov_b64 s[14:15], -1
                                        ; implicit-def: $vgpr12_vgpr13
.LBB6_2349:
	s_andn2_b64 vcc, exec, s[14:15]
	s_cbranch_vccnz .LBB6_2351
; %bb.2350:
	global_load_ushort v12, v[14:15], off
	s_waitcnt vmcnt(0)
	v_cvt_f64_u32_e32 v[12:13], v12
.LBB6_2351:
	s_mov_b64 s[14:15], 0
.LBB6_2352:
	s_andn2_b64 vcc, exec, s[14:15]
	s_cbranch_vccnz .LBB6_2360
; %bb.2353:
	global_load_ubyte v21, v[14:15], off
	s_movk_i32 s13, 0x7f
	s_mov_b64 s[14:15], 0
                                        ; implicit-def: $sgpr16_sgpr17
	s_waitcnt vmcnt(0)
	v_cmp_lt_i16_e32 vcc, s13, v21
	s_and_saveexec_b64 s[20:21], vcc
	s_xor_b64 s[20:21], exec, s[20:21]
	s_cbranch_execz .LBB6_2374
; %bb.2354:
	s_movk_i32 s13, 0x80
	v_cmp_eq_u16_e32 vcc, s13, v21
	s_mov_b64 s[22:23], -1
                                        ; implicit-def: $sgpr16_sgpr17
	s_and_saveexec_b64 s[14:15], vcc
; %bb.2355:
	s_mov_b32 s17, 0x7ff80000
	s_brev_b32 s16, 4
	s_xor_b64 s[22:23], exec, -1
; %bb.2356:
	s_or_b64 exec, exec, s[14:15]
	s_and_b64 s[14:15], s[22:23], exec
	s_or_saveexec_b64 s[20:21], s[20:21]
	v_pk_mov_b32 v[12:13], s[16:17], s[16:17] op_sel:[0,1]
	s_xor_b64 exec, exec, s[20:21]
	s_cbranch_execnz .LBB6_2375
.LBB6_2357:
	s_or_b64 exec, exec, s[20:21]
	s_and_saveexec_b64 s[16:17], s[14:15]
	s_cbranch_execz .LBB6_2359
.LBB6_2358:
	v_and_b32_e32 v13, 0xffff, v21
	v_lshlrev_b32_e32 v12, 24, v21
	v_and_b32_e32 v21, 7, v13
	v_ffbh_u32_e32 v23, v21
	v_min_u32_e32 v23, 32, v23
	v_subrev_u32_e32 v24, 28, v23
	v_bfe_u32 v22, v13, 3, 4
	v_lshlrev_b32_e32 v13, v24, v13
	v_sub_u32_e32 v23, 29, v23
	v_and_b32_e32 v13, 7, v13
	v_cmp_eq_u32_e32 vcc, 0, v22
	v_cndmask_b32_e32 v22, v22, v23, vcc
	v_cndmask_b32_e32 v13, v21, v13, vcc
	v_mov_b32_e32 v21, 0x3b800000
	v_lshlrev_b32_e32 v13, 20, v13
	v_and_b32_e32 v12, 0x80000000, v12
	v_lshl_add_u32 v21, v22, 23, v21
	v_or3_b32 v12, v12, v21, v13
	v_cvt_f64_f32_e32 v[12:13], v12
.LBB6_2359:
	s_or_b64 exec, exec, s[16:17]
.LBB6_2360:
	s_mov_b64 s[14:15], -1
.LBB6_2361:
	s_mov_b64 s[16:17], 0
.LBB6_2362:
	s_and_b64 vcc, exec, s[16:17]
	s_cbranch_vccz .LBB6_2395
; %bb.2363:
	v_mov_b32_e32 v12, 22
	v_cmp_gt_i16_sdwa s[10:11], v16, v12 src0_sel:BYTE_0 src1_sel:DWORD
	s_and_b64 vcc, exec, s[10:11]
	s_cbranch_vccz .LBB6_2373
; %bb.2364:
	v_mov_b32_e32 v12, 24
	v_cmp_lt_i16_sdwa s[10:11], v16, v12 src0_sel:BYTE_0 src1_sel:DWORD
	s_and_b64 vcc, exec, s[10:11]
	s_cbranch_vccnz .LBB6_2376
; %bb.2365:
	v_cmp_gt_i16_sdwa s[10:11], v16, v12 src0_sel:BYTE_0 src1_sel:DWORD
	s_and_b64 vcc, exec, s[10:11]
	s_cbranch_vccz .LBB6_2377
; %bb.2366:
	global_load_ubyte v21, v[14:15], off
	s_movk_i32 s10, 0x7f
                                        ; implicit-def: $sgpr14_sgpr15
	s_waitcnt vmcnt(0)
	v_cmp_lt_i16_e32 vcc, s10, v21
	s_mov_b64 s[10:11], 0
	s_and_saveexec_b64 s[16:17], vcc
	s_xor_b64 s[16:17], exec, s[16:17]
	s_cbranch_execz .LBB6_2389
; %bb.2367:
	s_movk_i32 s10, 0x80
	v_cmp_eq_u16_e32 vcc, s10, v21
	s_mov_b64 s[20:21], -1
                                        ; implicit-def: $sgpr14_sgpr15
	s_and_saveexec_b64 s[10:11], vcc
; %bb.2368:
	s_mov_b32 s15, 0x7ff80000
	s_brev_b32 s14, 4
	s_xor_b64 s[20:21], exec, -1
; %bb.2369:
	s_or_b64 exec, exec, s[10:11]
	s_and_b64 s[10:11], s[20:21], exec
	s_or_saveexec_b64 s[16:17], s[16:17]
	v_pk_mov_b32 v[12:13], s[14:15], s[14:15] op_sel:[0,1]
	s_xor_b64 exec, exec, s[16:17]
	s_cbranch_execnz .LBB6_2390
.LBB6_2370:
	s_or_b64 exec, exec, s[16:17]
	s_and_saveexec_b64 s[14:15], s[10:11]
	s_cbranch_execz .LBB6_2372
.LBB6_2371:
	v_and_b32_e32 v13, 0xffff, v21
	v_lshlrev_b32_e32 v12, 24, v21
	v_and_b32_e32 v21, 3, v13
	v_ffbh_u32_e32 v23, v21
	v_min_u32_e32 v23, 32, v23
	v_subrev_u32_e32 v24, 29, v23
	v_bfe_u32 v22, v13, 2, 5
	v_lshlrev_b32_e32 v13, v24, v13
	v_sub_u32_e32 v23, 30, v23
	v_and_b32_e32 v13, 3, v13
	v_cmp_eq_u32_e32 vcc, 0, v22
	v_cndmask_b32_e32 v22, v22, v23, vcc
	v_cndmask_b32_e32 v13, v21, v13, vcc
	v_mov_b32_e32 v21, 0x37800000
	v_lshlrev_b32_e32 v13, 21, v13
	v_and_b32_e32 v12, 0x80000000, v12
	v_lshl_add_u32 v21, v22, 23, v21
	v_or3_b32 v12, v12, v21, v13
	v_cvt_f64_f32_e32 v[12:13], v12
.LBB6_2372:
	s_or_b64 exec, exec, s[14:15]
	s_mov_b64 s[10:11], 0
	s_branch .LBB6_2378
.LBB6_2373:
	s_mov_b64 s[10:11], -1
                                        ; implicit-def: $vgpr12_vgpr13
	s_branch .LBB6_2384
.LBB6_2374:
	s_or_saveexec_b64 s[20:21], s[20:21]
	v_pk_mov_b32 v[12:13], s[16:17], s[16:17] op_sel:[0,1]
	s_xor_b64 exec, exec, s[20:21]
	s_cbranch_execz .LBB6_2357
.LBB6_2375:
	v_cmp_ne_u16_e32 vcc, 0, v21
	s_andn2_b64 s[14:15], s[14:15], exec
	s_and_b64 s[16:17], vcc, exec
	v_pk_mov_b32 v[12:13], 0, 0
	s_or_b64 s[14:15], s[14:15], s[16:17]
	s_or_b64 exec, exec, s[20:21]
	s_and_saveexec_b64 s[16:17], s[14:15]
	s_cbranch_execnz .LBB6_2358
	s_branch .LBB6_2359
.LBB6_2376:
	s_mov_b64 s[10:11], -1
                                        ; implicit-def: $vgpr12_vgpr13
	s_branch .LBB6_2381
.LBB6_2377:
	s_mov_b64 s[10:11], -1
                                        ; implicit-def: $vgpr12_vgpr13
.LBB6_2378:
	s_and_b64 vcc, exec, s[10:11]
	s_cbranch_vccz .LBB6_2380
; %bb.2379:
	global_load_ubyte v12, v[14:15], off
	s_mov_b32 s10, 0x7f800000
	s_waitcnt vmcnt(0)
	v_lshlrev_b32_e32 v12, 24, v12
	v_and_b32_e32 v13, 0x7f000000, v12
	v_ffbh_u32_e32 v21, v13
	v_min_u32_e32 v21, 32, v21
	v_sub_u32_e64 v21, v21, 4 clamp
	v_lshlrev_b32_e32 v23, v21, v13
	v_lshlrev_b32_e32 v21, 23, v21
	v_lshrrev_b32_e32 v23, 4, v23
	v_add_u32_e32 v22, 0x1000000, v13
	v_sub_u32_e32 v21, v23, v21
	v_ashrrev_i32_e32 v22, 8, v22
	v_add_u32_e32 v21, 0x3c000000, v21
	v_and_or_b32 v21, v22, s10, v21
	v_cmp_ne_u32_e32 vcc, 0, v13
	v_cndmask_b32_e32 v13, 0, v21, vcc
	s_brev_b32 s10, 1
	v_and_or_b32 v12, v12, s10, v13
	v_cvt_f64_f32_e32 v[12:13], v12
.LBB6_2380:
	s_mov_b64 s[10:11], 0
.LBB6_2381:
	s_andn2_b64 vcc, exec, s[10:11]
	s_cbranch_vccnz .LBB6_2383
; %bb.2382:
	global_load_ubyte v12, v[14:15], off
	s_movk_i32 s10, 0x7f00
	s_brev_b32 s11, 16
	s_waitcnt vmcnt(0)
	v_lshlrev_b16_e32 v13, 8, v12
	v_lshlrev_b32_e32 v12, 25, v12
	v_lshrrev_b32_e32 v21, 4, v12
	v_and_or_b32 v22, v13, s10, 0.5
	v_or_b32_e32 v21, 0x70000000, v21
	v_add_f32_e32 v22, -0.5, v22
	v_mul_f32_e32 v21, 0x7800000, v21
	v_cmp_gt_u32_e32 vcc, s11, v12
	v_bfe_i32 v13, v13, 0, 16
	v_cndmask_b32_e32 v12, v21, v22, vcc
	s_brev_b32 s10, 1
	v_and_or_b32 v12, v13, s10, v12
	v_cvt_f64_f32_e32 v[12:13], v12
.LBB6_2383:
	s_mov_b64 s[10:11], 0
	s_mov_b64 s[14:15], -1
.LBB6_2384:
	s_andn2_b64 vcc, exec, s[10:11]
	s_mov_b64 s[10:11], 0
	s_cbranch_vccnz .LBB6_2395
; %bb.2385:
	v_mov_b32_e32 v12, 14
	v_cmp_gt_i16_sdwa s[10:11], v16, v12 src0_sel:BYTE_0 src1_sel:DWORD
	s_and_b64 vcc, exec, s[10:11]
	s_cbranch_vccz .LBB6_2388
; %bb.2386:
	v_mov_b32_e32 v12, 15
	v_cmp_eq_u16_sdwa s[0:1], v16, v12 src0_sel:BYTE_0 src1_sel:DWORD
	s_and_b64 vcc, exec, s[0:1]
	s_cbranch_vccz .LBB6_2391
; %bb.2387:
	global_load_ushort v12, v[14:15], off
	s_mov_b64 s[0:1], 0
	s_mov_b64 s[14:15], -1
	s_waitcnt vmcnt(0)
	v_lshlrev_b32_e32 v12, 16, v12
	v_cvt_f64_f32_e32 v[12:13], v12
	s_branch .LBB6_2392
.LBB6_2388:
	s_mov_b64 s[16:17], -1
                                        ; implicit-def: $vgpr12_vgpr13
	s_branch .LBB6_2393
.LBB6_2389:
	s_or_saveexec_b64 s[16:17], s[16:17]
	v_pk_mov_b32 v[12:13], s[14:15], s[14:15] op_sel:[0,1]
	s_xor_b64 exec, exec, s[16:17]
	s_cbranch_execz .LBB6_2370
.LBB6_2390:
	v_cmp_ne_u16_e32 vcc, 0, v21
	s_andn2_b64 s[10:11], s[10:11], exec
	s_and_b64 s[14:15], vcc, exec
	v_pk_mov_b32 v[12:13], 0, 0
	s_or_b64 s[10:11], s[10:11], s[14:15]
	s_or_b64 exec, exec, s[16:17]
	s_and_saveexec_b64 s[14:15], s[10:11]
	s_cbranch_execnz .LBB6_2371
	s_branch .LBB6_2372
.LBB6_2391:
	s_mov_b64 s[0:1], -1
                                        ; implicit-def: $vgpr12_vgpr13
.LBB6_2392:
	s_mov_b64 s[16:17], 0
.LBB6_2393:
	s_mov_b64 s[10:11], 0
	s_and_b64 vcc, exec, s[16:17]
	s_cbranch_vccz .LBB6_2395
; %bb.2394:
	v_mov_b32_e32 v12, 11
	v_cmp_ne_u16_sdwa s[0:1], v16, v12 src0_sel:BYTE_0 src1_sel:DWORD
	s_mov_b64 s[10:11], -1
                                        ; implicit-def: $vgpr12_vgpr13
.LBB6_2395:
	s_and_b64 vcc, exec, s[0:1]
	s_cbranch_vccnz .LBB6_2460
; %bb.2396:
	s_andn2_b64 vcc, exec, s[10:11]
	s_cbranch_vccnz .LBB6_2398
.LBB6_2397:
	global_load_ubyte v13, v[14:15], off
	v_mov_b32_e32 v21, 0x3ff00000
	v_mov_b32_e32 v12, 0
	s_mov_b64 s[14:15], -1
	s_waitcnt vmcnt(0)
	v_cmp_ne_u16_e32 vcc, 0, v13
	v_cndmask_b32_e32 v13, 0, v21, vcc
.LBB6_2398:
	s_mov_b64 s[0:1], 0
.LBB6_2399:
	s_and_b64 vcc, exec, s[0:1]
	s_cbranch_vccz .LBB6_2448
; %bb.2400:
	v_mov_b32_e32 v12, 5
	v_cmp_lt_i16_sdwa s[0:1], v16, v12 src0_sel:BYTE_0 src1_sel:DWORD
	s_and_b64 vcc, exec, s[0:1]
	s_cbranch_vccnz .LBB6_2405
; %bb.2401:
	v_mov_b32_e32 v12, 8
	v_cmp_lt_i16_sdwa s[0:1], v16, v12 src0_sel:BYTE_0 src1_sel:DWORD
	s_and_b64 vcc, exec, s[0:1]
	s_cbranch_vccnz .LBB6_2406
	;; [unrolled: 5-line block ×3, first 2 shown]
; %bb.2403:
	v_cmp_gt_i16_sdwa s[0:1], v16, v12 src0_sel:BYTE_0 src1_sel:DWORD
	s_and_b64 vcc, exec, s[0:1]
	s_cbranch_vccz .LBB6_2408
; %bb.2404:
	global_load_dwordx2 v[12:13], v[14:15], off
	s_mov_b64 s[0:1], 0
	s_branch .LBB6_2409
.LBB6_2405:
	s_mov_b64 s[0:1], -1
                                        ; implicit-def: $vgpr12_vgpr13
	s_branch .LBB6_2427
.LBB6_2406:
	s_mov_b64 s[0:1], -1
                                        ; implicit-def: $vgpr12_vgpr13
	s_branch .LBB6_2415
.LBB6_2407:
	s_mov_b64 s[0:1], -1
                                        ; implicit-def: $vgpr12_vgpr13
	s_branch .LBB6_2412
.LBB6_2408:
	s_mov_b64 s[0:1], -1
                                        ; implicit-def: $vgpr12_vgpr13
.LBB6_2409:
	s_andn2_b64 vcc, exec, s[0:1]
	s_cbranch_vccnz .LBB6_2411
; %bb.2410:
	global_load_dword v12, v[14:15], off
	s_waitcnt vmcnt(0)
	v_cvt_f64_f32_e32 v[12:13], v12
.LBB6_2411:
	s_mov_b64 s[0:1], 0
.LBB6_2412:
	s_andn2_b64 vcc, exec, s[0:1]
	s_cbranch_vccnz .LBB6_2414
; %bb.2413:
	global_load_dword v12, v[14:15], off
	s_waitcnt vmcnt(0)
	v_cvt_f32_f16_e32 v12, v12
	v_cvt_f64_f32_e32 v[12:13], v12
.LBB6_2414:
	s_mov_b64 s[0:1], 0
.LBB6_2415:
	s_andn2_b64 vcc, exec, s[0:1]
	s_cbranch_vccnz .LBB6_2426
; %bb.2416:
	s_waitcnt vmcnt(0)
	v_mov_b32_e32 v12, 6
	v_cmp_lt_i16_sdwa s[0:1], v16, v12 src0_sel:BYTE_0 src1_sel:DWORD
	s_and_b64 vcc, exec, s[0:1]
	s_cbranch_vccnz .LBB6_2419
; %bb.2417:
	v_cmp_gt_i16_sdwa s[0:1], v16, v12 src0_sel:BYTE_0 src1_sel:DWORD
	s_and_b64 vcc, exec, s[0:1]
	s_cbranch_vccz .LBB6_2420
; %bb.2418:
	global_load_dwordx2 v[12:13], v[14:15], off
	s_mov_b64 s[0:1], 0
	s_branch .LBB6_2421
.LBB6_2419:
	s_mov_b64 s[0:1], -1
                                        ; implicit-def: $vgpr12_vgpr13
	s_branch .LBB6_2424
.LBB6_2420:
	s_mov_b64 s[0:1], -1
                                        ; implicit-def: $vgpr12_vgpr13
.LBB6_2421:
	s_andn2_b64 vcc, exec, s[0:1]
	s_cbranch_vccnz .LBB6_2423
; %bb.2422:
	global_load_dword v12, v[14:15], off
	s_waitcnt vmcnt(0)
	v_cvt_f64_f32_e32 v[12:13], v12
.LBB6_2423:
	s_mov_b64 s[0:1], 0
.LBB6_2424:
	s_andn2_b64 vcc, exec, s[0:1]
	s_cbranch_vccnz .LBB6_2426
; %bb.2425:
	global_load_ushort v12, v[14:15], off
	s_waitcnt vmcnt(0)
	v_cvt_f32_f16_e32 v12, v12
	v_cvt_f64_f32_e32 v[12:13], v12
.LBB6_2426:
	s_mov_b64 s[0:1], 0
.LBB6_2427:
	s_andn2_b64 vcc, exec, s[0:1]
	s_cbranch_vccnz .LBB6_2447
; %bb.2428:
	s_waitcnt vmcnt(0)
	v_mov_b32_e32 v12, 2
	v_cmp_lt_i16_sdwa s[0:1], v16, v12 src0_sel:BYTE_0 src1_sel:DWORD
	s_and_b64 vcc, exec, s[0:1]
	s_cbranch_vccnz .LBB6_2432
; %bb.2429:
	v_mov_b32_e32 v12, 3
	v_cmp_lt_i16_sdwa s[0:1], v16, v12 src0_sel:BYTE_0 src1_sel:DWORD
	s_and_b64 vcc, exec, s[0:1]
	s_cbranch_vccnz .LBB6_2433
; %bb.2430:
	v_cmp_gt_i16_sdwa s[0:1], v16, v12 src0_sel:BYTE_0 src1_sel:DWORD
	s_and_b64 vcc, exec, s[0:1]
	s_cbranch_vccz .LBB6_2434
; %bb.2431:
	global_load_dwordx2 v[12:13], v[14:15], off
	s_mov_b64 s[0:1], 0
	s_waitcnt vmcnt(0)
	v_cvt_f64_i32_e32 v[22:23], v13
	v_cvt_f64_u32_e32 v[12:13], v12
	v_ldexp_f64 v[22:23], v[22:23], 32
	v_add_f64 v[12:13], v[22:23], v[12:13]
	s_branch .LBB6_2435
.LBB6_2432:
	s_mov_b64 s[0:1], -1
                                        ; implicit-def: $vgpr12_vgpr13
	s_branch .LBB6_2441
.LBB6_2433:
	s_mov_b64 s[0:1], -1
                                        ; implicit-def: $vgpr12_vgpr13
	s_branch .LBB6_2438
.LBB6_2434:
	s_mov_b64 s[0:1], -1
                                        ; implicit-def: $vgpr12_vgpr13
.LBB6_2435:
	s_andn2_b64 vcc, exec, s[0:1]
	s_cbranch_vccnz .LBB6_2437
; %bb.2436:
	global_load_dword v12, v[14:15], off
	s_waitcnt vmcnt(0)
	v_cvt_f64_i32_e32 v[12:13], v12
.LBB6_2437:
	s_mov_b64 s[0:1], 0
.LBB6_2438:
	s_andn2_b64 vcc, exec, s[0:1]
	s_cbranch_vccnz .LBB6_2440
; %bb.2439:
	global_load_sshort v12, v[14:15], off
	s_waitcnt vmcnt(0)
	v_cvt_f64_i32_e32 v[12:13], v12
.LBB6_2440:
	s_mov_b64 s[0:1], 0
.LBB6_2441:
	s_andn2_b64 vcc, exec, s[0:1]
	s_cbranch_vccnz .LBB6_2447
; %bb.2442:
	v_mov_b32_e32 v12, 0
	v_cmp_gt_i16_sdwa s[0:1], v16, v12 src0_sel:BYTE_0 src1_sel:DWORD
	s_and_b64 vcc, exec, s[0:1]
	s_cbranch_vccz .LBB6_2444
; %bb.2443:
	global_load_sbyte v12, v[14:15], off
	s_mov_b64 s[0:1], 0
	s_waitcnt vmcnt(0)
	v_cvt_f64_i32_e32 v[12:13], v12
	s_branch .LBB6_2445
.LBB6_2444:
	s_mov_b64 s[0:1], -1
                                        ; implicit-def: $vgpr12_vgpr13
.LBB6_2445:
	s_andn2_b64 vcc, exec, s[0:1]
	s_cbranch_vccnz .LBB6_2447
; %bb.2446:
	global_load_ubyte v12, v[14:15], off
	s_waitcnt vmcnt(0)
	v_cvt_f64_u32_e32 v[12:13], v12
.LBB6_2447:
	s_mov_b64 s[14:15], -1
.LBB6_2448:
	s_andn2_b64 vcc, exec, s[14:15]
	s_cbranch_vccnz .LBB6_3032
; %bb.2449:
	v_add_u32_e32 v14, s26, v17
	v_ashrrev_i32_e32 v15, 31, v14
	v_mov_b32_e32 v17, s3
	v_add_co_u32_e32 v16, vcc, s2, v14
	v_mov_b32_e32 v14, 11
	v_addc_co_u32_e32 v17, vcc, v17, v15, vcc
	v_cmp_lt_i16_sdwa s[0:1], v20, v14 src0_sel:BYTE_0 src1_sel:DWORD
	s_and_b64 vcc, exec, s[0:1]
	s_cbranch_vccnz .LBB6_2456
; %bb.2450:
	v_mov_b32_e32 v14, 25
	v_cmp_gt_i16_sdwa s[0:1], v20, v14 src0_sel:BYTE_0 src1_sel:DWORD
	s_mov_b64 s[2:3], 0
	s_and_b64 vcc, exec, s[0:1]
	s_cbranch_vccz .LBB6_2457
; %bb.2451:
	v_mov_b32_e32 v14, 28
	v_cmp_gt_i16_sdwa s[0:1], v20, v14 src0_sel:BYTE_0 src1_sel:DWORD
	s_and_b64 vcc, exec, s[0:1]
	s_cbranch_vccz .LBB6_2458
; %bb.2452:
	v_mov_b32_e32 v14, 43
	v_cmp_gt_i16_sdwa s[0:1], v20, v14 src0_sel:BYTE_0 src1_sel:DWORD
	;; [unrolled: 5-line block ×3, first 2 shown]
	s_and_b64 vcc, exec, s[0:1]
	s_cbranch_vccz .LBB6_2461
; %bb.2454:
	v_mov_b32_e32 v14, 46
	v_cmp_eq_u16_sdwa s[0:1], v20, v14 src0_sel:BYTE_0 src1_sel:DWORD
	s_mov_b64 s[14:15], 0
	s_and_b64 vcc, exec, s[0:1]
	s_cbranch_vccz .LBB6_2462
; %bb.2455:
	global_load_dword v14, v[16:17], off
	s_mov_b64 s[0:1], 0
	s_mov_b64 s[10:11], -1
	s_waitcnt vmcnt(0)
	v_lshlrev_b32_e32 v14, 16, v14
	v_cvt_f64_f32_e32 v[14:15], v14
	s_branch .LBB6_2463
.LBB6_2456:
	s_mov_b64 s[0:1], -1
	s_mov_b64 s[10:11], 0
                                        ; implicit-def: $vgpr14_vgpr15
	s_branch .LBB6_2529
.LBB6_2457:
	s_mov_b64 s[14:15], -1
	s_mov_b64 s[10:11], 0
	s_mov_b64 s[0:1], 0
                                        ; implicit-def: $vgpr14_vgpr15
	s_branch .LBB6_2492
.LBB6_2458:
	s_mov_b64 s[14:15], -1
	s_mov_b64 s[10:11], 0
	s_mov_b64 s[0:1], 0
                                        ; implicit-def: $vgpr14_vgpr15
	s_branch .LBB6_2473
.LBB6_2459:
	s_mov_b64 s[14:15], -1
	s_mov_b64 s[10:11], 0
	s_mov_b64 s[0:1], 0
                                        ; implicit-def: $vgpr14_vgpr15
	s_branch .LBB6_2468
.LBB6_2460:
	s_trap 2
	s_or_b64 s[18:19], s[18:19], exec
                                        ; implicit-def: $vgpr12_vgpr13
	s_cbranch_execz .LBB6_2397
	s_branch .LBB6_2398
.LBB6_2461:
	s_mov_b64 s[14:15], -1
	s_mov_b64 s[10:11], 0
	s_mov_b64 s[0:1], 0
                                        ; implicit-def: $vgpr14_vgpr15
	s_branch .LBB6_2463
.LBB6_2462:
	s_mov_b64 s[0:1], -1
                                        ; implicit-def: $vgpr14_vgpr15
	s_mov_b64 s[10:11], 0
.LBB6_2463:
	s_and_b64 vcc, exec, s[14:15]
	s_cbranch_vccz .LBB6_2467
; %bb.2464:
	v_mov_b32_e32 v14, 44
	v_cmp_eq_u16_sdwa s[0:1], v20, v14 src0_sel:BYTE_0 src1_sel:DWORD
	s_and_b64 vcc, exec, s[0:1]
	s_cbranch_vccz .LBB6_2466
; %bb.2465:
	global_load_ubyte v21, v[16:17], off
	s_movk_i32 s10, 0xff
	v_bfrev_b32_e32 v22, 4
	v_mov_b32_e32 v23, 0x7ff80000
	v_bfrev_b32_e32 v24, 28
	s_mov_b64 s[0:1], 0
	s_waitcnt vmcnt(0)
	v_lshlrev_b32_e32 v14, 23, v21
	v_cvt_f64_f32_e32 v[14:15], v14
	v_cmp_ne_u32_e32 vcc, s10, v21
	v_cndmask_b32_e32 v14, v22, v14, vcc
	v_cndmask_b32_e32 v15, v23, v15, vcc
	v_cmp_ne_u32_e32 vcc, 0, v21
	v_cndmask_b32_e32 v15, v24, v15, vcc
	v_cndmask_b32_e32 v14, 0, v14, vcc
	s_mov_b64 s[10:11], -1
	s_branch .LBB6_2467
.LBB6_2466:
	s_mov_b64 s[0:1], -1
                                        ; implicit-def: $vgpr14_vgpr15
.LBB6_2467:
	s_mov_b64 s[14:15], 0
.LBB6_2468:
	s_and_b64 vcc, exec, s[14:15]
	s_cbranch_vccz .LBB6_2472
; %bb.2469:
	v_mov_b32_e32 v14, 29
	v_cmp_eq_u16_sdwa s[0:1], v20, v14 src0_sel:BYTE_0 src1_sel:DWORD
	s_and_b64 vcc, exec, s[0:1]
	s_cbranch_vccz .LBB6_2471
; %bb.2470:
	global_load_dwordx2 v[14:15], v[16:17], off
	s_mov_b64 s[0:1], 0
	s_mov_b64 s[10:11], -1
	s_mov_b64 s[14:15], 0
	s_waitcnt vmcnt(0)
	v_cvt_f64_u32_e32 v[22:23], v15
	v_cvt_f64_u32_e32 v[14:15], v14
	v_ldexp_f64 v[22:23], v[22:23], 32
	v_add_f64 v[14:15], v[22:23], v[14:15]
	s_branch .LBB6_2473
.LBB6_2471:
	s_mov_b64 s[0:1], -1
                                        ; implicit-def: $vgpr14_vgpr15
.LBB6_2472:
	s_mov_b64 s[14:15], 0
.LBB6_2473:
	s_and_b64 vcc, exec, s[14:15]
	s_cbranch_vccz .LBB6_2491
; %bb.2474:
	v_mov_b32_e32 v14, 27
	v_cmp_lt_i16_sdwa s[10:11], v20, v14 src0_sel:BYTE_0 src1_sel:DWORD
	s_and_b64 vcc, exec, s[10:11]
	s_cbranch_vccnz .LBB6_2477
; %bb.2475:
	v_cmp_gt_i16_sdwa s[10:11], v20, v14 src0_sel:BYTE_0 src1_sel:DWORD
	s_and_b64 vcc, exec, s[10:11]
	s_cbranch_vccz .LBB6_2478
; %bb.2476:
	global_load_dword v14, v[16:17], off
	s_mov_b64 s[10:11], 0
	s_waitcnt vmcnt(0)
	v_cvt_f64_u32_e32 v[14:15], v14
	s_branch .LBB6_2479
.LBB6_2477:
	s_mov_b64 s[10:11], -1
                                        ; implicit-def: $vgpr14_vgpr15
	s_branch .LBB6_2482
.LBB6_2478:
	s_mov_b64 s[10:11], -1
                                        ; implicit-def: $vgpr14_vgpr15
.LBB6_2479:
	s_andn2_b64 vcc, exec, s[10:11]
	s_cbranch_vccnz .LBB6_2481
; %bb.2480:
	global_load_ushort v14, v[16:17], off
	s_waitcnt vmcnt(0)
	v_cvt_f64_u32_e32 v[14:15], v14
.LBB6_2481:
	s_mov_b64 s[10:11], 0
.LBB6_2482:
	s_andn2_b64 vcc, exec, s[10:11]
	s_cbranch_vccnz .LBB6_2490
; %bb.2483:
	global_load_ubyte v21, v[16:17], off
	s_movk_i32 s10, 0x7f
                                        ; implicit-def: $sgpr14_sgpr15
	s_waitcnt vmcnt(0)
	v_cmp_lt_i16_e32 vcc, s10, v21
	s_mov_b64 s[10:11], 0
	s_and_saveexec_b64 s[16:17], vcc
	s_xor_b64 s[16:17], exec, s[16:17]
	s_cbranch_execz .LBB6_2504
; %bb.2484:
	s_movk_i32 s10, 0x80
	v_cmp_eq_u16_e32 vcc, s10, v21
	s_mov_b64 s[20:21], -1
                                        ; implicit-def: $sgpr14_sgpr15
	s_and_saveexec_b64 s[10:11], vcc
; %bb.2485:
	s_mov_b32 s15, 0x7ff80000
	s_brev_b32 s14, 4
	s_xor_b64 s[20:21], exec, -1
; %bb.2486:
	s_or_b64 exec, exec, s[10:11]
	s_and_b64 s[10:11], s[20:21], exec
	s_or_saveexec_b64 s[16:17], s[16:17]
	v_pk_mov_b32 v[14:15], s[14:15], s[14:15] op_sel:[0,1]
	s_xor_b64 exec, exec, s[16:17]
	s_cbranch_execnz .LBB6_2505
.LBB6_2487:
	s_or_b64 exec, exec, s[16:17]
	s_and_saveexec_b64 s[14:15], s[10:11]
	s_cbranch_execz .LBB6_2489
.LBB6_2488:
	v_and_b32_e32 v15, 0xffff, v21
	v_lshlrev_b32_e32 v14, 24, v21
	v_and_b32_e32 v21, 7, v15
	v_ffbh_u32_e32 v23, v21
	v_min_u32_e32 v23, 32, v23
	v_subrev_u32_e32 v24, 28, v23
	v_bfe_u32 v22, v15, 3, 4
	v_lshlrev_b32_e32 v15, v24, v15
	v_sub_u32_e32 v23, 29, v23
	v_and_b32_e32 v15, 7, v15
	v_cmp_eq_u32_e32 vcc, 0, v22
	v_cndmask_b32_e32 v22, v22, v23, vcc
	v_cndmask_b32_e32 v15, v21, v15, vcc
	v_mov_b32_e32 v21, 0x3b800000
	v_lshlrev_b32_e32 v15, 20, v15
	v_and_b32_e32 v14, 0x80000000, v14
	v_lshl_add_u32 v21, v22, 23, v21
	v_or3_b32 v14, v14, v21, v15
	v_cvt_f64_f32_e32 v[14:15], v14
.LBB6_2489:
	s_or_b64 exec, exec, s[14:15]
.LBB6_2490:
	s_mov_b64 s[10:11], -1
.LBB6_2491:
	s_mov_b64 s[14:15], 0
.LBB6_2492:
	s_and_b64 vcc, exec, s[14:15]
	s_cbranch_vccz .LBB6_2525
; %bb.2493:
	v_mov_b32_e32 v14, 22
	v_cmp_gt_i16_sdwa s[2:3], v20, v14 src0_sel:BYTE_0 src1_sel:DWORD
	s_and_b64 vcc, exec, s[2:3]
	s_cbranch_vccz .LBB6_2503
; %bb.2494:
	v_mov_b32_e32 v14, 24
	v_cmp_lt_i16_sdwa s[2:3], v20, v14 src0_sel:BYTE_0 src1_sel:DWORD
	s_and_b64 vcc, exec, s[2:3]
	s_cbranch_vccnz .LBB6_2506
; %bb.2495:
	v_cmp_gt_i16_sdwa s[2:3], v20, v14 src0_sel:BYTE_0 src1_sel:DWORD
	s_and_b64 vcc, exec, s[2:3]
	s_cbranch_vccz .LBB6_2507
; %bb.2496:
	global_load_ubyte v21, v[16:17], off
	s_movk_i32 s2, 0x7f
                                        ; implicit-def: $sgpr10_sgpr11
	s_waitcnt vmcnt(0)
	v_cmp_lt_i16_e32 vcc, s2, v21
	s_mov_b64 s[2:3], 0
	s_and_saveexec_b64 s[14:15], vcc
	s_xor_b64 s[14:15], exec, s[14:15]
	s_cbranch_execz .LBB6_2519
; %bb.2497:
	s_movk_i32 s2, 0x80
	v_cmp_eq_u16_e32 vcc, s2, v21
	s_mov_b64 s[16:17], -1
                                        ; implicit-def: $sgpr10_sgpr11
	s_and_saveexec_b64 s[2:3], vcc
; %bb.2498:
	s_mov_b32 s11, 0x7ff80000
	s_brev_b32 s10, 4
	s_xor_b64 s[16:17], exec, -1
; %bb.2499:
	s_or_b64 exec, exec, s[2:3]
	s_and_b64 s[2:3], s[16:17], exec
	s_or_saveexec_b64 s[14:15], s[14:15]
	v_pk_mov_b32 v[14:15], s[10:11], s[10:11] op_sel:[0,1]
	s_xor_b64 exec, exec, s[14:15]
	s_cbranch_execnz .LBB6_2520
.LBB6_2500:
	s_or_b64 exec, exec, s[14:15]
	s_and_saveexec_b64 s[10:11], s[2:3]
	s_cbranch_execz .LBB6_2502
.LBB6_2501:
	v_and_b32_e32 v15, 0xffff, v21
	v_lshlrev_b32_e32 v14, 24, v21
	v_and_b32_e32 v21, 3, v15
	v_ffbh_u32_e32 v23, v21
	v_min_u32_e32 v23, 32, v23
	v_subrev_u32_e32 v24, 29, v23
	v_bfe_u32 v22, v15, 2, 5
	v_lshlrev_b32_e32 v15, v24, v15
	v_sub_u32_e32 v23, 30, v23
	v_and_b32_e32 v15, 3, v15
	v_cmp_eq_u32_e32 vcc, 0, v22
	v_cndmask_b32_e32 v22, v22, v23, vcc
	v_cndmask_b32_e32 v15, v21, v15, vcc
	v_mov_b32_e32 v21, 0x37800000
	v_lshlrev_b32_e32 v15, 21, v15
	v_and_b32_e32 v14, 0x80000000, v14
	v_lshl_add_u32 v21, v22, 23, v21
	v_or3_b32 v14, v14, v21, v15
	v_cvt_f64_f32_e32 v[14:15], v14
.LBB6_2502:
	s_or_b64 exec, exec, s[10:11]
	s_mov_b64 s[2:3], 0
	s_branch .LBB6_2508
.LBB6_2503:
	s_mov_b64 s[2:3], -1
                                        ; implicit-def: $vgpr14_vgpr15
	s_branch .LBB6_2514
.LBB6_2504:
	s_or_saveexec_b64 s[16:17], s[16:17]
	v_pk_mov_b32 v[14:15], s[14:15], s[14:15] op_sel:[0,1]
	s_xor_b64 exec, exec, s[16:17]
	s_cbranch_execz .LBB6_2487
.LBB6_2505:
	v_cmp_ne_u16_e32 vcc, 0, v21
	s_andn2_b64 s[10:11], s[10:11], exec
	s_and_b64 s[14:15], vcc, exec
	v_pk_mov_b32 v[14:15], 0, 0
	s_or_b64 s[10:11], s[10:11], s[14:15]
	s_or_b64 exec, exec, s[16:17]
	s_and_saveexec_b64 s[14:15], s[10:11]
	s_cbranch_execnz .LBB6_2488
	s_branch .LBB6_2489
.LBB6_2506:
	s_mov_b64 s[2:3], -1
                                        ; implicit-def: $vgpr14_vgpr15
	s_branch .LBB6_2511
.LBB6_2507:
	s_mov_b64 s[2:3], -1
                                        ; implicit-def: $vgpr14_vgpr15
.LBB6_2508:
	s_and_b64 vcc, exec, s[2:3]
	s_cbranch_vccz .LBB6_2510
; %bb.2509:
	global_load_ubyte v14, v[16:17], off
	s_mov_b32 s2, 0x7f800000
	s_waitcnt vmcnt(0)
	v_lshlrev_b32_e32 v14, 24, v14
	v_and_b32_e32 v15, 0x7f000000, v14
	v_ffbh_u32_e32 v21, v15
	v_min_u32_e32 v21, 32, v21
	v_sub_u32_e64 v21, v21, 4 clamp
	v_lshlrev_b32_e32 v23, v21, v15
	v_lshlrev_b32_e32 v21, 23, v21
	v_lshrrev_b32_e32 v23, 4, v23
	v_add_u32_e32 v22, 0x1000000, v15
	v_sub_u32_e32 v21, v23, v21
	v_ashrrev_i32_e32 v22, 8, v22
	v_add_u32_e32 v21, 0x3c000000, v21
	v_and_or_b32 v21, v22, s2, v21
	v_cmp_ne_u32_e32 vcc, 0, v15
	v_cndmask_b32_e32 v15, 0, v21, vcc
	s_brev_b32 s2, 1
	v_and_or_b32 v14, v14, s2, v15
	v_cvt_f64_f32_e32 v[14:15], v14
.LBB6_2510:
	s_mov_b64 s[2:3], 0
.LBB6_2511:
	s_andn2_b64 vcc, exec, s[2:3]
	s_cbranch_vccnz .LBB6_2513
; %bb.2512:
	global_load_ubyte v14, v[16:17], off
	s_movk_i32 s2, 0x7f00
	s_brev_b32 s3, 16
	s_waitcnt vmcnt(0)
	v_lshlrev_b16_e32 v15, 8, v14
	v_lshlrev_b32_e32 v14, 25, v14
	v_lshrrev_b32_e32 v21, 4, v14
	v_and_or_b32 v22, v15, s2, 0.5
	v_or_b32_e32 v21, 0x70000000, v21
	v_add_f32_e32 v22, -0.5, v22
	v_mul_f32_e32 v21, 0x7800000, v21
	v_cmp_gt_u32_e32 vcc, s3, v14
	v_bfe_i32 v15, v15, 0, 16
	v_cndmask_b32_e32 v14, v21, v22, vcc
	s_brev_b32 s2, 1
	v_and_or_b32 v14, v15, s2, v14
	v_cvt_f64_f32_e32 v[14:15], v14
.LBB6_2513:
	s_mov_b64 s[2:3], 0
	s_mov_b64 s[10:11], -1
.LBB6_2514:
	s_andn2_b64 vcc, exec, s[2:3]
	s_mov_b64 s[2:3], 0
	s_cbranch_vccnz .LBB6_2525
; %bb.2515:
	v_mov_b32_e32 v14, 14
	v_cmp_gt_i16_sdwa s[2:3], v20, v14 src0_sel:BYTE_0 src1_sel:DWORD
	s_and_b64 vcc, exec, s[2:3]
	s_cbranch_vccz .LBB6_2518
; %bb.2516:
	v_mov_b32_e32 v14, 15
	v_cmp_eq_u16_sdwa s[0:1], v20, v14 src0_sel:BYTE_0 src1_sel:DWORD
	s_and_b64 vcc, exec, s[0:1]
	s_cbranch_vccz .LBB6_2521
; %bb.2517:
	global_load_ushort v14, v[16:17], off
	s_mov_b64 s[0:1], 0
	s_mov_b64 s[10:11], -1
	s_waitcnt vmcnt(0)
	v_lshlrev_b32_e32 v14, 16, v14
	v_cvt_f64_f32_e32 v[14:15], v14
	s_branch .LBB6_2522
.LBB6_2518:
	s_mov_b64 s[14:15], -1
                                        ; implicit-def: $vgpr14_vgpr15
	s_branch .LBB6_2523
.LBB6_2519:
	s_or_saveexec_b64 s[14:15], s[14:15]
	v_pk_mov_b32 v[14:15], s[10:11], s[10:11] op_sel:[0,1]
	s_xor_b64 exec, exec, s[14:15]
	s_cbranch_execz .LBB6_2500
.LBB6_2520:
	v_cmp_ne_u16_e32 vcc, 0, v21
	s_andn2_b64 s[2:3], s[2:3], exec
	s_and_b64 s[10:11], vcc, exec
	v_pk_mov_b32 v[14:15], 0, 0
	s_or_b64 s[2:3], s[2:3], s[10:11]
	s_or_b64 exec, exec, s[14:15]
	s_and_saveexec_b64 s[10:11], s[2:3]
	s_cbranch_execnz .LBB6_2501
	s_branch .LBB6_2502
.LBB6_2521:
	s_mov_b64 s[0:1], -1
                                        ; implicit-def: $vgpr14_vgpr15
.LBB6_2522:
	s_mov_b64 s[14:15], 0
.LBB6_2523:
	s_mov_b64 s[2:3], 0
	s_and_b64 vcc, exec, s[14:15]
	s_cbranch_vccz .LBB6_2525
; %bb.2524:
	v_mov_b32_e32 v14, 11
	v_cmp_ne_u16_sdwa s[0:1], v20, v14 src0_sel:BYTE_0 src1_sel:DWORD
	s_mov_b64 s[2:3], -1
                                        ; implicit-def: $vgpr14_vgpr15
.LBB6_2525:
	s_and_b64 vcc, exec, s[0:1]
	s_cbranch_vccnz .LBB6_2589
; %bb.2526:
	s_andn2_b64 vcc, exec, s[2:3]
	s_cbranch_vccnz .LBB6_2528
.LBB6_2527:
	global_load_ubyte v15, v[16:17], off
	v_mov_b32_e32 v21, 0x3ff00000
	v_mov_b32_e32 v14, 0
	s_mov_b64 s[10:11], -1
	s_waitcnt vmcnt(0)
	v_cmp_ne_u16_e32 vcc, 0, v15
	v_cndmask_b32_e32 v15, 0, v21, vcc
.LBB6_2528:
	s_mov_b64 s[0:1], 0
.LBB6_2529:
	s_and_b64 vcc, exec, s[0:1]
	s_cbranch_vccz .LBB6_2578
; %bb.2530:
	v_mov_b32_e32 v14, 5
	v_cmp_lt_i16_sdwa s[0:1], v20, v14 src0_sel:BYTE_0 src1_sel:DWORD
	s_and_b64 vcc, exec, s[0:1]
	s_cbranch_vccnz .LBB6_2535
; %bb.2531:
	v_mov_b32_e32 v14, 8
	v_cmp_lt_i16_sdwa s[0:1], v20, v14 src0_sel:BYTE_0 src1_sel:DWORD
	s_and_b64 vcc, exec, s[0:1]
	s_cbranch_vccnz .LBB6_2536
	;; [unrolled: 5-line block ×3, first 2 shown]
; %bb.2533:
	v_cmp_gt_i16_sdwa s[0:1], v20, v14 src0_sel:BYTE_0 src1_sel:DWORD
	s_and_b64 vcc, exec, s[0:1]
	s_cbranch_vccz .LBB6_2538
; %bb.2534:
	global_load_dwordx2 v[14:15], v[16:17], off
	s_mov_b64 s[0:1], 0
	s_branch .LBB6_2539
.LBB6_2535:
	s_mov_b64 s[0:1], -1
                                        ; implicit-def: $vgpr14_vgpr15
	s_branch .LBB6_2557
.LBB6_2536:
	s_mov_b64 s[0:1], -1
                                        ; implicit-def: $vgpr14_vgpr15
	s_branch .LBB6_2545
.LBB6_2537:
	s_mov_b64 s[0:1], -1
                                        ; implicit-def: $vgpr14_vgpr15
	s_branch .LBB6_2542
.LBB6_2538:
	s_mov_b64 s[0:1], -1
                                        ; implicit-def: $vgpr14_vgpr15
.LBB6_2539:
	s_andn2_b64 vcc, exec, s[0:1]
	s_cbranch_vccnz .LBB6_2541
; %bb.2540:
	global_load_dword v14, v[16:17], off
	s_waitcnt vmcnt(0)
	v_cvt_f64_f32_e32 v[14:15], v14
.LBB6_2541:
	s_mov_b64 s[0:1], 0
.LBB6_2542:
	s_andn2_b64 vcc, exec, s[0:1]
	s_cbranch_vccnz .LBB6_2544
; %bb.2543:
	global_load_dword v14, v[16:17], off
	s_waitcnt vmcnt(0)
	v_cvt_f32_f16_e32 v14, v14
	v_cvt_f64_f32_e32 v[14:15], v14
.LBB6_2544:
	s_mov_b64 s[0:1], 0
.LBB6_2545:
	s_andn2_b64 vcc, exec, s[0:1]
	s_cbranch_vccnz .LBB6_2556
; %bb.2546:
	s_waitcnt vmcnt(0)
	v_mov_b32_e32 v14, 6
	v_cmp_lt_i16_sdwa s[0:1], v20, v14 src0_sel:BYTE_0 src1_sel:DWORD
	s_and_b64 vcc, exec, s[0:1]
	s_cbranch_vccnz .LBB6_2549
; %bb.2547:
	v_cmp_gt_i16_sdwa s[0:1], v20, v14 src0_sel:BYTE_0 src1_sel:DWORD
	s_and_b64 vcc, exec, s[0:1]
	s_cbranch_vccz .LBB6_2550
; %bb.2548:
	global_load_dwordx2 v[14:15], v[16:17], off
	s_mov_b64 s[0:1], 0
	s_branch .LBB6_2551
.LBB6_2549:
	s_mov_b64 s[0:1], -1
                                        ; implicit-def: $vgpr14_vgpr15
	s_branch .LBB6_2554
.LBB6_2550:
	s_mov_b64 s[0:1], -1
                                        ; implicit-def: $vgpr14_vgpr15
.LBB6_2551:
	s_andn2_b64 vcc, exec, s[0:1]
	s_cbranch_vccnz .LBB6_2553
; %bb.2552:
	global_load_dword v14, v[16:17], off
	s_waitcnt vmcnt(0)
	v_cvt_f64_f32_e32 v[14:15], v14
.LBB6_2553:
	s_mov_b64 s[0:1], 0
.LBB6_2554:
	s_andn2_b64 vcc, exec, s[0:1]
	s_cbranch_vccnz .LBB6_2556
; %bb.2555:
	global_load_ushort v14, v[16:17], off
	s_waitcnt vmcnt(0)
	v_cvt_f32_f16_e32 v14, v14
	v_cvt_f64_f32_e32 v[14:15], v14
.LBB6_2556:
	s_mov_b64 s[0:1], 0
.LBB6_2557:
	s_andn2_b64 vcc, exec, s[0:1]
	s_cbranch_vccnz .LBB6_2577
; %bb.2558:
	s_waitcnt vmcnt(0)
	v_mov_b32_e32 v14, 2
	v_cmp_lt_i16_sdwa s[0:1], v20, v14 src0_sel:BYTE_0 src1_sel:DWORD
	s_and_b64 vcc, exec, s[0:1]
	s_cbranch_vccnz .LBB6_2562
; %bb.2559:
	v_mov_b32_e32 v14, 3
	v_cmp_lt_i16_sdwa s[0:1], v20, v14 src0_sel:BYTE_0 src1_sel:DWORD
	s_and_b64 vcc, exec, s[0:1]
	s_cbranch_vccnz .LBB6_2563
; %bb.2560:
	v_cmp_gt_i16_sdwa s[0:1], v20, v14 src0_sel:BYTE_0 src1_sel:DWORD
	s_and_b64 vcc, exec, s[0:1]
	s_cbranch_vccz .LBB6_2564
; %bb.2561:
	global_load_dwordx2 v[14:15], v[16:17], off
	s_mov_b64 s[0:1], 0
	s_waitcnt vmcnt(0)
	v_cvt_f64_i32_e32 v[22:23], v15
	v_cvt_f64_u32_e32 v[14:15], v14
	v_ldexp_f64 v[22:23], v[22:23], 32
	v_add_f64 v[14:15], v[22:23], v[14:15]
	s_branch .LBB6_2565
.LBB6_2562:
	s_mov_b64 s[0:1], -1
                                        ; implicit-def: $vgpr14_vgpr15
	s_branch .LBB6_2571
.LBB6_2563:
	s_mov_b64 s[0:1], -1
                                        ; implicit-def: $vgpr14_vgpr15
	s_branch .LBB6_2568
.LBB6_2564:
	s_mov_b64 s[0:1], -1
                                        ; implicit-def: $vgpr14_vgpr15
.LBB6_2565:
	s_andn2_b64 vcc, exec, s[0:1]
	s_cbranch_vccnz .LBB6_2567
; %bb.2566:
	global_load_dword v14, v[16:17], off
	s_waitcnt vmcnt(0)
	v_cvt_f64_i32_e32 v[14:15], v14
.LBB6_2567:
	s_mov_b64 s[0:1], 0
.LBB6_2568:
	s_andn2_b64 vcc, exec, s[0:1]
	s_cbranch_vccnz .LBB6_2570
; %bb.2569:
	global_load_sshort v14, v[16:17], off
	s_waitcnt vmcnt(0)
	v_cvt_f64_i32_e32 v[14:15], v14
.LBB6_2570:
	s_mov_b64 s[0:1], 0
.LBB6_2571:
	s_andn2_b64 vcc, exec, s[0:1]
	s_cbranch_vccnz .LBB6_2577
; %bb.2572:
	v_mov_b32_e32 v14, 0
	v_cmp_gt_i16_sdwa s[0:1], v20, v14 src0_sel:BYTE_0 src1_sel:DWORD
	s_and_b64 vcc, exec, s[0:1]
	s_cbranch_vccz .LBB6_2574
; %bb.2573:
	global_load_sbyte v14, v[16:17], off
	s_mov_b64 s[0:1], 0
	s_waitcnt vmcnt(0)
	v_cvt_f64_i32_e32 v[14:15], v14
	s_branch .LBB6_2575
.LBB6_2574:
	s_mov_b64 s[0:1], -1
                                        ; implicit-def: $vgpr14_vgpr15
.LBB6_2575:
	s_andn2_b64 vcc, exec, s[0:1]
	s_cbranch_vccnz .LBB6_2577
; %bb.2576:
	global_load_ubyte v14, v[16:17], off
	s_waitcnt vmcnt(0)
	v_cvt_f64_u32_e32 v[14:15], v14
.LBB6_2577:
	s_mov_b64 s[10:11], -1
.LBB6_2578:
	s_andn2_b64 vcc, exec, s[10:11]
	s_cbranch_vccnz .LBB6_3032
; %bb.2579:
	s_waitcnt vmcnt(0)
	v_div_scale_f64 v[16:17], s[0:1], v[2:3], v[2:3], v[0:1]
	v_rcp_f64_e32 v[20:21], v[16:17]
	v_div_scale_f64 v[22:23], vcc, v[0:1], v[2:3], v[0:1]
	s_mov_b32 s0, 0
	v_fma_f64 v[24:25], -v[16:17], v[20:21], 1.0
	v_fmac_f64_e32 v[20:21], v[20:21], v[24:25]
	v_fma_f64 v[24:25], -v[16:17], v[20:21], 1.0
	v_fmac_f64_e32 v[20:21], v[20:21], v[24:25]
	v_mul_f64 v[24:25], v[22:23], v[20:21]
	v_fma_f64 v[16:17], -v[16:17], v[24:25], v[22:23]
	v_div_fmas_f64 v[16:17], v[16:17], v[20:21], v[24:25]
	v_div_fixup_f64 v[0:1], v[16:17], v[2:3], v[0:1]
	s_mov_b32 s1, 0x100000
	v_mov_b32_e32 v2, 0x100000
	v_cmp_ngt_f64_e32 vcc, s[0:1], v[0:1]
	s_mov_b32 s0, -2
	v_cndmask_b32_e32 v1, v2, v1, vcc
	v_cndmask_b32_e32 v0, 0, v0, vcc
	s_mov_b32 s1, 0x3fefffff
	v_mov_b32_e32 v2, 0x3fefffff
	v_cmp_nlt_f64_e32 vcc, s[0:1], v[0:1]
	v_mul_lo_u32 v19, s12, v19
	v_cndmask_b32_e32 v1, v2, v1, vcc
	v_cndmask_b32_e32 v0, -2, v0, vcc
	v_ashrrev_i32_e32 v2, 31, v19
	v_mov_b32_e32 v3, s9
	v_add_co_u32_e32 v16, vcc, s8, v19
	v_addc_co_u32_e32 v17, vcc, v3, v2, vcc
	v_mov_b32_e32 v2, 11
	v_cmp_lt_i16_sdwa s[0:1], v18, v2 src0_sel:BYTE_0 src1_sel:DWORD
	s_and_b64 vcc, exec, s[0:1]
	s_cbranch_vccnz .LBB6_2586
; %bb.2580:
	v_mov_b32_e32 v2, 25
	v_cmp_gt_i16_sdwa s[0:1], v18, v2 src0_sel:BYTE_0 src1_sel:DWORD
	s_mov_b64 s[14:15], -1
	s_mov_b64 s[2:3], 0
	s_and_b64 vcc, exec, s[0:1]
	s_mov_b64 s[10:11], 0
	s_mov_b64 s[0:1], 0
	s_cbranch_vccz .LBB6_2618
; %bb.2581:
	v_mov_b32_e32 v2, 28
	v_cmp_gt_i16_sdwa s[0:1], v18, v2 src0_sel:BYTE_0 src1_sel:DWORD
	s_and_b64 vcc, exec, s[0:1]
	s_cbranch_vccz .LBB6_2587
; %bb.2582:
	v_mov_b32_e32 v2, 43
	v_cmp_gt_i16_sdwa s[0:1], v18, v2 src0_sel:BYTE_0 src1_sel:DWORD
	s_and_b64 vcc, exec, s[0:1]
	;; [unrolled: 5-line block ×3, first 2 shown]
	s_cbranch_vccz .LBB6_2590
; %bb.2584:
	v_mov_b32_e32 v2, 46
	v_cmp_eq_u16_sdwa s[10:11], v18, v2 src0_sel:BYTE_0 src1_sel:DWORD
	s_mov_b64 s[0:1], -1
	s_mov_b64 s[14:15], 0
	s_and_b64 vcc, exec, s[10:11]
	s_mov_b64 s[10:11], 0
	s_cbranch_vccz .LBB6_2591
; %bb.2585:
	v_cvt_f32_f64_e32 v2, v[0:1]
	v_bfe_u32 v3, v2, 16, 1
	s_movk_i32 s0, 0x7fff
	v_add3_u32 v3, v2, v3, s0
	v_lshrrev_b32_e32 v3, 16, v3
	v_mov_b32_e32 v20, 0x7fc0
	v_cmp_o_f32_e32 vcc, v2, v2
	v_cndmask_b32_e32 v2, v20, v3, vcc
	global_store_dword v[16:17], v2, off
	s_mov_b64 s[0:1], 0
	s_mov_b64 s[10:11], -1
	s_branch .LBB6_2591
.LBB6_2586:
	s_mov_b64 s[0:1], -1
	s_mov_b64 s[10:11], 0
	s_branch .LBB6_2662
.LBB6_2587:
	s_mov_b64 s[0:1], 0
	s_branch .LBB6_2601
.LBB6_2588:
	s_mov_b64 s[0:1], 0
	s_branch .LBB6_2597
.LBB6_2589:
	s_trap 2
	s_or_b64 s[18:19], s[18:19], exec
                                        ; implicit-def: $vgpr14_vgpr15
	s_cbranch_execz .LBB6_2527
	s_branch .LBB6_2528
.LBB6_2590:
	s_mov_b64 s[0:1], 0
.LBB6_2591:
	s_and_b64 vcc, exec, s[14:15]
	s_cbranch_vccz .LBB6_2596
; %bb.2592:
	v_mov_b32_e32 v2, 44
	v_cmp_eq_u16_sdwa s[14:15], v18, v2 src0_sel:BYTE_0 src1_sel:DWORD
	s_mov_b64 s[0:1], -1
	s_and_b64 vcc, exec, s[14:15]
	s_cbranch_vccz .LBB6_2596
; %bb.2593:
	v_cvt_f32_f64_e32 v2, v[0:1]
	v_bfe_u32 v3, v2, 23, 8
	s_movk_i32 s0, 0xff
	v_cmp_ne_u32_e32 vcc, s0, v3
	v_mov_b32_e32 v20, 0xff
	s_and_saveexec_b64 s[10:11], vcc
; %bb.2594:
	s_mov_b32 s0, 0x3fffff
	v_lshrrev_b32_e32 v20, 23, v2
	v_and_b32_e32 v21, 0x400000, v2
	v_and_or_b32 v2, v2, s0, v3
	v_cmp_ne_u32_e32 vcc, 0, v21
	v_cmp_ne_u32_e64 s[0:1], 0, v2
	s_and_b64 s[0:1], vcc, s[0:1]
	v_cndmask_b32_e64 v2, 0, 1, s[0:1]
	v_add_u32_e32 v20, v20, v2
; %bb.2595:
	s_or_b64 exec, exec, s[10:11]
	s_mov_b64 s[0:1], 0
	s_mov_b64 s[10:11], -1
	global_store_byte v[16:17], v20, off
.LBB6_2596:
	s_mov_b64 s[14:15], 0
.LBB6_2597:
	s_and_b64 vcc, exec, s[14:15]
	s_cbranch_vccz .LBB6_2600
; %bb.2598:
	v_mov_b32_e32 v2, 29
	v_cmp_eq_u16_sdwa s[14:15], v18, v2 src0_sel:BYTE_0 src1_sel:DWORD
	s_mov_b64 s[0:1], -1
	s_and_b64 vcc, exec, s[14:15]
	s_cbranch_vccz .LBB6_2600
; %bb.2599:
	v_trunc_f64_e32 v[2:3], v[0:1]
	s_movk_i32 s0, 0xffe0
	v_ldexp_f64 v[20:21], v[2:3], s0
	v_floor_f64_e32 v[20:21], v[20:21]
	v_fmac_f64_e32 v[2:3], 0xc1f00000, v[20:21]
	v_cvt_u32_f64_e32 v23, v[20:21]
	v_cvt_u32_f64_e32 v22, v[2:3]
	global_store_dwordx2 v[16:17], v[22:23], off
	s_mov_b64 s[0:1], 0
	s_mov_b64 s[10:11], -1
.LBB6_2600:
	s_mov_b64 s[14:15], 0
.LBB6_2601:
	s_and_b64 vcc, exec, s[14:15]
	s_cbranch_vccz .LBB6_2617
; %bb.2602:
	v_mov_b32_e32 v2, 27
	v_cmp_lt_i16_sdwa s[14:15], v18, v2 src0_sel:BYTE_0 src1_sel:DWORD
	s_mov_b64 s[10:11], -1
	s_and_b64 vcc, exec, s[14:15]
	s_cbranch_vccnz .LBB6_2608
; %bb.2603:
	v_cmp_gt_i16_sdwa s[14:15], v18, v2 src0_sel:BYTE_0 src1_sel:DWORD
	s_and_b64 vcc, exec, s[14:15]
	v_cvt_u32_f64_e32 v2, v[0:1]
	s_cbranch_vccz .LBB6_2605
; %bb.2604:
	s_mov_b64 s[10:11], 0
	global_store_dword v[16:17], v2, off
.LBB6_2605:
	s_andn2_b64 vcc, exec, s[10:11]
	s_cbranch_vccnz .LBB6_2607
; %bb.2606:
	global_store_short v[16:17], v2, off
.LBB6_2607:
	s_mov_b64 s[10:11], 0
.LBB6_2608:
	s_andn2_b64 vcc, exec, s[10:11]
	s_cbranch_vccnz .LBB6_2616
; %bb.2609:
	v_cvt_f32_f64_e32 v2, v[0:1]
	v_and_b32_e32 v3, 0x7fffffff, v2
	s_mov_b32 s10, 0x43800000
	v_cmp_gt_u32_e32 vcc, s10, v3
	v_mov_b32_e32 v20, 0x80
	s_and_saveexec_b64 s[10:11], vcc
	s_cbranch_execz .LBB6_2615
; %bb.2610:
	s_mov_b32 s13, 0x3bffffff
	v_cmp_lt_u32_e32 vcc, s13, v3
	s_mov_b64 s[14:15], 0
                                        ; implicit-def: $vgpr3
	s_and_saveexec_b64 s[16:17], vcc
	s_xor_b64 s[16:17], exec, s[16:17]
	s_cbranch_execz .LBB6_2711
; %bb.2611:
	v_bfe_u32 v3, v2, 20, 1
	s_mov_b32 s13, 0x487ffff
	v_add3_u32 v3, v2, v3, s13
	s_mov_b64 s[14:15], exec
	v_lshrrev_b32_e32 v3, 20, v3
	s_or_saveexec_b64 s[16:17], s[16:17]
                                        ; implicit-def: $sgpr13
	s_xor_b64 exec, exec, s[16:17]
	s_cbranch_execnz .LBB6_2712
.LBB6_2612:
	s_or_b64 exec, exec, s[16:17]
	v_mov_b32_e32 v20, s13
	s_and_saveexec_b64 s[16:17], s[14:15]
.LBB6_2613:
	v_lshrrev_b32_e32 v2, 24, v2
	s_movk_i32 s13, 0x80
	v_and_or_b32 v20, v2, s13, v3
.LBB6_2614:
	s_or_b64 exec, exec, s[16:17]
.LBB6_2615:
	s_or_b64 exec, exec, s[10:11]
	global_store_byte v[16:17], v20, off
.LBB6_2616:
	s_mov_b64 s[10:11], -1
.LBB6_2617:
	s_mov_b64 s[14:15], 0
.LBB6_2618:
	s_and_b64 vcc, exec, s[14:15]
	s_cbranch_vccz .LBB6_2658
; %bb.2619:
	v_mov_b32_e32 v2, 22
	v_cmp_gt_i16_sdwa s[14:15], v18, v2 src0_sel:BYTE_0 src1_sel:DWORD
	s_mov_b64 s[2:3], -1
	s_and_b64 vcc, exec, s[14:15]
	s_cbranch_vccz .LBB6_2651
; %bb.2620:
	v_mov_b32_e32 v2, 24
	v_cmp_lt_i16_sdwa s[10:11], v18, v2 src0_sel:BYTE_0 src1_sel:DWORD
	s_and_b64 vcc, exec, s[10:11]
	s_cbranch_vccnz .LBB6_2640
; %bb.2621:
	v_cmp_gt_i16_sdwa s[10:11], v18, v2 src0_sel:BYTE_0 src1_sel:DWORD
	s_and_b64 vcc, exec, s[10:11]
	s_cbranch_vccz .LBB6_2629
; %bb.2622:
	v_cvt_f32_f64_e32 v2, v[0:1]
	v_and_b32_e32 v3, 0x7fffffff, v2
	s_mov_b32 s2, 0x47800000
	v_cmp_gt_u32_e32 vcc, s2, v3
	v_mov_b32_e32 v20, 0x80
	s_and_saveexec_b64 s[2:3], vcc
	s_cbranch_execz .LBB6_2628
; %bb.2623:
	s_mov_b32 s10, 0x37ffffff
	v_cmp_lt_u32_e32 vcc, s10, v3
	s_mov_b64 s[10:11], 0
                                        ; implicit-def: $vgpr3
	s_and_saveexec_b64 s[14:15], vcc
	s_xor_b64 s[14:15], exec, s[14:15]
	s_cbranch_execz .LBB6_2715
; %bb.2624:
	v_bfe_u32 v3, v2, 21, 1
	s_mov_b32 s13, 0x88fffff
	v_add3_u32 v3, v2, v3, s13
	s_mov_b64 s[10:11], exec
	v_lshrrev_b32_e32 v3, 21, v3
	s_or_saveexec_b64 s[14:15], s[14:15]
                                        ; implicit-def: $sgpr13
	s_xor_b64 exec, exec, s[14:15]
	s_cbranch_execnz .LBB6_2716
.LBB6_2625:
	s_or_b64 exec, exec, s[14:15]
	v_mov_b32_e32 v20, s13
	s_and_saveexec_b64 s[14:15], s[10:11]
.LBB6_2626:
	v_lshrrev_b32_e32 v2, 24, v2
	s_movk_i32 s10, 0x80
	v_and_or_b32 v20, v2, s10, v3
.LBB6_2627:
	s_or_b64 exec, exec, s[14:15]
.LBB6_2628:
	s_or_b64 exec, exec, s[2:3]
	s_mov_b64 s[2:3], 0
	global_store_byte v[16:17], v20, off
.LBB6_2629:
	s_and_b64 vcc, exec, s[2:3]
	s_cbranch_vccz .LBB6_2639
; %bb.2630:
	v_cvt_f32_f64_e32 v2, v[0:1]
	v_and_b32_e32 v20, 0x7fffffff, v2
	s_mov_b32 s2, 0x43f00000
	v_cmp_gt_u32_e32 vcc, s2, v20
                                        ; implicit-def: $vgpr3
	s_and_saveexec_b64 s[2:3], vcc
	s_xor_b64 s[2:3], exec, s[2:3]
	s_cbranch_execz .LBB6_2636
; %bb.2631:
	s_mov_b32 s10, 0x3c7fffff
	v_cmp_lt_u32_e32 vcc, s10, v20
                                        ; implicit-def: $vgpr3
	s_and_saveexec_b64 s[10:11], vcc
	s_xor_b64 s[10:11], exec, s[10:11]
; %bb.2632:
	v_bfe_u32 v3, v2, 20, 1
	s_mov_b32 s13, 0x407ffff
	v_add3_u32 v3, v2, v3, s13
	v_lshrrev_b32_e32 v20, 20, v3
	v_and_b32_e32 v3, 0xff00000, v3
	s_mov_b32 s13, 0x7f00000
	v_mov_b32_e32 v21, 0x7e
	v_cmp_ne_u32_e32 vcc, s13, v3
	v_cndmask_b32_e32 v3, v21, v20, vcc
; %bb.2633:
	s_andn2_saveexec_b64 s[10:11], s[10:11]
; %bb.2634:
	s_mov_b32 s13, 0x46800000
	v_add_f32_e64 v3, |v2|, s13
; %bb.2635:
	s_or_b64 exec, exec, s[10:11]
                                        ; implicit-def: $vgpr20
.LBB6_2636:
	s_andn2_saveexec_b64 s[2:3], s[2:3]
; %bb.2637:
	s_mov_b32 s10, 0x7f800000
	v_mov_b32_e32 v3, 0x7e
	v_mov_b32_e32 v21, 0x7f
	v_cmp_lt_u32_e32 vcc, s10, v20
	v_cndmask_b32_e32 v3, v3, v21, vcc
; %bb.2638:
	s_or_b64 exec, exec, s[2:3]
	v_lshrrev_b32_e32 v2, 24, v2
	s_movk_i32 s2, 0x80
	v_and_or_b32 v2, v2, s2, v3
	global_store_byte v[16:17], v2, off
.LBB6_2639:
	s_mov_b64 s[2:3], 0
.LBB6_2640:
	s_andn2_b64 vcc, exec, s[2:3]
	s_cbranch_vccnz .LBB6_2650
; %bb.2641:
	v_cvt_f32_f64_e32 v2, v[0:1]
	v_and_b32_e32 v20, 0x7fffffff, v2
	s_mov_b32 s2, 0x47800000
	v_cmp_gt_u32_e32 vcc, s2, v20
                                        ; implicit-def: $vgpr3
	s_and_saveexec_b64 s[2:3], vcc
	s_xor_b64 s[2:3], exec, s[2:3]
	s_cbranch_execz .LBB6_2647
; %bb.2642:
	s_mov_b32 s10, 0x387fffff
	v_cmp_lt_u32_e32 vcc, s10, v20
                                        ; implicit-def: $vgpr3
	s_and_saveexec_b64 s[10:11], vcc
	s_xor_b64 s[10:11], exec, s[10:11]
; %bb.2643:
	v_bfe_u32 v3, v2, 21, 1
	s_mov_b32 s13, 0x80fffff
	v_add3_u32 v3, v2, v3, s13
	v_lshrrev_b32_e32 v3, 21, v3
; %bb.2644:
	s_andn2_saveexec_b64 s[10:11], s[10:11]
; %bb.2645:
	s_mov_b32 s13, 0x43000000
	v_add_f32_e64 v3, |v2|, s13
; %bb.2646:
	s_or_b64 exec, exec, s[10:11]
                                        ; implicit-def: $vgpr20
.LBB6_2647:
	s_andn2_saveexec_b64 s[2:3], s[2:3]
; %bb.2648:
	s_mov_b32 s10, 0x7f800000
	v_mov_b32_e32 v3, 0x7c
	v_mov_b32_e32 v21, 0x7f
	v_cmp_lt_u32_e32 vcc, s10, v20
	v_cndmask_b32_e32 v3, v3, v21, vcc
; %bb.2649:
	s_or_b64 exec, exec, s[2:3]
	v_lshrrev_b32_e32 v2, 24, v2
	s_movk_i32 s2, 0x80
	v_and_or_b32 v2, v2, s2, v3
	global_store_byte v[16:17], v2, off
.LBB6_2650:
	s_mov_b64 s[2:3], 0
	s_mov_b64 s[10:11], -1
.LBB6_2651:
	s_andn2_b64 vcc, exec, s[2:3]
	s_mov_b64 s[2:3], 0
	s_cbranch_vccnz .LBB6_2658
; %bb.2652:
	v_mov_b32_e32 v2, 14
	v_cmp_gt_i16_sdwa s[2:3], v18, v2 src0_sel:BYTE_0 src1_sel:DWORD
	s_mov_b64 s[14:15], -1
	s_and_b64 vcc, exec, s[2:3]
	s_cbranch_vccz .LBB6_2656
; %bb.2653:
	v_mov_b32_e32 v2, 15
	v_cmp_eq_u16_sdwa s[2:3], v18, v2 src0_sel:BYTE_0 src1_sel:DWORD
	s_mov_b64 s[0:1], -1
	s_and_b64 vcc, exec, s[2:3]
	s_cbranch_vccz .LBB6_2655
; %bb.2654:
	v_cvt_f32_f64_e32 v2, v[0:1]
	v_bfe_u32 v3, v2, 16, 1
	s_movk_i32 s0, 0x7fff
	v_add3_u32 v3, v2, v3, s0
	v_lshrrev_b32_e32 v3, 16, v3
	v_mov_b32_e32 v20, 0x7fc0
	v_cmp_o_f32_e32 vcc, v2, v2
	v_cndmask_b32_e32 v2, v20, v3, vcc
	global_store_short v[16:17], v2, off
	s_mov_b64 s[0:1], 0
	s_mov_b64 s[10:11], -1
.LBB6_2655:
	s_mov_b64 s[14:15], 0
.LBB6_2656:
	s_mov_b64 s[2:3], 0
	s_and_b64 vcc, exec, s[14:15]
	s_cbranch_vccz .LBB6_2658
; %bb.2657:
	v_mov_b32_e32 v2, 11
	v_cmp_ne_u16_sdwa s[0:1], v18, v2 src0_sel:BYTE_0 src1_sel:DWORD
	s_mov_b64 s[2:3], -1
.LBB6_2658:
	s_and_b64 vcc, exec, s[0:1]
	s_cbranch_vccnz .LBB6_2714
; %bb.2659:
	s_andn2_b64 vcc, exec, s[2:3]
	s_cbranch_vccnz .LBB6_2661
.LBB6_2660:
	v_mov_b32_e32 v2, 1
	s_mov_b64 s[10:11], -1
	global_store_byte v[16:17], v2, off
.LBB6_2661:
	s_mov_b64 s[0:1], 0
.LBB6_2662:
	s_and_b64 vcc, exec, s[0:1]
	s_cbranch_vccz .LBB6_2701
; %bb.2663:
	v_mov_b32_e32 v2, 5
	v_cmp_lt_i16_sdwa s[2:3], v18, v2 src0_sel:BYTE_0 src1_sel:DWORD
	s_mov_b64 s[0:1], -1
	s_and_b64 vcc, exec, s[2:3]
	s_cbranch_vccnz .LBB6_2684
; %bb.2664:
	v_mov_b32_e32 v2, 8
	v_cmp_lt_i16_sdwa s[2:3], v18, v2 src0_sel:BYTE_0 src1_sel:DWORD
	s_and_b64 vcc, exec, s[2:3]
	s_cbranch_vccnz .LBB6_2674
; %bb.2665:
	v_mov_b32_e32 v2, 9
	v_cmp_lt_i16_sdwa s[2:3], v18, v2 src0_sel:BYTE_0 src1_sel:DWORD
	s_and_b64 vcc, exec, s[2:3]
	s_cbranch_vccnz .LBB6_2671
; %bb.2666:
	v_cmp_gt_i16_sdwa s[2:3], v18, v2 src0_sel:BYTE_0 src1_sel:DWORD
	s_and_b64 vcc, exec, s[2:3]
	s_cbranch_vccz .LBB6_2668
; %bb.2667:
	v_mov_b32_e32 v2, 0
	v_mov_b32_e32 v3, v2
	global_store_dwordx4 v[16:17], v[0:3], off
	s_mov_b64 s[0:1], 0
.LBB6_2668:
	s_andn2_b64 vcc, exec, s[0:1]
	s_cbranch_vccnz .LBB6_2670
; %bb.2669:
	v_cvt_f32_f64_e32 v2, v[0:1]
	v_mov_b32_e32 v3, 0
	global_store_dwordx2 v[16:17], v[2:3], off
.LBB6_2670:
	s_mov_b64 s[0:1], 0
.LBB6_2671:
	s_andn2_b64 vcc, exec, s[0:1]
	s_cbranch_vccnz .LBB6_2673
; %bb.2672:
	v_cvt_f32_f64_e32 v2, v[0:1]
	v_cvt_f16_f32_e32 v2, v2
	global_store_dword v[16:17], v2, off
.LBB6_2673:
	s_mov_b64 s[0:1], 0
.LBB6_2674:
	s_andn2_b64 vcc, exec, s[0:1]
	s_cbranch_vccnz .LBB6_2683
; %bb.2675:
	v_mov_b32_e32 v2, 6
	v_cmp_lt_i16_sdwa s[2:3], v18, v2 src0_sel:BYTE_0 src1_sel:DWORD
	s_mov_b64 s[0:1], -1
	s_and_b64 vcc, exec, s[2:3]
	s_cbranch_vccnz .LBB6_2681
; %bb.2676:
	v_cmp_gt_i16_sdwa s[2:3], v18, v2 src0_sel:BYTE_0 src1_sel:DWORD
	s_and_b64 vcc, exec, s[2:3]
	s_cbranch_vccz .LBB6_2678
; %bb.2677:
	global_store_dwordx2 v[16:17], v[0:1], off
	s_mov_b64 s[0:1], 0
.LBB6_2678:
	s_andn2_b64 vcc, exec, s[0:1]
	s_cbranch_vccnz .LBB6_2680
; %bb.2679:
	v_cvt_f32_f64_e32 v2, v[0:1]
	global_store_dword v[16:17], v2, off
.LBB6_2680:
	s_mov_b64 s[0:1], 0
.LBB6_2681:
	s_andn2_b64 vcc, exec, s[0:1]
	s_cbranch_vccnz .LBB6_2683
; %bb.2682:
	v_cvt_f32_f64_e32 v2, v[0:1]
	v_cvt_f16_f32_e32 v2, v2
	global_store_short v[16:17], v2, off
.LBB6_2683:
	s_mov_b64 s[0:1], 0
.LBB6_2684:
	s_andn2_b64 vcc, exec, s[0:1]
	s_cbranch_vccnz .LBB6_2700
; %bb.2685:
	v_mov_b32_e32 v2, 2
	v_cmp_lt_i16_sdwa s[2:3], v18, v2 src0_sel:BYTE_0 src1_sel:DWORD
	s_mov_b64 s[0:1], -1
	s_and_b64 vcc, exec, s[2:3]
	s_cbranch_vccnz .LBB6_2695
; %bb.2686:
	v_mov_b32_e32 v2, 3
	v_cmp_lt_i16_sdwa s[2:3], v18, v2 src0_sel:BYTE_0 src1_sel:DWORD
	s_and_b64 vcc, exec, s[2:3]
	s_cbranch_vccnz .LBB6_2692
; %bb.2687:
	v_cmp_gt_i16_sdwa s[2:3], v18, v2 src0_sel:BYTE_0 src1_sel:DWORD
	s_and_b64 vcc, exec, s[2:3]
	s_cbranch_vccz .LBB6_2689
; %bb.2688:
	v_trunc_f64_e32 v[2:3], v[0:1]
	s_movk_i32 s0, 0xffe0
	v_ldexp_f64 v[20:21], v[2:3], s0
	v_floor_f64_e32 v[20:21], v[20:21]
	v_fmac_f64_e32 v[2:3], 0xc1f00000, v[20:21]
	v_cvt_i32_f64_e32 v23, v[20:21]
	v_cvt_u32_f64_e32 v22, v[2:3]
	global_store_dwordx2 v[16:17], v[22:23], off
	s_mov_b64 s[0:1], 0
.LBB6_2689:
	s_andn2_b64 vcc, exec, s[0:1]
	s_cbranch_vccnz .LBB6_2691
; %bb.2690:
	v_cvt_i32_f64_e32 v2, v[0:1]
	global_store_dword v[16:17], v2, off
.LBB6_2691:
	s_mov_b64 s[0:1], 0
.LBB6_2692:
	s_andn2_b64 vcc, exec, s[0:1]
	s_cbranch_vccnz .LBB6_2694
; %bb.2693:
	v_cvt_i32_f64_e32 v2, v[0:1]
	global_store_short v[16:17], v2, off
.LBB6_2694:
	s_mov_b64 s[0:1], 0
.LBB6_2695:
	s_andn2_b64 vcc, exec, s[0:1]
	s_cbranch_vccnz .LBB6_2700
; %bb.2696:
	v_mov_b32_e32 v2, 0
	v_cmp_gt_i16_sdwa s[2:3], v18, v2 src0_sel:BYTE_0 src1_sel:DWORD
	s_mov_b64 s[0:1], -1
	s_and_b64 vcc, exec, s[2:3]
	s_cbranch_vccz .LBB6_2698
; %bb.2697:
	v_cvt_i32_f64_e32 v2, v[0:1]
	global_store_byte v[16:17], v2, off
	s_mov_b64 s[0:1], 0
.LBB6_2698:
	s_andn2_b64 vcc, exec, s[0:1]
	s_cbranch_vccnz .LBB6_2700
; %bb.2699:
	v_trunc_f64_e32 v[0:1], v[0:1]
	s_movk_i32 s0, 0xffe0
	v_ldexp_f64 v[2:3], v[0:1], s0
	v_floor_f64_e32 v[2:3], v[2:3]
	v_fmac_f64_e32 v[0:1], 0xc1f00000, v[2:3]
	v_cvt_u32_f64_e32 v0, v[0:1]
	global_store_byte v[16:17], v0, off
.LBB6_2700:
	s_mov_b64 s[10:11], -1
.LBB6_2701:
	s_andn2_b64 vcc, exec, s[10:11]
	s_cbranch_vccnz .LBB6_3032
; %bb.2702:
	v_div_scale_f64 v[0:1], s[0:1], v[6:7], v[6:7], v[4:5]
	v_rcp_f64_e32 v[2:3], v[0:1]
	v_div_scale_f64 v[16:17], vcc, v[4:5], v[6:7], v[4:5]
	s_mov_b32 s0, 0
	v_fma_f64 v[20:21], -v[0:1], v[2:3], 1.0
	v_fmac_f64_e32 v[2:3], v[2:3], v[20:21]
	v_fma_f64 v[20:21], -v[0:1], v[2:3], 1.0
	v_fmac_f64_e32 v[2:3], v[2:3], v[20:21]
	v_mul_f64 v[20:21], v[16:17], v[2:3]
	v_fma_f64 v[0:1], -v[0:1], v[20:21], v[16:17]
	v_div_fmas_f64 v[0:1], v[0:1], v[2:3], v[20:21]
	v_div_fixup_f64 v[0:1], v[0:1], v[6:7], v[4:5]
	s_mov_b32 s1, 0x100000
	v_mov_b32_e32 v2, 0x100000
	v_cmp_ngt_f64_e32 vcc, s[0:1], v[0:1]
	s_mov_b32 s0, -2
	v_cndmask_b32_e32 v1, v2, v1, vcc
	v_cndmask_b32_e32 v0, 0, v0, vcc
	s_mov_b32 s1, 0x3fefffff
	s_lshl_b32 s16, s12, 7
	v_mov_b32_e32 v2, 0x3fefffff
	v_cmp_nlt_f64_e32 vcc, s[0:1], v[0:1]
	v_add_u32_e32 v6, s16, v19
	v_cndmask_b32_e32 v1, v2, v1, vcc
	v_cndmask_b32_e32 v0, -2, v0, vcc
	v_ashrrev_i32_e32 v2, 31, v6
	v_mov_b32_e32 v3, s9
	v_add_co_u32_e32 v4, vcc, s8, v6
	v_addc_co_u32_e32 v5, vcc, v3, v2, vcc
	v_mov_b32_e32 v2, 11
	v_cmp_lt_i16_sdwa s[0:1], v18, v2 src0_sel:BYTE_0 src1_sel:DWORD
	s_and_b64 vcc, exec, s[0:1]
	s_cbranch_vccnz .LBB6_2709
; %bb.2703:
	v_mov_b32_e32 v2, 25
	v_cmp_gt_i16_sdwa s[0:1], v18, v2 src0_sel:BYTE_0 src1_sel:DWORD
	s_mov_b64 s[12:13], -1
	s_mov_b64 s[2:3], 0
	s_and_b64 vcc, exec, s[0:1]
	s_mov_b64 s[10:11], 0
	s_mov_b64 s[0:1], 0
	s_cbranch_vccz .LBB6_2745
; %bb.2704:
	v_mov_b32_e32 v2, 28
	v_cmp_gt_i16_sdwa s[0:1], v18, v2 src0_sel:BYTE_0 src1_sel:DWORD
	s_and_b64 vcc, exec, s[0:1]
	s_cbranch_vccz .LBB6_2710
; %bb.2705:
	v_mov_b32_e32 v2, 43
	v_cmp_gt_i16_sdwa s[0:1], v18, v2 src0_sel:BYTE_0 src1_sel:DWORD
	s_and_b64 vcc, exec, s[0:1]
	;; [unrolled: 5-line block ×3, first 2 shown]
	s_cbranch_vccz .LBB6_2717
; %bb.2707:
	v_mov_b32_e32 v2, 46
	v_cmp_eq_u16_sdwa s[10:11], v18, v2 src0_sel:BYTE_0 src1_sel:DWORD
	s_mov_b64 s[0:1], -1
	s_mov_b64 s[12:13], 0
	s_and_b64 vcc, exec, s[10:11]
	s_mov_b64 s[10:11], 0
	s_cbranch_vccz .LBB6_2718
; %bb.2708:
	v_cvt_f32_f64_e32 v2, v[0:1]
	v_bfe_u32 v3, v2, 16, 1
	s_movk_i32 s0, 0x7fff
	v_add3_u32 v3, v2, v3, s0
	v_lshrrev_b32_e32 v3, 16, v3
	v_mov_b32_e32 v7, 0x7fc0
	v_cmp_o_f32_e32 vcc, v2, v2
	v_cndmask_b32_e32 v2, v7, v3, vcc
	global_store_dword v[4:5], v2, off
	s_mov_b64 s[0:1], 0
	s_mov_b64 s[10:11], -1
	s_branch .LBB6_2718
.LBB6_2709:
	s_mov_b64 s[0:1], -1
	s_mov_b64 s[10:11], 0
	s_branch .LBB6_2789
.LBB6_2710:
	s_mov_b64 s[0:1], 0
	s_branch .LBB6_2728
.LBB6_2711:
	s_or_saveexec_b64 s[16:17], s[16:17]
                                        ; implicit-def: $sgpr13
	s_xor_b64 exec, exec, s[16:17]
	s_cbranch_execz .LBB6_2612
.LBB6_2712:
	s_mov_b32 s13, 0x46000000
	v_add_f32_e64 v3, |v2|, s13
	v_and_b32_e32 v3, 0xff, v3
	v_cmp_ne_u32_e32 vcc, 0, v3
	s_andn2_b64 s[14:15], s[14:15], exec
	s_and_b64 s[20:21], vcc, exec
	s_mov_b32 s13, 0
	s_or_b64 s[14:15], s[14:15], s[20:21]
	s_or_b64 exec, exec, s[16:17]
	v_mov_b32_e32 v20, s13
	s_and_saveexec_b64 s[16:17], s[14:15]
	s_cbranch_execnz .LBB6_2613
	s_branch .LBB6_2614
.LBB6_2713:
	s_mov_b64 s[0:1], 0
	s_branch .LBB6_2724
.LBB6_2714:
	s_trap 2
	s_or_b64 s[18:19], s[18:19], exec
	s_cbranch_execz .LBB6_2660
	s_branch .LBB6_2661
.LBB6_2715:
	s_or_saveexec_b64 s[14:15], s[14:15]
                                        ; implicit-def: $sgpr13
	s_xor_b64 exec, exec, s[14:15]
	s_cbranch_execz .LBB6_2625
.LBB6_2716:
	s_mov_b32 s13, 0x42800000
	v_add_f32_e64 v3, |v2|, s13
	v_and_b32_e32 v3, 0xff, v3
	v_cmp_ne_u32_e32 vcc, 0, v3
	s_andn2_b64 s[10:11], s[10:11], exec
	s_and_b64 s[16:17], vcc, exec
	s_mov_b32 s13, 0
	s_or_b64 s[10:11], s[10:11], s[16:17]
	s_or_b64 exec, exec, s[14:15]
	v_mov_b32_e32 v20, s13
	s_and_saveexec_b64 s[14:15], s[10:11]
	s_cbranch_execnz .LBB6_2626
	s_branch .LBB6_2627
.LBB6_2717:
	s_mov_b64 s[0:1], 0
.LBB6_2718:
	s_and_b64 vcc, exec, s[12:13]
	s_cbranch_vccz .LBB6_2723
; %bb.2719:
	v_mov_b32_e32 v2, 44
	v_cmp_eq_u16_sdwa s[12:13], v18, v2 src0_sel:BYTE_0 src1_sel:DWORD
	s_mov_b64 s[0:1], -1
	s_and_b64 vcc, exec, s[12:13]
	s_cbranch_vccz .LBB6_2723
; %bb.2720:
	v_cvt_f32_f64_e32 v2, v[0:1]
	v_bfe_u32 v3, v2, 23, 8
	s_movk_i32 s0, 0xff
	v_cmp_ne_u32_e32 vcc, s0, v3
	v_mov_b32_e32 v7, 0xff
	s_and_saveexec_b64 s[10:11], vcc
; %bb.2721:
	s_mov_b32 s0, 0x3fffff
	v_lshrrev_b32_e32 v7, 23, v2
	v_and_b32_e32 v16, 0x400000, v2
	v_and_or_b32 v2, v2, s0, v3
	v_cmp_ne_u32_e32 vcc, 0, v16
	v_cmp_ne_u32_e64 s[0:1], 0, v2
	s_and_b64 s[0:1], vcc, s[0:1]
	v_cndmask_b32_e64 v2, 0, 1, s[0:1]
	v_add_u32_e32 v7, v7, v2
; %bb.2722:
	s_or_b64 exec, exec, s[10:11]
	s_mov_b64 s[0:1], 0
	s_mov_b64 s[10:11], -1
	global_store_byte v[4:5], v7, off
.LBB6_2723:
	s_mov_b64 s[12:13], 0
.LBB6_2724:
	s_and_b64 vcc, exec, s[12:13]
	s_cbranch_vccz .LBB6_2727
; %bb.2725:
	v_mov_b32_e32 v2, 29
	v_cmp_eq_u16_sdwa s[12:13], v18, v2 src0_sel:BYTE_0 src1_sel:DWORD
	s_mov_b64 s[0:1], -1
	s_and_b64 vcc, exec, s[12:13]
	s_cbranch_vccz .LBB6_2727
; %bb.2726:
	v_trunc_f64_e32 v[2:3], v[0:1]
	s_movk_i32 s0, 0xffe0
	v_ldexp_f64 v[16:17], v[2:3], s0
	v_floor_f64_e32 v[16:17], v[16:17]
	v_fmac_f64_e32 v[2:3], 0xc1f00000, v[16:17]
	v_cvt_u32_f64_e32 v21, v[16:17]
	v_cvt_u32_f64_e32 v20, v[2:3]
	global_store_dwordx2 v[4:5], v[20:21], off
	s_mov_b64 s[0:1], 0
	s_mov_b64 s[10:11], -1
.LBB6_2727:
	s_mov_b64 s[12:13], 0
.LBB6_2728:
	s_and_b64 vcc, exec, s[12:13]
	s_cbranch_vccz .LBB6_2744
; %bb.2729:
	v_mov_b32_e32 v2, 27
	v_cmp_lt_i16_sdwa s[12:13], v18, v2 src0_sel:BYTE_0 src1_sel:DWORD
	s_mov_b64 s[10:11], -1
	s_and_b64 vcc, exec, s[12:13]
	s_cbranch_vccnz .LBB6_2735
; %bb.2730:
	v_cmp_gt_i16_sdwa s[12:13], v18, v2 src0_sel:BYTE_0 src1_sel:DWORD
	s_and_b64 vcc, exec, s[12:13]
	v_cvt_u32_f64_e32 v2, v[0:1]
	s_cbranch_vccz .LBB6_2732
; %bb.2731:
	s_mov_b64 s[10:11], 0
	global_store_dword v[4:5], v2, off
.LBB6_2732:
	s_andn2_b64 vcc, exec, s[10:11]
	s_cbranch_vccnz .LBB6_2734
; %bb.2733:
	global_store_short v[4:5], v2, off
.LBB6_2734:
	s_mov_b64 s[10:11], 0
.LBB6_2735:
	s_andn2_b64 vcc, exec, s[10:11]
	s_cbranch_vccnz .LBB6_2743
; %bb.2736:
	v_cvt_f32_f64_e32 v2, v[0:1]
	v_and_b32_e32 v3, 0x7fffffff, v2
	s_mov_b32 s10, 0x43800000
	v_cmp_gt_u32_e32 vcc, s10, v3
	v_mov_b32_e32 v7, 0x80
	s_and_saveexec_b64 s[10:11], vcc
	s_cbranch_execz .LBB6_2742
; %bb.2737:
	s_mov_b32 s12, 0x3bffffff
	v_cmp_lt_u32_e32 vcc, s12, v3
	s_mov_b64 s[12:13], 0
                                        ; implicit-def: $vgpr3
	s_and_saveexec_b64 s[14:15], vcc
	s_xor_b64 s[14:15], exec, s[14:15]
	s_cbranch_execz .LBB6_2838
; %bb.2738:
	v_bfe_u32 v3, v2, 20, 1
	s_mov_b32 s17, 0x487ffff
	v_add3_u32 v3, v2, v3, s17
	s_mov_b64 s[12:13], exec
	v_lshrrev_b32_e32 v3, 20, v3
	s_or_saveexec_b64 s[14:15], s[14:15]
                                        ; implicit-def: $sgpr17
	s_xor_b64 exec, exec, s[14:15]
	s_cbranch_execnz .LBB6_2839
.LBB6_2739:
	s_or_b64 exec, exec, s[14:15]
	v_mov_b32_e32 v7, s17
	s_and_saveexec_b64 s[14:15], s[12:13]
.LBB6_2740:
	v_lshrrev_b32_e32 v2, 24, v2
	s_movk_i32 s12, 0x80
	v_and_or_b32 v7, v2, s12, v3
.LBB6_2741:
	s_or_b64 exec, exec, s[14:15]
.LBB6_2742:
	s_or_b64 exec, exec, s[10:11]
	global_store_byte v[4:5], v7, off
.LBB6_2743:
	s_mov_b64 s[10:11], -1
.LBB6_2744:
	s_mov_b64 s[12:13], 0
.LBB6_2745:
	s_and_b64 vcc, exec, s[12:13]
	s_cbranch_vccz .LBB6_2785
; %bb.2746:
	v_mov_b32_e32 v2, 22
	v_cmp_gt_i16_sdwa s[12:13], v18, v2 src0_sel:BYTE_0 src1_sel:DWORD
	s_mov_b64 s[2:3], -1
	s_and_b64 vcc, exec, s[12:13]
	s_cbranch_vccz .LBB6_2778
; %bb.2747:
	v_mov_b32_e32 v2, 24
	v_cmp_lt_i16_sdwa s[10:11], v18, v2 src0_sel:BYTE_0 src1_sel:DWORD
	s_and_b64 vcc, exec, s[10:11]
	s_cbranch_vccnz .LBB6_2767
; %bb.2748:
	v_cmp_gt_i16_sdwa s[10:11], v18, v2 src0_sel:BYTE_0 src1_sel:DWORD
	s_and_b64 vcc, exec, s[10:11]
	s_cbranch_vccz .LBB6_2756
; %bb.2749:
	v_cvt_f32_f64_e32 v2, v[0:1]
	v_and_b32_e32 v3, 0x7fffffff, v2
	s_mov_b32 s2, 0x47800000
	v_cmp_gt_u32_e32 vcc, s2, v3
	v_mov_b32_e32 v7, 0x80
	s_and_saveexec_b64 s[2:3], vcc
	s_cbranch_execz .LBB6_2755
; %bb.2750:
	s_mov_b32 s10, 0x37ffffff
	v_cmp_lt_u32_e32 vcc, s10, v3
	s_mov_b64 s[10:11], 0
                                        ; implicit-def: $vgpr3
	s_and_saveexec_b64 s[12:13], vcc
	s_xor_b64 s[12:13], exec, s[12:13]
	s_cbranch_execz .LBB6_2842
; %bb.2751:
	v_bfe_u32 v3, v2, 21, 1
	s_mov_b32 s14, 0x88fffff
	v_add3_u32 v3, v2, v3, s14
	s_mov_b64 s[10:11], exec
	v_lshrrev_b32_e32 v3, 21, v3
	s_or_saveexec_b64 s[12:13], s[12:13]
                                        ; implicit-def: $sgpr14
	s_xor_b64 exec, exec, s[12:13]
	s_cbranch_execnz .LBB6_2843
.LBB6_2752:
	s_or_b64 exec, exec, s[12:13]
	v_mov_b32_e32 v7, s14
	s_and_saveexec_b64 s[12:13], s[10:11]
.LBB6_2753:
	v_lshrrev_b32_e32 v2, 24, v2
	s_movk_i32 s10, 0x80
	v_and_or_b32 v7, v2, s10, v3
.LBB6_2754:
	s_or_b64 exec, exec, s[12:13]
.LBB6_2755:
	s_or_b64 exec, exec, s[2:3]
	s_mov_b64 s[2:3], 0
	global_store_byte v[4:5], v7, off
.LBB6_2756:
	s_and_b64 vcc, exec, s[2:3]
	s_cbranch_vccz .LBB6_2766
; %bb.2757:
	v_cvt_f32_f64_e32 v2, v[0:1]
	v_and_b32_e32 v7, 0x7fffffff, v2
	s_mov_b32 s2, 0x43f00000
	v_cmp_gt_u32_e32 vcc, s2, v7
                                        ; implicit-def: $vgpr3
	s_and_saveexec_b64 s[2:3], vcc
	s_xor_b64 s[2:3], exec, s[2:3]
	s_cbranch_execz .LBB6_2763
; %bb.2758:
	s_mov_b32 s10, 0x3c7fffff
	v_cmp_lt_u32_e32 vcc, s10, v7
                                        ; implicit-def: $vgpr3
	s_and_saveexec_b64 s[10:11], vcc
	s_xor_b64 s[10:11], exec, s[10:11]
; %bb.2759:
	v_bfe_u32 v3, v2, 20, 1
	s_mov_b32 s12, 0x407ffff
	v_add3_u32 v3, v2, v3, s12
	v_lshrrev_b32_e32 v7, 20, v3
	v_and_b32_e32 v3, 0xff00000, v3
	s_mov_b32 s12, 0x7f00000
	v_mov_b32_e32 v16, 0x7e
	v_cmp_ne_u32_e32 vcc, s12, v3
	v_cndmask_b32_e32 v3, v16, v7, vcc
; %bb.2760:
	s_andn2_saveexec_b64 s[10:11], s[10:11]
; %bb.2761:
	s_mov_b32 s12, 0x46800000
	v_add_f32_e64 v3, |v2|, s12
; %bb.2762:
	s_or_b64 exec, exec, s[10:11]
                                        ; implicit-def: $vgpr7
.LBB6_2763:
	s_andn2_saveexec_b64 s[2:3], s[2:3]
; %bb.2764:
	s_mov_b32 s10, 0x7f800000
	v_mov_b32_e32 v3, 0x7e
	v_mov_b32_e32 v16, 0x7f
	v_cmp_lt_u32_e32 vcc, s10, v7
	v_cndmask_b32_e32 v3, v3, v16, vcc
; %bb.2765:
	s_or_b64 exec, exec, s[2:3]
	v_lshrrev_b32_e32 v2, 24, v2
	s_movk_i32 s2, 0x80
	v_and_or_b32 v2, v2, s2, v3
	global_store_byte v[4:5], v2, off
.LBB6_2766:
	s_mov_b64 s[2:3], 0
.LBB6_2767:
	s_andn2_b64 vcc, exec, s[2:3]
	s_cbranch_vccnz .LBB6_2777
; %bb.2768:
	v_cvt_f32_f64_e32 v2, v[0:1]
	v_and_b32_e32 v7, 0x7fffffff, v2
	s_mov_b32 s2, 0x47800000
	v_cmp_gt_u32_e32 vcc, s2, v7
                                        ; implicit-def: $vgpr3
	s_and_saveexec_b64 s[2:3], vcc
	s_xor_b64 s[2:3], exec, s[2:3]
	s_cbranch_execz .LBB6_2774
; %bb.2769:
	s_mov_b32 s10, 0x387fffff
	v_cmp_lt_u32_e32 vcc, s10, v7
                                        ; implicit-def: $vgpr3
	s_and_saveexec_b64 s[10:11], vcc
	s_xor_b64 s[10:11], exec, s[10:11]
; %bb.2770:
	v_bfe_u32 v3, v2, 21, 1
	s_mov_b32 s12, 0x80fffff
	v_add3_u32 v3, v2, v3, s12
	v_lshrrev_b32_e32 v3, 21, v3
; %bb.2771:
	s_andn2_saveexec_b64 s[10:11], s[10:11]
; %bb.2772:
	s_mov_b32 s12, 0x43000000
	v_add_f32_e64 v3, |v2|, s12
; %bb.2773:
	s_or_b64 exec, exec, s[10:11]
                                        ; implicit-def: $vgpr7
.LBB6_2774:
	s_andn2_saveexec_b64 s[2:3], s[2:3]
; %bb.2775:
	s_mov_b32 s10, 0x7f800000
	v_mov_b32_e32 v3, 0x7c
	v_mov_b32_e32 v16, 0x7f
	v_cmp_lt_u32_e32 vcc, s10, v7
	v_cndmask_b32_e32 v3, v3, v16, vcc
; %bb.2776:
	s_or_b64 exec, exec, s[2:3]
	v_lshrrev_b32_e32 v2, 24, v2
	s_movk_i32 s2, 0x80
	v_and_or_b32 v2, v2, s2, v3
	global_store_byte v[4:5], v2, off
.LBB6_2777:
	s_mov_b64 s[2:3], 0
	s_mov_b64 s[10:11], -1
.LBB6_2778:
	s_andn2_b64 vcc, exec, s[2:3]
	s_mov_b64 s[2:3], 0
	s_cbranch_vccnz .LBB6_2785
; %bb.2779:
	v_mov_b32_e32 v2, 14
	v_cmp_gt_i16_sdwa s[2:3], v18, v2 src0_sel:BYTE_0 src1_sel:DWORD
	s_mov_b64 s[12:13], -1
	s_and_b64 vcc, exec, s[2:3]
	s_cbranch_vccz .LBB6_2783
; %bb.2780:
	v_mov_b32_e32 v2, 15
	v_cmp_eq_u16_sdwa s[2:3], v18, v2 src0_sel:BYTE_0 src1_sel:DWORD
	s_mov_b64 s[0:1], -1
	s_and_b64 vcc, exec, s[2:3]
	s_cbranch_vccz .LBB6_2782
; %bb.2781:
	v_cvt_f32_f64_e32 v2, v[0:1]
	v_bfe_u32 v3, v2, 16, 1
	s_movk_i32 s0, 0x7fff
	v_add3_u32 v3, v2, v3, s0
	v_lshrrev_b32_e32 v3, 16, v3
	v_mov_b32_e32 v7, 0x7fc0
	v_cmp_o_f32_e32 vcc, v2, v2
	v_cndmask_b32_e32 v2, v7, v3, vcc
	global_store_short v[4:5], v2, off
	s_mov_b64 s[0:1], 0
	s_mov_b64 s[10:11], -1
.LBB6_2782:
	s_mov_b64 s[12:13], 0
.LBB6_2783:
	s_mov_b64 s[2:3], 0
	s_and_b64 vcc, exec, s[12:13]
	s_cbranch_vccz .LBB6_2785
; %bb.2784:
	v_mov_b32_e32 v2, 11
	v_cmp_ne_u16_sdwa s[0:1], v18, v2 src0_sel:BYTE_0 src1_sel:DWORD
	s_mov_b64 s[2:3], -1
.LBB6_2785:
	s_and_b64 vcc, exec, s[0:1]
	s_cbranch_vccnz .LBB6_2841
; %bb.2786:
	s_andn2_b64 vcc, exec, s[2:3]
	s_cbranch_vccnz .LBB6_2788
.LBB6_2787:
	v_mov_b32_e32 v2, 1
	s_mov_b64 s[10:11], -1
	global_store_byte v[4:5], v2, off
.LBB6_2788:
	s_mov_b64 s[0:1], 0
.LBB6_2789:
	s_and_b64 vcc, exec, s[0:1]
	s_cbranch_vccz .LBB6_2828
; %bb.2790:
	v_mov_b32_e32 v2, 5
	v_cmp_lt_i16_sdwa s[2:3], v18, v2 src0_sel:BYTE_0 src1_sel:DWORD
	s_mov_b64 s[0:1], -1
	s_and_b64 vcc, exec, s[2:3]
	s_cbranch_vccnz .LBB6_2811
; %bb.2791:
	v_mov_b32_e32 v2, 8
	v_cmp_lt_i16_sdwa s[2:3], v18, v2 src0_sel:BYTE_0 src1_sel:DWORD
	s_and_b64 vcc, exec, s[2:3]
	s_cbranch_vccnz .LBB6_2801
; %bb.2792:
	v_mov_b32_e32 v2, 9
	v_cmp_lt_i16_sdwa s[2:3], v18, v2 src0_sel:BYTE_0 src1_sel:DWORD
	s_and_b64 vcc, exec, s[2:3]
	s_cbranch_vccnz .LBB6_2798
; %bb.2793:
	v_cmp_gt_i16_sdwa s[2:3], v18, v2 src0_sel:BYTE_0 src1_sel:DWORD
	s_and_b64 vcc, exec, s[2:3]
	s_cbranch_vccz .LBB6_2795
; %bb.2794:
	v_mov_b32_e32 v2, 0
	v_mov_b32_e32 v3, v2
	global_store_dwordx4 v[4:5], v[0:3], off
	s_mov_b64 s[0:1], 0
.LBB6_2795:
	s_andn2_b64 vcc, exec, s[0:1]
	s_cbranch_vccnz .LBB6_2797
; %bb.2796:
	v_cvt_f32_f64_e32 v2, v[0:1]
	v_mov_b32_e32 v3, 0
	global_store_dwordx2 v[4:5], v[2:3], off
.LBB6_2797:
	s_mov_b64 s[0:1], 0
.LBB6_2798:
	s_andn2_b64 vcc, exec, s[0:1]
	s_cbranch_vccnz .LBB6_2800
; %bb.2799:
	v_cvt_f32_f64_e32 v2, v[0:1]
	v_cvt_f16_f32_e32 v2, v2
	global_store_dword v[4:5], v2, off
.LBB6_2800:
	s_mov_b64 s[0:1], 0
.LBB6_2801:
	s_andn2_b64 vcc, exec, s[0:1]
	s_cbranch_vccnz .LBB6_2810
; %bb.2802:
	v_mov_b32_e32 v2, 6
	v_cmp_lt_i16_sdwa s[2:3], v18, v2 src0_sel:BYTE_0 src1_sel:DWORD
	s_mov_b64 s[0:1], -1
	s_and_b64 vcc, exec, s[2:3]
	s_cbranch_vccnz .LBB6_2808
; %bb.2803:
	v_cmp_gt_i16_sdwa s[2:3], v18, v2 src0_sel:BYTE_0 src1_sel:DWORD
	s_and_b64 vcc, exec, s[2:3]
	s_cbranch_vccz .LBB6_2805
; %bb.2804:
	global_store_dwordx2 v[4:5], v[0:1], off
	s_mov_b64 s[0:1], 0
.LBB6_2805:
	s_andn2_b64 vcc, exec, s[0:1]
	s_cbranch_vccnz .LBB6_2807
; %bb.2806:
	v_cvt_f32_f64_e32 v2, v[0:1]
	global_store_dword v[4:5], v2, off
.LBB6_2807:
	s_mov_b64 s[0:1], 0
.LBB6_2808:
	s_andn2_b64 vcc, exec, s[0:1]
	s_cbranch_vccnz .LBB6_2810
; %bb.2809:
	v_cvt_f32_f64_e32 v2, v[0:1]
	v_cvt_f16_f32_e32 v2, v2
	global_store_short v[4:5], v2, off
.LBB6_2810:
	s_mov_b64 s[0:1], 0
.LBB6_2811:
	s_andn2_b64 vcc, exec, s[0:1]
	s_cbranch_vccnz .LBB6_2827
; %bb.2812:
	v_mov_b32_e32 v2, 2
	v_cmp_lt_i16_sdwa s[2:3], v18, v2 src0_sel:BYTE_0 src1_sel:DWORD
	s_mov_b64 s[0:1], -1
	s_and_b64 vcc, exec, s[2:3]
	s_cbranch_vccnz .LBB6_2822
; %bb.2813:
	v_mov_b32_e32 v2, 3
	v_cmp_lt_i16_sdwa s[2:3], v18, v2 src0_sel:BYTE_0 src1_sel:DWORD
	s_and_b64 vcc, exec, s[2:3]
	s_cbranch_vccnz .LBB6_2819
; %bb.2814:
	v_cmp_gt_i16_sdwa s[2:3], v18, v2 src0_sel:BYTE_0 src1_sel:DWORD
	s_and_b64 vcc, exec, s[2:3]
	s_cbranch_vccz .LBB6_2816
; %bb.2815:
	v_trunc_f64_e32 v[2:3], v[0:1]
	s_movk_i32 s0, 0xffe0
	v_ldexp_f64 v[16:17], v[2:3], s0
	v_floor_f64_e32 v[16:17], v[16:17]
	v_fmac_f64_e32 v[2:3], 0xc1f00000, v[16:17]
	v_cvt_i32_f64_e32 v21, v[16:17]
	v_cvt_u32_f64_e32 v20, v[2:3]
	global_store_dwordx2 v[4:5], v[20:21], off
	s_mov_b64 s[0:1], 0
.LBB6_2816:
	s_andn2_b64 vcc, exec, s[0:1]
	s_cbranch_vccnz .LBB6_2818
; %bb.2817:
	v_cvt_i32_f64_e32 v2, v[0:1]
	global_store_dword v[4:5], v2, off
.LBB6_2818:
	s_mov_b64 s[0:1], 0
.LBB6_2819:
	s_andn2_b64 vcc, exec, s[0:1]
	s_cbranch_vccnz .LBB6_2821
; %bb.2820:
	v_cvt_i32_f64_e32 v2, v[0:1]
	global_store_short v[4:5], v2, off
.LBB6_2821:
	s_mov_b64 s[0:1], 0
.LBB6_2822:
	s_andn2_b64 vcc, exec, s[0:1]
	s_cbranch_vccnz .LBB6_2827
; %bb.2823:
	v_mov_b32_e32 v2, 0
	v_cmp_gt_i16_sdwa s[2:3], v18, v2 src0_sel:BYTE_0 src1_sel:DWORD
	s_mov_b64 s[0:1], -1
	s_and_b64 vcc, exec, s[2:3]
	s_cbranch_vccz .LBB6_2825
; %bb.2824:
	v_cvt_i32_f64_e32 v2, v[0:1]
	global_store_byte v[4:5], v2, off
	s_mov_b64 s[0:1], 0
.LBB6_2825:
	s_andn2_b64 vcc, exec, s[0:1]
	s_cbranch_vccnz .LBB6_2827
; %bb.2826:
	v_trunc_f64_e32 v[0:1], v[0:1]
	s_movk_i32 s0, 0xffe0
	v_ldexp_f64 v[2:3], v[0:1], s0
	v_floor_f64_e32 v[2:3], v[2:3]
	v_fmac_f64_e32 v[0:1], 0xc1f00000, v[2:3]
	v_cvt_u32_f64_e32 v0, v[0:1]
	global_store_byte v[4:5], v0, off
.LBB6_2827:
	s_mov_b64 s[10:11], -1
.LBB6_2828:
	s_andn2_b64 vcc, exec, s[10:11]
	s_cbranch_vccnz .LBB6_3032
; %bb.2829:
	v_div_scale_f64 v[0:1], s[0:1], v[10:11], v[10:11], v[8:9]
	v_rcp_f64_e32 v[2:3], v[0:1]
	v_div_scale_f64 v[4:5], vcc, v[8:9], v[10:11], v[8:9]
	s_mov_b32 s0, 0
	v_fma_f64 v[16:17], -v[0:1], v[2:3], 1.0
	v_fmac_f64_e32 v[2:3], v[2:3], v[16:17]
	v_fma_f64 v[16:17], -v[0:1], v[2:3], 1.0
	v_fmac_f64_e32 v[2:3], v[2:3], v[16:17]
	v_mul_f64 v[16:17], v[4:5], v[2:3]
	v_fma_f64 v[0:1], -v[0:1], v[16:17], v[4:5]
	v_div_fmas_f64 v[0:1], v[0:1], v[2:3], v[16:17]
	v_div_fixup_f64 v[0:1], v[0:1], v[10:11], v[8:9]
	s_mov_b32 s1, 0x100000
	v_mov_b32_e32 v2, 0x100000
	v_cmp_ngt_f64_e32 vcc, s[0:1], v[0:1]
	s_mov_b32 s0, -2
	v_cndmask_b32_e32 v1, v2, v1, vcc
	v_cndmask_b32_e32 v0, 0, v0, vcc
	s_mov_b32 s1, 0x3fefffff
	v_mov_b32_e32 v2, 0x3fefffff
	v_cmp_nlt_f64_e32 vcc, s[0:1], v[0:1]
	v_add_u32_e32 v6, s16, v6
	v_cndmask_b32_e32 v1, v2, v1, vcc
	v_cndmask_b32_e32 v0, -2, v0, vcc
	v_ashrrev_i32_e32 v2, 31, v6
	v_mov_b32_e32 v3, s9
	v_add_co_u32_e32 v4, vcc, s8, v6
	v_addc_co_u32_e32 v5, vcc, v3, v2, vcc
	v_mov_b32_e32 v2, 11
	v_cmp_lt_i16_sdwa s[0:1], v18, v2 src0_sel:BYTE_0 src1_sel:DWORD
	s_and_b64 vcc, exec, s[0:1]
	s_cbranch_vccnz .LBB6_2836
; %bb.2830:
	v_mov_b32_e32 v2, 25
	v_cmp_gt_i16_sdwa s[0:1], v18, v2 src0_sel:BYTE_0 src1_sel:DWORD
	s_mov_b64 s[12:13], -1
	s_mov_b64 s[2:3], 0
	s_and_b64 vcc, exec, s[0:1]
	s_mov_b64 s[10:11], 0
	s_mov_b64 s[0:1], 0
	s_cbranch_vccz .LBB6_2872
; %bb.2831:
	v_mov_b32_e32 v2, 28
	v_cmp_gt_i16_sdwa s[0:1], v18, v2 src0_sel:BYTE_0 src1_sel:DWORD
	s_and_b64 vcc, exec, s[0:1]
	s_cbranch_vccz .LBB6_2837
; %bb.2832:
	v_mov_b32_e32 v2, 43
	v_cmp_gt_i16_sdwa s[0:1], v18, v2 src0_sel:BYTE_0 src1_sel:DWORD
	s_and_b64 vcc, exec, s[0:1]
	;; [unrolled: 5-line block ×3, first 2 shown]
	s_cbranch_vccz .LBB6_2844
; %bb.2834:
	v_mov_b32_e32 v2, 46
	v_cmp_eq_u16_sdwa s[10:11], v18, v2 src0_sel:BYTE_0 src1_sel:DWORD
	s_mov_b64 s[0:1], -1
	s_mov_b64 s[12:13], 0
	s_and_b64 vcc, exec, s[10:11]
	s_mov_b64 s[10:11], 0
	s_cbranch_vccz .LBB6_2845
; %bb.2835:
	v_cvt_f32_f64_e32 v2, v[0:1]
	v_bfe_u32 v3, v2, 16, 1
	s_movk_i32 s0, 0x7fff
	v_add3_u32 v3, v2, v3, s0
	v_lshrrev_b32_e32 v3, 16, v3
	v_mov_b32_e32 v7, 0x7fc0
	v_cmp_o_f32_e32 vcc, v2, v2
	v_cndmask_b32_e32 v2, v7, v3, vcc
	global_store_dword v[4:5], v2, off
	s_mov_b64 s[0:1], 0
	s_mov_b64 s[10:11], -1
	s_branch .LBB6_2845
.LBB6_2836:
	s_mov_b64 s[0:1], -1
	s_mov_b64 s[10:11], 0
	s_branch .LBB6_2916
.LBB6_2837:
	s_mov_b64 s[0:1], 0
	s_branch .LBB6_2855
.LBB6_2838:
	s_or_saveexec_b64 s[14:15], s[14:15]
                                        ; implicit-def: $sgpr17
	s_xor_b64 exec, exec, s[14:15]
	s_cbranch_execz .LBB6_2739
.LBB6_2839:
	s_mov_b32 s17, 0x46000000
	v_add_f32_e64 v3, |v2|, s17
	v_and_b32_e32 v3, 0xff, v3
	v_cmp_ne_u32_e32 vcc, 0, v3
	s_andn2_b64 s[12:13], s[12:13], exec
	s_and_b64 s[20:21], vcc, exec
	s_mov_b32 s17, 0
	s_or_b64 s[12:13], s[12:13], s[20:21]
	s_or_b64 exec, exec, s[14:15]
	v_mov_b32_e32 v7, s17
	s_and_saveexec_b64 s[14:15], s[12:13]
	s_cbranch_execnz .LBB6_2740
	s_branch .LBB6_2741
.LBB6_2840:
	s_mov_b64 s[0:1], 0
	s_branch .LBB6_2851
.LBB6_2841:
	s_trap 2
	s_or_b64 s[18:19], s[18:19], exec
	s_cbranch_execz .LBB6_2787
	s_branch .LBB6_2788
.LBB6_2842:
	s_or_saveexec_b64 s[12:13], s[12:13]
                                        ; implicit-def: $sgpr14
	s_xor_b64 exec, exec, s[12:13]
	s_cbranch_execz .LBB6_2752
.LBB6_2843:
	s_mov_b32 s14, 0x42800000
	v_add_f32_e64 v3, |v2|, s14
	v_and_b32_e32 v3, 0xff, v3
	v_cmp_ne_u32_e32 vcc, 0, v3
	s_andn2_b64 s[10:11], s[10:11], exec
	s_and_b64 s[20:21], vcc, exec
	s_mov_b32 s14, 0
	s_or_b64 s[10:11], s[10:11], s[20:21]
	s_or_b64 exec, exec, s[12:13]
	v_mov_b32_e32 v7, s14
	s_and_saveexec_b64 s[12:13], s[10:11]
	s_cbranch_execnz .LBB6_2753
	s_branch .LBB6_2754
.LBB6_2844:
	s_mov_b64 s[0:1], 0
.LBB6_2845:
	s_and_b64 vcc, exec, s[12:13]
	s_cbranch_vccz .LBB6_2850
; %bb.2846:
	v_mov_b32_e32 v2, 44
	v_cmp_eq_u16_sdwa s[12:13], v18, v2 src0_sel:BYTE_0 src1_sel:DWORD
	s_mov_b64 s[0:1], -1
	s_and_b64 vcc, exec, s[12:13]
	s_cbranch_vccz .LBB6_2850
; %bb.2847:
	v_cvt_f32_f64_e32 v2, v[0:1]
	v_bfe_u32 v3, v2, 23, 8
	s_movk_i32 s0, 0xff
	v_cmp_ne_u32_e32 vcc, s0, v3
	v_mov_b32_e32 v7, 0xff
	s_and_saveexec_b64 s[10:11], vcc
; %bb.2848:
	s_mov_b32 s0, 0x3fffff
	v_lshrrev_b32_e32 v7, 23, v2
	v_and_b32_e32 v8, 0x400000, v2
	v_and_or_b32 v2, v2, s0, v3
	v_cmp_ne_u32_e32 vcc, 0, v8
	v_cmp_ne_u32_e64 s[0:1], 0, v2
	s_and_b64 s[0:1], vcc, s[0:1]
	v_cndmask_b32_e64 v2, 0, 1, s[0:1]
	v_add_u32_e32 v7, v7, v2
; %bb.2849:
	s_or_b64 exec, exec, s[10:11]
	s_mov_b64 s[0:1], 0
	s_mov_b64 s[10:11], -1
	global_store_byte v[4:5], v7, off
.LBB6_2850:
	s_mov_b64 s[12:13], 0
.LBB6_2851:
	s_and_b64 vcc, exec, s[12:13]
	s_cbranch_vccz .LBB6_2854
; %bb.2852:
	v_mov_b32_e32 v2, 29
	v_cmp_eq_u16_sdwa s[12:13], v18, v2 src0_sel:BYTE_0 src1_sel:DWORD
	s_mov_b64 s[0:1], -1
	s_and_b64 vcc, exec, s[12:13]
	s_cbranch_vccz .LBB6_2854
; %bb.2853:
	v_trunc_f64_e32 v[2:3], v[0:1]
	s_movk_i32 s0, 0xffe0
	v_ldexp_f64 v[8:9], v[2:3], s0
	v_floor_f64_e32 v[8:9], v[8:9]
	v_fmac_f64_e32 v[2:3], 0xc1f00000, v[8:9]
	v_cvt_u32_f64_e32 v11, v[8:9]
	v_cvt_u32_f64_e32 v10, v[2:3]
	global_store_dwordx2 v[4:5], v[10:11], off
	s_mov_b64 s[0:1], 0
	s_mov_b64 s[10:11], -1
.LBB6_2854:
	s_mov_b64 s[12:13], 0
.LBB6_2855:
	s_and_b64 vcc, exec, s[12:13]
	s_cbranch_vccz .LBB6_2871
; %bb.2856:
	v_mov_b32_e32 v2, 27
	v_cmp_lt_i16_sdwa s[12:13], v18, v2 src0_sel:BYTE_0 src1_sel:DWORD
	s_mov_b64 s[10:11], -1
	s_and_b64 vcc, exec, s[12:13]
	s_cbranch_vccnz .LBB6_2862
; %bb.2857:
	v_cmp_gt_i16_sdwa s[12:13], v18, v2 src0_sel:BYTE_0 src1_sel:DWORD
	s_and_b64 vcc, exec, s[12:13]
	v_cvt_u32_f64_e32 v2, v[0:1]
	s_cbranch_vccz .LBB6_2859
; %bb.2858:
	s_mov_b64 s[10:11], 0
	global_store_dword v[4:5], v2, off
.LBB6_2859:
	s_andn2_b64 vcc, exec, s[10:11]
	s_cbranch_vccnz .LBB6_2861
; %bb.2860:
	global_store_short v[4:5], v2, off
.LBB6_2861:
	s_mov_b64 s[10:11], 0
.LBB6_2862:
	s_andn2_b64 vcc, exec, s[10:11]
	s_cbranch_vccnz .LBB6_2870
; %bb.2863:
	v_cvt_f32_f64_e32 v2, v[0:1]
	v_and_b32_e32 v3, 0x7fffffff, v2
	s_mov_b32 s10, 0x43800000
	v_cmp_gt_u32_e32 vcc, s10, v3
	v_mov_b32_e32 v7, 0x80
	s_and_saveexec_b64 s[10:11], vcc
	s_cbranch_execz .LBB6_2869
; %bb.2864:
	s_mov_b32 s12, 0x3bffffff
	v_cmp_lt_u32_e32 vcc, s12, v3
	s_mov_b64 s[12:13], 0
                                        ; implicit-def: $vgpr3
	s_and_saveexec_b64 s[14:15], vcc
	s_xor_b64 s[14:15], exec, s[14:15]
	s_cbranch_execz .LBB6_3078
; %bb.2865:
	v_bfe_u32 v3, v2, 20, 1
	s_mov_b32 s17, 0x487ffff
	v_add3_u32 v3, v2, v3, s17
	s_mov_b64 s[12:13], exec
	v_lshrrev_b32_e32 v3, 20, v3
	s_or_saveexec_b64 s[14:15], s[14:15]
                                        ; implicit-def: $sgpr17
	s_xor_b64 exec, exec, s[14:15]
	s_cbranch_execnz .LBB6_3079
.LBB6_2866:
	s_or_b64 exec, exec, s[14:15]
	v_mov_b32_e32 v7, s17
	s_and_saveexec_b64 s[14:15], s[12:13]
.LBB6_2867:
	v_lshrrev_b32_e32 v2, 24, v2
	s_movk_i32 s12, 0x80
	v_and_or_b32 v7, v2, s12, v3
.LBB6_2868:
	s_or_b64 exec, exec, s[14:15]
.LBB6_2869:
	s_or_b64 exec, exec, s[10:11]
	global_store_byte v[4:5], v7, off
.LBB6_2870:
	s_mov_b64 s[10:11], -1
.LBB6_2871:
	s_mov_b64 s[12:13], 0
.LBB6_2872:
	s_and_b64 vcc, exec, s[12:13]
	s_cbranch_vccz .LBB6_2912
; %bb.2873:
	v_mov_b32_e32 v2, 22
	v_cmp_gt_i16_sdwa s[12:13], v18, v2 src0_sel:BYTE_0 src1_sel:DWORD
	s_mov_b64 s[2:3], -1
	s_and_b64 vcc, exec, s[12:13]
	s_cbranch_vccz .LBB6_2905
; %bb.2874:
	v_mov_b32_e32 v2, 24
	v_cmp_lt_i16_sdwa s[10:11], v18, v2 src0_sel:BYTE_0 src1_sel:DWORD
	s_and_b64 vcc, exec, s[10:11]
	s_cbranch_vccnz .LBB6_2894
; %bb.2875:
	v_cmp_gt_i16_sdwa s[10:11], v18, v2 src0_sel:BYTE_0 src1_sel:DWORD
	s_and_b64 vcc, exec, s[10:11]
	s_cbranch_vccz .LBB6_2883
; %bb.2876:
	v_cvt_f32_f64_e32 v2, v[0:1]
	v_and_b32_e32 v3, 0x7fffffff, v2
	s_mov_b32 s2, 0x47800000
	v_cmp_gt_u32_e32 vcc, s2, v3
	v_mov_b32_e32 v7, 0x80
	s_and_saveexec_b64 s[2:3], vcc
	s_cbranch_execz .LBB6_2882
; %bb.2877:
	s_mov_b32 s10, 0x37ffffff
	v_cmp_lt_u32_e32 vcc, s10, v3
	s_mov_b64 s[10:11], 0
                                        ; implicit-def: $vgpr3
	s_and_saveexec_b64 s[12:13], vcc
	s_xor_b64 s[12:13], exec, s[12:13]
	s_cbranch_execz .LBB6_3081
; %bb.2878:
	v_bfe_u32 v3, v2, 21, 1
	s_mov_b32 s14, 0x88fffff
	v_add3_u32 v3, v2, v3, s14
	s_mov_b64 s[10:11], exec
	v_lshrrev_b32_e32 v3, 21, v3
	s_or_saveexec_b64 s[12:13], s[12:13]
                                        ; implicit-def: $sgpr14
	s_xor_b64 exec, exec, s[12:13]
	s_cbranch_execnz .LBB6_3082
.LBB6_2879:
	s_or_b64 exec, exec, s[12:13]
	v_mov_b32_e32 v7, s14
	s_and_saveexec_b64 s[12:13], s[10:11]
.LBB6_2880:
	v_lshrrev_b32_e32 v2, 24, v2
	s_movk_i32 s10, 0x80
	v_and_or_b32 v7, v2, s10, v3
.LBB6_2881:
	s_or_b64 exec, exec, s[12:13]
.LBB6_2882:
	s_or_b64 exec, exec, s[2:3]
	s_mov_b64 s[2:3], 0
	global_store_byte v[4:5], v7, off
.LBB6_2883:
	s_and_b64 vcc, exec, s[2:3]
	s_cbranch_vccz .LBB6_2893
; %bb.2884:
	v_cvt_f32_f64_e32 v2, v[0:1]
	v_and_b32_e32 v7, 0x7fffffff, v2
	s_mov_b32 s2, 0x43f00000
	v_cmp_gt_u32_e32 vcc, s2, v7
                                        ; implicit-def: $vgpr3
	s_and_saveexec_b64 s[2:3], vcc
	s_xor_b64 s[2:3], exec, s[2:3]
	s_cbranch_execz .LBB6_2890
; %bb.2885:
	s_mov_b32 s10, 0x3c7fffff
	v_cmp_lt_u32_e32 vcc, s10, v7
                                        ; implicit-def: $vgpr3
	s_and_saveexec_b64 s[10:11], vcc
	s_xor_b64 s[10:11], exec, s[10:11]
; %bb.2886:
	v_bfe_u32 v3, v2, 20, 1
	s_mov_b32 s12, 0x407ffff
	v_add3_u32 v3, v2, v3, s12
	v_lshrrev_b32_e32 v7, 20, v3
	v_and_b32_e32 v3, 0xff00000, v3
	s_mov_b32 s12, 0x7f00000
	v_mov_b32_e32 v8, 0x7e
	v_cmp_ne_u32_e32 vcc, s12, v3
	v_cndmask_b32_e32 v3, v8, v7, vcc
; %bb.2887:
	s_andn2_saveexec_b64 s[10:11], s[10:11]
; %bb.2888:
	s_mov_b32 s12, 0x46800000
	v_add_f32_e64 v3, |v2|, s12
; %bb.2889:
	s_or_b64 exec, exec, s[10:11]
                                        ; implicit-def: $vgpr7
.LBB6_2890:
	s_andn2_saveexec_b64 s[2:3], s[2:3]
; %bb.2891:
	s_mov_b32 s10, 0x7f800000
	v_mov_b32_e32 v3, 0x7e
	v_mov_b32_e32 v8, 0x7f
	v_cmp_lt_u32_e32 vcc, s10, v7
	v_cndmask_b32_e32 v3, v3, v8, vcc
; %bb.2892:
	s_or_b64 exec, exec, s[2:3]
	v_lshrrev_b32_e32 v2, 24, v2
	s_movk_i32 s2, 0x80
	v_and_or_b32 v2, v2, s2, v3
	global_store_byte v[4:5], v2, off
.LBB6_2893:
	s_mov_b64 s[2:3], 0
.LBB6_2894:
	s_andn2_b64 vcc, exec, s[2:3]
	s_cbranch_vccnz .LBB6_2904
; %bb.2895:
	v_cvt_f32_f64_e32 v2, v[0:1]
	v_and_b32_e32 v7, 0x7fffffff, v2
	s_mov_b32 s2, 0x47800000
	v_cmp_gt_u32_e32 vcc, s2, v7
                                        ; implicit-def: $vgpr3
	s_and_saveexec_b64 s[2:3], vcc
	s_xor_b64 s[2:3], exec, s[2:3]
	s_cbranch_execz .LBB6_2901
; %bb.2896:
	s_mov_b32 s10, 0x387fffff
	v_cmp_lt_u32_e32 vcc, s10, v7
                                        ; implicit-def: $vgpr3
	s_and_saveexec_b64 s[10:11], vcc
	s_xor_b64 s[10:11], exec, s[10:11]
; %bb.2897:
	v_bfe_u32 v3, v2, 21, 1
	s_mov_b32 s12, 0x80fffff
	v_add3_u32 v3, v2, v3, s12
	v_lshrrev_b32_e32 v3, 21, v3
; %bb.2898:
	s_andn2_saveexec_b64 s[10:11], s[10:11]
; %bb.2899:
	s_mov_b32 s12, 0x43000000
	v_add_f32_e64 v3, |v2|, s12
; %bb.2900:
	s_or_b64 exec, exec, s[10:11]
                                        ; implicit-def: $vgpr7
.LBB6_2901:
	s_andn2_saveexec_b64 s[2:3], s[2:3]
; %bb.2902:
	s_mov_b32 s10, 0x7f800000
	v_mov_b32_e32 v3, 0x7c
	v_mov_b32_e32 v8, 0x7f
	v_cmp_lt_u32_e32 vcc, s10, v7
	v_cndmask_b32_e32 v3, v3, v8, vcc
; %bb.2903:
	s_or_b64 exec, exec, s[2:3]
	v_lshrrev_b32_e32 v2, 24, v2
	s_movk_i32 s2, 0x80
	v_and_or_b32 v2, v2, s2, v3
	global_store_byte v[4:5], v2, off
.LBB6_2904:
	s_mov_b64 s[2:3], 0
	s_mov_b64 s[10:11], -1
.LBB6_2905:
	s_andn2_b64 vcc, exec, s[2:3]
	s_mov_b64 s[2:3], 0
	s_cbranch_vccnz .LBB6_2912
; %bb.2906:
	v_mov_b32_e32 v2, 14
	v_cmp_gt_i16_sdwa s[2:3], v18, v2 src0_sel:BYTE_0 src1_sel:DWORD
	s_mov_b64 s[12:13], -1
	s_and_b64 vcc, exec, s[2:3]
	s_cbranch_vccz .LBB6_2910
; %bb.2907:
	v_mov_b32_e32 v2, 15
	v_cmp_eq_u16_sdwa s[2:3], v18, v2 src0_sel:BYTE_0 src1_sel:DWORD
	s_mov_b64 s[0:1], -1
	s_and_b64 vcc, exec, s[2:3]
	s_cbranch_vccz .LBB6_2909
; %bb.2908:
	v_cvt_f32_f64_e32 v2, v[0:1]
	v_bfe_u32 v3, v2, 16, 1
	s_movk_i32 s0, 0x7fff
	v_add3_u32 v3, v2, v3, s0
	v_lshrrev_b32_e32 v3, 16, v3
	v_mov_b32_e32 v7, 0x7fc0
	v_cmp_o_f32_e32 vcc, v2, v2
	v_cndmask_b32_e32 v2, v7, v3, vcc
	global_store_short v[4:5], v2, off
	s_mov_b64 s[0:1], 0
	s_mov_b64 s[10:11], -1
.LBB6_2909:
	s_mov_b64 s[12:13], 0
.LBB6_2910:
	s_mov_b64 s[2:3], 0
	s_and_b64 vcc, exec, s[12:13]
	s_cbranch_vccz .LBB6_2912
; %bb.2911:
	v_mov_b32_e32 v2, 11
	v_cmp_ne_u16_sdwa s[0:1], v18, v2 src0_sel:BYTE_0 src1_sel:DWORD
	s_mov_b64 s[2:3], -1
.LBB6_2912:
	s_and_b64 vcc, exec, s[0:1]
	s_cbranch_vccnz .LBB6_3080
; %bb.2913:
	s_andn2_b64 vcc, exec, s[2:3]
	s_cbranch_vccnz .LBB6_2915
.LBB6_2914:
	v_mov_b32_e32 v2, 1
	s_mov_b64 s[10:11], -1
	global_store_byte v[4:5], v2, off
.LBB6_2915:
	s_mov_b64 s[0:1], 0
.LBB6_2916:
	s_and_b64 vcc, exec, s[0:1]
	s_cbranch_vccz .LBB6_2955
; %bb.2917:
	v_mov_b32_e32 v2, 5
	v_cmp_lt_i16_sdwa s[2:3], v18, v2 src0_sel:BYTE_0 src1_sel:DWORD
	s_mov_b64 s[0:1], -1
	s_and_b64 vcc, exec, s[2:3]
	s_cbranch_vccnz .LBB6_2938
; %bb.2918:
	v_mov_b32_e32 v2, 8
	v_cmp_lt_i16_sdwa s[2:3], v18, v2 src0_sel:BYTE_0 src1_sel:DWORD
	s_and_b64 vcc, exec, s[2:3]
	s_cbranch_vccnz .LBB6_2928
; %bb.2919:
	v_mov_b32_e32 v2, 9
	v_cmp_lt_i16_sdwa s[2:3], v18, v2 src0_sel:BYTE_0 src1_sel:DWORD
	s_and_b64 vcc, exec, s[2:3]
	s_cbranch_vccnz .LBB6_2925
; %bb.2920:
	v_cmp_gt_i16_sdwa s[2:3], v18, v2 src0_sel:BYTE_0 src1_sel:DWORD
	s_and_b64 vcc, exec, s[2:3]
	s_cbranch_vccz .LBB6_2922
; %bb.2921:
	v_mov_b32_e32 v2, 0
	v_mov_b32_e32 v3, v2
	global_store_dwordx4 v[4:5], v[0:3], off
	s_mov_b64 s[0:1], 0
.LBB6_2922:
	s_andn2_b64 vcc, exec, s[0:1]
	s_cbranch_vccnz .LBB6_2924
; %bb.2923:
	v_cvt_f32_f64_e32 v2, v[0:1]
	v_mov_b32_e32 v3, 0
	global_store_dwordx2 v[4:5], v[2:3], off
.LBB6_2924:
	s_mov_b64 s[0:1], 0
.LBB6_2925:
	s_andn2_b64 vcc, exec, s[0:1]
	s_cbranch_vccnz .LBB6_2927
; %bb.2926:
	v_cvt_f32_f64_e32 v2, v[0:1]
	v_cvt_f16_f32_e32 v2, v2
	global_store_dword v[4:5], v2, off
.LBB6_2927:
	s_mov_b64 s[0:1], 0
.LBB6_2928:
	s_andn2_b64 vcc, exec, s[0:1]
	s_cbranch_vccnz .LBB6_2937
; %bb.2929:
	v_mov_b32_e32 v2, 6
	v_cmp_lt_i16_sdwa s[2:3], v18, v2 src0_sel:BYTE_0 src1_sel:DWORD
	s_mov_b64 s[0:1], -1
	s_and_b64 vcc, exec, s[2:3]
	s_cbranch_vccnz .LBB6_2935
; %bb.2930:
	v_cmp_gt_i16_sdwa s[2:3], v18, v2 src0_sel:BYTE_0 src1_sel:DWORD
	s_and_b64 vcc, exec, s[2:3]
	s_cbranch_vccz .LBB6_2932
; %bb.2931:
	global_store_dwordx2 v[4:5], v[0:1], off
	s_mov_b64 s[0:1], 0
.LBB6_2932:
	s_andn2_b64 vcc, exec, s[0:1]
	s_cbranch_vccnz .LBB6_2934
; %bb.2933:
	v_cvt_f32_f64_e32 v2, v[0:1]
	global_store_dword v[4:5], v2, off
.LBB6_2934:
	s_mov_b64 s[0:1], 0
.LBB6_2935:
	s_andn2_b64 vcc, exec, s[0:1]
	s_cbranch_vccnz .LBB6_2937
; %bb.2936:
	v_cvt_f32_f64_e32 v2, v[0:1]
	v_cvt_f16_f32_e32 v2, v2
	global_store_short v[4:5], v2, off
.LBB6_2937:
	s_mov_b64 s[0:1], 0
.LBB6_2938:
	s_andn2_b64 vcc, exec, s[0:1]
	s_cbranch_vccnz .LBB6_2954
; %bb.2939:
	v_mov_b32_e32 v2, 2
	v_cmp_lt_i16_sdwa s[2:3], v18, v2 src0_sel:BYTE_0 src1_sel:DWORD
	s_mov_b64 s[0:1], -1
	s_and_b64 vcc, exec, s[2:3]
	s_cbranch_vccnz .LBB6_2949
; %bb.2940:
	v_mov_b32_e32 v2, 3
	v_cmp_lt_i16_sdwa s[2:3], v18, v2 src0_sel:BYTE_0 src1_sel:DWORD
	s_and_b64 vcc, exec, s[2:3]
	s_cbranch_vccnz .LBB6_2946
; %bb.2941:
	v_cmp_gt_i16_sdwa s[2:3], v18, v2 src0_sel:BYTE_0 src1_sel:DWORD
	s_and_b64 vcc, exec, s[2:3]
	s_cbranch_vccz .LBB6_2943
; %bb.2942:
	v_trunc_f64_e32 v[2:3], v[0:1]
	s_movk_i32 s0, 0xffe0
	v_ldexp_f64 v[8:9], v[2:3], s0
	v_floor_f64_e32 v[8:9], v[8:9]
	v_fmac_f64_e32 v[2:3], 0xc1f00000, v[8:9]
	v_cvt_i32_f64_e32 v11, v[8:9]
	v_cvt_u32_f64_e32 v10, v[2:3]
	global_store_dwordx2 v[4:5], v[10:11], off
	s_mov_b64 s[0:1], 0
.LBB6_2943:
	s_andn2_b64 vcc, exec, s[0:1]
	s_cbranch_vccnz .LBB6_2945
; %bb.2944:
	v_cvt_i32_f64_e32 v2, v[0:1]
	global_store_dword v[4:5], v2, off
.LBB6_2945:
	s_mov_b64 s[0:1], 0
.LBB6_2946:
	s_andn2_b64 vcc, exec, s[0:1]
	s_cbranch_vccnz .LBB6_2948
; %bb.2947:
	v_cvt_i32_f64_e32 v2, v[0:1]
	global_store_short v[4:5], v2, off
.LBB6_2948:
	s_mov_b64 s[0:1], 0
.LBB6_2949:
	s_andn2_b64 vcc, exec, s[0:1]
	s_cbranch_vccnz .LBB6_2954
; %bb.2950:
	v_mov_b32_e32 v2, 0
	v_cmp_gt_i16_sdwa s[2:3], v18, v2 src0_sel:BYTE_0 src1_sel:DWORD
	s_mov_b64 s[0:1], -1
	s_and_b64 vcc, exec, s[2:3]
	s_cbranch_vccz .LBB6_2952
; %bb.2951:
	v_cvt_i32_f64_e32 v2, v[0:1]
	global_store_byte v[4:5], v2, off
	s_mov_b64 s[0:1], 0
.LBB6_2952:
	s_andn2_b64 vcc, exec, s[0:1]
	s_cbranch_vccnz .LBB6_2954
; %bb.2953:
	v_trunc_f64_e32 v[0:1], v[0:1]
	s_movk_i32 s0, 0xffe0
	v_ldexp_f64 v[2:3], v[0:1], s0
	v_floor_f64_e32 v[2:3], v[2:3]
	v_fmac_f64_e32 v[0:1], 0xc1f00000, v[2:3]
	v_cvt_u32_f64_e32 v0, v[0:1]
	global_store_byte v[4:5], v0, off
.LBB6_2954:
	s_mov_b64 s[10:11], -1
.LBB6_2955:
	s_andn2_b64 vcc, exec, s[10:11]
	s_cbranch_vccnz .LBB6_3032
; %bb.2956:
	v_div_scale_f64 v[0:1], s[0:1], v[14:15], v[14:15], v[12:13]
	v_rcp_f64_e32 v[2:3], v[0:1]
	v_div_scale_f64 v[4:5], vcc, v[12:13], v[14:15], v[12:13]
	s_mov_b32 s0, 0
	v_fma_f64 v[8:9], -v[0:1], v[2:3], 1.0
	v_fmac_f64_e32 v[2:3], v[2:3], v[8:9]
	v_fma_f64 v[8:9], -v[0:1], v[2:3], 1.0
	v_fmac_f64_e32 v[2:3], v[2:3], v[8:9]
	v_mul_f64 v[8:9], v[4:5], v[2:3]
	v_fma_f64 v[0:1], -v[0:1], v[8:9], v[4:5]
	v_div_fmas_f64 v[0:1], v[0:1], v[2:3], v[8:9]
	v_div_fixup_f64 v[0:1], v[0:1], v[14:15], v[12:13]
	s_mov_b32 s1, 0x100000
	v_mov_b32_e32 v2, 0x100000
	v_cmp_ngt_f64_e32 vcc, s[0:1], v[0:1]
	s_mov_b32 s0, -2
	v_cndmask_b32_e32 v1, v2, v1, vcc
	v_cndmask_b32_e32 v0, 0, v0, vcc
	s_mov_b32 s1, 0x3fefffff
	v_mov_b32_e32 v2, 0x3fefffff
	v_cmp_nlt_f64_e32 vcc, s[0:1], v[0:1]
	v_cndmask_b32_e32 v1, v2, v1, vcc
	v_add_u32_e32 v2, s16, v6
	v_cndmask_b32_e32 v0, -2, v0, vcc
	v_ashrrev_i32_e32 v3, 31, v2
	v_mov_b32_e32 v5, s9
	v_add_co_u32_e32 v4, vcc, s8, v2
	v_addc_co_u32_e32 v5, vcc, v5, v3, vcc
	v_and_b32_e32 v6, 0xff, v18
	v_cmp_gt_i16_e32 vcc, 11, v6
	s_cbranch_vccnz .LBB6_3077
; %bb.2957:
	v_cmp_lt_i16_e32 vcc, 25, v6
	s_mov_b64 s[8:9], -1
	s_mov_b64 s[2:3], 0
	s_mov_b64 s[0:1], 0
	s_cbranch_vccz .LBB6_2990
; %bb.2958:
	v_cmp_lt_i16_e32 vcc, 28, v6
	s_cbranch_vccz .LBB6_2974
; %bb.2959:
	v_cmp_lt_i16_e32 vcc, 43, v6
	;; [unrolled: 3-line block ×3, first 2 shown]
	s_cbranch_vccz .LBB6_2964
; %bb.2961:
	v_cmp_eq_u16_e32 vcc, 46, v6
	s_mov_b64 s[0:1], -1
	s_cbranch_vccz .LBB6_2963
; %bb.2962:
	v_cvt_f32_f64_e32 v2, v[0:1]
	v_bfe_u32 v3, v2, 16, 1
	s_movk_i32 s0, 0x7fff
	v_add3_u32 v3, v2, v3, s0
	v_lshrrev_b32_e32 v3, 16, v3
	v_mov_b32_e32 v7, 0x7fc0
	v_cmp_o_f32_e32 vcc, v2, v2
	v_cndmask_b32_e32 v2, v7, v3, vcc
	global_store_dword v[4:5], v2, off
	s_mov_b64 s[0:1], 0
.LBB6_2963:
	s_mov_b64 s[8:9], 0
.LBB6_2964:
	s_and_b64 vcc, exec, s[8:9]
	s_cbranch_vccz .LBB6_2969
; %bb.2965:
	v_cmp_eq_u16_e32 vcc, 44, v6
	s_mov_b64 s[0:1], -1
	s_cbranch_vccz .LBB6_2969
; %bb.2966:
	v_cvt_f32_f64_e32 v2, v[0:1]
	v_bfe_u32 v3, v2, 23, 8
	s_movk_i32 s0, 0xff
	v_cmp_ne_u32_e32 vcc, s0, v3
	v_mov_b32_e32 v7, 0xff
	s_and_saveexec_b64 s[8:9], vcc
; %bb.2967:
	s_mov_b32 s0, 0x3fffff
	v_lshrrev_b32_e32 v7, 23, v2
	v_and_b32_e32 v8, 0x400000, v2
	v_and_or_b32 v2, v2, s0, v3
	v_cmp_ne_u32_e32 vcc, 0, v8
	v_cmp_ne_u32_e64 s[0:1], 0, v2
	s_and_b64 s[0:1], vcc, s[0:1]
	v_cndmask_b32_e64 v2, 0, 1, s[0:1]
	v_add_u32_e32 v7, v7, v2
; %bb.2968:
	s_or_b64 exec, exec, s[8:9]
	s_mov_b64 s[0:1], 0
	global_store_byte v[4:5], v7, off
.LBB6_2969:
	s_mov_b64 s[8:9], 0
.LBB6_2970:
	s_and_b64 vcc, exec, s[8:9]
	s_cbranch_vccz .LBB6_2973
; %bb.2971:
	v_cmp_eq_u16_e32 vcc, 29, v6
	s_mov_b64 s[0:1], -1
	s_cbranch_vccz .LBB6_2973
; %bb.2972:
	v_trunc_f64_e32 v[2:3], v[0:1]
	s_movk_i32 s0, 0xffe0
	v_ldexp_f64 v[8:9], v[2:3], s0
	v_floor_f64_e32 v[8:9], v[8:9]
	v_fmac_f64_e32 v[2:3], 0xc1f00000, v[8:9]
	v_cvt_u32_f64_e32 v11, v[8:9]
	v_cvt_u32_f64_e32 v10, v[2:3]
	global_store_dwordx2 v[4:5], v[10:11], off
	s_mov_b64 s[0:1], 0
.LBB6_2973:
	s_mov_b64 s[8:9], 0
.LBB6_2974:
	s_and_b64 vcc, exec, s[8:9]
	s_cbranch_vccz .LBB6_2989
; %bb.2975:
	v_cmp_gt_i16_e32 vcc, 27, v6
	s_mov_b64 s[8:9], -1
	s_cbranch_vccnz .LBB6_2981
; %bb.2976:
	v_cmp_lt_i16_e32 vcc, 27, v6
	v_cvt_u32_f64_e32 v2, v[0:1]
	s_cbranch_vccz .LBB6_2978
; %bb.2977:
	global_store_dword v[4:5], v2, off
	s_mov_b64 s[8:9], 0
.LBB6_2978:
	s_andn2_b64 vcc, exec, s[8:9]
	s_cbranch_vccnz .LBB6_2980
; %bb.2979:
	global_store_short v[4:5], v2, off
.LBB6_2980:
	s_mov_b64 s[8:9], 0
.LBB6_2981:
	s_andn2_b64 vcc, exec, s[8:9]
	s_cbranch_vccnz .LBB6_2989
; %bb.2982:
	v_cvt_f32_f64_e32 v2, v[0:1]
	v_and_b32_e32 v3, 0x7fffffff, v2
	s_mov_b32 s8, 0x43800000
	v_cmp_gt_u32_e32 vcc, s8, v3
	v_mov_b32_e32 v7, 0x80
	s_and_saveexec_b64 s[8:9], vcc
	s_cbranch_execz .LBB6_2988
; %bb.2983:
	s_mov_b32 s10, 0x3bffffff
	v_cmp_lt_u32_e32 vcc, s10, v3
	s_mov_b64 s[10:11], 0
                                        ; implicit-def: $vgpr3
	s_and_saveexec_b64 s[12:13], vcc
	s_xor_b64 s[12:13], exec, s[12:13]
	s_cbranch_execz .LBB6_3083
; %bb.2984:
	v_bfe_u32 v3, v2, 20, 1
	s_mov_b32 s14, 0x487ffff
	v_add3_u32 v3, v2, v3, s14
	s_mov_b64 s[10:11], exec
	v_lshrrev_b32_e32 v3, 20, v3
	s_or_saveexec_b64 s[12:13], s[12:13]
                                        ; implicit-def: $sgpr14
	s_xor_b64 exec, exec, s[12:13]
	s_cbranch_execnz .LBB6_3084
.LBB6_2985:
	s_or_b64 exec, exec, s[12:13]
	v_mov_b32_e32 v7, s14
	s_and_saveexec_b64 s[12:13], s[10:11]
.LBB6_2986:
	v_lshrrev_b32_e32 v2, 24, v2
	s_movk_i32 s10, 0x80
	v_and_or_b32 v7, v2, s10, v3
.LBB6_2987:
	s_or_b64 exec, exec, s[12:13]
.LBB6_2988:
	s_or_b64 exec, exec, s[8:9]
	global_store_byte v[4:5], v7, off
.LBB6_2989:
	s_mov_b64 s[8:9], 0
.LBB6_2990:
	s_and_b64 vcc, exec, s[8:9]
	s_cbranch_vccz .LBB6_3030
; %bb.2991:
	v_cmp_lt_i16_e32 vcc, 22, v6
	s_mov_b64 s[2:3], -1
	s_cbranch_vccz .LBB6_3023
; %bb.2992:
	v_cmp_gt_i16_e32 vcc, 24, v6
	s_cbranch_vccnz .LBB6_3012
; %bb.2993:
	v_cmp_lt_i16_e32 vcc, 24, v6
	s_cbranch_vccz .LBB6_3001
; %bb.2994:
	v_cvt_f32_f64_e32 v2, v[0:1]
	v_and_b32_e32 v3, 0x7fffffff, v2
	s_mov_b32 s2, 0x47800000
	v_cmp_gt_u32_e32 vcc, s2, v3
	v_mov_b32_e32 v7, 0x80
	s_and_saveexec_b64 s[2:3], vcc
	s_cbranch_execz .LBB6_3000
; %bb.2995:
	s_mov_b32 s8, 0x37ffffff
	v_cmp_lt_u32_e32 vcc, s8, v3
	s_mov_b64 s[8:9], 0
                                        ; implicit-def: $vgpr3
	s_and_saveexec_b64 s[10:11], vcc
	s_xor_b64 s[10:11], exec, s[10:11]
	s_cbranch_execz .LBB6_3086
; %bb.2996:
	v_bfe_u32 v3, v2, 21, 1
	s_mov_b32 s12, 0x88fffff
	v_add3_u32 v3, v2, v3, s12
	s_mov_b64 s[8:9], exec
	v_lshrrev_b32_e32 v3, 21, v3
	s_or_saveexec_b64 s[10:11], s[10:11]
                                        ; implicit-def: $sgpr12
	s_xor_b64 exec, exec, s[10:11]
	s_cbranch_execnz .LBB6_3087
.LBB6_2997:
	s_or_b64 exec, exec, s[10:11]
	v_mov_b32_e32 v7, s12
	s_and_saveexec_b64 s[10:11], s[8:9]
.LBB6_2998:
	v_lshrrev_b32_e32 v2, 24, v2
	s_movk_i32 s8, 0x80
	v_and_or_b32 v7, v2, s8, v3
.LBB6_2999:
	s_or_b64 exec, exec, s[10:11]
.LBB6_3000:
	s_or_b64 exec, exec, s[2:3]
	s_mov_b64 s[2:3], 0
	global_store_byte v[4:5], v7, off
.LBB6_3001:
	s_and_b64 vcc, exec, s[2:3]
	s_cbranch_vccz .LBB6_3011
; %bb.3002:
	v_cvt_f32_f64_e32 v2, v[0:1]
	v_and_b32_e32 v7, 0x7fffffff, v2
	s_mov_b32 s2, 0x43f00000
	v_cmp_gt_u32_e32 vcc, s2, v7
                                        ; implicit-def: $vgpr3
	s_and_saveexec_b64 s[2:3], vcc
	s_xor_b64 s[2:3], exec, s[2:3]
	s_cbranch_execz .LBB6_3008
; %bb.3003:
	s_mov_b32 s8, 0x3c7fffff
	v_cmp_lt_u32_e32 vcc, s8, v7
                                        ; implicit-def: $vgpr3
	s_and_saveexec_b64 s[8:9], vcc
	s_xor_b64 s[8:9], exec, s[8:9]
; %bb.3004:
	v_bfe_u32 v3, v2, 20, 1
	s_mov_b32 s10, 0x407ffff
	v_add3_u32 v3, v2, v3, s10
	v_lshrrev_b32_e32 v7, 20, v3
	v_and_b32_e32 v3, 0xff00000, v3
	s_mov_b32 s10, 0x7f00000
	v_mov_b32_e32 v8, 0x7e
	v_cmp_ne_u32_e32 vcc, s10, v3
	v_cndmask_b32_e32 v3, v8, v7, vcc
; %bb.3005:
	s_andn2_saveexec_b64 s[8:9], s[8:9]
; %bb.3006:
	s_mov_b32 s10, 0x46800000
	v_add_f32_e64 v3, |v2|, s10
; %bb.3007:
	s_or_b64 exec, exec, s[8:9]
                                        ; implicit-def: $vgpr7
.LBB6_3008:
	s_andn2_saveexec_b64 s[2:3], s[2:3]
; %bb.3009:
	s_mov_b32 s8, 0x7f800000
	v_mov_b32_e32 v3, 0x7e
	v_mov_b32_e32 v8, 0x7f
	v_cmp_lt_u32_e32 vcc, s8, v7
	v_cndmask_b32_e32 v3, v3, v8, vcc
; %bb.3010:
	s_or_b64 exec, exec, s[2:3]
	v_lshrrev_b32_e32 v2, 24, v2
	s_movk_i32 s2, 0x80
	v_and_or_b32 v2, v2, s2, v3
	global_store_byte v[4:5], v2, off
.LBB6_3011:
	s_mov_b64 s[2:3], 0
.LBB6_3012:
	s_andn2_b64 vcc, exec, s[2:3]
	s_cbranch_vccnz .LBB6_3022
; %bb.3013:
	v_cvt_f32_f64_e32 v2, v[0:1]
	v_and_b32_e32 v7, 0x7fffffff, v2
	s_mov_b32 s2, 0x47800000
	v_cmp_gt_u32_e32 vcc, s2, v7
                                        ; implicit-def: $vgpr3
	s_and_saveexec_b64 s[2:3], vcc
	s_xor_b64 s[2:3], exec, s[2:3]
	s_cbranch_execz .LBB6_3019
; %bb.3014:
	s_mov_b32 s8, 0x387fffff
	v_cmp_lt_u32_e32 vcc, s8, v7
                                        ; implicit-def: $vgpr3
	s_and_saveexec_b64 s[8:9], vcc
	s_xor_b64 s[8:9], exec, s[8:9]
; %bb.3015:
	v_bfe_u32 v3, v2, 21, 1
	s_mov_b32 s10, 0x80fffff
	v_add3_u32 v3, v2, v3, s10
	v_lshrrev_b32_e32 v3, 21, v3
; %bb.3016:
	s_andn2_saveexec_b64 s[8:9], s[8:9]
; %bb.3017:
	s_mov_b32 s10, 0x43000000
	v_add_f32_e64 v3, |v2|, s10
; %bb.3018:
	s_or_b64 exec, exec, s[8:9]
                                        ; implicit-def: $vgpr7
.LBB6_3019:
	s_andn2_saveexec_b64 s[2:3], s[2:3]
; %bb.3020:
	s_mov_b32 s8, 0x7f800000
	v_mov_b32_e32 v3, 0x7c
	v_mov_b32_e32 v8, 0x7f
	v_cmp_lt_u32_e32 vcc, s8, v7
	v_cndmask_b32_e32 v3, v3, v8, vcc
; %bb.3021:
	s_or_b64 exec, exec, s[2:3]
	v_lshrrev_b32_e32 v2, 24, v2
	s_movk_i32 s2, 0x80
	v_and_or_b32 v2, v2, s2, v3
	global_store_byte v[4:5], v2, off
.LBB6_3022:
	s_mov_b64 s[2:3], 0
.LBB6_3023:
	s_andn2_b64 vcc, exec, s[2:3]
	s_mov_b64 s[2:3], 0
	s_cbranch_vccnz .LBB6_3030
; %bb.3024:
	v_cmp_lt_i16_e32 vcc, 14, v6
	s_mov_b64 s[8:9], -1
	s_cbranch_vccz .LBB6_3028
; %bb.3025:
	v_cmp_eq_u16_e32 vcc, 15, v6
	s_mov_b64 s[0:1], -1
	s_cbranch_vccz .LBB6_3027
; %bb.3026:
	v_cvt_f32_f64_e32 v2, v[0:1]
	v_bfe_u32 v3, v2, 16, 1
	s_movk_i32 s0, 0x7fff
	v_add3_u32 v3, v2, v3, s0
	v_lshrrev_b32_e32 v3, 16, v3
	v_mov_b32_e32 v7, 0x7fc0
	v_cmp_o_f32_e32 vcc, v2, v2
	v_cndmask_b32_e32 v2, v7, v3, vcc
	global_store_short v[4:5], v2, off
	s_mov_b64 s[0:1], 0
.LBB6_3027:
	s_mov_b64 s[8:9], 0
.LBB6_3028:
	s_and_b64 vcc, exec, s[8:9]
	s_cbranch_vccz .LBB6_3030
; %bb.3029:
	v_cmp_ne_u16_e64 s[0:1], 11, v6
	s_mov_b64 s[2:3], -1
.LBB6_3030:
	s_and_b64 vcc, exec, s[0:1]
	s_cbranch_vccnz .LBB6_3085
.LBB6_3031:
	s_mov_b64 s[0:1], 0
	s_branch .LBB6_3033
.LBB6_3032:
	s_mov_b64 s[0:1], 0
	s_mov_b64 s[2:3], 0
                                        ; implicit-def: $vgpr6
                                        ; implicit-def: $vgpr4_vgpr5
                                        ; implicit-def: $vgpr0_vgpr1
.LBB6_3033:
	s_and_b64 s[16:17], s[2:3], exec
	s_andn2_b64 s[2:3], s[6:7], exec
	s_and_b64 s[6:7], s[18:19], exec
	s_and_b64 s[0:1], s[0:1], exec
	s_or_b64 s[6:7], s[2:3], s[6:7]
.LBB6_3034:
	s_or_b64 exec, exec, s[4:5]
	s_and_saveexec_b64 s[2:3], s[6:7]
	s_cbranch_execz .LBB6_3037
; %bb.3035:
	; divergent unreachable
	s_or_b64 exec, exec, s[2:3]
	s_and_saveexec_b64 s[2:3], s[16:17]
	s_xor_b64 s[2:3], exec, s[2:3]
	s_cbranch_execnz .LBB6_3038
.LBB6_3036:
	s_or_b64 exec, exec, s[2:3]
	s_and_saveexec_b64 s[2:3], s[0:1]
	s_cbranch_execnz .LBB6_3039
	s_branch .LBB6_3076
.LBB6_3037:
	s_or_b64 exec, exec, s[2:3]
	s_and_saveexec_b64 s[2:3], s[16:17]
	s_xor_b64 s[2:3], exec, s[2:3]
	s_cbranch_execz .LBB6_3036
.LBB6_3038:
	s_waitcnt vmcnt(0)
	v_mov_b32_e32 v2, 1
	global_store_byte v[4:5], v2, off
	s_or_b64 exec, exec, s[2:3]
	s_and_saveexec_b64 s[2:3], s[0:1]
	s_cbranch_execz .LBB6_3076
.LBB6_3039:
	s_waitcnt vmcnt(0)
	v_cmp_gt_i16_e32 vcc, 5, v6
	s_mov_b64 s[0:1], -1
	s_cbranch_vccnz .LBB6_3060
; %bb.3040:
	v_cmp_gt_i16_e32 vcc, 8, v6
	s_cbranch_vccnz .LBB6_3050
; %bb.3041:
	v_cmp_gt_i16_e32 vcc, 9, v6
	s_cbranch_vccnz .LBB6_3047
; %bb.3042:
	v_cmp_lt_i16_e32 vcc, 9, v6
	s_cbranch_vccz .LBB6_3044
; %bb.3043:
	v_mov_b32_e32 v2, 0
	v_mov_b32_e32 v3, v2
	global_store_dwordx4 v[4:5], v[0:3], off
	s_mov_b64 s[0:1], 0
.LBB6_3044:
	s_andn2_b64 vcc, exec, s[0:1]
	s_cbranch_vccnz .LBB6_3046
; %bb.3045:
	v_cvt_f32_f64_e32 v2, v[0:1]
	v_mov_b32_e32 v3, 0
	global_store_dwordx2 v[4:5], v[2:3], off
.LBB6_3046:
	s_mov_b64 s[0:1], 0
.LBB6_3047:
	s_andn2_b64 vcc, exec, s[0:1]
	s_cbranch_vccnz .LBB6_3049
; %bb.3048:
	v_cvt_f32_f64_e32 v2, v[0:1]
	v_cvt_f16_f32_e32 v2, v2
	global_store_dword v[4:5], v2, off
.LBB6_3049:
	s_mov_b64 s[0:1], 0
.LBB6_3050:
	s_andn2_b64 vcc, exec, s[0:1]
	s_cbranch_vccnz .LBB6_3059
; %bb.3051:
	v_cmp_gt_i16_e32 vcc, 6, v6
	s_mov_b64 s[0:1], -1
	s_cbranch_vccnz .LBB6_3057
; %bb.3052:
	v_cmp_lt_i16_e32 vcc, 6, v6
	s_cbranch_vccz .LBB6_3054
; %bb.3053:
	global_store_dwordx2 v[4:5], v[0:1], off
	s_mov_b64 s[0:1], 0
.LBB6_3054:
	s_andn2_b64 vcc, exec, s[0:1]
	s_cbranch_vccnz .LBB6_3056
; %bb.3055:
	v_cvt_f32_f64_e32 v2, v[0:1]
	global_store_dword v[4:5], v2, off
.LBB6_3056:
	s_mov_b64 s[0:1], 0
.LBB6_3057:
	s_andn2_b64 vcc, exec, s[0:1]
	s_cbranch_vccnz .LBB6_3059
; %bb.3058:
	v_cvt_f32_f64_e32 v2, v[0:1]
	v_cvt_f16_f32_e32 v2, v2
	global_store_short v[4:5], v2, off
.LBB6_3059:
	s_mov_b64 s[0:1], 0
.LBB6_3060:
	s_andn2_b64 vcc, exec, s[0:1]
	s_cbranch_vccnz .LBB6_3076
; %bb.3061:
	v_cmp_gt_i16_e32 vcc, 2, v6
	s_mov_b64 s[0:1], -1
	s_cbranch_vccnz .LBB6_3071
; %bb.3062:
	v_cmp_gt_i16_e32 vcc, 3, v6
	s_cbranch_vccnz .LBB6_3068
; %bb.3063:
	v_cmp_lt_i16_e32 vcc, 3, v6
	s_cbranch_vccz .LBB6_3065
; %bb.3064:
	v_trunc_f64_e32 v[2:3], v[0:1]
	s_movk_i32 s0, 0xffe0
	v_ldexp_f64 v[8:9], v[2:3], s0
	v_floor_f64_e32 v[8:9], v[8:9]
	v_fmac_f64_e32 v[2:3], 0xc1f00000, v[8:9]
	v_cvt_i32_f64_e32 v11, v[8:9]
	v_cvt_u32_f64_e32 v10, v[2:3]
	global_store_dwordx2 v[4:5], v[10:11], off
	s_mov_b64 s[0:1], 0
.LBB6_3065:
	s_andn2_b64 vcc, exec, s[0:1]
	s_cbranch_vccnz .LBB6_3067
; %bb.3066:
	v_cvt_i32_f64_e32 v2, v[0:1]
	global_store_dword v[4:5], v2, off
.LBB6_3067:
	s_mov_b64 s[0:1], 0
.LBB6_3068:
	s_andn2_b64 vcc, exec, s[0:1]
	s_cbranch_vccnz .LBB6_3070
; %bb.3069:
	v_cvt_i32_f64_e32 v2, v[0:1]
	global_store_short v[4:5], v2, off
.LBB6_3070:
	s_mov_b64 s[0:1], 0
.LBB6_3071:
	s_andn2_b64 vcc, exec, s[0:1]
	s_cbranch_vccnz .LBB6_3076
; %bb.3072:
	v_cmp_lt_i16_e32 vcc, 0, v6
	s_mov_b64 s[0:1], -1
	s_cbranch_vccz .LBB6_3074
; %bb.3073:
	v_cvt_i32_f64_e32 v2, v[0:1]
	global_store_byte v[4:5], v2, off
	s_mov_b64 s[0:1], 0
.LBB6_3074:
	s_andn2_b64 vcc, exec, s[0:1]
	s_cbranch_vccnz .LBB6_3076
; %bb.3075:
	v_trunc_f64_e32 v[0:1], v[0:1]
	s_movk_i32 s0, 0xffe0
	v_ldexp_f64 v[2:3], v[0:1], s0
	v_floor_f64_e32 v[2:3], v[2:3]
	v_fmac_f64_e32 v[0:1], 0xc1f00000, v[2:3]
	v_cvt_u32_f64_e32 v0, v[0:1]
	global_store_byte v[4:5], v0, off
	s_endpgm
.LBB6_3076:
	s_endpgm
.LBB6_3077:
	s_mov_b64 s[2:3], 0
	s_mov_b64 s[0:1], -1
	s_branch .LBB6_3033
.LBB6_3078:
	s_or_saveexec_b64 s[14:15], s[14:15]
                                        ; implicit-def: $sgpr17
	s_xor_b64 exec, exec, s[14:15]
	s_cbranch_execz .LBB6_2866
.LBB6_3079:
	s_mov_b32 s17, 0x46000000
	v_add_f32_e64 v3, |v2|, s17
	v_and_b32_e32 v3, 0xff, v3
	v_cmp_ne_u32_e32 vcc, 0, v3
	s_andn2_b64 s[12:13], s[12:13], exec
	s_and_b64 s[20:21], vcc, exec
	s_mov_b32 s17, 0
	s_or_b64 s[12:13], s[12:13], s[20:21]
	s_or_b64 exec, exec, s[14:15]
	v_mov_b32_e32 v7, s17
	s_and_saveexec_b64 s[14:15], s[12:13]
	s_cbranch_execnz .LBB6_2867
	s_branch .LBB6_2868
.LBB6_3080:
	s_trap 2
	s_or_b64 s[18:19], s[18:19], exec
	s_cbranch_execz .LBB6_2914
	s_branch .LBB6_2915
.LBB6_3081:
	s_or_saveexec_b64 s[12:13], s[12:13]
                                        ; implicit-def: $sgpr14
	s_xor_b64 exec, exec, s[12:13]
	s_cbranch_execz .LBB6_2879
.LBB6_3082:
	s_mov_b32 s14, 0x42800000
	v_add_f32_e64 v3, |v2|, s14
	v_and_b32_e32 v3, 0xff, v3
	v_cmp_ne_u32_e32 vcc, 0, v3
	s_andn2_b64 s[10:11], s[10:11], exec
	s_and_b64 s[20:21], vcc, exec
	s_mov_b32 s14, 0
	s_or_b64 s[10:11], s[10:11], s[20:21]
	s_or_b64 exec, exec, s[12:13]
	v_mov_b32_e32 v7, s14
	s_and_saveexec_b64 s[12:13], s[10:11]
	s_cbranch_execnz .LBB6_2880
	s_branch .LBB6_2881
.LBB6_3083:
	s_or_saveexec_b64 s[12:13], s[12:13]
                                        ; implicit-def: $sgpr14
	s_xor_b64 exec, exec, s[12:13]
	s_cbranch_execz .LBB6_2985
.LBB6_3084:
	s_mov_b32 s14, 0x46000000
	v_add_f32_e64 v3, |v2|, s14
	v_and_b32_e32 v3, 0xff, v3
	v_cmp_ne_u32_e32 vcc, 0, v3
	s_andn2_b64 s[10:11], s[10:11], exec
	s_and_b64 s[16:17], vcc, exec
	s_mov_b32 s14, 0
	s_or_b64 s[10:11], s[10:11], s[16:17]
	s_or_b64 exec, exec, s[12:13]
	v_mov_b32_e32 v7, s14
	s_and_saveexec_b64 s[12:13], s[10:11]
	s_cbranch_execnz .LBB6_2986
	s_branch .LBB6_2987
.LBB6_3085:
	s_mov_b64 s[2:3], 0
	s_or_b64 s[18:19], s[18:19], exec
	s_trap 2
	s_branch .LBB6_3031
.LBB6_3086:
	s_or_saveexec_b64 s[10:11], s[10:11]
                                        ; implicit-def: $sgpr12
	s_xor_b64 exec, exec, s[10:11]
	s_cbranch_execz .LBB6_2997
.LBB6_3087:
	s_mov_b32 s12, 0x42800000
	v_add_f32_e64 v3, |v2|, s12
	v_and_b32_e32 v3, 0xff, v3
	v_cmp_ne_u32_e32 vcc, 0, v3
	s_andn2_b64 s[8:9], s[8:9], exec
	s_and_b64 s[14:15], vcc, exec
	s_mov_b32 s12, 0
	s_or_b64 s[8:9], s[8:9], s[14:15]
	s_or_b64 exec, exec, s[10:11]
	v_mov_b32_e32 v7, s12
	s_and_saveexec_b64 s[10:11], s[8:9]
	s_cbranch_execnz .LBB6_2998
	s_branch .LBB6_2999
	.section	.rodata,"a",@progbits
	.p2align	6, 0x0
	.amdhsa_kernel _ZN2at6native32elementwise_kernel_manual_unrollILi128ELi4EZNS0_15gpu_kernel_implIZZZNS0_23launch_dirichlet_kernelERNS_18TensorIteratorBaseEENKUlvE_clEvENKUlvE_clEvEUlddE_EEvS4_RKT_EUlibE_EEviT1_
		.amdhsa_group_segment_fixed_size 0
		.amdhsa_private_segment_fixed_size 0
		.amdhsa_kernarg_size 48
		.amdhsa_user_sgpr_count 6
		.amdhsa_user_sgpr_private_segment_buffer 1
		.amdhsa_user_sgpr_dispatch_ptr 0
		.amdhsa_user_sgpr_queue_ptr 0
		.amdhsa_user_sgpr_kernarg_segment_ptr 1
		.amdhsa_user_sgpr_dispatch_id 0
		.amdhsa_user_sgpr_flat_scratch_init 0
		.amdhsa_user_sgpr_kernarg_preload_length 0
		.amdhsa_user_sgpr_kernarg_preload_offset 0
		.amdhsa_user_sgpr_private_segment_size 0
		.amdhsa_uses_dynamic_stack 0
		.amdhsa_system_sgpr_private_segment_wavefront_offset 0
		.amdhsa_system_sgpr_workgroup_id_x 1
		.amdhsa_system_sgpr_workgroup_id_y 0
		.amdhsa_system_sgpr_workgroup_id_z 0
		.amdhsa_system_sgpr_workgroup_info 0
		.amdhsa_system_vgpr_workitem_id 0
		.amdhsa_next_free_vgpr 26
		.amdhsa_next_free_sgpr 54
		.amdhsa_accum_offset 28
		.amdhsa_reserve_vcc 1
		.amdhsa_reserve_flat_scratch 0
		.amdhsa_float_round_mode_32 0
		.amdhsa_float_round_mode_16_64 0
		.amdhsa_float_denorm_mode_32 3
		.amdhsa_float_denorm_mode_16_64 3
		.amdhsa_dx10_clamp 1
		.amdhsa_ieee_mode 1
		.amdhsa_fp16_overflow 0
		.amdhsa_tg_split 0
		.amdhsa_exception_fp_ieee_invalid_op 0
		.amdhsa_exception_fp_denorm_src 0
		.amdhsa_exception_fp_ieee_div_zero 0
		.amdhsa_exception_fp_ieee_overflow 0
		.amdhsa_exception_fp_ieee_underflow 0
		.amdhsa_exception_fp_ieee_inexact 0
		.amdhsa_exception_int_div_zero 0
	.end_amdhsa_kernel
	.section	.text._ZN2at6native32elementwise_kernel_manual_unrollILi128ELi4EZNS0_15gpu_kernel_implIZZZNS0_23launch_dirichlet_kernelERNS_18TensorIteratorBaseEENKUlvE_clEvENKUlvE_clEvEUlddE_EEvS4_RKT_EUlibE_EEviT1_,"axG",@progbits,_ZN2at6native32elementwise_kernel_manual_unrollILi128ELi4EZNS0_15gpu_kernel_implIZZZNS0_23launch_dirichlet_kernelERNS_18TensorIteratorBaseEENKUlvE_clEvENKUlvE_clEvEUlddE_EEvS4_RKT_EUlibE_EEviT1_,comdat
.Lfunc_end6:
	.size	_ZN2at6native32elementwise_kernel_manual_unrollILi128ELi4EZNS0_15gpu_kernel_implIZZZNS0_23launch_dirichlet_kernelERNS_18TensorIteratorBaseEENKUlvE_clEvENKUlvE_clEvEUlddE_EEvS4_RKT_EUlibE_EEviT1_, .Lfunc_end6-_ZN2at6native32elementwise_kernel_manual_unrollILi128ELi4EZNS0_15gpu_kernel_implIZZZNS0_23launch_dirichlet_kernelERNS_18TensorIteratorBaseEENKUlvE_clEvENKUlvE_clEvEUlddE_EEvS4_RKT_EUlibE_EEviT1_
                                        ; -- End function
	.section	.AMDGPU.csdata,"",@progbits
; Kernel info:
; codeLenInByte = 55172
; NumSgprs: 58
; NumVgprs: 26
; NumAgprs: 0
; TotalNumVgprs: 26
; ScratchSize: 0
; MemoryBound: 1
; FloatMode: 240
; IeeeMode: 1
; LDSByteSize: 0 bytes/workgroup (compile time only)
; SGPRBlocks: 7
; VGPRBlocks: 3
; NumSGPRsForWavesPerEU: 58
; NumVGPRsForWavesPerEU: 26
; AccumOffset: 28
; Occupancy: 8
; WaveLimiterHint : 0
; COMPUTE_PGM_RSRC2:SCRATCH_EN: 0
; COMPUTE_PGM_RSRC2:USER_SGPR: 6
; COMPUTE_PGM_RSRC2:TRAP_HANDLER: 0
; COMPUTE_PGM_RSRC2:TGID_X_EN: 1
; COMPUTE_PGM_RSRC2:TGID_Y_EN: 0
; COMPUTE_PGM_RSRC2:TGID_Z_EN: 0
; COMPUTE_PGM_RSRC2:TIDIG_COMP_CNT: 0
; COMPUTE_PGM_RSRC3_GFX90A:ACCUM_OFFSET: 6
; COMPUTE_PGM_RSRC3_GFX90A:TG_SPLIT: 0
	.section	.text._ZN2at6native32elementwise_kernel_manual_unrollILi128ELi4EZNS0_15gpu_kernel_implIZZZNS0_23launch_dirichlet_kernelERNS_18TensorIteratorBaseEENKUlvE_clEvENKUlvE_clEvEUlddE_EEvS4_RKT_EUlibE0_EEviT1_,"axG",@progbits,_ZN2at6native32elementwise_kernel_manual_unrollILi128ELi4EZNS0_15gpu_kernel_implIZZZNS0_23launch_dirichlet_kernelERNS_18TensorIteratorBaseEENKUlvE_clEvENKUlvE_clEvEUlddE_EEvS4_RKT_EUlibE0_EEviT1_,comdat
	.globl	_ZN2at6native32elementwise_kernel_manual_unrollILi128ELi4EZNS0_15gpu_kernel_implIZZZNS0_23launch_dirichlet_kernelERNS_18TensorIteratorBaseEENKUlvE_clEvENKUlvE_clEvEUlddE_EEvS4_RKT_EUlibE0_EEviT1_ ; -- Begin function _ZN2at6native32elementwise_kernel_manual_unrollILi128ELi4EZNS0_15gpu_kernel_implIZZZNS0_23launch_dirichlet_kernelERNS_18TensorIteratorBaseEENKUlvE_clEvENKUlvE_clEvEUlddE_EEvS4_RKT_EUlibE0_EEviT1_
	.p2align	8
	.type	_ZN2at6native32elementwise_kernel_manual_unrollILi128ELi4EZNS0_15gpu_kernel_implIZZZNS0_23launch_dirichlet_kernelERNS_18TensorIteratorBaseEENKUlvE_clEvENKUlvE_clEvEUlddE_EEvS4_RKT_EUlibE0_EEviT1_,@function
_ZN2at6native32elementwise_kernel_manual_unrollILi128ELi4EZNS0_15gpu_kernel_implIZZZNS0_23launch_dirichlet_kernelERNS_18TensorIteratorBaseEENKUlvE_clEvENKUlvE_clEvEUlddE_EEvS4_RKT_EUlibE0_EEviT1_: ; @_ZN2at6native32elementwise_kernel_manual_unrollILi128ELi4EZNS0_15gpu_kernel_implIZZZNS0_23launch_dirichlet_kernelERNS_18TensorIteratorBaseEENKUlvE_clEvENKUlvE_clEvEUlddE_EEvS4_RKT_EUlibE0_EEviT1_
; %bb.0:
	s_load_dword s66, s[4:5], 0x0
	s_load_dword s33, s[4:5], 0x8
	s_or_b32 s2, s4, 8
	v_lshl_or_b32 v16, s6, 9, v0
	v_or_b32_e32 v24, 0x180, v16
	s_mov_b32 s3, s5
	s_waitcnt lgkmcnt(0)
	s_add_i32 s68, s33, -1
	s_cmp_gt_u32 s68, 1
	v_cmp_le_i32_e32 vcc, s66, v24
	s_cselect_b64 s[20:21], -1, 0
	s_mov_b64 s[6:7], 0
	s_mov_b64 s[12:13], 0
	s_and_saveexec_b64 s[0:1], vcc
	s_xor_b64 s[22:23], exec, s[0:1]
	s_cbranch_execz .LBB7_1585
; %bb.1:
	v_mov_b32_e32 v0, 0
	global_load_ushort v10, v0, s[2:3] offset:417
	global_load_sbyte v11, v0, s[2:3] offset:419
	s_load_dwordx4 s[16:19], s[2:3], 0x4
	s_load_dwordx2 s[28:29], s[2:3], 0x14
	s_load_dwordx4 s[12:15], s[2:3], 0xc4
	s_load_dwordx2 s[26:27], s[2:3], 0xd4
	s_load_dwordx2 s[24:25], s[2:3], 0x198
	s_load_dwordx4 s[8:11], s[2:3], 0x188
	s_cmp_lg_u32 s33, 0
	s_cselect_b64 s[34:35], -1, 0
	s_min_u32 s69, s68, 15
	s_cmp_gt_u32 s33, 1
	v_cmp_gt_i32_e32 vcc, s66, v16
	s_mov_b64 s[0:1], -1
	s_mov_b64 s[46:47], 0
	s_mov_b64 s[40:41], 0
	;; [unrolled: 1-line block ×3, first 2 shown]
	s_cselect_b64 s[30:31], -1, 0
	s_mov_b64 s[36:37], 0
	s_waitcnt vmcnt(1)
	v_lshrrev_b32_e32 v8, 8, v10
	s_and_saveexec_b64 s[42:43], vcc
	s_cbranch_execz .LBB7_393
; %bb.2:
	s_andn2_b64 vcc, exec, s[20:21]
	s_cbranch_vccnz .LBB7_9
; %bb.3:
	s_andn2_b64 vcc, exec, s[34:35]
	v_mov_b32_e32 v4, 0
	v_mov_b32_e32 v0, 0
	;; [unrolled: 1-line block ×3, first 2 shown]
	s_cbranch_vccnz .LBB7_8
; %bb.4:
	s_add_i32 s0, s69, 1
	s_and_b32 s36, s0, 30
	s_add_u32 s0, s2, 0xffffffec
	s_addc_u32 s1, s3, -1
	v_mov_b32_e32 v2, 0
	v_mov_b32_e32 v1, v16
	;; [unrolled: 1-line block ×4, first 2 shown]
.LBB7_5:                                ; =>This Inner Loop Header: Depth=1
	s_mov_b64 s[38:39], s[0:1]
	s_load_dwordx4 s[48:51], s[38:39], 0x18
	s_load_dwordx2 s[40:41], s[38:39], 0x28
	s_load_dwordx2 s[44:45], s[38:39], 0xe8
	s_load_dwordx4 s[52:55], s[38:39], 0xd8
	s_add_u32 s0, s38, 24
	s_waitcnt lgkmcnt(0)
	v_mul_hi_u32 v3, s49, v1
	v_add_u32_e32 v3, v1, v3
	v_lshrrev_b32_e32 v3, s50, v3
	v_mul_lo_u32 v5, v3, s48
	v_mul_hi_u32 v6, s40, v3
	v_sub_u32_e32 v1, v1, v5
	v_add_u32_e32 v5, v3, v6
	v_mul_lo_u32 v6, v1, s52
	v_mul_lo_u32 v7, v1, s53
	;; [unrolled: 1-line block ×3, first 2 shown]
	v_lshrrev_b32_e32 v1, s41, v5
	v_mul_lo_u32 v5, v1, s51
	v_sub_u32_e32 v3, v3, v5
	s_addc_u32 s1, s39, 0
	s_add_i32 s36, s36, -2
	v_mul_lo_u32 v5, v3, s55
	v_mul_lo_u32 v12, v3, s44
	v_mul_lo_u32 v3, v3, s45
	s_cmp_lg_u32 s36, 0
	v_add3_u32 v2, v6, v2, v5
	v_add3_u32 v4, v9, v4, v3
	;; [unrolled: 1-line block ×3, first 2 shown]
	s_cbranch_scc1 .LBB7_5
; %bb.6:
	s_bitcmp1_b32 s69, 0
	s_cselect_b64 s[36:37], -1, 0
	s_and_b64 vcc, exec, s[36:37]
	s_cbranch_vccnz .LBB7_8
; %bb.7:
	s_load_dwordx2 s[36:37], s[0:1], 0x18
	s_load_dword s38, s[0:1], 0x20
	s_load_dword s39, s[0:1], 0xe0
	s_nop 0
	s_load_dwordx2 s[0:1], s[0:1], 0xd8
	s_waitcnt lgkmcnt(0)
	v_mul_hi_u32 v3, s37, v1
	v_add_u32_e32 v3, v1, v3
	v_lshrrev_b32_e32 v3, s38, v3
	v_mul_lo_u32 v3, v3, s36
	v_sub_u32_e32 v5, v1, v3
	v_mad_u64_u32 v[2:3], s[36:37], v5, s0, v[2:3]
	v_mad_u64_u32 v[0:1], s[0:1], v5, s1, v[0:1]
	;; [unrolled: 1-line block ×3, first 2 shown]
.LBB7_8:
	s_cbranch_execz .LBB7_10
	s_branch .LBB7_12
.LBB7_9:
                                        ; implicit-def: $vgpr4
                                        ; implicit-def: $vgpr0
                                        ; implicit-def: $vgpr2
	s_andn2_b64 vcc, exec, s[0:1]
	s_cbranch_vccnz .LBB7_12
.LBB7_10:
	s_waitcnt lgkmcnt(0)
	v_mul_hi_u32 v0, s17, v16
	v_add_u32_e32 v0, v16, v0
	v_lshrrev_b32_e32 v1, s18, v0
	v_mul_lo_u32 v0, v1, s16
	v_sub_u32_e32 v0, v16, v0
	v_mul_lo_u32 v2, v0, s12
	v_mul_lo_u32 v4, v0, s14
	s_andn2_b64 vcc, exec, s[30:31]
	v_mul_lo_u32 v0, v0, s13
	s_cbranch_vccnz .LBB7_12
; %bb.11:
	v_mul_hi_u32 v3, s28, v1
	v_add_u32_e32 v3, v1, v3
	v_lshrrev_b32_e32 v3, s29, v3
	v_mul_lo_u32 v3, v3, s19
	v_sub_u32_e32 v5, v1, v3
	v_mad_u64_u32 v[2:3], s[0:1], v5, s15, v[2:3]
	v_mad_u64_u32 v[0:1], s[0:1], v5, s26, v[0:1]
	;; [unrolled: 1-line block ×3, first 2 shown]
.LBB7_12:
	s_waitcnt lgkmcnt(0)
	v_mov_b32_e32 v1, s11
	v_add_co_u32_e32 v6, vcc, s10, v0
	v_mov_b32_e32 v0, 11
	v_addc_co_u32_e32 v7, vcc, 0, v1, vcc
	v_cmp_lt_i16_sdwa s[0:1], v8, v0 src0_sel:BYTE_0 src1_sel:DWORD
	s_and_b64 vcc, exec, s[0:1]
	s_cbranch_vccnz .LBB7_19
; %bb.13:
	v_mov_b32_e32 v0, 25
	v_cmp_gt_i16_sdwa s[0:1], v8, v0 src0_sel:BYTE_0 src1_sel:DWORD
	s_and_b64 vcc, exec, s[0:1]
	s_cbranch_vccz .LBB7_28
; %bb.14:
	v_mov_b32_e32 v0, 28
	v_cmp_gt_i16_sdwa s[0:1], v8, v0 src0_sel:BYTE_0 src1_sel:DWORD
	s_and_b64 vcc, exec, s[0:1]
	s_cbranch_vccz .LBB7_38
	;; [unrolled: 5-line block ×4, first 2 shown]
; %bb.17:
	v_mov_b32_e32 v0, 46
	v_cmp_eq_u16_sdwa s[0:1], v8, v0 src0_sel:BYTE_0 src1_sel:DWORD
	s_mov_b64 s[36:37], 0
	s_and_b64 vcc, exec, s[0:1]
	s_cbranch_vccz .LBB7_47
; %bb.18:
	global_load_dword v0, v[6:7], off
	s_mov_b64 s[0:1], -1
	s_mov_b64 s[40:41], 0
	s_waitcnt vmcnt(0)
	v_lshlrev_b32_e32 v0, 16, v0
	v_cvt_f64_f32_e32 v[0:1], v0
	s_branch .LBB7_49
.LBB7_19:
	s_mov_b64 s[40:41], 0
                                        ; implicit-def: $vgpr0_vgpr1
	s_mov_b64 s[0:1], 0
	s_cbranch_execnz .LBB7_115
.LBB7_20:
	s_andn2_b64 vcc, exec, s[0:1]
	s_cbranch_vccnz .LBB7_162
.LBB7_21:
	v_mov_b32_e32 v3, s25
	v_add_co_u32_e32 v4, vcc, s24, v4
	v_addc_co_u32_e32 v5, vcc, 0, v3, vcc
	v_mov_b32_e32 v3, 11
	s_waitcnt vmcnt(0)
	v_cmp_lt_i16_sdwa s[0:1], v11, v3 src0_sel:BYTE_0 src1_sel:DWORD
	s_and_b64 vcc, exec, s[0:1]
	s_cbranch_vccnz .LBB7_29
; %bb.22:
	v_mov_b32_e32 v3, 25
	v_cmp_gt_i16_sdwa s[0:1], v11, v3 src0_sel:BYTE_0 src1_sel:DWORD
	s_and_b64 vcc, exec, s[0:1]
	s_cbranch_vccz .LBB7_39
; %bb.23:
	v_mov_b32_e32 v3, 28
	v_cmp_gt_i16_sdwa s[0:1], v11, v3 src0_sel:BYTE_0 src1_sel:DWORD
	s_and_b64 vcc, exec, s[0:1]
	s_cbranch_vccz .LBB7_42
	;; [unrolled: 5-line block ×4, first 2 shown]
; %bb.26:
	v_mov_b32_e32 v3, 46
	v_cmp_eq_u16_sdwa s[0:1], v11, v3 src0_sel:BYTE_0 src1_sel:DWORD
	s_mov_b64 s[36:37], 0
	s_and_b64 vcc, exec, s[0:1]
	s_cbranch_vccz .LBB7_163
; %bb.27:
	global_load_dword v3, v[4:5], off
	s_mov_b64 s[0:1], -1
	s_mov_b64 s[38:39], 0
	s_waitcnt vmcnt(0)
	v_lshlrev_b32_e32 v3, 16, v3
	v_cvt_f64_f32_e32 v[6:7], v3
	s_branch .LBB7_165
.LBB7_28:
	s_mov_b64 s[40:41], 0
	s_mov_b64 s[0:1], 0
                                        ; implicit-def: $vgpr0_vgpr1
	s_cbranch_execnz .LBB7_80
	s_branch .LBB7_114
.LBB7_29:
	s_mov_b64 s[38:39], 0
                                        ; implicit-def: $vgpr6_vgpr7
	s_mov_b64 s[0:1], 0
	s_cbranch_execnz .LBB7_342
.LBB7_30:
	s_andn2_b64 vcc, exec, s[0:1]
	s_cbranch_vccnz .LBB7_390
.LBB7_31:
	s_waitcnt vmcnt(0)
	v_div_scale_f64 v[4:5], s[0:1], v[6:7], v[6:7], v[0:1]
	v_rcp_f64_e32 v[12:13], v[4:5]
	v_div_scale_f64 v[14:15], vcc, v[0:1], v[6:7], v[0:1]
	s_mov_b32 s0, 0
	v_fma_f64 v[18:19], -v[4:5], v[12:13], 1.0
	v_fmac_f64_e32 v[12:13], v[12:13], v[18:19]
	v_fma_f64 v[18:19], -v[4:5], v[12:13], 1.0
	v_fmac_f64_e32 v[12:13], v[12:13], v[18:19]
	v_mul_f64 v[18:19], v[14:15], v[12:13]
	v_fma_f64 v[4:5], -v[4:5], v[18:19], v[14:15]
	v_div_fmas_f64 v[4:5], v[4:5], v[12:13], v[18:19]
	v_div_fixup_f64 v[0:1], v[4:5], v[6:7], v[0:1]
	s_mov_b32 s1, 0x100000
	v_mov_b32_e32 v3, 0x100000
	v_cmp_ngt_f64_e32 vcc, s[0:1], v[0:1]
	s_mov_b32 s0, -2
	v_cndmask_b32_e32 v1, v3, v1, vcc
	v_cndmask_b32_e32 v0, 0, v0, vcc
	s_mov_b32 s1, 0x3fefffff
	v_mov_b32_e32 v3, 0x3fefffff
	v_cmp_nlt_f64_e32 vcc, s[0:1], v[0:1]
	v_cndmask_b32_e32 v1, v3, v1, vcc
	v_cndmask_b32_e32 v0, -2, v0, vcc
	v_mov_b32_e32 v3, s9
	v_add_co_u32_e32 v4, vcc, s8, v2
	v_mov_b32_e32 v2, 11
	v_addc_co_u32_e32 v5, vcc, 0, v3, vcc
	v_cmp_lt_i16_sdwa s[0:1], v10, v2 src0_sel:BYTE_0 src1_sel:DWORD
	s_and_b64 vcc, exec, s[0:1]
	s_cbranch_vccnz .LBB7_40
; %bb.32:
	v_mov_b32_e32 v2, 25
	v_cmp_gt_i16_sdwa s[0:1], v10, v2 src0_sel:BYTE_0 src1_sel:DWORD
	s_and_b64 vcc, exec, s[0:1]
	s_cbranch_vccz .LBB7_43
; %bb.33:
	v_mov_b32_e32 v2, 28
	v_cmp_gt_i16_sdwa s[0:1], v10, v2 src0_sel:BYTE_0 src1_sel:DWORD
	s_and_b64 vcc, exec, s[0:1]
	s_cbranch_vccz .LBB7_46
	;; [unrolled: 5-line block ×4, first 2 shown]
; %bb.36:
	v_mov_b32_e32 v2, 46
	v_cmp_eq_u16_sdwa s[36:37], v10, v2 src0_sel:BYTE_0 src1_sel:DWORD
	s_mov_b64 s[44:45], 0
	s_mov_b64 s[0:1], -1
	s_and_b64 vcc, exec, s[36:37]
	s_mov_b64 s[36:37], 0
	s_cbranch_vccz .LBB7_169
; %bb.37:
	v_cvt_f32_f64_e32 v2, v[0:1]
	v_bfe_u32 v3, v2, 16, 1
	s_movk_i32 s0, 0x7fff
	v_add3_u32 v3, v2, v3, s0
	v_lshrrev_b32_e32 v3, 16, v3
	v_mov_b32_e32 v6, 0x7fc0
	v_cmp_o_f32_e32 vcc, v2, v2
	v_cndmask_b32_e32 v2, v6, v3, vcc
	global_store_dword v[4:5], v2, off
	s_mov_b64 s[36:37], -1
	s_mov_b64 s[0:1], 0
	s_branch .LBB7_169
.LBB7_38:
	s_mov_b64 s[36:37], -1
	s_mov_b64 s[40:41], 0
	s_mov_b64 s[0:1], 0
                                        ; implicit-def: $vgpr0_vgpr1
	s_branch .LBB7_61
.LBB7_39:
	s_mov_b64 s[36:37], -1
	s_mov_b64 s[38:39], 0
	s_mov_b64 s[0:1], 0
                                        ; implicit-def: $vgpr6_vgpr7
	s_branch .LBB7_306
.LBB7_40:
	s_mov_b64 s[44:45], -1
	s_mov_b64 s[0:1], 0
	s_mov_b64 s[36:37], 0
	s_branch .LBB7_238
.LBB7_41:
	s_mov_b64 s[36:37], -1
	s_mov_b64 s[40:41], 0
	s_mov_b64 s[0:1], 0
                                        ; implicit-def: $vgpr0_vgpr1
	s_branch .LBB7_56
.LBB7_42:
	s_mov_b64 s[36:37], -1
	s_mov_b64 s[38:39], 0
	s_mov_b64 s[0:1], 0
                                        ; implicit-def: $vgpr6_vgpr7
	s_branch .LBB7_287
.LBB7_43:
	s_mov_b64 s[44:45], -1
	s_mov_b64 s[0:1], 0
	s_mov_b64 s[36:37], 0
	s_branch .LBB7_196
.LBB7_44:
	s_mov_b64 s[36:37], -1
	s_mov_b64 s[40:41], 0
	s_branch .LBB7_48
.LBB7_45:
	s_mov_b64 s[36:37], -1
	s_mov_b64 s[38:39], 0
	s_mov_b64 s[0:1], 0
                                        ; implicit-def: $vgpr6_vgpr7
	s_branch .LBB7_282
.LBB7_46:
	s_mov_b64 s[44:45], -1
	s_mov_b64 s[0:1], 0
	s_mov_b64 s[36:37], 0
	s_branch .LBB7_179
.LBB7_47:
	s_mov_b64 s[40:41], -1
.LBB7_48:
	s_mov_b64 s[0:1], 0
                                        ; implicit-def: $vgpr0_vgpr1
.LBB7_49:
	s_and_b64 vcc, exec, s[36:37]
	s_cbranch_vccz .LBB7_55
; %bb.50:
	v_mov_b32_e32 v0, 44
	v_cmp_eq_u16_sdwa s[36:37], v8, v0 src0_sel:BYTE_0 src1_sel:DWORD
	s_and_b64 vcc, exec, s[36:37]
	s_cbranch_vccz .LBB7_54
; %bb.51:
	global_load_ubyte v3, v[6:7], off
	s_movk_i32 s36, 0xff
	v_bfrev_b32_e32 v5, 4
	v_mov_b32_e32 v9, 0x7ff80000
	v_bfrev_b32_e32 v12, 28
	s_mov_b64 s[0:1], -1
	s_mov_b64 s[40:41], 0
	s_waitcnt vmcnt(0)
	v_lshlrev_b32_e32 v0, 23, v3
	v_cvt_f64_f32_e32 v[0:1], v0
	v_cmp_ne_u32_e32 vcc, s36, v3
	v_cndmask_b32_e32 v0, v5, v0, vcc
	v_cndmask_b32_e32 v1, v9, v1, vcc
	v_cmp_ne_u32_e32 vcc, 0, v3
	v_cndmask_b32_e32 v1, v12, v1, vcc
	v_cndmask_b32_e32 v0, 0, v0, vcc
	s_branch .LBB7_55
.LBB7_52:
	s_mov_b64 s[36:37], -1
	s_mov_b64 s[38:39], 0
	s_branch .LBB7_164
.LBB7_53:
	s_mov_b64 s[44:45], -1
	s_mov_b64 s[0:1], 0
	s_mov_b64 s[36:37], 0
	s_branch .LBB7_175
.LBB7_54:
	s_mov_b64 s[40:41], -1
                                        ; implicit-def: $vgpr0_vgpr1
.LBB7_55:
	s_mov_b64 s[36:37], 0
.LBB7_56:
	s_and_b64 vcc, exec, s[36:37]
	s_cbranch_vccz .LBB7_60
; %bb.57:
	v_mov_b32_e32 v0, 29
	v_cmp_eq_u16_sdwa s[36:37], v8, v0 src0_sel:BYTE_0 src1_sel:DWORD
	s_and_b64 vcc, exec, s[36:37]
	s_cbranch_vccz .LBB7_59
; %bb.58:
	global_load_dwordx2 v[0:1], v[6:7], off
	s_mov_b64 s[0:1], -1
	s_mov_b64 s[40:41], 0
	s_mov_b64 s[36:37], 0
	s_waitcnt vmcnt(0)
	v_cvt_f64_u32_e32 v[12:13], v1
	v_cvt_f64_u32_e32 v[0:1], v0
	v_ldexp_f64 v[12:13], v[12:13], 32
	v_add_f64 v[0:1], v[12:13], v[0:1]
	s_branch .LBB7_61
.LBB7_59:
	s_mov_b64 s[40:41], -1
                                        ; implicit-def: $vgpr0_vgpr1
.LBB7_60:
	s_mov_b64 s[36:37], 0
.LBB7_61:
	s_and_b64 vcc, exec, s[36:37]
	s_cbranch_vccz .LBB7_79
; %bb.62:
	v_mov_b32_e32 v0, 27
	v_cmp_lt_i16_sdwa s[0:1], v8, v0 src0_sel:BYTE_0 src1_sel:DWORD
	s_and_b64 vcc, exec, s[0:1]
	s_cbranch_vccnz .LBB7_65
; %bb.63:
	v_cmp_gt_i16_sdwa s[0:1], v8, v0 src0_sel:BYTE_0 src1_sel:DWORD
	s_and_b64 vcc, exec, s[0:1]
	s_cbranch_vccz .LBB7_66
; %bb.64:
	global_load_dword v0, v[6:7], off
	s_mov_b64 s[0:1], 0
	s_waitcnt vmcnt(0)
	v_cvt_f64_u32_e32 v[0:1], v0
	s_branch .LBB7_67
.LBB7_65:
	s_mov_b64 s[0:1], -1
                                        ; implicit-def: $vgpr0_vgpr1
	s_branch .LBB7_70
.LBB7_66:
	s_mov_b64 s[0:1], -1
                                        ; implicit-def: $vgpr0_vgpr1
.LBB7_67:
	s_andn2_b64 vcc, exec, s[0:1]
	s_cbranch_vccnz .LBB7_69
; %bb.68:
	global_load_ushort v0, v[6:7], off
	s_waitcnt vmcnt(0)
	v_cvt_f64_u32_e32 v[0:1], v0
.LBB7_69:
	s_mov_b64 s[0:1], 0
.LBB7_70:
	s_andn2_b64 vcc, exec, s[0:1]
	s_cbranch_vccnz .LBB7_78
; %bb.71:
	global_load_ubyte v3, v[6:7], off
	s_movk_i32 s0, 0x7f
                                        ; implicit-def: $sgpr36_sgpr37
	s_waitcnt vmcnt(0)
	v_cmp_lt_i16_e32 vcc, s0, v3
	s_mov_b64 s[0:1], 0
	s_and_saveexec_b64 s[38:39], vcc
	s_xor_b64 s[38:39], exec, s[38:39]
	s_cbranch_execz .LBB7_91
; %bb.72:
	s_movk_i32 s0, 0x80
	v_cmp_eq_u16_e32 vcc, s0, v3
	s_mov_b64 s[44:45], -1
                                        ; implicit-def: $sgpr36_sgpr37
	s_and_saveexec_b64 s[0:1], vcc
; %bb.73:
	s_mov_b32 s37, 0x7ff80000
	s_brev_b32 s36, 4
	s_xor_b64 s[44:45], exec, -1
; %bb.74:
	s_or_b64 exec, exec, s[0:1]
	s_and_b64 s[0:1], s[44:45], exec
	s_or_saveexec_b64 s[38:39], s[38:39]
	v_pk_mov_b32 v[0:1], s[36:37], s[36:37] op_sel:[0,1]
	s_xor_b64 exec, exec, s[38:39]
	s_cbranch_execnz .LBB7_92
.LBB7_75:
	s_or_b64 exec, exec, s[38:39]
	s_and_saveexec_b64 s[36:37], s[0:1]
	s_cbranch_execz .LBB7_77
.LBB7_76:
	v_and_b32_e32 v1, 0xffff, v3
	v_lshlrev_b32_e32 v0, 24, v3
	v_and_b32_e32 v3, 7, v1
	v_ffbh_u32_e32 v9, v3
	v_min_u32_e32 v9, 32, v9
	v_subrev_u32_e32 v12, 28, v9
	v_bfe_u32 v5, v1, 3, 4
	v_lshlrev_b32_e32 v1, v12, v1
	v_sub_u32_e32 v9, 29, v9
	v_and_b32_e32 v1, 7, v1
	v_cmp_eq_u32_e32 vcc, 0, v5
	v_cndmask_b32_e32 v5, v5, v9, vcc
	v_cndmask_b32_e32 v1, v3, v1, vcc
	v_mov_b32_e32 v3, 0x3b800000
	v_lshlrev_b32_e32 v1, 20, v1
	v_and_b32_e32 v0, 0x80000000, v0
	v_lshl_add_u32 v3, v5, 23, v3
	v_or3_b32 v0, v0, v3, v1
	v_cvt_f64_f32_e32 v[0:1], v0
.LBB7_77:
	s_or_b64 exec, exec, s[36:37]
.LBB7_78:
	s_mov_b64 s[0:1], -1
.LBB7_79:
	s_branch .LBB7_114
.LBB7_80:
	v_mov_b32_e32 v0, 22
	v_cmp_gt_i16_sdwa s[36:37], v8, v0 src0_sel:BYTE_0 src1_sel:DWORD
	s_and_b64 vcc, exec, s[36:37]
	s_cbranch_vccz .LBB7_90
; %bb.81:
	v_mov_b32_e32 v0, 24
	v_cmp_lt_i16_sdwa s[0:1], v8, v0 src0_sel:BYTE_0 src1_sel:DWORD
	s_and_b64 vcc, exec, s[0:1]
	s_cbranch_vccnz .LBB7_93
; %bb.82:
	v_cmp_gt_i16_sdwa s[0:1], v8, v0 src0_sel:BYTE_0 src1_sel:DWORD
	s_and_b64 vcc, exec, s[0:1]
	s_cbranch_vccz .LBB7_94
; %bb.83:
	global_load_ubyte v3, v[6:7], off
	s_movk_i32 s0, 0x7f
                                        ; implicit-def: $sgpr36_sgpr37
	s_waitcnt vmcnt(0)
	v_cmp_lt_i16_e32 vcc, s0, v3
	s_mov_b64 s[0:1], 0
	s_and_saveexec_b64 s[38:39], vcc
	s_xor_b64 s[38:39], exec, s[38:39]
	s_cbranch_execz .LBB7_106
; %bb.84:
	s_movk_i32 s0, 0x80
	v_cmp_eq_u16_e32 vcc, s0, v3
	s_mov_b64 s[44:45], -1
                                        ; implicit-def: $sgpr36_sgpr37
	s_and_saveexec_b64 s[0:1], vcc
; %bb.85:
	s_mov_b32 s37, 0x7ff80000
	s_brev_b32 s36, 4
	s_xor_b64 s[44:45], exec, -1
; %bb.86:
	s_or_b64 exec, exec, s[0:1]
	s_and_b64 s[0:1], s[44:45], exec
	s_or_saveexec_b64 s[38:39], s[38:39]
	v_pk_mov_b32 v[0:1], s[36:37], s[36:37] op_sel:[0,1]
	s_xor_b64 exec, exec, s[38:39]
	s_cbranch_execnz .LBB7_107
.LBB7_87:
	s_or_b64 exec, exec, s[38:39]
	s_and_saveexec_b64 s[36:37], s[0:1]
	s_cbranch_execz .LBB7_89
.LBB7_88:
	v_and_b32_e32 v1, 0xffff, v3
	v_lshlrev_b32_e32 v0, 24, v3
	v_and_b32_e32 v3, 3, v1
	v_ffbh_u32_e32 v9, v3
	v_min_u32_e32 v9, 32, v9
	v_subrev_u32_e32 v12, 29, v9
	v_bfe_u32 v5, v1, 2, 5
	v_lshlrev_b32_e32 v1, v12, v1
	v_sub_u32_e32 v9, 30, v9
	v_and_b32_e32 v1, 3, v1
	v_cmp_eq_u32_e32 vcc, 0, v5
	v_cndmask_b32_e32 v5, v5, v9, vcc
	v_cndmask_b32_e32 v1, v3, v1, vcc
	v_mov_b32_e32 v3, 0x37800000
	v_lshlrev_b32_e32 v1, 21, v1
	v_and_b32_e32 v0, 0x80000000, v0
	v_lshl_add_u32 v3, v5, 23, v3
	v_or3_b32 v0, v0, v3, v1
	v_cvt_f64_f32_e32 v[0:1], v0
.LBB7_89:
	s_or_b64 exec, exec, s[36:37]
	s_mov_b64 s[0:1], 0
	s_branch .LBB7_95
.LBB7_90:
	s_mov_b64 s[36:37], -1
                                        ; implicit-def: $vgpr0_vgpr1
	s_branch .LBB7_101
.LBB7_91:
	s_or_saveexec_b64 s[38:39], s[38:39]
	v_pk_mov_b32 v[0:1], s[36:37], s[36:37] op_sel:[0,1]
	s_xor_b64 exec, exec, s[38:39]
	s_cbranch_execz .LBB7_75
.LBB7_92:
	v_cmp_ne_u16_e32 vcc, 0, v3
	s_andn2_b64 s[0:1], s[0:1], exec
	s_and_b64 s[36:37], vcc, exec
	v_pk_mov_b32 v[0:1], 0, 0
	s_or_b64 s[0:1], s[0:1], s[36:37]
	s_or_b64 exec, exec, s[38:39]
	s_and_saveexec_b64 s[36:37], s[0:1]
	s_cbranch_execnz .LBB7_76
	s_branch .LBB7_77
.LBB7_93:
	s_mov_b64 s[0:1], -1
                                        ; implicit-def: $vgpr0_vgpr1
	s_branch .LBB7_98
.LBB7_94:
	s_mov_b64 s[0:1], -1
                                        ; implicit-def: $vgpr0_vgpr1
.LBB7_95:
	s_and_b64 vcc, exec, s[0:1]
	s_cbranch_vccz .LBB7_97
; %bb.96:
	global_load_ubyte v0, v[6:7], off
	s_mov_b32 s0, 0x7f800000
	s_waitcnt vmcnt(0)
	v_lshlrev_b32_e32 v0, 24, v0
	v_and_b32_e32 v1, 0x7f000000, v0
	v_ffbh_u32_e32 v3, v1
	v_min_u32_e32 v3, 32, v3
	v_sub_u32_e64 v3, v3, 4 clamp
	v_lshlrev_b32_e32 v9, v3, v1
	v_lshlrev_b32_e32 v3, 23, v3
	v_lshrrev_b32_e32 v9, 4, v9
	v_add_u32_e32 v5, 0x1000000, v1
	v_sub_u32_e32 v3, v9, v3
	v_ashrrev_i32_e32 v5, 8, v5
	v_add_u32_e32 v3, 0x3c000000, v3
	v_and_or_b32 v3, v5, s0, v3
	v_cmp_ne_u32_e32 vcc, 0, v1
	v_cndmask_b32_e32 v1, 0, v3, vcc
	s_brev_b32 s0, 1
	v_and_or_b32 v0, v0, s0, v1
	v_cvt_f64_f32_e32 v[0:1], v0
.LBB7_97:
	s_mov_b64 s[0:1], 0
.LBB7_98:
	s_andn2_b64 vcc, exec, s[0:1]
	s_cbranch_vccnz .LBB7_100
; %bb.99:
	global_load_ubyte v0, v[6:7], off
	s_movk_i32 s0, 0x7f00
	s_brev_b32 s1, 16
	s_waitcnt vmcnt(0)
	v_lshlrev_b16_e32 v1, 8, v0
	v_lshlrev_b32_e32 v0, 25, v0
	v_lshrrev_b32_e32 v3, 4, v0
	v_and_or_b32 v5, v1, s0, 0.5
	v_or_b32_e32 v3, 0x70000000, v3
	v_add_f32_e32 v5, -0.5, v5
	v_mul_f32_e32 v3, 0x7800000, v3
	v_cmp_gt_u32_e32 vcc, s1, v0
	v_bfe_i32 v1, v1, 0, 16
	v_cndmask_b32_e32 v0, v3, v5, vcc
	s_brev_b32 s0, 1
	v_and_or_b32 v0, v1, s0, v0
	v_cvt_f64_f32_e32 v[0:1], v0
.LBB7_100:
	s_mov_b64 s[36:37], 0
	s_mov_b64 s[0:1], -1
.LBB7_101:
	s_andn2_b64 vcc, exec, s[36:37]
	s_cbranch_vccnz .LBB7_114
; %bb.102:
	v_mov_b32_e32 v0, 14
	v_cmp_gt_i16_sdwa s[36:37], v8, v0 src0_sel:BYTE_0 src1_sel:DWORD
	s_and_b64 vcc, exec, s[36:37]
	s_cbranch_vccz .LBB7_105
; %bb.103:
	v_mov_b32_e32 v0, 15
	v_cmp_eq_u16_sdwa s[36:37], v8, v0 src0_sel:BYTE_0 src1_sel:DWORD
	s_and_b64 vcc, exec, s[36:37]
	s_cbranch_vccz .LBB7_108
; %bb.104:
	global_load_ushort v0, v[6:7], off
	s_mov_b64 s[0:1], -1
	s_mov_b64 s[40:41], 0
	s_waitcnt vmcnt(0)
	v_lshlrev_b32_e32 v0, 16, v0
	v_cvt_f64_f32_e32 v[0:1], v0
	s_branch .LBB7_109
.LBB7_105:
	s_mov_b64 s[36:37], -1
                                        ; implicit-def: $vgpr0_vgpr1
	s_branch .LBB7_110
.LBB7_106:
	s_or_saveexec_b64 s[38:39], s[38:39]
	v_pk_mov_b32 v[0:1], s[36:37], s[36:37] op_sel:[0,1]
	s_xor_b64 exec, exec, s[38:39]
	s_cbranch_execz .LBB7_87
.LBB7_107:
	v_cmp_ne_u16_e32 vcc, 0, v3
	s_andn2_b64 s[0:1], s[0:1], exec
	s_and_b64 s[36:37], vcc, exec
	v_pk_mov_b32 v[0:1], 0, 0
	s_or_b64 s[0:1], s[0:1], s[36:37]
	s_or_b64 exec, exec, s[38:39]
	s_and_saveexec_b64 s[36:37], s[0:1]
	s_cbranch_execnz .LBB7_88
	s_branch .LBB7_89
.LBB7_108:
	s_mov_b64 s[40:41], -1
                                        ; implicit-def: $vgpr0_vgpr1
.LBB7_109:
	s_mov_b64 s[36:37], 0
.LBB7_110:
	s_and_b64 vcc, exec, s[36:37]
	s_cbranch_vccz .LBB7_114
; %bb.111:
	v_mov_b32_e32 v0, 11
	v_cmp_eq_u16_sdwa s[36:37], v8, v0 src0_sel:BYTE_0 src1_sel:DWORD
	s_and_b64 vcc, exec, s[36:37]
	s_cbranch_vccz .LBB7_113
; %bb.112:
	global_load_ubyte v1, v[6:7], off
	v_mov_b32_e32 v3, 0x3ff00000
	v_mov_b32_e32 v0, 0
	s_mov_b64 s[0:1], -1
	s_mov_b64 s[40:41], 0
	s_waitcnt vmcnt(0)
	v_cmp_ne_u16_e32 vcc, 0, v1
	v_cndmask_b32_e32 v1, 0, v3, vcc
	s_branch .LBB7_114
.LBB7_113:
	s_mov_b64 s[40:41], -1
                                        ; implicit-def: $vgpr0_vgpr1
.LBB7_114:
	s_branch .LBB7_20
.LBB7_115:
	v_mov_b32_e32 v0, 5
	v_cmp_lt_i16_sdwa s[0:1], v8, v0 src0_sel:BYTE_0 src1_sel:DWORD
	s_and_b64 vcc, exec, s[0:1]
	s_cbranch_vccnz .LBB7_120
; %bb.116:
	v_mov_b32_e32 v0, 8
	v_cmp_lt_i16_sdwa s[0:1], v8, v0 src0_sel:BYTE_0 src1_sel:DWORD
	s_and_b64 vcc, exec, s[0:1]
	s_cbranch_vccnz .LBB7_121
; %bb.117:
	;; [unrolled: 5-line block ×3, first 2 shown]
	v_cmp_gt_i16_sdwa s[0:1], v8, v0 src0_sel:BYTE_0 src1_sel:DWORD
	s_and_b64 vcc, exec, s[0:1]
	s_cbranch_vccz .LBB7_123
; %bb.119:
	global_load_dwordx2 v[0:1], v[6:7], off
	s_mov_b64 s[0:1], 0
	s_branch .LBB7_124
.LBB7_120:
                                        ; implicit-def: $vgpr0_vgpr1
	s_branch .LBB7_142
.LBB7_121:
	s_mov_b64 s[0:1], -1
                                        ; implicit-def: $vgpr0_vgpr1
	s_branch .LBB7_130
.LBB7_122:
	s_mov_b64 s[0:1], -1
                                        ; implicit-def: $vgpr0_vgpr1
	s_branch .LBB7_127
.LBB7_123:
	s_mov_b64 s[0:1], -1
                                        ; implicit-def: $vgpr0_vgpr1
.LBB7_124:
	s_andn2_b64 vcc, exec, s[0:1]
	s_cbranch_vccnz .LBB7_126
; %bb.125:
	global_load_dword v0, v[6:7], off
	s_waitcnt vmcnt(0)
	v_cvt_f64_f32_e32 v[0:1], v0
.LBB7_126:
	s_mov_b64 s[0:1], 0
.LBB7_127:
	s_andn2_b64 vcc, exec, s[0:1]
	s_cbranch_vccnz .LBB7_129
; %bb.128:
	global_load_dword v0, v[6:7], off
	s_waitcnt vmcnt(0)
	v_cvt_f32_f16_e32 v0, v0
	v_cvt_f64_f32_e32 v[0:1], v0
.LBB7_129:
	s_mov_b64 s[0:1], 0
.LBB7_130:
	s_andn2_b64 vcc, exec, s[0:1]
	s_cbranch_vccnz .LBB7_141
; %bb.131:
	s_waitcnt vmcnt(0)
	v_mov_b32_e32 v0, 6
	v_cmp_lt_i16_sdwa s[0:1], v8, v0 src0_sel:BYTE_0 src1_sel:DWORD
	s_and_b64 vcc, exec, s[0:1]
	s_cbranch_vccnz .LBB7_134
; %bb.132:
	v_cmp_gt_i16_sdwa s[0:1], v8, v0 src0_sel:BYTE_0 src1_sel:DWORD
	s_and_b64 vcc, exec, s[0:1]
	s_cbranch_vccz .LBB7_135
; %bb.133:
	global_load_dwordx2 v[0:1], v[6:7], off
	s_mov_b64 s[0:1], 0
	s_branch .LBB7_136
.LBB7_134:
	s_mov_b64 s[0:1], -1
                                        ; implicit-def: $vgpr0_vgpr1
	s_branch .LBB7_139
.LBB7_135:
	s_mov_b64 s[0:1], -1
                                        ; implicit-def: $vgpr0_vgpr1
.LBB7_136:
	s_andn2_b64 vcc, exec, s[0:1]
	s_cbranch_vccnz .LBB7_138
; %bb.137:
	global_load_dword v0, v[6:7], off
	s_waitcnt vmcnt(0)
	v_cvt_f64_f32_e32 v[0:1], v0
.LBB7_138:
	s_mov_b64 s[0:1], 0
.LBB7_139:
	s_andn2_b64 vcc, exec, s[0:1]
	s_cbranch_vccnz .LBB7_141
; %bb.140:
	global_load_ushort v0, v[6:7], off
	s_waitcnt vmcnt(0)
	v_cvt_f32_f16_e32 v0, v0
	v_cvt_f64_f32_e32 v[0:1], v0
.LBB7_141:
	s_cbranch_execnz .LBB7_161
.LBB7_142:
	s_waitcnt vmcnt(0)
	v_mov_b32_e32 v0, 2
	v_cmp_lt_i16_sdwa s[0:1], v8, v0 src0_sel:BYTE_0 src1_sel:DWORD
	s_and_b64 vcc, exec, s[0:1]
	s_cbranch_vccnz .LBB7_146
; %bb.143:
	v_mov_b32_e32 v0, 3
	v_cmp_lt_i16_sdwa s[0:1], v8, v0 src0_sel:BYTE_0 src1_sel:DWORD
	s_and_b64 vcc, exec, s[0:1]
	s_cbranch_vccnz .LBB7_147
; %bb.144:
	v_cmp_gt_i16_sdwa s[0:1], v8, v0 src0_sel:BYTE_0 src1_sel:DWORD
	s_and_b64 vcc, exec, s[0:1]
	s_cbranch_vccz .LBB7_148
; %bb.145:
	global_load_dwordx2 v[0:1], v[6:7], off
	s_mov_b64 s[0:1], 0
	s_waitcnt vmcnt(0)
	v_cvt_f64_i32_e32 v[12:13], v1
	v_cvt_f64_u32_e32 v[0:1], v0
	v_ldexp_f64 v[12:13], v[12:13], 32
	v_add_f64 v[0:1], v[12:13], v[0:1]
	s_branch .LBB7_149
.LBB7_146:
	s_mov_b64 s[0:1], -1
                                        ; implicit-def: $vgpr0_vgpr1
	s_branch .LBB7_155
.LBB7_147:
	s_mov_b64 s[0:1], -1
                                        ; implicit-def: $vgpr0_vgpr1
	s_branch .LBB7_152
.LBB7_148:
	s_mov_b64 s[0:1], -1
                                        ; implicit-def: $vgpr0_vgpr1
.LBB7_149:
	s_andn2_b64 vcc, exec, s[0:1]
	s_cbranch_vccnz .LBB7_151
; %bb.150:
	global_load_dword v0, v[6:7], off
	s_waitcnt vmcnt(0)
	v_cvt_f64_i32_e32 v[0:1], v0
.LBB7_151:
	s_mov_b64 s[0:1], 0
.LBB7_152:
	s_andn2_b64 vcc, exec, s[0:1]
	s_cbranch_vccnz .LBB7_154
; %bb.153:
	global_load_sshort v0, v[6:7], off
	s_waitcnt vmcnt(0)
	v_cvt_f64_i32_e32 v[0:1], v0
.LBB7_154:
	s_mov_b64 s[0:1], 0
.LBB7_155:
	s_andn2_b64 vcc, exec, s[0:1]
	s_cbranch_vccnz .LBB7_161
; %bb.156:
	v_mov_b32_e32 v0, 0
	v_cmp_gt_i16_sdwa s[0:1], v8, v0 src0_sel:BYTE_0 src1_sel:DWORD
	s_and_b64 vcc, exec, s[0:1]
	s_cbranch_vccz .LBB7_158
; %bb.157:
	global_load_sbyte v0, v[6:7], off
	s_mov_b64 s[0:1], 0
	s_waitcnt vmcnt(0)
	v_cvt_f64_i32_e32 v[0:1], v0
	s_branch .LBB7_159
.LBB7_158:
	s_mov_b64 s[0:1], -1
                                        ; implicit-def: $vgpr0_vgpr1
.LBB7_159:
	s_andn2_b64 vcc, exec, s[0:1]
	s_cbranch_vccnz .LBB7_161
; %bb.160:
	global_load_ubyte v0, v[6:7], off
	s_waitcnt vmcnt(0)
	v_cvt_f64_u32_e32 v[0:1], v0
.LBB7_161:
	s_branch .LBB7_21
.LBB7_162:
	s_mov_b64 s[0:1], 0
	s_mov_b64 s[38:39], 0
	s_branch .LBB7_391
.LBB7_163:
	s_mov_b64 s[38:39], -1
.LBB7_164:
	s_mov_b64 s[0:1], 0
                                        ; implicit-def: $vgpr6_vgpr7
.LBB7_165:
	s_and_b64 vcc, exec, s[36:37]
	s_cbranch_vccz .LBB7_281
; %bb.166:
	v_mov_b32_e32 v3, 44
	v_cmp_eq_u16_sdwa s[36:37], v11, v3 src0_sel:BYTE_0 src1_sel:DWORD
	s_and_b64 vcc, exec, s[36:37]
	s_cbranch_vccz .LBB7_280
; %bb.167:
	global_load_ubyte v3, v[4:5], off
	s_movk_i32 s36, 0xff
	v_bfrev_b32_e32 v9, 4
	v_mov_b32_e32 v12, 0x7ff80000
	v_bfrev_b32_e32 v13, 28
	s_mov_b64 s[0:1], -1
	s_mov_b64 s[38:39], 0
	s_waitcnt vmcnt(0)
	v_lshlrev_b32_e32 v6, 23, v3
	v_cvt_f64_f32_e32 v[6:7], v6
	v_cmp_ne_u32_e32 vcc, s36, v3
	v_cndmask_b32_e32 v6, v9, v6, vcc
	v_cndmask_b32_e32 v7, v12, v7, vcc
	v_cmp_ne_u32_e32 vcc, 0, v3
	v_cndmask_b32_e32 v7, v13, v7, vcc
	v_cndmask_b32_e32 v6, 0, v6, vcc
	s_branch .LBB7_281
.LBB7_168:
	s_mov_b64 s[44:45], -1
	s_mov_b64 s[0:1], 0
	s_mov_b64 s[36:37], 0
.LBB7_169:
	s_and_b64 vcc, exec, s[44:45]
	s_cbranch_vccz .LBB7_174
; %bb.170:
	v_mov_b32_e32 v2, 44
	v_cmp_eq_u16_sdwa s[44:45], v10, v2 src0_sel:BYTE_0 src1_sel:DWORD
	s_mov_b64 s[0:1], -1
	s_and_b64 vcc, exec, s[44:45]
	s_cbranch_vccz .LBB7_174
; %bb.171:
	v_cvt_f32_f64_e32 v2, v[0:1]
	v_bfe_u32 v3, v2, 23, 8
	s_movk_i32 s0, 0xff
	v_cmp_ne_u32_e32 vcc, s0, v3
	v_mov_b32_e32 v6, 0xff
	s_and_saveexec_b64 s[36:37], vcc
; %bb.172:
	s_mov_b32 s0, 0x3fffff
	v_lshrrev_b32_e32 v6, 23, v2
	v_and_b32_e32 v7, 0x400000, v2
	v_and_or_b32 v2, v2, s0, v3
	v_cmp_ne_u32_e32 vcc, 0, v7
	v_cmp_ne_u32_e64 s[0:1], 0, v2
	s_and_b64 s[0:1], vcc, s[0:1]
	v_cndmask_b32_e64 v2, 0, 1, s[0:1]
	v_add_u32_e32 v6, v6, v2
; %bb.173:
	s_or_b64 exec, exec, s[36:37]
	s_mov_b64 s[36:37], -1
	s_mov_b64 s[0:1], 0
	global_store_byte v[4:5], v6, off
.LBB7_174:
	s_mov_b64 s[44:45], 0
.LBB7_175:
	s_and_b64 vcc, exec, s[44:45]
	s_cbranch_vccz .LBB7_178
; %bb.176:
	v_mov_b32_e32 v2, 29
	v_cmp_eq_u16_sdwa s[44:45], v10, v2 src0_sel:BYTE_0 src1_sel:DWORD
	s_mov_b64 s[0:1], -1
	s_and_b64 vcc, exec, s[44:45]
	s_cbranch_vccz .LBB7_178
; %bb.177:
	v_trunc_f64_e32 v[2:3], v[0:1]
	s_movk_i32 s0, 0xffe0
	v_ldexp_f64 v[6:7], v[2:3], s0
	v_floor_f64_e32 v[6:7], v[6:7]
	v_fmac_f64_e32 v[2:3], 0xc1f00000, v[6:7]
	v_cvt_u32_f64_e32 v13, v[6:7]
	v_cvt_u32_f64_e32 v12, v[2:3]
	global_store_dwordx2 v[4:5], v[12:13], off
	s_mov_b64 s[36:37], -1
	s_mov_b64 s[0:1], 0
.LBB7_178:
	s_mov_b64 s[44:45], 0
.LBB7_179:
	s_and_b64 vcc, exec, s[44:45]
	s_cbranch_vccz .LBB7_195
; %bb.180:
	v_mov_b32_e32 v2, 27
	v_cmp_lt_i16_sdwa s[44:45], v10, v2 src0_sel:BYTE_0 src1_sel:DWORD
	s_mov_b64 s[36:37], -1
	s_and_b64 vcc, exec, s[44:45]
	s_cbranch_vccnz .LBB7_186
; %bb.181:
	v_cmp_gt_i16_sdwa s[44:45], v10, v2 src0_sel:BYTE_0 src1_sel:DWORD
	s_and_b64 vcc, exec, s[44:45]
	v_cvt_u32_f64_e32 v2, v[0:1]
	s_cbranch_vccz .LBB7_183
; %bb.182:
	s_mov_b64 s[36:37], 0
	global_store_dword v[4:5], v2, off
.LBB7_183:
	s_andn2_b64 vcc, exec, s[36:37]
	s_cbranch_vccnz .LBB7_185
; %bb.184:
	global_store_short v[4:5], v2, off
.LBB7_185:
	s_mov_b64 s[36:37], 0
.LBB7_186:
	s_andn2_b64 vcc, exec, s[36:37]
	s_cbranch_vccnz .LBB7_194
; %bb.187:
	v_cvt_f32_f64_e32 v2, v[0:1]
	v_and_b32_e32 v3, 0x7fffffff, v2
	s_mov_b32 s36, 0x43800000
	v_cmp_gt_u32_e32 vcc, s36, v3
	v_mov_b32_e32 v6, 0x80
	s_and_saveexec_b64 s[36:37], vcc
	s_cbranch_execz .LBB7_193
; %bb.188:
	s_mov_b32 s44, 0x3bffffff
	v_cmp_lt_u32_e32 vcc, s44, v3
	s_mov_b64 s[44:45], 0
                                        ; implicit-def: $vgpr3
	s_and_saveexec_b64 s[48:49], vcc
	s_xor_b64 s[48:49], exec, s[48:49]
	s_cbranch_execz .LBB7_432
; %bb.189:
	v_bfe_u32 v3, v2, 20, 1
	s_mov_b32 s50, 0x487ffff
	v_add3_u32 v3, v2, v3, s50
	s_mov_b64 s[44:45], exec
	v_lshrrev_b32_e32 v3, 20, v3
	s_or_saveexec_b64 s[48:49], s[48:49]
                                        ; implicit-def: $sgpr50
	s_xor_b64 exec, exec, s[48:49]
	s_cbranch_execnz .LBB7_433
.LBB7_190:
	s_or_b64 exec, exec, s[48:49]
	v_mov_b32_e32 v6, s50
	s_and_saveexec_b64 s[48:49], s[44:45]
.LBB7_191:
	v_lshrrev_b32_e32 v2, 24, v2
	s_movk_i32 s44, 0x80
	v_and_or_b32 v6, v2, s44, v3
.LBB7_192:
	s_or_b64 exec, exec, s[48:49]
.LBB7_193:
	s_or_b64 exec, exec, s[36:37]
	global_store_byte v[4:5], v6, off
.LBB7_194:
	s_mov_b64 s[36:37], -1
.LBB7_195:
	s_mov_b64 s[44:45], 0
.LBB7_196:
	s_and_b64 vcc, exec, s[44:45]
	s_cbranch_vccz .LBB7_237
; %bb.197:
	v_mov_b32_e32 v2, 22
	v_cmp_gt_i16_sdwa s[48:49], v10, v2 src0_sel:BYTE_0 src1_sel:DWORD
	s_mov_b64 s[44:45], -1
	s_and_b64 vcc, exec, s[48:49]
	s_cbranch_vccz .LBB7_229
; %bb.198:
	v_mov_b32_e32 v2, 24
	v_cmp_lt_i16_sdwa s[44:45], v10, v2 src0_sel:BYTE_0 src1_sel:DWORD
	s_mov_b64 s[36:37], -1
	s_and_b64 vcc, exec, s[44:45]
	s_cbranch_vccnz .LBB7_218
; %bb.199:
	v_cmp_gt_i16_sdwa s[44:45], v10, v2 src0_sel:BYTE_0 src1_sel:DWORD
	s_and_b64 vcc, exec, s[44:45]
	s_cbranch_vccz .LBB7_207
; %bb.200:
	v_cvt_f32_f64_e32 v2, v[0:1]
	v_and_b32_e32 v3, 0x7fffffff, v2
	s_mov_b32 s36, 0x47800000
	v_cmp_gt_u32_e32 vcc, s36, v3
	v_mov_b32_e32 v6, 0x80
	s_and_saveexec_b64 s[36:37], vcc
	s_cbranch_execz .LBB7_206
; %bb.201:
	s_mov_b32 s44, 0x37ffffff
	v_cmp_lt_u32_e32 vcc, s44, v3
	s_mov_b64 s[44:45], 0
                                        ; implicit-def: $vgpr3
	s_and_saveexec_b64 s[48:49], vcc
	s_xor_b64 s[48:49], exec, s[48:49]
	s_cbranch_execz .LBB7_551
; %bb.202:
	v_bfe_u32 v3, v2, 21, 1
	s_mov_b32 s50, 0x88fffff
	v_add3_u32 v3, v2, v3, s50
	s_mov_b64 s[44:45], exec
	v_lshrrev_b32_e32 v3, 21, v3
	s_or_saveexec_b64 s[48:49], s[48:49]
                                        ; implicit-def: $sgpr50
	s_xor_b64 exec, exec, s[48:49]
	s_cbranch_execnz .LBB7_552
.LBB7_203:
	s_or_b64 exec, exec, s[48:49]
	v_mov_b32_e32 v6, s50
	s_and_saveexec_b64 s[48:49], s[44:45]
.LBB7_204:
	v_lshrrev_b32_e32 v2, 24, v2
	s_movk_i32 s44, 0x80
	v_and_or_b32 v6, v2, s44, v3
.LBB7_205:
	s_or_b64 exec, exec, s[48:49]
.LBB7_206:
	s_or_b64 exec, exec, s[36:37]
	s_mov_b64 s[36:37], 0
	global_store_byte v[4:5], v6, off
.LBB7_207:
	s_and_b64 vcc, exec, s[36:37]
	s_cbranch_vccz .LBB7_217
; %bb.208:
	v_cvt_f32_f64_e32 v2, v[0:1]
	v_and_b32_e32 v6, 0x7fffffff, v2
	s_mov_b32 s36, 0x43f00000
	v_cmp_gt_u32_e32 vcc, s36, v6
                                        ; implicit-def: $vgpr3
	s_and_saveexec_b64 s[36:37], vcc
	s_xor_b64 s[36:37], exec, s[36:37]
	s_cbranch_execz .LBB7_214
; %bb.209:
	s_mov_b32 s44, 0x3c7fffff
	v_cmp_lt_u32_e32 vcc, s44, v6
                                        ; implicit-def: $vgpr3
	s_and_saveexec_b64 s[44:45], vcc
	s_xor_b64 s[44:45], exec, s[44:45]
; %bb.210:
	v_bfe_u32 v3, v2, 20, 1
	s_mov_b32 s48, 0x407ffff
	v_add3_u32 v3, v2, v3, s48
	v_lshrrev_b32_e32 v6, 20, v3
	v_and_b32_e32 v3, 0xff00000, v3
	s_mov_b32 s48, 0x7f00000
	v_mov_b32_e32 v7, 0x7e
	v_cmp_ne_u32_e32 vcc, s48, v3
	v_cndmask_b32_e32 v3, v7, v6, vcc
; %bb.211:
	s_andn2_saveexec_b64 s[44:45], s[44:45]
; %bb.212:
	s_mov_b32 s48, 0x46800000
	v_add_f32_e64 v3, |v2|, s48
; %bb.213:
	s_or_b64 exec, exec, s[44:45]
                                        ; implicit-def: $vgpr6
.LBB7_214:
	s_andn2_saveexec_b64 s[36:37], s[36:37]
; %bb.215:
	s_mov_b32 s44, 0x7f800000
	v_mov_b32_e32 v3, 0x7e
	v_mov_b32_e32 v7, 0x7f
	v_cmp_lt_u32_e32 vcc, s44, v6
	v_cndmask_b32_e32 v3, v3, v7, vcc
; %bb.216:
	s_or_b64 exec, exec, s[36:37]
	v_lshrrev_b32_e32 v2, 24, v2
	s_movk_i32 s36, 0x80
	v_and_or_b32 v2, v2, s36, v3
	global_store_byte v[4:5], v2, off
.LBB7_217:
	s_mov_b64 s[36:37], 0
.LBB7_218:
	s_andn2_b64 vcc, exec, s[36:37]
	s_cbranch_vccnz .LBB7_228
; %bb.219:
	v_cvt_f32_f64_e32 v2, v[0:1]
	v_and_b32_e32 v6, 0x7fffffff, v2
	s_mov_b32 s36, 0x47800000
	v_cmp_gt_u32_e32 vcc, s36, v6
                                        ; implicit-def: $vgpr3
	s_and_saveexec_b64 s[36:37], vcc
	s_xor_b64 s[36:37], exec, s[36:37]
	s_cbranch_execz .LBB7_225
; %bb.220:
	s_mov_b32 s44, 0x387fffff
	v_cmp_lt_u32_e32 vcc, s44, v6
                                        ; implicit-def: $vgpr3
	s_and_saveexec_b64 s[44:45], vcc
	s_xor_b64 s[44:45], exec, s[44:45]
; %bb.221:
	v_bfe_u32 v3, v2, 21, 1
	s_mov_b32 s48, 0x80fffff
	v_add3_u32 v3, v2, v3, s48
	v_lshrrev_b32_e32 v3, 21, v3
; %bb.222:
	s_andn2_saveexec_b64 s[44:45], s[44:45]
; %bb.223:
	s_mov_b32 s48, 0x43000000
	v_add_f32_e64 v3, |v2|, s48
; %bb.224:
	s_or_b64 exec, exec, s[44:45]
                                        ; implicit-def: $vgpr6
.LBB7_225:
	s_andn2_saveexec_b64 s[36:37], s[36:37]
; %bb.226:
	s_mov_b32 s44, 0x7f800000
	v_mov_b32_e32 v3, 0x7c
	v_mov_b32_e32 v7, 0x7f
	v_cmp_lt_u32_e32 vcc, s44, v6
	v_cndmask_b32_e32 v3, v3, v7, vcc
; %bb.227:
	s_or_b64 exec, exec, s[36:37]
	v_lshrrev_b32_e32 v2, 24, v2
	s_movk_i32 s36, 0x80
	v_and_or_b32 v2, v2, s36, v3
	global_store_byte v[4:5], v2, off
.LBB7_228:
	s_mov_b64 s[44:45], 0
	s_mov_b64 s[36:37], -1
.LBB7_229:
	s_andn2_b64 vcc, exec, s[44:45]
	s_cbranch_vccnz .LBB7_237
; %bb.230:
	v_mov_b32_e32 v2, 14
	v_cmp_gt_i16_sdwa s[48:49], v10, v2 src0_sel:BYTE_0 src1_sel:DWORD
	s_mov_b64 s[44:45], -1
	s_and_b64 vcc, exec, s[48:49]
	s_cbranch_vccz .LBB7_234
; %bb.231:
	v_mov_b32_e32 v2, 15
	v_cmp_eq_u16_sdwa s[44:45], v10, v2 src0_sel:BYTE_0 src1_sel:DWORD
	s_mov_b64 s[0:1], -1
	s_and_b64 vcc, exec, s[44:45]
	s_cbranch_vccz .LBB7_233
; %bb.232:
	v_cvt_f32_f64_e32 v2, v[0:1]
	v_bfe_u32 v3, v2, 16, 1
	s_movk_i32 s0, 0x7fff
	v_add3_u32 v3, v2, v3, s0
	v_lshrrev_b32_e32 v3, 16, v3
	v_mov_b32_e32 v6, 0x7fc0
	v_cmp_o_f32_e32 vcc, v2, v2
	v_cndmask_b32_e32 v2, v6, v3, vcc
	global_store_short v[4:5], v2, off
	s_mov_b64 s[36:37], -1
	s_mov_b64 s[0:1], 0
.LBB7_233:
	s_mov_b64 s[44:45], 0
.LBB7_234:
	s_and_b64 vcc, exec, s[44:45]
	s_cbranch_vccz .LBB7_237
; %bb.235:
	v_mov_b32_e32 v2, 11
	v_cmp_eq_u16_sdwa s[44:45], v10, v2 src0_sel:BYTE_0 src1_sel:DWORD
	s_mov_b64 s[0:1], -1
	s_and_b64 vcc, exec, s[44:45]
	s_cbranch_vccz .LBB7_237
; %bb.236:
	v_mov_b32_e32 v2, 1
	s_mov_b64 s[36:37], -1
	s_mov_b64 s[0:1], 0
	global_store_byte v[4:5], v2, off
.LBB7_237:
	s_mov_b64 s[44:45], 0
.LBB7_238:
	s_and_b64 vcc, exec, s[44:45]
	s_cbranch_vccz .LBB7_277
; %bb.239:
	v_mov_b32_e32 v2, 5
	v_cmp_lt_i16_sdwa s[44:45], v10, v2 src0_sel:BYTE_0 src1_sel:DWORD
	s_mov_b64 s[36:37], -1
	s_and_b64 vcc, exec, s[44:45]
	s_cbranch_vccnz .LBB7_260
; %bb.240:
	v_mov_b32_e32 v2, 8
	v_cmp_lt_i16_sdwa s[44:45], v10, v2 src0_sel:BYTE_0 src1_sel:DWORD
	s_and_b64 vcc, exec, s[44:45]
	s_cbranch_vccnz .LBB7_250
; %bb.241:
	v_mov_b32_e32 v2, 9
	v_cmp_lt_i16_sdwa s[44:45], v10, v2 src0_sel:BYTE_0 src1_sel:DWORD
	s_and_b64 vcc, exec, s[44:45]
	s_cbranch_vccnz .LBB7_247
; %bb.242:
	v_cmp_gt_i16_sdwa s[44:45], v10, v2 src0_sel:BYTE_0 src1_sel:DWORD
	s_and_b64 vcc, exec, s[44:45]
	s_cbranch_vccz .LBB7_244
; %bb.243:
	v_mov_b32_e32 v2, 0
	v_mov_b32_e32 v3, v2
	global_store_dwordx4 v[4:5], v[0:3], off
	s_mov_b64 s[36:37], 0
.LBB7_244:
	s_andn2_b64 vcc, exec, s[36:37]
	s_cbranch_vccnz .LBB7_246
; %bb.245:
	v_cvt_f32_f64_e32 v2, v[0:1]
	v_mov_b32_e32 v3, 0
	global_store_dwordx2 v[4:5], v[2:3], off
.LBB7_246:
	s_mov_b64 s[36:37], 0
.LBB7_247:
	s_andn2_b64 vcc, exec, s[36:37]
	s_cbranch_vccnz .LBB7_249
; %bb.248:
	v_cvt_f32_f64_e32 v2, v[0:1]
	v_cvt_f16_f32_e32 v2, v2
	global_store_dword v[4:5], v2, off
.LBB7_249:
	s_mov_b64 s[36:37], 0
.LBB7_250:
	s_andn2_b64 vcc, exec, s[36:37]
	s_cbranch_vccnz .LBB7_259
; %bb.251:
	v_mov_b32_e32 v2, 6
	v_cmp_lt_i16_sdwa s[44:45], v10, v2 src0_sel:BYTE_0 src1_sel:DWORD
	s_mov_b64 s[36:37], -1
	s_and_b64 vcc, exec, s[44:45]
	s_cbranch_vccnz .LBB7_257
; %bb.252:
	v_cmp_gt_i16_sdwa s[44:45], v10, v2 src0_sel:BYTE_0 src1_sel:DWORD
	s_and_b64 vcc, exec, s[44:45]
	s_cbranch_vccz .LBB7_254
; %bb.253:
	global_store_dwordx2 v[4:5], v[0:1], off
	s_mov_b64 s[36:37], 0
.LBB7_254:
	s_andn2_b64 vcc, exec, s[36:37]
	s_cbranch_vccnz .LBB7_256
; %bb.255:
	v_cvt_f32_f64_e32 v2, v[0:1]
	global_store_dword v[4:5], v2, off
.LBB7_256:
	s_mov_b64 s[36:37], 0
.LBB7_257:
	s_andn2_b64 vcc, exec, s[36:37]
	s_cbranch_vccnz .LBB7_259
; %bb.258:
	v_cvt_f32_f64_e32 v2, v[0:1]
	v_cvt_f16_f32_e32 v2, v2
	global_store_short v[4:5], v2, off
.LBB7_259:
	s_mov_b64 s[36:37], 0
.LBB7_260:
	s_andn2_b64 vcc, exec, s[36:37]
	s_cbranch_vccnz .LBB7_276
; %bb.261:
	v_mov_b32_e32 v2, 2
	v_cmp_lt_i16_sdwa s[44:45], v10, v2 src0_sel:BYTE_0 src1_sel:DWORD
	s_mov_b64 s[36:37], -1
	s_and_b64 vcc, exec, s[44:45]
	s_cbranch_vccnz .LBB7_271
; %bb.262:
	v_mov_b32_e32 v2, 3
	v_cmp_lt_i16_sdwa s[44:45], v10, v2 src0_sel:BYTE_0 src1_sel:DWORD
	s_and_b64 vcc, exec, s[44:45]
	s_cbranch_vccnz .LBB7_268
; %bb.263:
	v_cmp_gt_i16_sdwa s[44:45], v10, v2 src0_sel:BYTE_0 src1_sel:DWORD
	s_and_b64 vcc, exec, s[44:45]
	s_cbranch_vccz .LBB7_265
; %bb.264:
	v_trunc_f64_e32 v[2:3], v[0:1]
	s_movk_i32 s36, 0xffe0
	v_ldexp_f64 v[6:7], v[2:3], s36
	v_floor_f64_e32 v[6:7], v[6:7]
	v_fmac_f64_e32 v[2:3], 0xc1f00000, v[6:7]
	v_cvt_i32_f64_e32 v13, v[6:7]
	v_cvt_u32_f64_e32 v12, v[2:3]
	global_store_dwordx2 v[4:5], v[12:13], off
	s_mov_b64 s[36:37], 0
.LBB7_265:
	s_andn2_b64 vcc, exec, s[36:37]
	s_cbranch_vccnz .LBB7_267
; %bb.266:
	v_cvt_i32_f64_e32 v2, v[0:1]
	global_store_dword v[4:5], v2, off
.LBB7_267:
	s_mov_b64 s[36:37], 0
.LBB7_268:
	s_andn2_b64 vcc, exec, s[36:37]
	s_cbranch_vccnz .LBB7_270
; %bb.269:
	v_cvt_i32_f64_e32 v2, v[0:1]
	global_store_short v[4:5], v2, off
.LBB7_270:
	s_mov_b64 s[36:37], 0
.LBB7_271:
	s_andn2_b64 vcc, exec, s[36:37]
	s_cbranch_vccnz .LBB7_276
; %bb.272:
	v_mov_b32_e32 v2, 0
	v_cmp_gt_i16_sdwa s[44:45], v10, v2 src0_sel:BYTE_0 src1_sel:DWORD
	s_mov_b64 s[36:37], -1
	s_and_b64 vcc, exec, s[44:45]
	s_cbranch_vccz .LBB7_274
; %bb.273:
	v_cvt_i32_f64_e32 v2, v[0:1]
	global_store_byte v[4:5], v2, off
	s_mov_b64 s[36:37], 0
.LBB7_274:
	s_andn2_b64 vcc, exec, s[36:37]
	s_cbranch_vccnz .LBB7_276
; %bb.275:
	v_trunc_f64_e32 v[0:1], v[0:1]
	s_movk_i32 s36, 0xffe0
	v_ldexp_f64 v[2:3], v[0:1], s36
	v_floor_f64_e32 v[2:3], v[2:3]
	v_fmac_f64_e32 v[0:1], 0xc1f00000, v[2:3]
	v_cvt_u32_f64_e32 v0, v[0:1]
	global_store_byte v[4:5], v0, off
.LBB7_276:
	s_mov_b64 s[36:37], -1
.LBB7_277:
	s_andn2_b64 vcc, exec, s[36:37]
	s_cbranch_vccnz .LBB7_279
; %bb.278:
	v_add_u32_e32 v16, 0x80, v16
	s_mov_b64 s[44:45], -1
	s_branch .LBB7_392
.LBB7_279:
	s_mov_b64 s[44:45], 0
                                        ; implicit-def: $vgpr16
	s_branch .LBB7_392
.LBB7_280:
	s_mov_b64 s[38:39], -1
                                        ; implicit-def: $vgpr6_vgpr7
.LBB7_281:
	s_mov_b64 s[36:37], 0
.LBB7_282:
	s_and_b64 vcc, exec, s[36:37]
	s_cbranch_vccz .LBB7_286
; %bb.283:
	v_mov_b32_e32 v3, 29
	v_cmp_eq_u16_sdwa s[36:37], v11, v3 src0_sel:BYTE_0 src1_sel:DWORD
	s_and_b64 vcc, exec, s[36:37]
	s_cbranch_vccz .LBB7_285
; %bb.284:
	global_load_dwordx2 v[6:7], v[4:5], off
	s_mov_b64 s[0:1], -1
	s_mov_b64 s[38:39], 0
	s_mov_b64 s[36:37], 0
	s_waitcnt vmcnt(0)
	v_cvt_f64_u32_e32 v[12:13], v7
	v_cvt_f64_u32_e32 v[6:7], v6
	v_ldexp_f64 v[12:13], v[12:13], 32
	v_add_f64 v[6:7], v[12:13], v[6:7]
	s_branch .LBB7_287
.LBB7_285:
	s_mov_b64 s[38:39], -1
                                        ; implicit-def: $vgpr6_vgpr7
.LBB7_286:
	s_mov_b64 s[36:37], 0
.LBB7_287:
	s_and_b64 vcc, exec, s[36:37]
	s_cbranch_vccz .LBB7_305
; %bb.288:
	v_mov_b32_e32 v3, 27
	v_cmp_lt_i16_sdwa s[0:1], v11, v3 src0_sel:BYTE_0 src1_sel:DWORD
	s_and_b64 vcc, exec, s[0:1]
	s_cbranch_vccnz .LBB7_291
; %bb.289:
	v_cmp_gt_i16_sdwa s[0:1], v11, v3 src0_sel:BYTE_0 src1_sel:DWORD
	s_and_b64 vcc, exec, s[0:1]
	s_cbranch_vccz .LBB7_292
; %bb.290:
	global_load_dword v3, v[4:5], off
	s_mov_b64 s[0:1], 0
	s_waitcnt vmcnt(0)
	v_cvt_f64_u32_e32 v[6:7], v3
	s_branch .LBB7_293
.LBB7_291:
	s_mov_b64 s[0:1], -1
                                        ; implicit-def: $vgpr6_vgpr7
	s_branch .LBB7_296
.LBB7_292:
	s_mov_b64 s[0:1], -1
                                        ; implicit-def: $vgpr6_vgpr7
.LBB7_293:
	s_andn2_b64 vcc, exec, s[0:1]
	s_cbranch_vccnz .LBB7_295
; %bb.294:
	global_load_ushort v3, v[4:5], off
	s_waitcnt vmcnt(0)
	v_cvt_f64_u32_e32 v[6:7], v3
.LBB7_295:
	s_mov_b64 s[0:1], 0
.LBB7_296:
	s_andn2_b64 vcc, exec, s[0:1]
	s_cbranch_vccnz .LBB7_304
; %bb.297:
	global_load_ubyte v3, v[4:5], off
	s_movk_i32 s0, 0x7f
                                        ; implicit-def: $sgpr36_sgpr37
	s_waitcnt vmcnt(0)
	v_cmp_lt_i16_e32 vcc, s0, v3
	s_mov_b64 s[0:1], 0
	s_and_saveexec_b64 s[44:45], vcc
	s_xor_b64 s[44:45], exec, s[44:45]
	s_cbranch_execz .LBB7_318
; %bb.298:
	s_movk_i32 s0, 0x80
	v_cmp_eq_u16_e32 vcc, s0, v3
	s_mov_b64 s[48:49], -1
                                        ; implicit-def: $sgpr36_sgpr37
	s_and_saveexec_b64 s[0:1], vcc
; %bb.299:
	s_mov_b32 s37, 0x7ff80000
	s_brev_b32 s36, 4
	s_xor_b64 s[48:49], exec, -1
; %bb.300:
	s_or_b64 exec, exec, s[0:1]
	s_and_b64 s[0:1], s[48:49], exec
	s_or_saveexec_b64 s[44:45], s[44:45]
	v_pk_mov_b32 v[6:7], s[36:37], s[36:37] op_sel:[0,1]
	s_xor_b64 exec, exec, s[44:45]
	s_cbranch_execnz .LBB7_319
.LBB7_301:
	s_or_b64 exec, exec, s[44:45]
	s_and_saveexec_b64 s[36:37], s[0:1]
	s_cbranch_execz .LBB7_303
.LBB7_302:
	v_lshlrev_b32_e32 v6, 24, v3
	v_and_b32_e32 v3, 0xffff, v3
	v_and_b32_e32 v7, 7, v3
	v_ffbh_u32_e32 v12, v7
	v_min_u32_e32 v12, 32, v12
	v_subrev_u32_e32 v13, 28, v12
	v_bfe_u32 v9, v3, 3, 4
	v_lshlrev_b32_e32 v3, v13, v3
	v_sub_u32_e32 v12, 29, v12
	v_and_b32_e32 v3, 7, v3
	v_cmp_eq_u32_e32 vcc, 0, v9
	v_cndmask_b32_e32 v9, v9, v12, vcc
	v_cndmask_b32_e32 v3, v7, v3, vcc
	v_mov_b32_e32 v7, 0x3b800000
	v_lshlrev_b32_e32 v3, 20, v3
	v_and_b32_e32 v6, 0x80000000, v6
	v_lshl_add_u32 v7, v9, 23, v7
	v_or3_b32 v3, v6, v7, v3
	v_cvt_f64_f32_e32 v[6:7], v3
.LBB7_303:
	s_or_b64 exec, exec, s[36:37]
.LBB7_304:
	s_mov_b64 s[0:1], -1
.LBB7_305:
	s_mov_b64 s[36:37], 0
.LBB7_306:
	s_and_b64 vcc, exec, s[36:37]
	s_cbranch_vccz .LBB7_341
; %bb.307:
	v_mov_b32_e32 v3, 22
	v_cmp_gt_i16_sdwa s[36:37], v11, v3 src0_sel:BYTE_0 src1_sel:DWORD
	s_and_b64 vcc, exec, s[36:37]
	s_cbranch_vccz .LBB7_317
; %bb.308:
	v_mov_b32_e32 v3, 24
	v_cmp_lt_i16_sdwa s[0:1], v11, v3 src0_sel:BYTE_0 src1_sel:DWORD
	s_and_b64 vcc, exec, s[0:1]
	s_cbranch_vccnz .LBB7_320
; %bb.309:
	v_cmp_gt_i16_sdwa s[0:1], v11, v3 src0_sel:BYTE_0 src1_sel:DWORD
	s_and_b64 vcc, exec, s[0:1]
	s_cbranch_vccz .LBB7_321
; %bb.310:
	global_load_ubyte v3, v[4:5], off
	s_movk_i32 s0, 0x7f
                                        ; implicit-def: $sgpr36_sgpr37
	s_waitcnt vmcnt(0)
	v_cmp_lt_i16_e32 vcc, s0, v3
	s_mov_b64 s[0:1], 0
	s_and_saveexec_b64 s[44:45], vcc
	s_xor_b64 s[44:45], exec, s[44:45]
	s_cbranch_execz .LBB7_333
; %bb.311:
	s_movk_i32 s0, 0x80
	v_cmp_eq_u16_e32 vcc, s0, v3
	s_mov_b64 s[48:49], -1
                                        ; implicit-def: $sgpr36_sgpr37
	s_and_saveexec_b64 s[0:1], vcc
; %bb.312:
	s_mov_b32 s37, 0x7ff80000
	s_brev_b32 s36, 4
	s_xor_b64 s[48:49], exec, -1
; %bb.313:
	s_or_b64 exec, exec, s[0:1]
	s_and_b64 s[0:1], s[48:49], exec
	s_or_saveexec_b64 s[44:45], s[44:45]
	v_pk_mov_b32 v[6:7], s[36:37], s[36:37] op_sel:[0,1]
	s_xor_b64 exec, exec, s[44:45]
	s_cbranch_execnz .LBB7_334
.LBB7_314:
	s_or_b64 exec, exec, s[44:45]
	s_and_saveexec_b64 s[36:37], s[0:1]
	s_cbranch_execz .LBB7_316
.LBB7_315:
	v_lshlrev_b32_e32 v6, 24, v3
	v_and_b32_e32 v3, 0xffff, v3
	v_and_b32_e32 v7, 3, v3
	v_ffbh_u32_e32 v12, v7
	v_min_u32_e32 v12, 32, v12
	v_subrev_u32_e32 v13, 29, v12
	v_bfe_u32 v9, v3, 2, 5
	v_lshlrev_b32_e32 v3, v13, v3
	v_sub_u32_e32 v12, 30, v12
	v_and_b32_e32 v3, 3, v3
	v_cmp_eq_u32_e32 vcc, 0, v9
	v_cndmask_b32_e32 v9, v9, v12, vcc
	v_cndmask_b32_e32 v3, v7, v3, vcc
	v_mov_b32_e32 v7, 0x37800000
	v_lshlrev_b32_e32 v3, 21, v3
	v_and_b32_e32 v6, 0x80000000, v6
	v_lshl_add_u32 v7, v9, 23, v7
	v_or3_b32 v3, v6, v7, v3
	v_cvt_f64_f32_e32 v[6:7], v3
.LBB7_316:
	s_or_b64 exec, exec, s[36:37]
	s_mov_b64 s[0:1], 0
	s_branch .LBB7_322
.LBB7_317:
	s_mov_b64 s[36:37], -1
                                        ; implicit-def: $vgpr6_vgpr7
	s_branch .LBB7_328
.LBB7_318:
	s_or_saveexec_b64 s[44:45], s[44:45]
	v_pk_mov_b32 v[6:7], s[36:37], s[36:37] op_sel:[0,1]
	s_xor_b64 exec, exec, s[44:45]
	s_cbranch_execz .LBB7_301
.LBB7_319:
	v_cmp_ne_u16_e32 vcc, 0, v3
	s_andn2_b64 s[0:1], s[0:1], exec
	s_and_b64 s[36:37], vcc, exec
	v_pk_mov_b32 v[6:7], 0, 0
	s_or_b64 s[0:1], s[0:1], s[36:37]
	s_or_b64 exec, exec, s[44:45]
	s_and_saveexec_b64 s[36:37], s[0:1]
	s_cbranch_execnz .LBB7_302
	s_branch .LBB7_303
.LBB7_320:
	s_mov_b64 s[0:1], -1
                                        ; implicit-def: $vgpr6_vgpr7
	s_branch .LBB7_325
.LBB7_321:
	s_mov_b64 s[0:1], -1
                                        ; implicit-def: $vgpr6_vgpr7
.LBB7_322:
	s_and_b64 vcc, exec, s[0:1]
	s_cbranch_vccz .LBB7_324
; %bb.323:
	global_load_ubyte v3, v[4:5], off
	s_mov_b32 s0, 0x7f800000
	s_waitcnt vmcnt(0)
	v_lshlrev_b32_e32 v3, 24, v3
	v_and_b32_e32 v6, 0x7f000000, v3
	v_ffbh_u32_e32 v7, v6
	v_min_u32_e32 v7, 32, v7
	v_sub_u32_e64 v7, v7, 4 clamp
	v_lshlrev_b32_e32 v12, v7, v6
	v_lshlrev_b32_e32 v7, 23, v7
	v_lshrrev_b32_e32 v12, 4, v12
	v_add_u32_e32 v9, 0x1000000, v6
	v_sub_u32_e32 v7, v12, v7
	v_ashrrev_i32_e32 v9, 8, v9
	v_add_u32_e32 v7, 0x3c000000, v7
	v_and_or_b32 v7, v9, s0, v7
	v_cmp_ne_u32_e32 vcc, 0, v6
	v_cndmask_b32_e32 v6, 0, v7, vcc
	s_brev_b32 s0, 1
	v_and_or_b32 v3, v3, s0, v6
	v_cvt_f64_f32_e32 v[6:7], v3
.LBB7_324:
	s_mov_b64 s[0:1], 0
.LBB7_325:
	s_andn2_b64 vcc, exec, s[0:1]
	s_cbranch_vccnz .LBB7_327
; %bb.326:
	global_load_ubyte v3, v[4:5], off
	s_movk_i32 s0, 0x7f00
	s_brev_b32 s1, 16
	s_waitcnt vmcnt(0)
	v_lshlrev_b16_e32 v6, 8, v3
	v_lshlrev_b32_e32 v3, 25, v3
	v_lshrrev_b32_e32 v7, 4, v3
	v_and_or_b32 v9, v6, s0, 0.5
	v_or_b32_e32 v7, 0x70000000, v7
	v_add_f32_e32 v9, -0.5, v9
	v_mul_f32_e32 v7, 0x7800000, v7
	v_cmp_gt_u32_e32 vcc, s1, v3
	v_bfe_i32 v6, v6, 0, 16
	v_cndmask_b32_e32 v3, v7, v9, vcc
	s_brev_b32 s0, 1
	v_and_or_b32 v3, v6, s0, v3
	v_cvt_f64_f32_e32 v[6:7], v3
.LBB7_327:
	s_mov_b64 s[36:37], 0
	s_mov_b64 s[0:1], -1
.LBB7_328:
	s_andn2_b64 vcc, exec, s[36:37]
	s_cbranch_vccnz .LBB7_341
; %bb.329:
	v_mov_b32_e32 v3, 14
	v_cmp_gt_i16_sdwa s[36:37], v11, v3 src0_sel:BYTE_0 src1_sel:DWORD
	s_and_b64 vcc, exec, s[36:37]
	s_cbranch_vccz .LBB7_332
; %bb.330:
	v_mov_b32_e32 v3, 15
	v_cmp_eq_u16_sdwa s[36:37], v11, v3 src0_sel:BYTE_0 src1_sel:DWORD
	s_and_b64 vcc, exec, s[36:37]
	s_cbranch_vccz .LBB7_335
; %bb.331:
	global_load_ushort v3, v[4:5], off
	s_mov_b64 s[0:1], -1
	s_mov_b64 s[38:39], 0
	s_waitcnt vmcnt(0)
	v_lshlrev_b32_e32 v3, 16, v3
	v_cvt_f64_f32_e32 v[6:7], v3
	s_branch .LBB7_336
.LBB7_332:
	s_mov_b64 s[36:37], -1
                                        ; implicit-def: $vgpr6_vgpr7
	s_branch .LBB7_337
.LBB7_333:
	s_or_saveexec_b64 s[44:45], s[44:45]
	v_pk_mov_b32 v[6:7], s[36:37], s[36:37] op_sel:[0,1]
	s_xor_b64 exec, exec, s[44:45]
	s_cbranch_execz .LBB7_314
.LBB7_334:
	v_cmp_ne_u16_e32 vcc, 0, v3
	s_andn2_b64 s[0:1], s[0:1], exec
	s_and_b64 s[36:37], vcc, exec
	v_pk_mov_b32 v[6:7], 0, 0
	s_or_b64 s[0:1], s[0:1], s[36:37]
	s_or_b64 exec, exec, s[44:45]
	s_and_saveexec_b64 s[36:37], s[0:1]
	s_cbranch_execnz .LBB7_315
	s_branch .LBB7_316
.LBB7_335:
	s_mov_b64 s[38:39], -1
                                        ; implicit-def: $vgpr6_vgpr7
.LBB7_336:
	s_mov_b64 s[36:37], 0
.LBB7_337:
	s_and_b64 vcc, exec, s[36:37]
	s_cbranch_vccz .LBB7_341
; %bb.338:
	v_mov_b32_e32 v3, 11
	v_cmp_eq_u16_sdwa s[36:37], v11, v3 src0_sel:BYTE_0 src1_sel:DWORD
	s_and_b64 vcc, exec, s[36:37]
	s_cbranch_vccz .LBB7_340
; %bb.339:
	global_load_ubyte v3, v[4:5], off
	v_mov_b32_e32 v7, 0x3ff00000
	v_mov_b32_e32 v6, 0
	s_mov_b64 s[0:1], -1
	s_mov_b64 s[38:39], 0
	s_waitcnt vmcnt(0)
	v_cmp_ne_u16_e32 vcc, 0, v3
	v_cndmask_b32_e32 v7, 0, v7, vcc
	s_branch .LBB7_341
.LBB7_340:
	s_mov_b64 s[38:39], -1
                                        ; implicit-def: $vgpr6_vgpr7
.LBB7_341:
	s_branch .LBB7_30
.LBB7_342:
	v_mov_b32_e32 v3, 5
	v_cmp_lt_i16_sdwa s[0:1], v11, v3 src0_sel:BYTE_0 src1_sel:DWORD
	s_and_b64 vcc, exec, s[0:1]
	s_cbranch_vccnz .LBB7_347
; %bb.343:
	v_mov_b32_e32 v3, 8
	v_cmp_lt_i16_sdwa s[0:1], v11, v3 src0_sel:BYTE_0 src1_sel:DWORD
	s_and_b64 vcc, exec, s[0:1]
	s_cbranch_vccnz .LBB7_348
; %bb.344:
	v_mov_b32_e32 v3, 9
	v_cmp_lt_i16_sdwa s[0:1], v11, v3 src0_sel:BYTE_0 src1_sel:DWORD
	s_and_b64 vcc, exec, s[0:1]
	s_cbranch_vccnz .LBB7_349
; %bb.345:
	v_cmp_gt_i16_sdwa s[0:1], v11, v3 src0_sel:BYTE_0 src1_sel:DWORD
	s_and_b64 vcc, exec, s[0:1]
	s_cbranch_vccz .LBB7_350
; %bb.346:
	global_load_dwordx2 v[6:7], v[4:5], off
	s_mov_b64 s[0:1], 0
	s_branch .LBB7_351
.LBB7_347:
	s_mov_b64 s[0:1], -1
                                        ; implicit-def: $vgpr6_vgpr7
	s_branch .LBB7_369
.LBB7_348:
	s_mov_b64 s[0:1], -1
                                        ; implicit-def: $vgpr6_vgpr7
	s_branch .LBB7_357
.LBB7_349:
	s_mov_b64 s[0:1], -1
                                        ; implicit-def: $vgpr6_vgpr7
	s_branch .LBB7_354
.LBB7_350:
	s_mov_b64 s[0:1], -1
                                        ; implicit-def: $vgpr6_vgpr7
.LBB7_351:
	s_andn2_b64 vcc, exec, s[0:1]
	s_cbranch_vccnz .LBB7_353
; %bb.352:
	global_load_dword v3, v[4:5], off
	s_waitcnt vmcnt(0)
	v_cvt_f64_f32_e32 v[6:7], v3
.LBB7_353:
	s_mov_b64 s[0:1], 0
.LBB7_354:
	s_andn2_b64 vcc, exec, s[0:1]
	s_cbranch_vccnz .LBB7_356
; %bb.355:
	global_load_dword v3, v[4:5], off
	s_waitcnt vmcnt(0)
	v_cvt_f32_f16_e32 v3, v3
	v_cvt_f64_f32_e32 v[6:7], v3
.LBB7_356:
	s_mov_b64 s[0:1], 0
.LBB7_357:
	s_andn2_b64 vcc, exec, s[0:1]
	s_cbranch_vccnz .LBB7_368
; %bb.358:
	v_mov_b32_e32 v3, 6
	v_cmp_lt_i16_sdwa s[0:1], v11, v3 src0_sel:BYTE_0 src1_sel:DWORD
	s_and_b64 vcc, exec, s[0:1]
	s_cbranch_vccnz .LBB7_361
; %bb.359:
	v_cmp_gt_i16_sdwa s[0:1], v11, v3 src0_sel:BYTE_0 src1_sel:DWORD
	s_and_b64 vcc, exec, s[0:1]
	s_cbranch_vccz .LBB7_362
; %bb.360:
	global_load_dwordx2 v[6:7], v[4:5], off
	s_mov_b64 s[0:1], 0
	s_branch .LBB7_363
.LBB7_361:
	s_mov_b64 s[0:1], -1
                                        ; implicit-def: $vgpr6_vgpr7
	s_branch .LBB7_366
.LBB7_362:
	s_mov_b64 s[0:1], -1
                                        ; implicit-def: $vgpr6_vgpr7
.LBB7_363:
	s_andn2_b64 vcc, exec, s[0:1]
	s_cbranch_vccnz .LBB7_365
; %bb.364:
	global_load_dword v3, v[4:5], off
	s_waitcnt vmcnt(0)
	v_cvt_f64_f32_e32 v[6:7], v3
.LBB7_365:
	s_mov_b64 s[0:1], 0
.LBB7_366:
	s_andn2_b64 vcc, exec, s[0:1]
	s_cbranch_vccnz .LBB7_368
; %bb.367:
	global_load_ushort v3, v[4:5], off
	s_waitcnt vmcnt(0)
	v_cvt_f32_f16_e32 v3, v3
	v_cvt_f64_f32_e32 v[6:7], v3
.LBB7_368:
	s_mov_b64 s[0:1], 0
.LBB7_369:
	s_andn2_b64 vcc, exec, s[0:1]
	s_cbranch_vccnz .LBB7_389
; %bb.370:
	v_mov_b32_e32 v3, 2
	v_cmp_lt_i16_sdwa s[0:1], v11, v3 src0_sel:BYTE_0 src1_sel:DWORD
	s_and_b64 vcc, exec, s[0:1]
	s_cbranch_vccnz .LBB7_374
; %bb.371:
	v_mov_b32_e32 v3, 3
	v_cmp_lt_i16_sdwa s[0:1], v11, v3 src0_sel:BYTE_0 src1_sel:DWORD
	s_and_b64 vcc, exec, s[0:1]
	s_cbranch_vccnz .LBB7_375
; %bb.372:
	v_cmp_gt_i16_sdwa s[0:1], v11, v3 src0_sel:BYTE_0 src1_sel:DWORD
	s_and_b64 vcc, exec, s[0:1]
	s_cbranch_vccz .LBB7_376
; %bb.373:
	global_load_dwordx2 v[6:7], v[4:5], off
	s_mov_b64 s[0:1], 0
	s_waitcnt vmcnt(0)
	v_cvt_f64_i32_e32 v[12:13], v7
	v_cvt_f64_u32_e32 v[6:7], v6
	v_ldexp_f64 v[12:13], v[12:13], 32
	v_add_f64 v[6:7], v[12:13], v[6:7]
	s_branch .LBB7_377
.LBB7_374:
	s_mov_b64 s[0:1], -1
                                        ; implicit-def: $vgpr6_vgpr7
	s_branch .LBB7_383
.LBB7_375:
	s_mov_b64 s[0:1], -1
                                        ; implicit-def: $vgpr6_vgpr7
	s_branch .LBB7_380
.LBB7_376:
	s_mov_b64 s[0:1], -1
                                        ; implicit-def: $vgpr6_vgpr7
.LBB7_377:
	s_andn2_b64 vcc, exec, s[0:1]
	s_cbranch_vccnz .LBB7_379
; %bb.378:
	global_load_dword v3, v[4:5], off
	s_waitcnt vmcnt(0)
	v_cvt_f64_i32_e32 v[6:7], v3
.LBB7_379:
	s_mov_b64 s[0:1], 0
.LBB7_380:
	s_andn2_b64 vcc, exec, s[0:1]
	s_cbranch_vccnz .LBB7_382
; %bb.381:
	global_load_sshort v3, v[4:5], off
	s_waitcnt vmcnt(0)
	v_cvt_f64_i32_e32 v[6:7], v3
.LBB7_382:
	s_mov_b64 s[0:1], 0
.LBB7_383:
	s_andn2_b64 vcc, exec, s[0:1]
	s_cbranch_vccnz .LBB7_389
; %bb.384:
	v_mov_b32_e32 v3, 0
	v_cmp_gt_i16_sdwa s[0:1], v11, v3 src0_sel:BYTE_0 src1_sel:DWORD
	s_and_b64 vcc, exec, s[0:1]
	s_cbranch_vccz .LBB7_386
; %bb.385:
	global_load_sbyte v3, v[4:5], off
	s_mov_b64 s[0:1], 0
	s_waitcnt vmcnt(0)
	v_cvt_f64_i32_e32 v[6:7], v3
	s_branch .LBB7_387
.LBB7_386:
	s_mov_b64 s[0:1], -1
                                        ; implicit-def: $vgpr6_vgpr7
.LBB7_387:
	s_andn2_b64 vcc, exec, s[0:1]
	s_cbranch_vccnz .LBB7_389
; %bb.388:
	global_load_ubyte v3, v[4:5], off
	s_waitcnt vmcnt(0)
	v_cvt_f64_u32_e32 v[6:7], v3
.LBB7_389:
	s_branch .LBB7_31
.LBB7_390:
	s_mov_b64 s[0:1], 0
.LBB7_391:
                                        ; implicit-def: $vgpr16
	s_mov_b64 s[44:45], 0
.LBB7_392:
	s_and_b64 s[36:37], s[0:1], exec
	s_and_b64 s[38:39], s[38:39], exec
	;; [unrolled: 1-line block ×3, first 2 shown]
	s_orn2_b64 s[0:1], s[44:45], exec
.LBB7_393:
	s_or_b64 exec, exec, s[42:43]
	s_mov_b64 s[50:51], 0
	s_mov_b64 s[48:49], 0
                                        ; implicit-def: $vgpr1
                                        ; implicit-def: $vgpr6_vgpr7
                                        ; implicit-def: $vgpr0
                                        ; implicit-def: $vgpr2
                                        ; implicit-def: $vgpr4_vgpr5
	s_and_saveexec_b64 s[42:43], s[0:1]
	s_cbranch_execz .LBB7_402
; %bb.394:
	v_cmp_gt_i32_e32 vcc, s66, v16
	s_mov_b64 s[0:1], -1
	s_mov_b64 s[44:45], s[40:41]
	s_mov_b64 s[46:47], s[38:39]
	;; [unrolled: 1-line block ×3, first 2 shown]
	s_and_saveexec_b64 s[50:51], vcc
	s_cbranch_execz .LBB7_793
; %bb.395:
	s_andn2_b64 vcc, exec, s[20:21]
	s_cbranch_vccnz .LBB7_405
; %bb.396:
	s_andn2_b64 vcc, exec, s[34:35]
	v_mov_b32_e32 v4, 0
	s_waitcnt vmcnt(0)
	v_mov_b32_e32 v0, 0
	v_mov_b32_e32 v2, 0
	s_cbranch_vccnz .LBB7_401
; %bb.397:
	s_add_i32 s0, s69, 1
	s_and_b32 s44, s0, 30
	s_add_u32 s0, s2, 0xffffffec
	s_addc_u32 s1, s3, -1
	v_mov_b32_e32 v2, 0
	v_mov_b32_e32 v1, v16
	;; [unrolled: 1-line block ×4, first 2 shown]
.LBB7_398:                              ; =>This Inner Loop Header: Depth=1
	s_mov_b64 s[46:47], s[0:1]
	s_load_dwordx4 s[52:55], s[46:47], 0x18
	s_load_dwordx2 s[48:49], s[46:47], 0x28
	s_load_dwordx2 s[60:61], s[46:47], 0xe8
	s_load_dwordx4 s[56:59], s[46:47], 0xd8
	s_add_u32 s0, s46, 24
	s_waitcnt lgkmcnt(0)
	v_mul_hi_u32 v3, s53, v1
	v_add_u32_e32 v3, v1, v3
	v_lshrrev_b32_e32 v3, s54, v3
	v_mul_lo_u32 v5, v3, s52
	v_mul_hi_u32 v6, s48, v3
	v_sub_u32_e32 v1, v1, v5
	v_add_u32_e32 v5, v3, v6
	v_mul_lo_u32 v6, v1, s56
	v_mul_lo_u32 v7, v1, s57
	;; [unrolled: 1-line block ×3, first 2 shown]
	v_lshrrev_b32_e32 v1, s49, v5
	v_mul_lo_u32 v5, v1, s55
	v_sub_u32_e32 v3, v3, v5
	s_addc_u32 s1, s47, 0
	s_add_i32 s44, s44, -2
	v_mul_lo_u32 v5, v3, s59
	v_mul_lo_u32 v12, v3, s60
	;; [unrolled: 1-line block ×3, first 2 shown]
	s_cmp_eq_u32 s44, 0
	v_add3_u32 v2, v6, v2, v5
	v_add3_u32 v4, v9, v4, v3
	;; [unrolled: 1-line block ×3, first 2 shown]
	s_cbranch_scc0 .LBB7_398
; %bb.399:
	s_bitcmp1_b32 s69, 0
	s_cselect_b64 s[44:45], -1, 0
	s_and_b64 vcc, exec, s[44:45]
	s_cbranch_vccnz .LBB7_401
; %bb.400:
	s_load_dwordx2 s[44:45], s[0:1], 0x18
	s_load_dword s46, s[0:1], 0x20
	s_load_dword s47, s[0:1], 0xe0
	s_nop 0
	s_load_dwordx2 s[0:1], s[0:1], 0xd8
	s_waitcnt lgkmcnt(0)
	v_mul_hi_u32 v3, s45, v1
	v_add_u32_e32 v3, v1, v3
	v_lshrrev_b32_e32 v3, s46, v3
	v_mul_lo_u32 v3, v3, s44
	v_sub_u32_e32 v5, v1, v3
	v_mad_u64_u32 v[2:3], s[44:45], v5, s0, v[2:3]
	v_mad_u64_u32 v[0:1], s[0:1], v5, s1, v[0:1]
	;; [unrolled: 1-line block ×3, first 2 shown]
.LBB7_401:
	s_cbranch_execz .LBB7_406
	s_branch .LBB7_408
.LBB7_402:
	s_or_b64 exec, exec, s[42:43]
	s_waitcnt lgkmcnt(0)
	s_mov_b64 s[10:11], 0
	s_and_saveexec_b64 s[0:1], s[40:41]
	s_cbranch_execnz .LBB7_1289
.LBB7_403:
	s_or_b64 exec, exec, s[0:1]
	s_and_saveexec_b64 s[0:1], s[46:47]
	s_xor_b64 s[0:1], exec, s[0:1]
	s_cbranch_execz .LBB7_1290
.LBB7_404:
	s_waitcnt vmcnt(0)
	global_load_ubyte v3, v[6:7], off
	v_mov_b32_e32 v5, 0x3ff00000
	v_mov_b32_e32 v4, 0
	s_or_b64 s[48:49], s[48:49], exec
	s_waitcnt vmcnt(0)
	v_cmp_ne_u16_e32 vcc, 0, v3
	v_cndmask_b32_e32 v5, 0, v5, vcc
	s_or_b64 exec, exec, s[0:1]
	s_and_saveexec_b64 s[0:1], s[50:51]
	s_cbranch_execz .LBB7_1336
	s_branch .LBB7_1291
.LBB7_405:
                                        ; implicit-def: $vgpr4
                                        ; implicit-def: $vgpr0
                                        ; implicit-def: $vgpr2
	s_andn2_b64 vcc, exec, s[0:1]
	s_cbranch_vccnz .LBB7_408
.LBB7_406:
	s_waitcnt vmcnt(0) lgkmcnt(0)
	v_mul_hi_u32 v0, s17, v16
	v_add_u32_e32 v0, v16, v0
	v_lshrrev_b32_e32 v1, s18, v0
	v_mul_lo_u32 v0, v1, s16
	v_sub_u32_e32 v0, v16, v0
	v_mul_lo_u32 v2, v0, s12
	v_mul_lo_u32 v4, v0, s14
	s_andn2_b64 vcc, exec, s[30:31]
	v_mul_lo_u32 v0, v0, s13
	s_cbranch_vccnz .LBB7_408
; %bb.407:
	v_mul_hi_u32 v3, s28, v1
	v_add_u32_e32 v3, v1, v3
	v_lshrrev_b32_e32 v3, s29, v3
	v_mul_lo_u32 v3, v3, s19
	v_sub_u32_e32 v5, v1, v3
	v_mad_u64_u32 v[2:3], s[0:1], v5, s15, v[2:3]
	v_mad_u64_u32 v[0:1], s[0:1], v5, s26, v[0:1]
	;; [unrolled: 1-line block ×3, first 2 shown]
.LBB7_408:
	s_waitcnt vmcnt(0) lgkmcnt(0)
	v_mov_b32_e32 v1, s11
	v_add_co_u32_e32 v6, vcc, s10, v0
	v_mov_b32_e32 v0, 11
	v_addc_co_u32_e32 v7, vcc, 0, v1, vcc
	v_cmp_lt_i16_sdwa s[0:1], v8, v0 src0_sel:BYTE_0 src1_sel:DWORD
	s_and_b64 vcc, exec, s[0:1]
	s_cbranch_vccnz .LBB7_415
; %bb.409:
	v_mov_b32_e32 v0, 25
	v_cmp_gt_i16_sdwa s[0:1], v8, v0 src0_sel:BYTE_0 src1_sel:DWORD
	s_and_b64 vcc, exec, s[0:1]
	s_cbranch_vccz .LBB7_424
; %bb.410:
	v_mov_b32_e32 v0, 28
	v_cmp_gt_i16_sdwa s[0:1], v8, v0 src0_sel:BYTE_0 src1_sel:DWORD
	s_and_b64 vcc, exec, s[0:1]
	s_cbranch_vccz .LBB7_426
	;; [unrolled: 5-line block ×4, first 2 shown]
; %bb.413:
	v_mov_b32_e32 v0, 46
	v_cmp_eq_u16_sdwa s[0:1], v8, v0 src0_sel:BYTE_0 src1_sel:DWORD
	s_mov_b64 s[46:47], 0
	s_and_b64 vcc, exec, s[0:1]
	s_cbranch_vccz .LBB7_434
; %bb.414:
	global_load_dword v0, v[6:7], off
	s_mov_b64 s[0:1], -1
	s_mov_b64 s[44:45], 0
	s_waitcnt vmcnt(0)
	v_lshlrev_b32_e32 v0, 16, v0
	v_cvt_f64_f32_e32 v[0:1], v0
	s_branch .LBB7_435
.LBB7_415:
	s_mov_b64 s[0:1], 0
                                        ; implicit-def: $vgpr0_vgpr1
	s_mov_b64 s[44:45], s[40:41]
	s_cbranch_execnz .LBB7_501
.LBB7_416:
	s_andn2_b64 vcc, exec, s[0:1]
	s_cbranch_vccnz .LBB7_549
.LBB7_417:
	v_mov_b32_e32 v3, s25
	v_add_co_u32_e32 v4, vcc, s24, v4
	v_addc_co_u32_e32 v5, vcc, 0, v3, vcc
	v_mov_b32_e32 v3, 11
	v_cmp_lt_i16_sdwa s[0:1], v11, v3 src0_sel:BYTE_0 src1_sel:DWORD
	s_and_b64 vcc, exec, s[0:1]
	s_cbranch_vccnz .LBB7_425
; %bb.418:
	v_mov_b32_e32 v3, 25
	v_cmp_gt_i16_sdwa s[0:1], v11, v3 src0_sel:BYTE_0 src1_sel:DWORD
	s_and_b64 vcc, exec, s[0:1]
	s_cbranch_vccz .LBB7_427
; %bb.419:
	v_mov_b32_e32 v3, 28
	v_cmp_gt_i16_sdwa s[0:1], v11, v3 src0_sel:BYTE_0 src1_sel:DWORD
	s_and_b64 vcc, exec, s[0:1]
	s_cbranch_vccz .LBB7_429
; %bb.420:
	v_mov_b32_e32 v3, 43
	v_cmp_gt_i16_sdwa s[0:1], v11, v3 src0_sel:BYTE_0 src1_sel:DWORD
	s_and_b64 vcc, exec, s[0:1]
	s_cbranch_vccz .LBB7_431
; %bb.421:
	v_mov_b32_e32 v3, 45
	v_cmp_gt_i16_sdwa s[0:1], v11, v3 src0_sel:BYTE_0 src1_sel:DWORD
	s_and_b64 vcc, exec, s[0:1]
	s_cbranch_vccz .LBB7_438
; %bb.422:
	v_mov_b32_e32 v3, 46
	v_cmp_eq_u16_sdwa s[0:1], v11, v3 src0_sel:BYTE_0 src1_sel:DWORD
	s_mov_b64 s[48:49], 0
	s_and_b64 vcc, exec, s[0:1]
	s_cbranch_vccz .LBB7_553
; %bb.423:
	global_load_dword v3, v[4:5], off
	s_mov_b64 s[0:1], -1
	s_mov_b64 s[46:47], 0
	s_waitcnt vmcnt(0)
	v_lshlrev_b32_e32 v3, 16, v3
	v_cvt_f64_f32_e32 v[6:7], v3
	s_branch .LBB7_554
.LBB7_424:
	s_mov_b64 s[46:47], -1
	s_mov_b64 s[0:1], 0
	s_mov_b64 s[44:45], s[40:41]
                                        ; implicit-def: $vgpr0_vgpr1
	s_branch .LBB7_465
.LBB7_425:
	s_mov_b64 s[48:49], -1
	s_mov_b64 s[0:1], 0
                                        ; implicit-def: $vgpr6_vgpr7
	s_mov_b64 s[46:47], s[38:39]
	s_branch .LBB7_619
.LBB7_426:
	s_mov_b64 s[46:47], -1
	s_mov_b64 s[0:1], 0
	s_mov_b64 s[44:45], s[40:41]
                                        ; implicit-def: $vgpr0_vgpr1
	s_branch .LBB7_446
.LBB7_427:
	s_mov_b64 s[48:49], -1
	s_mov_b64 s[0:1], 0
	s_mov_b64 s[46:47], s[38:39]
                                        ; implicit-def: $vgpr6_vgpr7
	s_branch .LBB7_583
.LBB7_428:
	s_mov_b64 s[46:47], -1
	s_mov_b64 s[0:1], 0
	s_mov_b64 s[44:45], s[40:41]
                                        ; implicit-def: $vgpr0_vgpr1
	s_branch .LBB7_441
.LBB7_429:
	s_mov_b64 s[48:49], -1
	s_mov_b64 s[0:1], 0
	s_mov_b64 s[46:47], s[38:39]
                                        ; implicit-def: $vgpr6_vgpr7
	s_branch .LBB7_564
.LBB7_430:
	s_mov_b64 s[46:47], -1
	s_mov_b64 s[0:1], 0
	s_mov_b64 s[44:45], s[40:41]
                                        ; implicit-def: $vgpr0_vgpr1
	s_branch .LBB7_435
.LBB7_431:
	s_mov_b64 s[48:49], -1
	s_mov_b64 s[0:1], 0
	s_mov_b64 s[46:47], s[38:39]
                                        ; implicit-def: $vgpr6_vgpr7
	s_branch .LBB7_559
.LBB7_432:
	s_or_saveexec_b64 s[48:49], s[48:49]
                                        ; implicit-def: $sgpr50
	s_xor_b64 exec, exec, s[48:49]
	s_cbranch_execz .LBB7_190
.LBB7_433:
	s_mov_b32 s50, 0x46000000
	v_add_f32_e64 v3, |v2|, s50
	v_and_b32_e32 v3, 0xff, v3
	v_cmp_ne_u32_e32 vcc, 0, v3
	s_andn2_b64 s[44:45], s[44:45], exec
	s_and_b64 s[52:53], vcc, exec
	s_mov_b32 s50, 0
	s_or_b64 s[44:45], s[44:45], s[52:53]
	s_or_b64 exec, exec, s[48:49]
	v_mov_b32_e32 v6, s50
	s_and_saveexec_b64 s[48:49], s[44:45]
	s_cbranch_execnz .LBB7_191
	s_branch .LBB7_192
.LBB7_434:
	s_mov_b64 s[44:45], -1
                                        ; implicit-def: $vgpr0_vgpr1
	s_mov_b64 s[0:1], 0
.LBB7_435:
	s_and_b64 vcc, exec, s[46:47]
	s_cbranch_vccz .LBB7_440
; %bb.436:
	v_mov_b32_e32 v0, 44
	v_cmp_eq_u16_sdwa s[44:45], v8, v0 src0_sel:BYTE_0 src1_sel:DWORD
	s_and_b64 vcc, exec, s[44:45]
	s_cbranch_vccz .LBB7_439
; %bb.437:
	global_load_ubyte v3, v[6:7], off
	s_movk_i32 s44, 0xff
	v_bfrev_b32_e32 v5, 4
	v_mov_b32_e32 v9, 0x7ff80000
	v_bfrev_b32_e32 v12, 28
	s_mov_b64 s[0:1], -1
	s_waitcnt vmcnt(0)
	v_lshlrev_b32_e32 v0, 23, v3
	v_cvt_f64_f32_e32 v[0:1], v0
	v_cmp_ne_u32_e32 vcc, s44, v3
	v_cndmask_b32_e32 v0, v5, v0, vcc
	v_cndmask_b32_e32 v1, v9, v1, vcc
	v_cmp_ne_u32_e32 vcc, 0, v3
	v_cndmask_b32_e32 v1, v12, v1, vcc
	v_cndmask_b32_e32 v0, 0, v0, vcc
	s_mov_b64 s[44:45], 0
	s_branch .LBB7_440
.LBB7_438:
	s_mov_b64 s[48:49], -1
	s_mov_b64 s[0:1], 0
	s_mov_b64 s[46:47], s[38:39]
                                        ; implicit-def: $vgpr6_vgpr7
	s_branch .LBB7_554
.LBB7_439:
	s_mov_b64 s[44:45], -1
                                        ; implicit-def: $vgpr0_vgpr1
.LBB7_440:
	s_mov_b64 s[46:47], 0
.LBB7_441:
	s_and_b64 vcc, exec, s[46:47]
	s_cbranch_vccz .LBB7_445
; %bb.442:
	v_mov_b32_e32 v0, 29
	v_cmp_eq_u16_sdwa s[44:45], v8, v0 src0_sel:BYTE_0 src1_sel:DWORD
	s_and_b64 vcc, exec, s[44:45]
	s_cbranch_vccz .LBB7_444
; %bb.443:
	global_load_dwordx2 v[0:1], v[6:7], off
	s_mov_b64 s[0:1], -1
	s_mov_b64 s[44:45], 0
	s_mov_b64 s[46:47], 0
	s_waitcnt vmcnt(0)
	v_cvt_f64_u32_e32 v[12:13], v1
	v_cvt_f64_u32_e32 v[0:1], v0
	v_ldexp_f64 v[12:13], v[12:13], 32
	v_add_f64 v[0:1], v[12:13], v[0:1]
	s_branch .LBB7_446
.LBB7_444:
	s_mov_b64 s[44:45], -1
                                        ; implicit-def: $vgpr0_vgpr1
.LBB7_445:
	s_mov_b64 s[46:47], 0
.LBB7_446:
	s_and_b64 vcc, exec, s[46:47]
	s_cbranch_vccz .LBB7_464
; %bb.447:
	v_mov_b32_e32 v0, 27
	v_cmp_lt_i16_sdwa s[0:1], v8, v0 src0_sel:BYTE_0 src1_sel:DWORD
	s_and_b64 vcc, exec, s[0:1]
	s_cbranch_vccnz .LBB7_450
; %bb.448:
	v_cmp_gt_i16_sdwa s[0:1], v8, v0 src0_sel:BYTE_0 src1_sel:DWORD
	s_and_b64 vcc, exec, s[0:1]
	s_cbranch_vccz .LBB7_451
; %bb.449:
	global_load_dword v0, v[6:7], off
	s_mov_b64 s[0:1], 0
	s_waitcnt vmcnt(0)
	v_cvt_f64_u32_e32 v[0:1], v0
	s_branch .LBB7_452
.LBB7_450:
	s_mov_b64 s[0:1], -1
                                        ; implicit-def: $vgpr0_vgpr1
	s_branch .LBB7_455
.LBB7_451:
	s_mov_b64 s[0:1], -1
                                        ; implicit-def: $vgpr0_vgpr1
.LBB7_452:
	s_andn2_b64 vcc, exec, s[0:1]
	s_cbranch_vccnz .LBB7_454
; %bb.453:
	global_load_ushort v0, v[6:7], off
	s_waitcnt vmcnt(0)
	v_cvt_f64_u32_e32 v[0:1], v0
.LBB7_454:
	s_mov_b64 s[0:1], 0
.LBB7_455:
	s_andn2_b64 vcc, exec, s[0:1]
	s_cbranch_vccnz .LBB7_463
; %bb.456:
	global_load_ubyte v3, v[6:7], off
	s_movk_i32 s0, 0x7f
                                        ; implicit-def: $sgpr46_sgpr47
	s_waitcnt vmcnt(0)
	v_cmp_lt_i16_e32 vcc, s0, v3
	s_mov_b64 s[0:1], 0
	s_and_saveexec_b64 s[48:49], vcc
	s_xor_b64 s[48:49], exec, s[48:49]
	s_cbranch_execz .LBB7_477
; %bb.457:
	s_movk_i32 s0, 0x80
	v_cmp_eq_u16_e32 vcc, s0, v3
	s_mov_b64 s[52:53], -1
                                        ; implicit-def: $sgpr46_sgpr47
	s_and_saveexec_b64 s[0:1], vcc
; %bb.458:
	s_mov_b32 s47, 0x7ff80000
	s_brev_b32 s46, 4
	s_xor_b64 s[52:53], exec, -1
; %bb.459:
	s_or_b64 exec, exec, s[0:1]
	s_and_b64 s[0:1], s[52:53], exec
	s_or_saveexec_b64 s[48:49], s[48:49]
	v_pk_mov_b32 v[0:1], s[46:47], s[46:47] op_sel:[0,1]
	s_xor_b64 exec, exec, s[48:49]
	s_cbranch_execnz .LBB7_478
.LBB7_460:
	s_or_b64 exec, exec, s[48:49]
	s_and_saveexec_b64 s[46:47], s[0:1]
	s_cbranch_execz .LBB7_462
.LBB7_461:
	v_and_b32_e32 v1, 0xffff, v3
	v_lshlrev_b32_e32 v0, 24, v3
	v_and_b32_e32 v3, 7, v1
	v_ffbh_u32_e32 v9, v3
	v_min_u32_e32 v9, 32, v9
	v_subrev_u32_e32 v12, 28, v9
	v_bfe_u32 v5, v1, 3, 4
	v_lshlrev_b32_e32 v1, v12, v1
	v_sub_u32_e32 v9, 29, v9
	v_and_b32_e32 v1, 7, v1
	v_cmp_eq_u32_e32 vcc, 0, v5
	v_cndmask_b32_e32 v5, v5, v9, vcc
	v_cndmask_b32_e32 v1, v3, v1, vcc
	v_mov_b32_e32 v3, 0x3b800000
	v_lshlrev_b32_e32 v1, 20, v1
	v_and_b32_e32 v0, 0x80000000, v0
	v_lshl_add_u32 v3, v5, 23, v3
	v_or3_b32 v0, v0, v3, v1
	v_cvt_f64_f32_e32 v[0:1], v0
.LBB7_462:
	s_or_b64 exec, exec, s[46:47]
.LBB7_463:
	s_mov_b64 s[0:1], -1
.LBB7_464:
	s_mov_b64 s[46:47], 0
.LBB7_465:
	s_and_b64 vcc, exec, s[46:47]
	s_cbranch_vccz .LBB7_500
; %bb.466:
	v_mov_b32_e32 v0, 22
	v_cmp_gt_i16_sdwa s[46:47], v8, v0 src0_sel:BYTE_0 src1_sel:DWORD
	s_and_b64 vcc, exec, s[46:47]
	s_cbranch_vccz .LBB7_476
; %bb.467:
	v_mov_b32_e32 v0, 24
	v_cmp_lt_i16_sdwa s[0:1], v8, v0 src0_sel:BYTE_0 src1_sel:DWORD
	s_and_b64 vcc, exec, s[0:1]
	s_cbranch_vccnz .LBB7_479
; %bb.468:
	v_cmp_gt_i16_sdwa s[0:1], v8, v0 src0_sel:BYTE_0 src1_sel:DWORD
	s_and_b64 vcc, exec, s[0:1]
	s_cbranch_vccz .LBB7_480
; %bb.469:
	global_load_ubyte v3, v[6:7], off
	s_movk_i32 s0, 0x7f
                                        ; implicit-def: $sgpr46_sgpr47
	s_waitcnt vmcnt(0)
	v_cmp_lt_i16_e32 vcc, s0, v3
	s_mov_b64 s[0:1], 0
	s_and_saveexec_b64 s[48:49], vcc
	s_xor_b64 s[48:49], exec, s[48:49]
	s_cbranch_execz .LBB7_492
; %bb.470:
	s_movk_i32 s0, 0x80
	v_cmp_eq_u16_e32 vcc, s0, v3
	s_mov_b64 s[52:53], -1
                                        ; implicit-def: $sgpr46_sgpr47
	s_and_saveexec_b64 s[0:1], vcc
; %bb.471:
	s_mov_b32 s47, 0x7ff80000
	s_brev_b32 s46, 4
	s_xor_b64 s[52:53], exec, -1
; %bb.472:
	s_or_b64 exec, exec, s[0:1]
	s_and_b64 s[0:1], s[52:53], exec
	s_or_saveexec_b64 s[48:49], s[48:49]
	v_pk_mov_b32 v[0:1], s[46:47], s[46:47] op_sel:[0,1]
	s_xor_b64 exec, exec, s[48:49]
	s_cbranch_execnz .LBB7_493
.LBB7_473:
	s_or_b64 exec, exec, s[48:49]
	s_and_saveexec_b64 s[46:47], s[0:1]
	s_cbranch_execz .LBB7_475
.LBB7_474:
	v_and_b32_e32 v1, 0xffff, v3
	v_lshlrev_b32_e32 v0, 24, v3
	v_and_b32_e32 v3, 3, v1
	v_ffbh_u32_e32 v9, v3
	v_min_u32_e32 v9, 32, v9
	v_subrev_u32_e32 v12, 29, v9
	v_bfe_u32 v5, v1, 2, 5
	v_lshlrev_b32_e32 v1, v12, v1
	v_sub_u32_e32 v9, 30, v9
	v_and_b32_e32 v1, 3, v1
	v_cmp_eq_u32_e32 vcc, 0, v5
	v_cndmask_b32_e32 v5, v5, v9, vcc
	v_cndmask_b32_e32 v1, v3, v1, vcc
	v_mov_b32_e32 v3, 0x37800000
	v_lshlrev_b32_e32 v1, 21, v1
	v_and_b32_e32 v0, 0x80000000, v0
	v_lshl_add_u32 v3, v5, 23, v3
	v_or3_b32 v0, v0, v3, v1
	v_cvt_f64_f32_e32 v[0:1], v0
.LBB7_475:
	s_or_b64 exec, exec, s[46:47]
	s_mov_b64 s[0:1], 0
	s_branch .LBB7_481
.LBB7_476:
	s_mov_b64 s[46:47], -1
                                        ; implicit-def: $vgpr0_vgpr1
	s_branch .LBB7_487
.LBB7_477:
	s_or_saveexec_b64 s[48:49], s[48:49]
	v_pk_mov_b32 v[0:1], s[46:47], s[46:47] op_sel:[0,1]
	s_xor_b64 exec, exec, s[48:49]
	s_cbranch_execz .LBB7_460
.LBB7_478:
	v_cmp_ne_u16_e32 vcc, 0, v3
	s_andn2_b64 s[0:1], s[0:1], exec
	s_and_b64 s[46:47], vcc, exec
	v_pk_mov_b32 v[0:1], 0, 0
	s_or_b64 s[0:1], s[0:1], s[46:47]
	s_or_b64 exec, exec, s[48:49]
	s_and_saveexec_b64 s[46:47], s[0:1]
	s_cbranch_execnz .LBB7_461
	s_branch .LBB7_462
.LBB7_479:
	s_mov_b64 s[0:1], -1
                                        ; implicit-def: $vgpr0_vgpr1
	s_branch .LBB7_484
.LBB7_480:
	s_mov_b64 s[0:1], -1
                                        ; implicit-def: $vgpr0_vgpr1
.LBB7_481:
	s_and_b64 vcc, exec, s[0:1]
	s_cbranch_vccz .LBB7_483
; %bb.482:
	global_load_ubyte v0, v[6:7], off
	s_mov_b32 s0, 0x7f800000
	s_waitcnt vmcnt(0)
	v_lshlrev_b32_e32 v0, 24, v0
	v_and_b32_e32 v1, 0x7f000000, v0
	v_ffbh_u32_e32 v3, v1
	v_min_u32_e32 v3, 32, v3
	v_sub_u32_e64 v3, v3, 4 clamp
	v_lshlrev_b32_e32 v9, v3, v1
	v_lshlrev_b32_e32 v3, 23, v3
	v_lshrrev_b32_e32 v9, 4, v9
	v_add_u32_e32 v5, 0x1000000, v1
	v_sub_u32_e32 v3, v9, v3
	v_ashrrev_i32_e32 v5, 8, v5
	v_add_u32_e32 v3, 0x3c000000, v3
	v_and_or_b32 v3, v5, s0, v3
	v_cmp_ne_u32_e32 vcc, 0, v1
	v_cndmask_b32_e32 v1, 0, v3, vcc
	s_brev_b32 s0, 1
	v_and_or_b32 v0, v0, s0, v1
	v_cvt_f64_f32_e32 v[0:1], v0
.LBB7_483:
	s_mov_b64 s[0:1], 0
.LBB7_484:
	s_andn2_b64 vcc, exec, s[0:1]
	s_cbranch_vccnz .LBB7_486
; %bb.485:
	global_load_ubyte v0, v[6:7], off
	s_movk_i32 s0, 0x7f00
	s_brev_b32 s1, 16
	s_waitcnt vmcnt(0)
	v_lshlrev_b16_e32 v1, 8, v0
	v_lshlrev_b32_e32 v0, 25, v0
	v_lshrrev_b32_e32 v3, 4, v0
	v_and_or_b32 v5, v1, s0, 0.5
	v_or_b32_e32 v3, 0x70000000, v3
	v_add_f32_e32 v5, -0.5, v5
	v_mul_f32_e32 v3, 0x7800000, v3
	v_cmp_gt_u32_e32 vcc, s1, v0
	v_bfe_i32 v1, v1, 0, 16
	v_cndmask_b32_e32 v0, v3, v5, vcc
	s_brev_b32 s0, 1
	v_and_or_b32 v0, v1, s0, v0
	v_cvt_f64_f32_e32 v[0:1], v0
.LBB7_486:
	s_mov_b64 s[46:47], 0
	s_mov_b64 s[0:1], -1
.LBB7_487:
	s_andn2_b64 vcc, exec, s[46:47]
	s_cbranch_vccnz .LBB7_500
; %bb.488:
	v_mov_b32_e32 v0, 14
	v_cmp_gt_i16_sdwa s[46:47], v8, v0 src0_sel:BYTE_0 src1_sel:DWORD
	s_and_b64 vcc, exec, s[46:47]
	s_cbranch_vccz .LBB7_491
; %bb.489:
	v_mov_b32_e32 v0, 15
	v_cmp_eq_u16_sdwa s[44:45], v8, v0 src0_sel:BYTE_0 src1_sel:DWORD
	s_and_b64 vcc, exec, s[44:45]
	s_cbranch_vccz .LBB7_494
; %bb.490:
	global_load_ushort v0, v[6:7], off
	s_mov_b64 s[0:1], -1
	s_mov_b64 s[44:45], 0
	s_waitcnt vmcnt(0)
	v_lshlrev_b32_e32 v0, 16, v0
	v_cvt_f64_f32_e32 v[0:1], v0
	s_branch .LBB7_495
.LBB7_491:
	s_mov_b64 s[46:47], -1
                                        ; implicit-def: $vgpr0_vgpr1
	s_branch .LBB7_496
.LBB7_492:
	s_or_saveexec_b64 s[48:49], s[48:49]
	v_pk_mov_b32 v[0:1], s[46:47], s[46:47] op_sel:[0,1]
	s_xor_b64 exec, exec, s[48:49]
	s_cbranch_execz .LBB7_473
.LBB7_493:
	v_cmp_ne_u16_e32 vcc, 0, v3
	s_andn2_b64 s[0:1], s[0:1], exec
	s_and_b64 s[46:47], vcc, exec
	v_pk_mov_b32 v[0:1], 0, 0
	s_or_b64 s[0:1], s[0:1], s[46:47]
	s_or_b64 exec, exec, s[48:49]
	s_and_saveexec_b64 s[46:47], s[0:1]
	s_cbranch_execnz .LBB7_474
	s_branch .LBB7_475
.LBB7_494:
	s_mov_b64 s[44:45], -1
                                        ; implicit-def: $vgpr0_vgpr1
.LBB7_495:
	s_mov_b64 s[46:47], 0
.LBB7_496:
	s_and_b64 vcc, exec, s[46:47]
	s_cbranch_vccz .LBB7_500
; %bb.497:
	v_mov_b32_e32 v0, 11
	v_cmp_eq_u16_sdwa s[44:45], v8, v0 src0_sel:BYTE_0 src1_sel:DWORD
	s_and_b64 vcc, exec, s[44:45]
	s_cbranch_vccz .LBB7_499
; %bb.498:
	global_load_ubyte v1, v[6:7], off
	v_mov_b32_e32 v3, 0x3ff00000
	v_mov_b32_e32 v0, 0
	s_mov_b64 s[0:1], -1
	s_mov_b64 s[44:45], 0
	s_waitcnt vmcnt(0)
	v_cmp_ne_u16_e32 vcc, 0, v1
	v_cndmask_b32_e32 v1, 0, v3, vcc
	s_branch .LBB7_500
.LBB7_499:
	s_mov_b64 s[44:45], -1
                                        ; implicit-def: $vgpr0_vgpr1
.LBB7_500:
	s_branch .LBB7_416
.LBB7_501:
	v_mov_b32_e32 v0, 5
	v_cmp_lt_i16_sdwa s[0:1], v8, v0 src0_sel:BYTE_0 src1_sel:DWORD
	s_and_b64 vcc, exec, s[0:1]
	s_cbranch_vccnz .LBB7_506
; %bb.502:
	v_mov_b32_e32 v0, 8
	v_cmp_lt_i16_sdwa s[0:1], v8, v0 src0_sel:BYTE_0 src1_sel:DWORD
	s_and_b64 vcc, exec, s[0:1]
	s_cbranch_vccnz .LBB7_507
; %bb.503:
	;; [unrolled: 5-line block ×3, first 2 shown]
	v_cmp_gt_i16_sdwa s[0:1], v8, v0 src0_sel:BYTE_0 src1_sel:DWORD
	s_and_b64 vcc, exec, s[0:1]
	s_cbranch_vccz .LBB7_509
; %bb.505:
	global_load_dwordx2 v[0:1], v[6:7], off
	s_mov_b64 s[0:1], 0
	s_branch .LBB7_510
.LBB7_506:
	s_mov_b64 s[0:1], -1
                                        ; implicit-def: $vgpr0_vgpr1
	s_branch .LBB7_528
.LBB7_507:
	s_mov_b64 s[0:1], -1
                                        ; implicit-def: $vgpr0_vgpr1
	s_branch .LBB7_516
.LBB7_508:
	s_mov_b64 s[0:1], -1
                                        ; implicit-def: $vgpr0_vgpr1
	s_branch .LBB7_513
.LBB7_509:
	s_mov_b64 s[0:1], -1
                                        ; implicit-def: $vgpr0_vgpr1
.LBB7_510:
	s_andn2_b64 vcc, exec, s[0:1]
	s_cbranch_vccnz .LBB7_512
; %bb.511:
	global_load_dword v0, v[6:7], off
	s_waitcnt vmcnt(0)
	v_cvt_f64_f32_e32 v[0:1], v0
.LBB7_512:
	s_mov_b64 s[0:1], 0
.LBB7_513:
	s_andn2_b64 vcc, exec, s[0:1]
	s_cbranch_vccnz .LBB7_515
; %bb.514:
	global_load_dword v0, v[6:7], off
	s_waitcnt vmcnt(0)
	v_cvt_f32_f16_e32 v0, v0
	v_cvt_f64_f32_e32 v[0:1], v0
.LBB7_515:
	s_mov_b64 s[0:1], 0
.LBB7_516:
	s_andn2_b64 vcc, exec, s[0:1]
	s_cbranch_vccnz .LBB7_527
; %bb.517:
	s_waitcnt vmcnt(0)
	v_mov_b32_e32 v0, 6
	v_cmp_lt_i16_sdwa s[0:1], v8, v0 src0_sel:BYTE_0 src1_sel:DWORD
	s_and_b64 vcc, exec, s[0:1]
	s_cbranch_vccnz .LBB7_520
; %bb.518:
	v_cmp_gt_i16_sdwa s[0:1], v8, v0 src0_sel:BYTE_0 src1_sel:DWORD
	s_and_b64 vcc, exec, s[0:1]
	s_cbranch_vccz .LBB7_521
; %bb.519:
	global_load_dwordx2 v[0:1], v[6:7], off
	s_mov_b64 s[0:1], 0
	s_branch .LBB7_522
.LBB7_520:
	s_mov_b64 s[0:1], -1
                                        ; implicit-def: $vgpr0_vgpr1
	s_branch .LBB7_525
.LBB7_521:
	s_mov_b64 s[0:1], -1
                                        ; implicit-def: $vgpr0_vgpr1
.LBB7_522:
	s_andn2_b64 vcc, exec, s[0:1]
	s_cbranch_vccnz .LBB7_524
; %bb.523:
	global_load_dword v0, v[6:7], off
	s_waitcnt vmcnt(0)
	v_cvt_f64_f32_e32 v[0:1], v0
.LBB7_524:
	s_mov_b64 s[0:1], 0
.LBB7_525:
	s_andn2_b64 vcc, exec, s[0:1]
	s_cbranch_vccnz .LBB7_527
; %bb.526:
	global_load_ushort v0, v[6:7], off
	s_waitcnt vmcnt(0)
	v_cvt_f32_f16_e32 v0, v0
	v_cvt_f64_f32_e32 v[0:1], v0
.LBB7_527:
	s_mov_b64 s[0:1], 0
.LBB7_528:
	s_andn2_b64 vcc, exec, s[0:1]
	s_cbranch_vccnz .LBB7_548
; %bb.529:
	s_waitcnt vmcnt(0)
	v_mov_b32_e32 v0, 2
	v_cmp_lt_i16_sdwa s[0:1], v8, v0 src0_sel:BYTE_0 src1_sel:DWORD
	s_and_b64 vcc, exec, s[0:1]
	s_cbranch_vccnz .LBB7_533
; %bb.530:
	v_mov_b32_e32 v0, 3
	v_cmp_lt_i16_sdwa s[0:1], v8, v0 src0_sel:BYTE_0 src1_sel:DWORD
	s_and_b64 vcc, exec, s[0:1]
	s_cbranch_vccnz .LBB7_534
; %bb.531:
	v_cmp_gt_i16_sdwa s[0:1], v8, v0 src0_sel:BYTE_0 src1_sel:DWORD
	s_and_b64 vcc, exec, s[0:1]
	s_cbranch_vccz .LBB7_535
; %bb.532:
	global_load_dwordx2 v[0:1], v[6:7], off
	s_mov_b64 s[0:1], 0
	s_waitcnt vmcnt(0)
	v_cvt_f64_i32_e32 v[12:13], v1
	v_cvt_f64_u32_e32 v[0:1], v0
	v_ldexp_f64 v[12:13], v[12:13], 32
	v_add_f64 v[0:1], v[12:13], v[0:1]
	s_branch .LBB7_536
.LBB7_533:
	s_mov_b64 s[0:1], -1
                                        ; implicit-def: $vgpr0_vgpr1
	s_branch .LBB7_542
.LBB7_534:
	s_mov_b64 s[0:1], -1
                                        ; implicit-def: $vgpr0_vgpr1
	s_branch .LBB7_539
.LBB7_535:
	s_mov_b64 s[0:1], -1
                                        ; implicit-def: $vgpr0_vgpr1
.LBB7_536:
	s_andn2_b64 vcc, exec, s[0:1]
	s_cbranch_vccnz .LBB7_538
; %bb.537:
	global_load_dword v0, v[6:7], off
	s_waitcnt vmcnt(0)
	v_cvt_f64_i32_e32 v[0:1], v0
.LBB7_538:
	s_mov_b64 s[0:1], 0
.LBB7_539:
	s_andn2_b64 vcc, exec, s[0:1]
	s_cbranch_vccnz .LBB7_541
; %bb.540:
	global_load_sshort v0, v[6:7], off
	s_waitcnt vmcnt(0)
	v_cvt_f64_i32_e32 v[0:1], v0
.LBB7_541:
	s_mov_b64 s[0:1], 0
.LBB7_542:
	s_andn2_b64 vcc, exec, s[0:1]
	s_cbranch_vccnz .LBB7_548
; %bb.543:
	v_mov_b32_e32 v0, 0
	v_cmp_gt_i16_sdwa s[0:1], v8, v0 src0_sel:BYTE_0 src1_sel:DWORD
	s_and_b64 vcc, exec, s[0:1]
	s_cbranch_vccz .LBB7_545
; %bb.544:
	global_load_sbyte v0, v[6:7], off
	s_mov_b64 s[0:1], 0
	s_waitcnt vmcnt(0)
	v_cvt_f64_i32_e32 v[0:1], v0
	s_branch .LBB7_546
.LBB7_545:
	s_mov_b64 s[0:1], -1
                                        ; implicit-def: $vgpr0_vgpr1
.LBB7_546:
	s_andn2_b64 vcc, exec, s[0:1]
	s_cbranch_vccnz .LBB7_548
; %bb.547:
	global_load_ubyte v0, v[6:7], off
	s_waitcnt vmcnt(0)
	v_cvt_f64_u32_e32 v[0:1], v0
.LBB7_548:
	s_branch .LBB7_417
.LBB7_549:
	s_mov_b64 s[52:53], 0
	s_mov_b64 s[0:1], s[36:37]
	;; [unrolled: 1-line block ×3, first 2 shown]
.LBB7_550:
                                        ; implicit-def: $vgpr16
	s_branch .LBB7_792
.LBB7_551:
	s_or_saveexec_b64 s[48:49], s[48:49]
                                        ; implicit-def: $sgpr50
	s_xor_b64 exec, exec, s[48:49]
	s_cbranch_execz .LBB7_203
.LBB7_552:
	s_mov_b32 s50, 0x42800000
	v_add_f32_e64 v3, |v2|, s50
	v_and_b32_e32 v3, 0xff, v3
	v_cmp_ne_u32_e32 vcc, 0, v3
	s_andn2_b64 s[44:45], s[44:45], exec
	s_and_b64 s[52:53], vcc, exec
	s_mov_b32 s50, 0
	s_or_b64 s[44:45], s[44:45], s[52:53]
	s_or_b64 exec, exec, s[48:49]
	v_mov_b32_e32 v6, s50
	s_and_saveexec_b64 s[48:49], s[44:45]
	s_cbranch_execnz .LBB7_204
	s_branch .LBB7_205
.LBB7_553:
	s_mov_b64 s[46:47], -1
                                        ; implicit-def: $vgpr6_vgpr7
	s_mov_b64 s[0:1], 0
.LBB7_554:
	s_and_b64 vcc, exec, s[48:49]
	s_cbranch_vccz .LBB7_558
; %bb.555:
	v_mov_b32_e32 v3, 44
	v_cmp_eq_u16_sdwa s[46:47], v11, v3 src0_sel:BYTE_0 src1_sel:DWORD
	s_and_b64 vcc, exec, s[46:47]
	s_cbranch_vccz .LBB7_557
; %bb.556:
	global_load_ubyte v3, v[4:5], off
	s_movk_i32 s46, 0xff
	v_bfrev_b32_e32 v9, 4
	v_mov_b32_e32 v12, 0x7ff80000
	v_bfrev_b32_e32 v13, 28
	s_mov_b64 s[0:1], -1
	s_waitcnt vmcnt(0)
	v_lshlrev_b32_e32 v6, 23, v3
	v_cvt_f64_f32_e32 v[6:7], v6
	v_cmp_ne_u32_e32 vcc, s46, v3
	v_cndmask_b32_e32 v6, v9, v6, vcc
	v_cndmask_b32_e32 v7, v12, v7, vcc
	v_cmp_ne_u32_e32 vcc, 0, v3
	v_cndmask_b32_e32 v7, v13, v7, vcc
	v_cndmask_b32_e32 v6, 0, v6, vcc
	s_mov_b64 s[46:47], 0
	s_branch .LBB7_558
.LBB7_557:
	s_mov_b64 s[46:47], -1
                                        ; implicit-def: $vgpr6_vgpr7
.LBB7_558:
	s_mov_b64 s[48:49], 0
.LBB7_559:
	s_and_b64 vcc, exec, s[48:49]
	s_cbranch_vccz .LBB7_563
; %bb.560:
	v_mov_b32_e32 v3, 29
	v_cmp_eq_u16_sdwa s[46:47], v11, v3 src0_sel:BYTE_0 src1_sel:DWORD
	s_and_b64 vcc, exec, s[46:47]
	s_cbranch_vccz .LBB7_562
; %bb.561:
	global_load_dwordx2 v[6:7], v[4:5], off
	s_mov_b64 s[0:1], -1
	s_mov_b64 s[46:47], 0
	s_mov_b64 s[48:49], 0
	s_waitcnt vmcnt(0)
	v_cvt_f64_u32_e32 v[12:13], v7
	v_cvt_f64_u32_e32 v[6:7], v6
	v_ldexp_f64 v[12:13], v[12:13], 32
	v_add_f64 v[6:7], v[12:13], v[6:7]
	s_branch .LBB7_564
.LBB7_562:
	s_mov_b64 s[46:47], -1
                                        ; implicit-def: $vgpr6_vgpr7
.LBB7_563:
	s_mov_b64 s[48:49], 0
.LBB7_564:
	s_and_b64 vcc, exec, s[48:49]
	s_cbranch_vccz .LBB7_582
; %bb.565:
	v_mov_b32_e32 v3, 27
	v_cmp_lt_i16_sdwa s[0:1], v11, v3 src0_sel:BYTE_0 src1_sel:DWORD
	s_and_b64 vcc, exec, s[0:1]
	s_cbranch_vccnz .LBB7_568
; %bb.566:
	v_cmp_gt_i16_sdwa s[0:1], v11, v3 src0_sel:BYTE_0 src1_sel:DWORD
	s_and_b64 vcc, exec, s[0:1]
	s_cbranch_vccz .LBB7_569
; %bb.567:
	global_load_dword v3, v[4:5], off
	s_mov_b64 s[0:1], 0
	s_waitcnt vmcnt(0)
	v_cvt_f64_u32_e32 v[6:7], v3
	s_branch .LBB7_570
.LBB7_568:
	s_mov_b64 s[0:1], -1
                                        ; implicit-def: $vgpr6_vgpr7
	s_branch .LBB7_573
.LBB7_569:
	s_mov_b64 s[0:1], -1
                                        ; implicit-def: $vgpr6_vgpr7
.LBB7_570:
	s_andn2_b64 vcc, exec, s[0:1]
	s_cbranch_vccnz .LBB7_572
; %bb.571:
	global_load_ushort v3, v[4:5], off
	s_waitcnt vmcnt(0)
	v_cvt_f64_u32_e32 v[6:7], v3
.LBB7_572:
	s_mov_b64 s[0:1], 0
.LBB7_573:
	s_andn2_b64 vcc, exec, s[0:1]
	s_cbranch_vccnz .LBB7_581
; %bb.574:
	global_load_ubyte v3, v[4:5], off
	s_movk_i32 s0, 0x7f
                                        ; implicit-def: $sgpr48_sgpr49
	s_waitcnt vmcnt(0)
	v_cmp_lt_i16_e32 vcc, s0, v3
	s_mov_b64 s[0:1], 0
	s_and_saveexec_b64 s[52:53], vcc
	s_xor_b64 s[52:53], exec, s[52:53]
	s_cbranch_execz .LBB7_595
; %bb.575:
	s_movk_i32 s0, 0x80
	v_cmp_eq_u16_e32 vcc, s0, v3
	s_mov_b64 s[54:55], -1
                                        ; implicit-def: $sgpr48_sgpr49
	s_and_saveexec_b64 s[0:1], vcc
; %bb.576:
	s_mov_b32 s49, 0x7ff80000
	s_brev_b32 s48, 4
	s_xor_b64 s[54:55], exec, -1
; %bb.577:
	s_or_b64 exec, exec, s[0:1]
	s_and_b64 s[0:1], s[54:55], exec
	s_or_saveexec_b64 s[52:53], s[52:53]
	v_pk_mov_b32 v[6:7], s[48:49], s[48:49] op_sel:[0,1]
	s_xor_b64 exec, exec, s[52:53]
	s_cbranch_execnz .LBB7_596
.LBB7_578:
	s_or_b64 exec, exec, s[52:53]
	s_and_saveexec_b64 s[48:49], s[0:1]
	s_cbranch_execz .LBB7_580
.LBB7_579:
	v_lshlrev_b32_e32 v6, 24, v3
	v_and_b32_e32 v3, 0xffff, v3
	v_and_b32_e32 v7, 7, v3
	v_ffbh_u32_e32 v12, v7
	v_min_u32_e32 v12, 32, v12
	v_subrev_u32_e32 v13, 28, v12
	v_bfe_u32 v9, v3, 3, 4
	v_lshlrev_b32_e32 v3, v13, v3
	v_sub_u32_e32 v12, 29, v12
	v_and_b32_e32 v3, 7, v3
	v_cmp_eq_u32_e32 vcc, 0, v9
	v_cndmask_b32_e32 v9, v9, v12, vcc
	v_cndmask_b32_e32 v3, v7, v3, vcc
	v_mov_b32_e32 v7, 0x3b800000
	v_lshlrev_b32_e32 v3, 20, v3
	v_and_b32_e32 v6, 0x80000000, v6
	v_lshl_add_u32 v7, v9, 23, v7
	v_or3_b32 v3, v6, v7, v3
	v_cvt_f64_f32_e32 v[6:7], v3
.LBB7_580:
	s_or_b64 exec, exec, s[48:49]
.LBB7_581:
	s_mov_b64 s[0:1], -1
.LBB7_582:
	s_mov_b64 s[48:49], 0
.LBB7_583:
	s_and_b64 vcc, exec, s[48:49]
	s_cbranch_vccz .LBB7_618
; %bb.584:
	v_mov_b32_e32 v3, 22
	v_cmp_gt_i16_sdwa s[48:49], v11, v3 src0_sel:BYTE_0 src1_sel:DWORD
	s_and_b64 vcc, exec, s[48:49]
	s_cbranch_vccz .LBB7_594
; %bb.585:
	v_mov_b32_e32 v3, 24
	v_cmp_lt_i16_sdwa s[0:1], v11, v3 src0_sel:BYTE_0 src1_sel:DWORD
	s_and_b64 vcc, exec, s[0:1]
	s_cbranch_vccnz .LBB7_597
; %bb.586:
	v_cmp_gt_i16_sdwa s[0:1], v11, v3 src0_sel:BYTE_0 src1_sel:DWORD
	s_and_b64 vcc, exec, s[0:1]
	s_cbranch_vccz .LBB7_598
; %bb.587:
	global_load_ubyte v3, v[4:5], off
	s_movk_i32 s0, 0x7f
                                        ; implicit-def: $sgpr48_sgpr49
	s_waitcnt vmcnt(0)
	v_cmp_lt_i16_e32 vcc, s0, v3
	s_mov_b64 s[0:1], 0
	s_and_saveexec_b64 s[52:53], vcc
	s_xor_b64 s[52:53], exec, s[52:53]
	s_cbranch_execz .LBB7_610
; %bb.588:
	s_movk_i32 s0, 0x80
	v_cmp_eq_u16_e32 vcc, s0, v3
	s_mov_b64 s[54:55], -1
                                        ; implicit-def: $sgpr48_sgpr49
	s_and_saveexec_b64 s[0:1], vcc
; %bb.589:
	s_mov_b32 s49, 0x7ff80000
	s_brev_b32 s48, 4
	s_xor_b64 s[54:55], exec, -1
; %bb.590:
	s_or_b64 exec, exec, s[0:1]
	s_and_b64 s[0:1], s[54:55], exec
	s_or_saveexec_b64 s[52:53], s[52:53]
	v_pk_mov_b32 v[6:7], s[48:49], s[48:49] op_sel:[0,1]
	s_xor_b64 exec, exec, s[52:53]
	s_cbranch_execnz .LBB7_611
.LBB7_591:
	s_or_b64 exec, exec, s[52:53]
	s_and_saveexec_b64 s[48:49], s[0:1]
	s_cbranch_execz .LBB7_593
.LBB7_592:
	v_lshlrev_b32_e32 v6, 24, v3
	v_and_b32_e32 v3, 0xffff, v3
	v_and_b32_e32 v7, 3, v3
	v_ffbh_u32_e32 v12, v7
	v_min_u32_e32 v12, 32, v12
	v_subrev_u32_e32 v13, 29, v12
	v_bfe_u32 v9, v3, 2, 5
	v_lshlrev_b32_e32 v3, v13, v3
	v_sub_u32_e32 v12, 30, v12
	v_and_b32_e32 v3, 3, v3
	v_cmp_eq_u32_e32 vcc, 0, v9
	v_cndmask_b32_e32 v9, v9, v12, vcc
	v_cndmask_b32_e32 v3, v7, v3, vcc
	v_mov_b32_e32 v7, 0x37800000
	v_lshlrev_b32_e32 v3, 21, v3
	v_and_b32_e32 v6, 0x80000000, v6
	v_lshl_add_u32 v7, v9, 23, v7
	v_or3_b32 v3, v6, v7, v3
	v_cvt_f64_f32_e32 v[6:7], v3
.LBB7_593:
	s_or_b64 exec, exec, s[48:49]
	s_mov_b64 s[0:1], 0
	s_branch .LBB7_599
.LBB7_594:
	s_mov_b64 s[48:49], -1
                                        ; implicit-def: $vgpr6_vgpr7
	s_branch .LBB7_605
.LBB7_595:
	s_or_saveexec_b64 s[52:53], s[52:53]
	v_pk_mov_b32 v[6:7], s[48:49], s[48:49] op_sel:[0,1]
	s_xor_b64 exec, exec, s[52:53]
	s_cbranch_execz .LBB7_578
.LBB7_596:
	v_cmp_ne_u16_e32 vcc, 0, v3
	s_andn2_b64 s[0:1], s[0:1], exec
	s_and_b64 s[48:49], vcc, exec
	v_pk_mov_b32 v[6:7], 0, 0
	s_or_b64 s[0:1], s[0:1], s[48:49]
	s_or_b64 exec, exec, s[52:53]
	s_and_saveexec_b64 s[48:49], s[0:1]
	s_cbranch_execnz .LBB7_579
	s_branch .LBB7_580
.LBB7_597:
	s_mov_b64 s[0:1], -1
                                        ; implicit-def: $vgpr6_vgpr7
	s_branch .LBB7_602
.LBB7_598:
	s_mov_b64 s[0:1], -1
                                        ; implicit-def: $vgpr6_vgpr7
.LBB7_599:
	s_and_b64 vcc, exec, s[0:1]
	s_cbranch_vccz .LBB7_601
; %bb.600:
	global_load_ubyte v3, v[4:5], off
	s_mov_b32 s0, 0x7f800000
	s_waitcnt vmcnt(0)
	v_lshlrev_b32_e32 v3, 24, v3
	v_and_b32_e32 v6, 0x7f000000, v3
	v_ffbh_u32_e32 v7, v6
	v_min_u32_e32 v7, 32, v7
	v_sub_u32_e64 v7, v7, 4 clamp
	v_lshlrev_b32_e32 v12, v7, v6
	v_lshlrev_b32_e32 v7, 23, v7
	v_lshrrev_b32_e32 v12, 4, v12
	v_add_u32_e32 v9, 0x1000000, v6
	v_sub_u32_e32 v7, v12, v7
	v_ashrrev_i32_e32 v9, 8, v9
	v_add_u32_e32 v7, 0x3c000000, v7
	v_and_or_b32 v7, v9, s0, v7
	v_cmp_ne_u32_e32 vcc, 0, v6
	v_cndmask_b32_e32 v6, 0, v7, vcc
	s_brev_b32 s0, 1
	v_and_or_b32 v3, v3, s0, v6
	v_cvt_f64_f32_e32 v[6:7], v3
.LBB7_601:
	s_mov_b64 s[0:1], 0
.LBB7_602:
	s_andn2_b64 vcc, exec, s[0:1]
	s_cbranch_vccnz .LBB7_604
; %bb.603:
	global_load_ubyte v3, v[4:5], off
	s_movk_i32 s0, 0x7f00
	s_brev_b32 s1, 16
	s_waitcnt vmcnt(0)
	v_lshlrev_b16_e32 v6, 8, v3
	v_lshlrev_b32_e32 v3, 25, v3
	v_lshrrev_b32_e32 v7, 4, v3
	v_and_or_b32 v9, v6, s0, 0.5
	v_or_b32_e32 v7, 0x70000000, v7
	v_add_f32_e32 v9, -0.5, v9
	v_mul_f32_e32 v7, 0x7800000, v7
	v_cmp_gt_u32_e32 vcc, s1, v3
	v_bfe_i32 v6, v6, 0, 16
	v_cndmask_b32_e32 v3, v7, v9, vcc
	s_brev_b32 s0, 1
	v_and_or_b32 v3, v6, s0, v3
	v_cvt_f64_f32_e32 v[6:7], v3
.LBB7_604:
	s_mov_b64 s[48:49], 0
	s_mov_b64 s[0:1], -1
.LBB7_605:
	s_andn2_b64 vcc, exec, s[48:49]
	s_cbranch_vccnz .LBB7_618
; %bb.606:
	v_mov_b32_e32 v3, 14
	v_cmp_gt_i16_sdwa s[48:49], v11, v3 src0_sel:BYTE_0 src1_sel:DWORD
	s_and_b64 vcc, exec, s[48:49]
	s_cbranch_vccz .LBB7_609
; %bb.607:
	v_mov_b32_e32 v3, 15
	v_cmp_eq_u16_sdwa s[46:47], v11, v3 src0_sel:BYTE_0 src1_sel:DWORD
	s_and_b64 vcc, exec, s[46:47]
	s_cbranch_vccz .LBB7_612
; %bb.608:
	global_load_ushort v3, v[4:5], off
	s_mov_b64 s[0:1], -1
	s_mov_b64 s[46:47], 0
	s_waitcnt vmcnt(0)
	v_lshlrev_b32_e32 v3, 16, v3
	v_cvt_f64_f32_e32 v[6:7], v3
	s_branch .LBB7_613
.LBB7_609:
	s_mov_b64 s[48:49], -1
                                        ; implicit-def: $vgpr6_vgpr7
	s_branch .LBB7_614
.LBB7_610:
	s_or_saveexec_b64 s[52:53], s[52:53]
	v_pk_mov_b32 v[6:7], s[48:49], s[48:49] op_sel:[0,1]
	s_xor_b64 exec, exec, s[52:53]
	s_cbranch_execz .LBB7_591
.LBB7_611:
	v_cmp_ne_u16_e32 vcc, 0, v3
	s_andn2_b64 s[0:1], s[0:1], exec
	s_and_b64 s[48:49], vcc, exec
	v_pk_mov_b32 v[6:7], 0, 0
	s_or_b64 s[0:1], s[0:1], s[48:49]
	s_or_b64 exec, exec, s[52:53]
	s_and_saveexec_b64 s[48:49], s[0:1]
	s_cbranch_execnz .LBB7_592
	s_branch .LBB7_593
.LBB7_612:
	s_mov_b64 s[46:47], -1
                                        ; implicit-def: $vgpr6_vgpr7
.LBB7_613:
	s_mov_b64 s[48:49], 0
.LBB7_614:
	s_and_b64 vcc, exec, s[48:49]
	s_cbranch_vccz .LBB7_618
; %bb.615:
	v_mov_b32_e32 v3, 11
	v_cmp_eq_u16_sdwa s[46:47], v11, v3 src0_sel:BYTE_0 src1_sel:DWORD
	s_and_b64 vcc, exec, s[46:47]
	s_cbranch_vccz .LBB7_617
; %bb.616:
	global_load_ubyte v3, v[4:5], off
	v_mov_b32_e32 v7, 0x3ff00000
	v_mov_b32_e32 v6, 0
	s_mov_b64 s[0:1], -1
	s_mov_b64 s[46:47], 0
	s_waitcnt vmcnt(0)
	v_cmp_ne_u16_e32 vcc, 0, v3
	v_cndmask_b32_e32 v7, 0, v7, vcc
	s_branch .LBB7_618
.LBB7_617:
	s_mov_b64 s[46:47], -1
                                        ; implicit-def: $vgpr6_vgpr7
.LBB7_618:
	s_mov_b64 s[48:49], 0
.LBB7_619:
	s_and_b64 vcc, exec, s[48:49]
	s_cbranch_vccz .LBB7_668
; %bb.620:
	v_mov_b32_e32 v3, 5
	v_cmp_lt_i16_sdwa s[0:1], v11, v3 src0_sel:BYTE_0 src1_sel:DWORD
	s_and_b64 vcc, exec, s[0:1]
	s_cbranch_vccnz .LBB7_625
; %bb.621:
	v_mov_b32_e32 v3, 8
	v_cmp_lt_i16_sdwa s[0:1], v11, v3 src0_sel:BYTE_0 src1_sel:DWORD
	s_and_b64 vcc, exec, s[0:1]
	s_cbranch_vccnz .LBB7_626
	;; [unrolled: 5-line block ×3, first 2 shown]
; %bb.623:
	v_cmp_gt_i16_sdwa s[0:1], v11, v3 src0_sel:BYTE_0 src1_sel:DWORD
	s_and_b64 vcc, exec, s[0:1]
	s_cbranch_vccz .LBB7_628
; %bb.624:
	global_load_dwordx2 v[6:7], v[4:5], off
	s_mov_b64 s[0:1], 0
	s_branch .LBB7_629
.LBB7_625:
	s_mov_b64 s[0:1], -1
                                        ; implicit-def: $vgpr6_vgpr7
	s_branch .LBB7_647
.LBB7_626:
	s_mov_b64 s[0:1], -1
                                        ; implicit-def: $vgpr6_vgpr7
	s_branch .LBB7_635
.LBB7_627:
	s_mov_b64 s[0:1], -1
                                        ; implicit-def: $vgpr6_vgpr7
	s_branch .LBB7_632
.LBB7_628:
	s_mov_b64 s[0:1], -1
                                        ; implicit-def: $vgpr6_vgpr7
.LBB7_629:
	s_andn2_b64 vcc, exec, s[0:1]
	s_cbranch_vccnz .LBB7_631
; %bb.630:
	global_load_dword v3, v[4:5], off
	s_waitcnt vmcnt(0)
	v_cvt_f64_f32_e32 v[6:7], v3
.LBB7_631:
	s_mov_b64 s[0:1], 0
.LBB7_632:
	s_andn2_b64 vcc, exec, s[0:1]
	s_cbranch_vccnz .LBB7_634
; %bb.633:
	global_load_dword v3, v[4:5], off
	s_waitcnt vmcnt(0)
	v_cvt_f32_f16_e32 v3, v3
	v_cvt_f64_f32_e32 v[6:7], v3
.LBB7_634:
	s_mov_b64 s[0:1], 0
.LBB7_635:
	s_andn2_b64 vcc, exec, s[0:1]
	s_cbranch_vccnz .LBB7_646
; %bb.636:
	v_mov_b32_e32 v3, 6
	v_cmp_lt_i16_sdwa s[0:1], v11, v3 src0_sel:BYTE_0 src1_sel:DWORD
	s_and_b64 vcc, exec, s[0:1]
	s_cbranch_vccnz .LBB7_639
; %bb.637:
	v_cmp_gt_i16_sdwa s[0:1], v11, v3 src0_sel:BYTE_0 src1_sel:DWORD
	s_and_b64 vcc, exec, s[0:1]
	s_cbranch_vccz .LBB7_640
; %bb.638:
	global_load_dwordx2 v[6:7], v[4:5], off
	s_mov_b64 s[0:1], 0
	s_branch .LBB7_641
.LBB7_639:
	s_mov_b64 s[0:1], -1
                                        ; implicit-def: $vgpr6_vgpr7
	s_branch .LBB7_644
.LBB7_640:
	s_mov_b64 s[0:1], -1
                                        ; implicit-def: $vgpr6_vgpr7
.LBB7_641:
	s_andn2_b64 vcc, exec, s[0:1]
	s_cbranch_vccnz .LBB7_643
; %bb.642:
	global_load_dword v3, v[4:5], off
	s_waitcnt vmcnt(0)
	v_cvt_f64_f32_e32 v[6:7], v3
.LBB7_643:
	s_mov_b64 s[0:1], 0
.LBB7_644:
	s_andn2_b64 vcc, exec, s[0:1]
	s_cbranch_vccnz .LBB7_646
; %bb.645:
	global_load_ushort v3, v[4:5], off
	s_waitcnt vmcnt(0)
	v_cvt_f32_f16_e32 v3, v3
	v_cvt_f64_f32_e32 v[6:7], v3
.LBB7_646:
	s_mov_b64 s[0:1], 0
.LBB7_647:
	s_andn2_b64 vcc, exec, s[0:1]
	s_cbranch_vccnz .LBB7_667
; %bb.648:
	v_mov_b32_e32 v3, 2
	v_cmp_lt_i16_sdwa s[0:1], v11, v3 src0_sel:BYTE_0 src1_sel:DWORD
	s_and_b64 vcc, exec, s[0:1]
	s_cbranch_vccnz .LBB7_652
; %bb.649:
	v_mov_b32_e32 v3, 3
	v_cmp_lt_i16_sdwa s[0:1], v11, v3 src0_sel:BYTE_0 src1_sel:DWORD
	s_and_b64 vcc, exec, s[0:1]
	s_cbranch_vccnz .LBB7_653
; %bb.650:
	v_cmp_gt_i16_sdwa s[0:1], v11, v3 src0_sel:BYTE_0 src1_sel:DWORD
	s_and_b64 vcc, exec, s[0:1]
	s_cbranch_vccz .LBB7_654
; %bb.651:
	global_load_dwordx2 v[6:7], v[4:5], off
	s_mov_b64 s[0:1], 0
	s_waitcnt vmcnt(0)
	v_cvt_f64_i32_e32 v[12:13], v7
	v_cvt_f64_u32_e32 v[6:7], v6
	v_ldexp_f64 v[12:13], v[12:13], 32
	v_add_f64 v[6:7], v[12:13], v[6:7]
	s_branch .LBB7_655
.LBB7_652:
	s_mov_b64 s[0:1], -1
                                        ; implicit-def: $vgpr6_vgpr7
	s_branch .LBB7_661
.LBB7_653:
	s_mov_b64 s[0:1], -1
                                        ; implicit-def: $vgpr6_vgpr7
	s_branch .LBB7_658
.LBB7_654:
	s_mov_b64 s[0:1], -1
                                        ; implicit-def: $vgpr6_vgpr7
.LBB7_655:
	s_andn2_b64 vcc, exec, s[0:1]
	s_cbranch_vccnz .LBB7_657
; %bb.656:
	global_load_dword v3, v[4:5], off
	s_waitcnt vmcnt(0)
	v_cvt_f64_i32_e32 v[6:7], v3
.LBB7_657:
	s_mov_b64 s[0:1], 0
.LBB7_658:
	s_andn2_b64 vcc, exec, s[0:1]
	s_cbranch_vccnz .LBB7_660
; %bb.659:
	global_load_sshort v3, v[4:5], off
	s_waitcnt vmcnt(0)
	v_cvt_f64_i32_e32 v[6:7], v3
.LBB7_660:
	s_mov_b64 s[0:1], 0
.LBB7_661:
	s_andn2_b64 vcc, exec, s[0:1]
	s_cbranch_vccnz .LBB7_667
; %bb.662:
	v_mov_b32_e32 v3, 0
	v_cmp_gt_i16_sdwa s[0:1], v11, v3 src0_sel:BYTE_0 src1_sel:DWORD
	s_and_b64 vcc, exec, s[0:1]
	s_cbranch_vccz .LBB7_664
; %bb.663:
	global_load_sbyte v3, v[4:5], off
	s_mov_b64 s[0:1], 0
	s_waitcnt vmcnt(0)
	v_cvt_f64_i32_e32 v[6:7], v3
	s_branch .LBB7_665
.LBB7_664:
	s_mov_b64 s[0:1], -1
                                        ; implicit-def: $vgpr6_vgpr7
.LBB7_665:
	s_andn2_b64 vcc, exec, s[0:1]
	s_cbranch_vccnz .LBB7_667
; %bb.666:
	global_load_ubyte v3, v[4:5], off
	s_waitcnt vmcnt(0)
	v_cvt_f64_u32_e32 v[6:7], v3
.LBB7_667:
	s_mov_b64 s[0:1], -1
.LBB7_668:
	s_andn2_b64 vcc, exec, s[0:1]
	s_cbranch_vccnz .LBB7_676
; %bb.669:
	s_waitcnt vmcnt(0)
	v_div_scale_f64 v[4:5], s[0:1], v[6:7], v[6:7], v[0:1]
	v_rcp_f64_e32 v[12:13], v[4:5]
	v_div_scale_f64 v[14:15], vcc, v[0:1], v[6:7], v[0:1]
	s_mov_b32 s0, 0
	v_fma_f64 v[18:19], -v[4:5], v[12:13], 1.0
	v_fmac_f64_e32 v[12:13], v[12:13], v[18:19]
	v_fma_f64 v[18:19], -v[4:5], v[12:13], 1.0
	v_fmac_f64_e32 v[12:13], v[12:13], v[18:19]
	v_mul_f64 v[18:19], v[14:15], v[12:13]
	v_fma_f64 v[4:5], -v[4:5], v[18:19], v[14:15]
	v_div_fmas_f64 v[4:5], v[4:5], v[12:13], v[18:19]
	v_div_fixup_f64 v[0:1], v[4:5], v[6:7], v[0:1]
	s_mov_b32 s1, 0x100000
	v_mov_b32_e32 v3, 0x100000
	v_cmp_ngt_f64_e32 vcc, s[0:1], v[0:1]
	s_mov_b32 s0, -2
	v_cndmask_b32_e32 v1, v3, v1, vcc
	v_cndmask_b32_e32 v0, 0, v0, vcc
	s_mov_b32 s1, 0x3fefffff
	v_mov_b32_e32 v3, 0x3fefffff
	v_cmp_nlt_f64_e32 vcc, s[0:1], v[0:1]
	v_cndmask_b32_e32 v1, v3, v1, vcc
	v_cndmask_b32_e32 v0, -2, v0, vcc
	v_mov_b32_e32 v3, s9
	v_add_co_u32_e32 v4, vcc, s8, v2
	v_mov_b32_e32 v2, 11
	v_addc_co_u32_e32 v5, vcc, 0, v3, vcc
	v_cmp_lt_i16_sdwa s[0:1], v10, v2 src0_sel:BYTE_0 src1_sel:DWORD
	s_and_b64 vcc, exec, s[0:1]
	s_cbranch_vccnz .LBB7_677
; %bb.670:
	v_mov_b32_e32 v2, 25
	v_cmp_gt_i16_sdwa s[0:1], v10, v2 src0_sel:BYTE_0 src1_sel:DWORD
	s_and_b64 vcc, exec, s[0:1]
	s_cbranch_vccz .LBB7_678
; %bb.671:
	v_mov_b32_e32 v2, 28
	v_cmp_gt_i16_sdwa s[0:1], v10, v2 src0_sel:BYTE_0 src1_sel:DWORD
	s_and_b64 vcc, exec, s[0:1]
	s_cbranch_vccz .LBB7_679
; %bb.672:
	v_mov_b32_e32 v2, 43
	v_cmp_gt_i16_sdwa s[0:1], v10, v2 src0_sel:BYTE_0 src1_sel:DWORD
	s_and_b64 vcc, exec, s[0:1]
	s_cbranch_vccz .LBB7_680
; %bb.673:
	v_mov_b32_e32 v2, 45
	v_cmp_gt_i16_sdwa s[0:1], v10, v2 src0_sel:BYTE_0 src1_sel:DWORD
	s_and_b64 vcc, exec, s[0:1]
	s_cbranch_vccz .LBB7_681
; %bb.674:
	v_mov_b32_e32 v2, 46
	v_cmp_eq_u16_sdwa s[48:49], v10, v2 src0_sel:BYTE_0 src1_sel:DWORD
	s_mov_b64 s[52:53], 0
	s_mov_b64 s[0:1], -1
	s_and_b64 vcc, exec, s[48:49]
	s_mov_b64 s[48:49], 0
	s_cbranch_vccz .LBB7_682
; %bb.675:
	v_cvt_f32_f64_e32 v2, v[0:1]
	v_bfe_u32 v3, v2, 16, 1
	s_movk_i32 s0, 0x7fff
	v_add3_u32 v3, v2, v3, s0
	v_lshrrev_b32_e32 v3, 16, v3
	v_mov_b32_e32 v6, 0x7fc0
	v_cmp_o_f32_e32 vcc, v2, v2
	v_cndmask_b32_e32 v2, v6, v3, vcc
	global_store_dword v[4:5], v2, off
	s_mov_b64 s[48:49], -1
	s_mov_b64 s[0:1], 0
	s_branch .LBB7_682
.LBB7_676:
	s_mov_b64 s[52:53], 0
                                        ; implicit-def: $vgpr16
	s_mov_b64 s[0:1], s[36:37]
	s_branch .LBB7_792
.LBB7_677:
	s_mov_b64 s[52:53], -1
	s_mov_b64 s[48:49], 0
	s_mov_b64 s[0:1], s[36:37]
	s_branch .LBB7_751
.LBB7_678:
	s_mov_b64 s[52:53], -1
	s_mov_b64 s[48:49], 0
	s_mov_b64 s[0:1], s[36:37]
	s_branch .LBB7_709
.LBB7_679:
	s_mov_b64 s[52:53], -1
	s_mov_b64 s[48:49], 0
	s_mov_b64 s[0:1], s[36:37]
	s_branch .LBB7_692
.LBB7_680:
	s_mov_b64 s[52:53], -1
	s_mov_b64 s[48:49], 0
	s_mov_b64 s[0:1], s[36:37]
	s_branch .LBB7_688
.LBB7_681:
	s_mov_b64 s[52:53], -1
	s_mov_b64 s[48:49], 0
	s_mov_b64 s[0:1], s[36:37]
.LBB7_682:
	s_and_b64 vcc, exec, s[52:53]
	s_cbranch_vccz .LBB7_687
; %bb.683:
	v_mov_b32_e32 v2, 44
	v_cmp_eq_u16_sdwa s[52:53], v10, v2 src0_sel:BYTE_0 src1_sel:DWORD
	s_mov_b64 s[0:1], -1
	s_and_b64 vcc, exec, s[52:53]
	s_cbranch_vccz .LBB7_687
; %bb.684:
	v_cvt_f32_f64_e32 v2, v[0:1]
	v_bfe_u32 v3, v2, 23, 8
	s_movk_i32 s0, 0xff
	v_cmp_ne_u32_e32 vcc, s0, v3
	v_mov_b32_e32 v6, 0xff
	s_and_saveexec_b64 s[48:49], vcc
; %bb.685:
	s_mov_b32 s0, 0x3fffff
	v_lshrrev_b32_e32 v6, 23, v2
	v_and_b32_e32 v7, 0x400000, v2
	v_and_or_b32 v2, v2, s0, v3
	v_cmp_ne_u32_e32 vcc, 0, v7
	v_cmp_ne_u32_e64 s[0:1], 0, v2
	s_and_b64 s[0:1], vcc, s[0:1]
	v_cndmask_b32_e64 v2, 0, 1, s[0:1]
	v_add_u32_e32 v6, v6, v2
; %bb.686:
	s_or_b64 exec, exec, s[48:49]
	s_mov_b64 s[48:49], -1
	s_mov_b64 s[0:1], 0
	global_store_byte v[4:5], v6, off
.LBB7_687:
	s_mov_b64 s[52:53], 0
.LBB7_688:
	s_and_b64 vcc, exec, s[52:53]
	s_cbranch_vccz .LBB7_691
; %bb.689:
	v_mov_b32_e32 v2, 29
	v_cmp_eq_u16_sdwa s[52:53], v10, v2 src0_sel:BYTE_0 src1_sel:DWORD
	s_mov_b64 s[0:1], -1
	s_and_b64 vcc, exec, s[52:53]
	s_cbranch_vccz .LBB7_691
; %bb.690:
	v_trunc_f64_e32 v[2:3], v[0:1]
	s_movk_i32 s0, 0xffe0
	v_ldexp_f64 v[6:7], v[2:3], s0
	v_floor_f64_e32 v[6:7], v[6:7]
	v_fmac_f64_e32 v[2:3], 0xc1f00000, v[6:7]
	v_cvt_u32_f64_e32 v13, v[6:7]
	v_cvt_u32_f64_e32 v12, v[2:3]
	global_store_dwordx2 v[4:5], v[12:13], off
	s_mov_b64 s[48:49], -1
	s_mov_b64 s[0:1], 0
.LBB7_691:
	s_mov_b64 s[52:53], 0
.LBB7_692:
	s_and_b64 vcc, exec, s[52:53]
	s_cbranch_vccz .LBB7_708
; %bb.693:
	v_mov_b32_e32 v2, 27
	v_cmp_lt_i16_sdwa s[52:53], v10, v2 src0_sel:BYTE_0 src1_sel:DWORD
	s_mov_b64 s[48:49], -1
	s_and_b64 vcc, exec, s[52:53]
	s_cbranch_vccnz .LBB7_699
; %bb.694:
	v_cmp_gt_i16_sdwa s[52:53], v10, v2 src0_sel:BYTE_0 src1_sel:DWORD
	s_and_b64 vcc, exec, s[52:53]
	v_cvt_u32_f64_e32 v2, v[0:1]
	s_cbranch_vccz .LBB7_696
; %bb.695:
	s_mov_b64 s[48:49], 0
	global_store_dword v[4:5], v2, off
.LBB7_696:
	s_andn2_b64 vcc, exec, s[48:49]
	s_cbranch_vccnz .LBB7_698
; %bb.697:
	global_store_short v[4:5], v2, off
.LBB7_698:
	s_mov_b64 s[48:49], 0
.LBB7_699:
	s_andn2_b64 vcc, exec, s[48:49]
	s_cbranch_vccnz .LBB7_707
; %bb.700:
	v_cvt_f32_f64_e32 v2, v[0:1]
	v_and_b32_e32 v3, 0x7fffffff, v2
	s_mov_b32 s48, 0x43800000
	v_cmp_gt_u32_e32 vcc, s48, v3
	v_mov_b32_e32 v6, 0x80
	s_and_saveexec_b64 s[48:49], vcc
	s_cbranch_execz .LBB7_706
; %bb.701:
	s_mov_b32 s52, 0x3bffffff
	v_cmp_lt_u32_e32 vcc, s52, v3
	s_mov_b64 s[52:53], 0
                                        ; implicit-def: $vgpr3
	s_and_saveexec_b64 s[54:55], vcc
	s_xor_b64 s[54:55], exec, s[54:55]
	s_cbranch_execz .LBB7_819
; %bb.702:
	v_bfe_u32 v3, v2, 20, 1
	s_mov_b32 s56, 0x487ffff
	v_add3_u32 v3, v2, v3, s56
	s_mov_b64 s[52:53], exec
	v_lshrrev_b32_e32 v3, 20, v3
	s_or_saveexec_b64 s[54:55], s[54:55]
                                        ; implicit-def: $sgpr56
	s_xor_b64 exec, exec, s[54:55]
	s_cbranch_execnz .LBB7_820
.LBB7_703:
	s_or_b64 exec, exec, s[54:55]
	v_mov_b32_e32 v6, s56
	s_and_saveexec_b64 s[54:55], s[52:53]
.LBB7_704:
	v_lshrrev_b32_e32 v2, 24, v2
	s_movk_i32 s52, 0x80
	v_and_or_b32 v6, v2, s52, v3
.LBB7_705:
	s_or_b64 exec, exec, s[54:55]
.LBB7_706:
	s_or_b64 exec, exec, s[48:49]
	global_store_byte v[4:5], v6, off
.LBB7_707:
	s_mov_b64 s[48:49], -1
.LBB7_708:
	s_mov_b64 s[52:53], 0
.LBB7_709:
	s_and_b64 vcc, exec, s[52:53]
	s_cbranch_vccz .LBB7_750
; %bb.710:
	v_mov_b32_e32 v2, 22
	v_cmp_gt_i16_sdwa s[54:55], v10, v2 src0_sel:BYTE_0 src1_sel:DWORD
	s_mov_b64 s[52:53], -1
	s_and_b64 vcc, exec, s[54:55]
	s_cbranch_vccz .LBB7_742
; %bb.711:
	v_mov_b32_e32 v2, 24
	v_cmp_lt_i16_sdwa s[52:53], v10, v2 src0_sel:BYTE_0 src1_sel:DWORD
	s_mov_b64 s[48:49], -1
	s_and_b64 vcc, exec, s[52:53]
	s_cbranch_vccnz .LBB7_731
; %bb.712:
	v_cmp_gt_i16_sdwa s[52:53], v10, v2 src0_sel:BYTE_0 src1_sel:DWORD
	s_and_b64 vcc, exec, s[52:53]
	s_cbranch_vccz .LBB7_720
; %bb.713:
	v_cvt_f32_f64_e32 v2, v[0:1]
	v_and_b32_e32 v3, 0x7fffffff, v2
	s_mov_b32 s48, 0x47800000
	v_cmp_gt_u32_e32 vcc, s48, v3
	v_mov_b32_e32 v6, 0x80
	s_and_saveexec_b64 s[48:49], vcc
	s_cbranch_execz .LBB7_719
; %bb.714:
	s_mov_b32 s52, 0x37ffffff
	v_cmp_lt_u32_e32 vcc, s52, v3
	s_mov_b64 s[52:53], 0
                                        ; implicit-def: $vgpr3
	s_and_saveexec_b64 s[54:55], vcc
	s_xor_b64 s[54:55], exec, s[54:55]
	s_cbranch_execz .LBB7_951
; %bb.715:
	v_bfe_u32 v3, v2, 21, 1
	s_mov_b32 s56, 0x88fffff
	v_add3_u32 v3, v2, v3, s56
	s_mov_b64 s[52:53], exec
	v_lshrrev_b32_e32 v3, 21, v3
	s_or_saveexec_b64 s[54:55], s[54:55]
                                        ; implicit-def: $sgpr56
	s_xor_b64 exec, exec, s[54:55]
	s_cbranch_execnz .LBB7_952
.LBB7_716:
	s_or_b64 exec, exec, s[54:55]
	v_mov_b32_e32 v6, s56
	s_and_saveexec_b64 s[54:55], s[52:53]
.LBB7_717:
	v_lshrrev_b32_e32 v2, 24, v2
	s_movk_i32 s52, 0x80
	v_and_or_b32 v6, v2, s52, v3
.LBB7_718:
	s_or_b64 exec, exec, s[54:55]
.LBB7_719:
	s_or_b64 exec, exec, s[48:49]
	s_mov_b64 s[48:49], 0
	global_store_byte v[4:5], v6, off
.LBB7_720:
	s_and_b64 vcc, exec, s[48:49]
	s_cbranch_vccz .LBB7_730
; %bb.721:
	v_cvt_f32_f64_e32 v2, v[0:1]
	v_and_b32_e32 v6, 0x7fffffff, v2
	s_mov_b32 s48, 0x43f00000
	v_cmp_gt_u32_e32 vcc, s48, v6
                                        ; implicit-def: $vgpr3
	s_and_saveexec_b64 s[48:49], vcc
	s_xor_b64 s[48:49], exec, s[48:49]
	s_cbranch_execz .LBB7_727
; %bb.722:
	s_mov_b32 s52, 0x3c7fffff
	v_cmp_lt_u32_e32 vcc, s52, v6
                                        ; implicit-def: $vgpr3
	s_and_saveexec_b64 s[52:53], vcc
	s_xor_b64 s[52:53], exec, s[52:53]
; %bb.723:
	v_bfe_u32 v3, v2, 20, 1
	s_mov_b32 s54, 0x407ffff
	v_add3_u32 v3, v2, v3, s54
	v_lshrrev_b32_e32 v6, 20, v3
	v_and_b32_e32 v3, 0xff00000, v3
	s_mov_b32 s54, 0x7f00000
	v_mov_b32_e32 v7, 0x7e
	v_cmp_ne_u32_e32 vcc, s54, v3
	v_cndmask_b32_e32 v3, v7, v6, vcc
; %bb.724:
	s_andn2_saveexec_b64 s[52:53], s[52:53]
; %bb.725:
	s_mov_b32 s54, 0x46800000
	v_add_f32_e64 v3, |v2|, s54
; %bb.726:
	s_or_b64 exec, exec, s[52:53]
                                        ; implicit-def: $vgpr6
.LBB7_727:
	s_andn2_saveexec_b64 s[48:49], s[48:49]
; %bb.728:
	s_mov_b32 s52, 0x7f800000
	v_mov_b32_e32 v3, 0x7e
	v_mov_b32_e32 v7, 0x7f
	v_cmp_lt_u32_e32 vcc, s52, v6
	v_cndmask_b32_e32 v3, v3, v7, vcc
; %bb.729:
	s_or_b64 exec, exec, s[48:49]
	v_lshrrev_b32_e32 v2, 24, v2
	s_movk_i32 s48, 0x80
	v_and_or_b32 v2, v2, s48, v3
	global_store_byte v[4:5], v2, off
.LBB7_730:
	s_mov_b64 s[48:49], 0
.LBB7_731:
	s_andn2_b64 vcc, exec, s[48:49]
	s_cbranch_vccnz .LBB7_741
; %bb.732:
	v_cvt_f32_f64_e32 v2, v[0:1]
	v_and_b32_e32 v6, 0x7fffffff, v2
	s_mov_b32 s48, 0x47800000
	v_cmp_gt_u32_e32 vcc, s48, v6
                                        ; implicit-def: $vgpr3
	s_and_saveexec_b64 s[48:49], vcc
	s_xor_b64 s[48:49], exec, s[48:49]
	s_cbranch_execz .LBB7_738
; %bb.733:
	s_mov_b32 s52, 0x387fffff
	v_cmp_lt_u32_e32 vcc, s52, v6
                                        ; implicit-def: $vgpr3
	s_and_saveexec_b64 s[52:53], vcc
	s_xor_b64 s[52:53], exec, s[52:53]
; %bb.734:
	v_bfe_u32 v3, v2, 21, 1
	s_mov_b32 s54, 0x80fffff
	v_add3_u32 v3, v2, v3, s54
	v_lshrrev_b32_e32 v3, 21, v3
; %bb.735:
	s_andn2_saveexec_b64 s[52:53], s[52:53]
; %bb.736:
	s_mov_b32 s54, 0x43000000
	v_add_f32_e64 v3, |v2|, s54
; %bb.737:
	s_or_b64 exec, exec, s[52:53]
                                        ; implicit-def: $vgpr6
.LBB7_738:
	s_andn2_saveexec_b64 s[48:49], s[48:49]
; %bb.739:
	s_mov_b32 s52, 0x7f800000
	v_mov_b32_e32 v3, 0x7c
	v_mov_b32_e32 v7, 0x7f
	v_cmp_lt_u32_e32 vcc, s52, v6
	v_cndmask_b32_e32 v3, v3, v7, vcc
; %bb.740:
	s_or_b64 exec, exec, s[48:49]
	v_lshrrev_b32_e32 v2, 24, v2
	s_movk_i32 s48, 0x80
	v_and_or_b32 v2, v2, s48, v3
	global_store_byte v[4:5], v2, off
.LBB7_741:
	s_mov_b64 s[52:53], 0
	s_mov_b64 s[48:49], -1
.LBB7_742:
	s_andn2_b64 vcc, exec, s[52:53]
	s_cbranch_vccnz .LBB7_750
; %bb.743:
	v_mov_b32_e32 v2, 14
	v_cmp_gt_i16_sdwa s[54:55], v10, v2 src0_sel:BYTE_0 src1_sel:DWORD
	s_mov_b64 s[52:53], -1
	s_and_b64 vcc, exec, s[54:55]
	s_cbranch_vccz .LBB7_747
; %bb.744:
	v_mov_b32_e32 v2, 15
	v_cmp_eq_u16_sdwa s[52:53], v10, v2 src0_sel:BYTE_0 src1_sel:DWORD
	s_mov_b64 s[0:1], -1
	s_and_b64 vcc, exec, s[52:53]
	s_cbranch_vccz .LBB7_746
; %bb.745:
	v_cvt_f32_f64_e32 v2, v[0:1]
	v_bfe_u32 v3, v2, 16, 1
	s_movk_i32 s0, 0x7fff
	v_add3_u32 v3, v2, v3, s0
	v_lshrrev_b32_e32 v3, 16, v3
	v_mov_b32_e32 v6, 0x7fc0
	v_cmp_o_f32_e32 vcc, v2, v2
	v_cndmask_b32_e32 v2, v6, v3, vcc
	global_store_short v[4:5], v2, off
	s_mov_b64 s[48:49], -1
	s_mov_b64 s[0:1], 0
.LBB7_746:
	s_mov_b64 s[52:53], 0
.LBB7_747:
	s_and_b64 vcc, exec, s[52:53]
	s_cbranch_vccz .LBB7_750
; %bb.748:
	v_mov_b32_e32 v2, 11
	v_cmp_eq_u16_sdwa s[52:53], v10, v2 src0_sel:BYTE_0 src1_sel:DWORD
	s_mov_b64 s[0:1], -1
	s_and_b64 vcc, exec, s[52:53]
	s_cbranch_vccz .LBB7_750
; %bb.749:
	v_mov_b32_e32 v2, 1
	s_mov_b64 s[48:49], -1
	s_mov_b64 s[0:1], 0
	global_store_byte v[4:5], v2, off
.LBB7_750:
	s_mov_b64 s[52:53], 0
.LBB7_751:
	s_and_b64 vcc, exec, s[52:53]
	s_cbranch_vccz .LBB7_790
; %bb.752:
	v_mov_b32_e32 v2, 5
	v_cmp_lt_i16_sdwa s[52:53], v10, v2 src0_sel:BYTE_0 src1_sel:DWORD
	s_mov_b64 s[48:49], -1
	s_and_b64 vcc, exec, s[52:53]
	s_cbranch_vccnz .LBB7_773
; %bb.753:
	v_mov_b32_e32 v2, 8
	v_cmp_lt_i16_sdwa s[52:53], v10, v2 src0_sel:BYTE_0 src1_sel:DWORD
	s_and_b64 vcc, exec, s[52:53]
	s_cbranch_vccnz .LBB7_763
; %bb.754:
	v_mov_b32_e32 v2, 9
	v_cmp_lt_i16_sdwa s[52:53], v10, v2 src0_sel:BYTE_0 src1_sel:DWORD
	s_and_b64 vcc, exec, s[52:53]
	s_cbranch_vccnz .LBB7_760
; %bb.755:
	v_cmp_gt_i16_sdwa s[52:53], v10, v2 src0_sel:BYTE_0 src1_sel:DWORD
	s_and_b64 vcc, exec, s[52:53]
	s_cbranch_vccz .LBB7_757
; %bb.756:
	v_mov_b32_e32 v2, 0
	v_mov_b32_e32 v3, v2
	s_mov_b64 s[48:49], 0
	global_store_dwordx4 v[4:5], v[0:3], off
.LBB7_757:
	s_andn2_b64 vcc, exec, s[48:49]
	s_cbranch_vccnz .LBB7_759
; %bb.758:
	v_cvt_f32_f64_e32 v2, v[0:1]
	v_mov_b32_e32 v3, 0
	global_store_dwordx2 v[4:5], v[2:3], off
.LBB7_759:
	s_mov_b64 s[48:49], 0
.LBB7_760:
	s_andn2_b64 vcc, exec, s[48:49]
	s_cbranch_vccnz .LBB7_762
; %bb.761:
	v_cvt_f32_f64_e32 v2, v[0:1]
	v_cvt_f16_f32_e32 v2, v2
	global_store_dword v[4:5], v2, off
.LBB7_762:
	s_mov_b64 s[48:49], 0
.LBB7_763:
	s_andn2_b64 vcc, exec, s[48:49]
	s_cbranch_vccnz .LBB7_772
; %bb.764:
	v_mov_b32_e32 v2, 6
	v_cmp_lt_i16_sdwa s[52:53], v10, v2 src0_sel:BYTE_0 src1_sel:DWORD
	s_mov_b64 s[48:49], -1
	s_and_b64 vcc, exec, s[52:53]
	s_cbranch_vccnz .LBB7_770
; %bb.765:
	v_cmp_gt_i16_sdwa s[52:53], v10, v2 src0_sel:BYTE_0 src1_sel:DWORD
	s_and_b64 vcc, exec, s[52:53]
	s_cbranch_vccz .LBB7_767
; %bb.766:
	s_mov_b64 s[48:49], 0
	global_store_dwordx2 v[4:5], v[0:1], off
.LBB7_767:
	s_andn2_b64 vcc, exec, s[48:49]
	s_cbranch_vccnz .LBB7_769
; %bb.768:
	v_cvt_f32_f64_e32 v2, v[0:1]
	global_store_dword v[4:5], v2, off
.LBB7_769:
	s_mov_b64 s[48:49], 0
.LBB7_770:
	s_andn2_b64 vcc, exec, s[48:49]
	s_cbranch_vccnz .LBB7_772
; %bb.771:
	v_cvt_f32_f64_e32 v2, v[0:1]
	v_cvt_f16_f32_e32 v2, v2
	global_store_short v[4:5], v2, off
.LBB7_772:
	s_mov_b64 s[48:49], 0
.LBB7_773:
	s_andn2_b64 vcc, exec, s[48:49]
	s_cbranch_vccnz .LBB7_789
; %bb.774:
	v_mov_b32_e32 v2, 2
	v_cmp_lt_i16_sdwa s[52:53], v10, v2 src0_sel:BYTE_0 src1_sel:DWORD
	s_mov_b64 s[48:49], -1
	s_and_b64 vcc, exec, s[52:53]
	s_cbranch_vccnz .LBB7_784
; %bb.775:
	v_mov_b32_e32 v2, 3
	v_cmp_lt_i16_sdwa s[52:53], v10, v2 src0_sel:BYTE_0 src1_sel:DWORD
	s_and_b64 vcc, exec, s[52:53]
	s_cbranch_vccnz .LBB7_781
; %bb.776:
	v_cmp_gt_i16_sdwa s[52:53], v10, v2 src0_sel:BYTE_0 src1_sel:DWORD
	s_and_b64 vcc, exec, s[52:53]
	s_cbranch_vccz .LBB7_778
; %bb.777:
	v_trunc_f64_e32 v[2:3], v[0:1]
	s_movk_i32 s48, 0xffe0
	v_ldexp_f64 v[6:7], v[2:3], s48
	v_floor_f64_e32 v[6:7], v[6:7]
	v_fmac_f64_e32 v[2:3], 0xc1f00000, v[6:7]
	v_cvt_i32_f64_e32 v13, v[6:7]
	v_cvt_u32_f64_e32 v12, v[2:3]
	s_mov_b64 s[48:49], 0
	global_store_dwordx2 v[4:5], v[12:13], off
.LBB7_778:
	s_andn2_b64 vcc, exec, s[48:49]
	s_cbranch_vccnz .LBB7_780
; %bb.779:
	v_cvt_i32_f64_e32 v2, v[0:1]
	global_store_dword v[4:5], v2, off
.LBB7_780:
	s_mov_b64 s[48:49], 0
.LBB7_781:
	s_andn2_b64 vcc, exec, s[48:49]
	s_cbranch_vccnz .LBB7_783
; %bb.782:
	v_cvt_i32_f64_e32 v2, v[0:1]
	global_store_short v[4:5], v2, off
.LBB7_783:
	s_mov_b64 s[48:49], 0
.LBB7_784:
	s_andn2_b64 vcc, exec, s[48:49]
	s_cbranch_vccnz .LBB7_789
; %bb.785:
	v_mov_b32_e32 v2, 0
	v_cmp_gt_i16_sdwa s[52:53], v10, v2 src0_sel:BYTE_0 src1_sel:DWORD
	s_mov_b64 s[48:49], -1
	s_and_b64 vcc, exec, s[52:53]
	s_cbranch_vccz .LBB7_787
; %bb.786:
	v_cvt_i32_f64_e32 v2, v[0:1]
	s_mov_b64 s[48:49], 0
	global_store_byte v[4:5], v2, off
.LBB7_787:
	s_andn2_b64 vcc, exec, s[48:49]
	s_cbranch_vccnz .LBB7_789
; %bb.788:
	v_trunc_f64_e32 v[0:1], v[0:1]
	s_movk_i32 s48, 0xffe0
	v_ldexp_f64 v[2:3], v[0:1], s48
	v_floor_f64_e32 v[2:3], v[2:3]
	v_fmac_f64_e32 v[0:1], 0xc1f00000, v[2:3]
	v_cvt_u32_f64_e32 v0, v[0:1]
	global_store_byte v[4:5], v0, off
.LBB7_789:
	s_mov_b64 s[48:49], -1
.LBB7_790:
	s_andn2_b64 vcc, exec, s[48:49]
	s_cbranch_vccnz .LBB7_814
; %bb.791:
	v_add_u32_e32 v16, 0x80, v16
	s_mov_b64 s[52:53], -1
.LBB7_792:
	s_andn2_b64 s[48:49], s[36:37], exec
	s_and_b64 s[0:1], s[0:1], exec
	s_or_b64 s[48:49], s[48:49], s[0:1]
	s_andn2_b64 s[0:1], s[38:39], exec
	s_and_b64 s[46:47], s[46:47], exec
	s_or_b64 s[46:47], s[0:1], s[46:47]
	;; [unrolled: 3-line block ×3, first 2 shown]
	s_orn2_b64 s[0:1], s[52:53], exec
.LBB7_793:
	s_or_b64 exec, exec, s[50:51]
	s_mov_b64 s[52:53], 0
	s_mov_b64 s[54:55], 0
	;; [unrolled: 1-line block ×3, first 2 shown]
                                        ; implicit-def: $vgpr1
                                        ; implicit-def: $vgpr6_vgpr7
                                        ; implicit-def: $vgpr0
                                        ; implicit-def: $vgpr2
                                        ; implicit-def: $vgpr4_vgpr5
	s_and_saveexec_b64 s[50:51], s[0:1]
	s_cbranch_execz .LBB7_1288
; %bb.794:
	v_cmp_gt_i32_e32 vcc, s66, v16
	s_mov_b64 s[64:65], -1
	s_mov_b64 s[0:1], s[44:45]
	s_mov_b64 s[56:57], s[46:47]
	;; [unrolled: 1-line block ×3, first 2 shown]
	s_and_saveexec_b64 s[52:53], vcc
	s_cbranch_execz .LBB7_1193
; %bb.795:
	s_andn2_b64 vcc, exec, s[20:21]
	s_cbranch_vccnz .LBB7_802
; %bb.796:
	s_andn2_b64 vcc, exec, s[34:35]
	v_mov_b32_e32 v4, 0
	s_waitcnt vmcnt(0)
	v_mov_b32_e32 v0, 0
	v_mov_b32_e32 v2, 0
	s_cbranch_vccnz .LBB7_801
; %bb.797:
	s_add_i32 s0, s69, 1
	s_and_b32 s54, s0, 30
	s_add_u32 s0, s2, 0xffffffec
	s_addc_u32 s1, s3, -1
	v_mov_b32_e32 v2, 0
	v_mov_b32_e32 v1, v16
	v_mov_b32_e32 v0, 0
	v_mov_b32_e32 v4, 0
.LBB7_798:                              ; =>This Inner Loop Header: Depth=1
	s_mov_b64 s[64:65], s[0:1]
	s_load_dwordx4 s[56:59], s[64:65], 0x18
	s_load_dwordx2 s[70:71], s[64:65], 0x28
	s_load_dwordx2 s[72:73], s[64:65], 0xe8
	s_load_dwordx4 s[60:63], s[64:65], 0xd8
	s_add_u32 s0, s64, 24
	s_waitcnt lgkmcnt(0)
	v_mul_hi_u32 v3, s57, v1
	v_add_u32_e32 v3, v1, v3
	v_lshrrev_b32_e32 v3, s58, v3
	v_mul_lo_u32 v5, v3, s56
	v_mul_hi_u32 v6, s70, v3
	v_sub_u32_e32 v1, v1, v5
	v_add_u32_e32 v5, v3, v6
	v_mul_lo_u32 v6, v1, s60
	v_mul_lo_u32 v7, v1, s61
	;; [unrolled: 1-line block ×3, first 2 shown]
	v_lshrrev_b32_e32 v1, s71, v5
	v_mul_lo_u32 v5, v1, s59
	v_sub_u32_e32 v3, v3, v5
	s_addc_u32 s1, s65, 0
	s_add_i32 s54, s54, -2
	v_mul_lo_u32 v5, v3, s63
	v_mul_lo_u32 v12, v3, s72
	;; [unrolled: 1-line block ×3, first 2 shown]
	s_cmp_eq_u32 s54, 0
	v_add3_u32 v2, v6, v2, v5
	v_add3_u32 v4, v9, v4, v3
	;; [unrolled: 1-line block ×3, first 2 shown]
	s_cbranch_scc0 .LBB7_798
; %bb.799:
	s_bitcmp1_b32 s69, 0
	s_cselect_b64 s[54:55], -1, 0
	s_and_b64 vcc, exec, s[54:55]
	s_cbranch_vccnz .LBB7_801
; %bb.800:
	s_load_dwordx2 s[54:55], s[0:1], 0x18
	s_load_dword s56, s[0:1], 0x20
	s_load_dword s57, s[0:1], 0xe0
	s_nop 0
	s_load_dwordx2 s[0:1], s[0:1], 0xd8
	s_waitcnt lgkmcnt(0)
	v_mul_hi_u32 v3, s55, v1
	v_add_u32_e32 v3, v1, v3
	v_lshrrev_b32_e32 v3, s56, v3
	v_mul_lo_u32 v3, v3, s54
	v_sub_u32_e32 v5, v1, v3
	v_mad_u64_u32 v[2:3], s[54:55], v5, s0, v[2:3]
	v_mad_u64_u32 v[0:1], s[0:1], v5, s1, v[0:1]
	;; [unrolled: 1-line block ×3, first 2 shown]
.LBB7_801:
	s_mov_b64 s[0:1], 0
	s_branch .LBB7_803
.LBB7_802:
	s_mov_b64 s[0:1], -1
                                        ; implicit-def: $vgpr4
                                        ; implicit-def: $vgpr0
                                        ; implicit-def: $vgpr2
.LBB7_803:
	s_andn2_b64 vcc, exec, s[0:1]
	s_cbranch_vccnz .LBB7_806
; %bb.804:
	s_waitcnt vmcnt(0) lgkmcnt(0)
	v_mul_hi_u32 v0, s17, v16
	v_add_u32_e32 v0, v16, v0
	v_lshrrev_b32_e32 v1, s18, v0
	v_mul_lo_u32 v0, v1, s16
	v_sub_u32_e32 v0, v16, v0
	v_mul_lo_u32 v2, v0, s12
	v_mul_lo_u32 v4, v0, s14
	s_andn2_b64 vcc, exec, s[30:31]
	v_mul_lo_u32 v0, v0, s13
	s_cbranch_vccnz .LBB7_806
; %bb.805:
	v_mul_hi_u32 v3, s28, v1
	v_add_u32_e32 v3, v1, v3
	v_lshrrev_b32_e32 v3, s29, v3
	v_mul_lo_u32 v3, v3, s19
	v_sub_u32_e32 v5, v1, v3
	v_mad_u64_u32 v[2:3], s[0:1], v5, s15, v[2:3]
	v_mad_u64_u32 v[0:1], s[0:1], v5, s26, v[0:1]
	;; [unrolled: 1-line block ×3, first 2 shown]
.LBB7_806:
	s_waitcnt vmcnt(0) lgkmcnt(0)
	v_mov_b32_e32 v1, s11
	v_add_co_u32_e32 v6, vcc, s10, v0
	v_mov_b32_e32 v0, 11
	v_addc_co_u32_e32 v7, vcc, 0, v1, vcc
	v_cmp_lt_i16_sdwa s[0:1], v8, v0 src0_sel:BYTE_0 src1_sel:DWORD
	s_and_b64 vcc, exec, s[0:1]
	s_cbranch_vccnz .LBB7_813
; %bb.807:
	v_mov_b32_e32 v0, 25
	v_cmp_gt_i16_sdwa s[0:1], v8, v0 src0_sel:BYTE_0 src1_sel:DWORD
	s_and_b64 vcc, exec, s[0:1]
	s_cbranch_vccz .LBB7_815
; %bb.808:
	v_mov_b32_e32 v0, 28
	v_cmp_gt_i16_sdwa s[0:1], v8, v0 src0_sel:BYTE_0 src1_sel:DWORD
	s_and_b64 vcc, exec, s[0:1]
	s_cbranch_vccz .LBB7_816
	;; [unrolled: 5-line block ×4, first 2 shown]
; %bb.811:
	v_mov_b32_e32 v0, 46
	v_cmp_eq_u16_sdwa s[0:1], v8, v0 src0_sel:BYTE_0 src1_sel:DWORD
	s_mov_b64 s[56:57], 0
	s_and_b64 vcc, exec, s[0:1]
	s_cbranch_vccz .LBB7_821
; %bb.812:
	global_load_dword v0, v[6:7], off
	s_mov_b64 s[0:1], -1
	s_mov_b64 s[54:55], 0
	s_waitcnt vmcnt(0)
	v_lshlrev_b32_e32 v0, 16, v0
	v_cvt_f64_f32_e32 v[0:1], v0
	s_branch .LBB7_822
.LBB7_813:
	s_mov_b64 s[56:57], -1
	s_mov_b64 s[0:1], 0
                                        ; implicit-def: $vgpr0_vgpr1
	s_mov_b64 s[54:55], s[44:45]
	s_branch .LBB7_887
.LBB7_814:
	s_mov_b64 s[52:53], 0
	s_branch .LBB7_550
.LBB7_815:
	s_mov_b64 s[56:57], -1
	s_mov_b64 s[0:1], 0
	s_mov_b64 s[54:55], s[44:45]
                                        ; implicit-def: $vgpr0_vgpr1
	s_branch .LBB7_851
.LBB7_816:
	s_mov_b64 s[56:57], -1
	s_mov_b64 s[0:1], 0
	s_mov_b64 s[54:55], s[44:45]
                                        ; implicit-def: $vgpr0_vgpr1
	s_branch .LBB7_832
.LBB7_817:
	s_mov_b64 s[56:57], -1
	s_mov_b64 s[0:1], 0
	s_mov_b64 s[54:55], s[44:45]
                                        ; implicit-def: $vgpr0_vgpr1
	s_branch .LBB7_827
.LBB7_818:
	s_mov_b64 s[56:57], -1
	s_mov_b64 s[0:1], 0
	s_mov_b64 s[54:55], s[44:45]
                                        ; implicit-def: $vgpr0_vgpr1
	s_branch .LBB7_822
.LBB7_819:
	s_or_saveexec_b64 s[54:55], s[54:55]
                                        ; implicit-def: $sgpr56
	s_xor_b64 exec, exec, s[54:55]
	s_cbranch_execz .LBB7_703
.LBB7_820:
	s_mov_b32 s56, 0x46000000
	v_add_f32_e64 v3, |v2|, s56
	v_and_b32_e32 v3, 0xff, v3
	v_cmp_ne_u32_e32 vcc, 0, v3
	s_andn2_b64 s[52:53], s[52:53], exec
	s_and_b64 s[58:59], vcc, exec
	s_mov_b32 s56, 0
	s_or_b64 s[52:53], s[52:53], s[58:59]
	s_or_b64 exec, exec, s[54:55]
	v_mov_b32_e32 v6, s56
	s_and_saveexec_b64 s[54:55], s[52:53]
	s_cbranch_execnz .LBB7_704
	s_branch .LBB7_705
.LBB7_821:
	s_mov_b64 s[54:55], -1
                                        ; implicit-def: $vgpr0_vgpr1
	s_mov_b64 s[0:1], 0
.LBB7_822:
	s_and_b64 vcc, exec, s[56:57]
	s_cbranch_vccz .LBB7_826
; %bb.823:
	v_mov_b32_e32 v0, 44
	v_cmp_eq_u16_sdwa s[54:55], v8, v0 src0_sel:BYTE_0 src1_sel:DWORD
	s_and_b64 vcc, exec, s[54:55]
	s_cbranch_vccz .LBB7_825
; %bb.824:
	global_load_ubyte v3, v[6:7], off
	s_movk_i32 s54, 0xff
	v_bfrev_b32_e32 v5, 4
	v_mov_b32_e32 v9, 0x7ff80000
	v_bfrev_b32_e32 v12, 28
	s_mov_b64 s[0:1], -1
	s_waitcnt vmcnt(0)
	v_lshlrev_b32_e32 v0, 23, v3
	v_cvt_f64_f32_e32 v[0:1], v0
	v_cmp_ne_u32_e32 vcc, s54, v3
	v_cndmask_b32_e32 v0, v5, v0, vcc
	v_cndmask_b32_e32 v1, v9, v1, vcc
	v_cmp_ne_u32_e32 vcc, 0, v3
	v_cndmask_b32_e32 v1, v12, v1, vcc
	v_cndmask_b32_e32 v0, 0, v0, vcc
	s_mov_b64 s[54:55], 0
	s_branch .LBB7_826
.LBB7_825:
	s_mov_b64 s[54:55], -1
                                        ; implicit-def: $vgpr0_vgpr1
.LBB7_826:
	s_mov_b64 s[56:57], 0
.LBB7_827:
	s_and_b64 vcc, exec, s[56:57]
	s_cbranch_vccz .LBB7_831
; %bb.828:
	v_mov_b32_e32 v0, 29
	v_cmp_eq_u16_sdwa s[54:55], v8, v0 src0_sel:BYTE_0 src1_sel:DWORD
	s_and_b64 vcc, exec, s[54:55]
	s_cbranch_vccz .LBB7_830
; %bb.829:
	global_load_dwordx2 v[0:1], v[6:7], off
	s_mov_b64 s[0:1], -1
	s_mov_b64 s[54:55], 0
	s_mov_b64 s[56:57], 0
	s_waitcnt vmcnt(0)
	v_cvt_f64_u32_e32 v[12:13], v1
	v_cvt_f64_u32_e32 v[0:1], v0
	v_ldexp_f64 v[12:13], v[12:13], 32
	v_add_f64 v[0:1], v[12:13], v[0:1]
	s_branch .LBB7_832
.LBB7_830:
	s_mov_b64 s[54:55], -1
                                        ; implicit-def: $vgpr0_vgpr1
.LBB7_831:
	s_mov_b64 s[56:57], 0
.LBB7_832:
	s_and_b64 vcc, exec, s[56:57]
	s_cbranch_vccz .LBB7_850
; %bb.833:
	v_mov_b32_e32 v0, 27
	v_cmp_lt_i16_sdwa s[0:1], v8, v0 src0_sel:BYTE_0 src1_sel:DWORD
	s_and_b64 vcc, exec, s[0:1]
	s_cbranch_vccnz .LBB7_836
; %bb.834:
	v_cmp_gt_i16_sdwa s[0:1], v8, v0 src0_sel:BYTE_0 src1_sel:DWORD
	s_and_b64 vcc, exec, s[0:1]
	s_cbranch_vccz .LBB7_837
; %bb.835:
	global_load_dword v0, v[6:7], off
	s_mov_b64 s[0:1], 0
	s_waitcnt vmcnt(0)
	v_cvt_f64_u32_e32 v[0:1], v0
	s_branch .LBB7_838
.LBB7_836:
	s_mov_b64 s[0:1], -1
                                        ; implicit-def: $vgpr0_vgpr1
	s_branch .LBB7_841
.LBB7_837:
	s_mov_b64 s[0:1], -1
                                        ; implicit-def: $vgpr0_vgpr1
.LBB7_838:
	s_andn2_b64 vcc, exec, s[0:1]
	s_cbranch_vccnz .LBB7_840
; %bb.839:
	global_load_ushort v0, v[6:7], off
	s_waitcnt vmcnt(0)
	v_cvt_f64_u32_e32 v[0:1], v0
.LBB7_840:
	s_mov_b64 s[0:1], 0
.LBB7_841:
	s_andn2_b64 vcc, exec, s[0:1]
	s_cbranch_vccnz .LBB7_849
; %bb.842:
	global_load_ubyte v3, v[6:7], off
	s_movk_i32 s0, 0x7f
                                        ; implicit-def: $sgpr56_sgpr57
	s_waitcnt vmcnt(0)
	v_cmp_lt_i16_e32 vcc, s0, v3
	s_mov_b64 s[0:1], 0
	s_and_saveexec_b64 s[58:59], vcc
	s_xor_b64 s[58:59], exec, s[58:59]
	s_cbranch_execz .LBB7_863
; %bb.843:
	s_movk_i32 s0, 0x80
	v_cmp_eq_u16_e32 vcc, s0, v3
	s_mov_b64 s[60:61], -1
                                        ; implicit-def: $sgpr56_sgpr57
	s_and_saveexec_b64 s[0:1], vcc
; %bb.844:
	s_mov_b32 s57, 0x7ff80000
	s_brev_b32 s56, 4
	s_xor_b64 s[60:61], exec, -1
; %bb.845:
	s_or_b64 exec, exec, s[0:1]
	s_and_b64 s[0:1], s[60:61], exec
	s_or_saveexec_b64 s[58:59], s[58:59]
	v_pk_mov_b32 v[0:1], s[56:57], s[56:57] op_sel:[0,1]
	s_xor_b64 exec, exec, s[58:59]
	s_cbranch_execnz .LBB7_864
.LBB7_846:
	s_or_b64 exec, exec, s[58:59]
	s_and_saveexec_b64 s[56:57], s[0:1]
	s_cbranch_execz .LBB7_848
.LBB7_847:
	v_and_b32_e32 v1, 0xffff, v3
	v_lshlrev_b32_e32 v0, 24, v3
	v_and_b32_e32 v3, 7, v1
	v_ffbh_u32_e32 v9, v3
	v_min_u32_e32 v9, 32, v9
	v_subrev_u32_e32 v12, 28, v9
	v_bfe_u32 v5, v1, 3, 4
	v_lshlrev_b32_e32 v1, v12, v1
	v_sub_u32_e32 v9, 29, v9
	v_and_b32_e32 v1, 7, v1
	v_cmp_eq_u32_e32 vcc, 0, v5
	v_cndmask_b32_e32 v5, v5, v9, vcc
	v_cndmask_b32_e32 v1, v3, v1, vcc
	v_mov_b32_e32 v3, 0x3b800000
	v_lshlrev_b32_e32 v1, 20, v1
	v_and_b32_e32 v0, 0x80000000, v0
	v_lshl_add_u32 v3, v5, 23, v3
	v_or3_b32 v0, v0, v3, v1
	v_cvt_f64_f32_e32 v[0:1], v0
.LBB7_848:
	s_or_b64 exec, exec, s[56:57]
.LBB7_849:
	s_mov_b64 s[0:1], -1
.LBB7_850:
	s_mov_b64 s[56:57], 0
.LBB7_851:
	s_and_b64 vcc, exec, s[56:57]
	s_cbranch_vccz .LBB7_886
; %bb.852:
	v_mov_b32_e32 v0, 22
	v_cmp_gt_i16_sdwa s[56:57], v8, v0 src0_sel:BYTE_0 src1_sel:DWORD
	s_and_b64 vcc, exec, s[56:57]
	s_cbranch_vccz .LBB7_862
; %bb.853:
	v_mov_b32_e32 v0, 24
	v_cmp_lt_i16_sdwa s[0:1], v8, v0 src0_sel:BYTE_0 src1_sel:DWORD
	s_and_b64 vcc, exec, s[0:1]
	s_cbranch_vccnz .LBB7_865
; %bb.854:
	v_cmp_gt_i16_sdwa s[0:1], v8, v0 src0_sel:BYTE_0 src1_sel:DWORD
	s_and_b64 vcc, exec, s[0:1]
	s_cbranch_vccz .LBB7_866
; %bb.855:
	global_load_ubyte v3, v[6:7], off
	s_movk_i32 s0, 0x7f
                                        ; implicit-def: $sgpr56_sgpr57
	s_waitcnt vmcnt(0)
	v_cmp_lt_i16_e32 vcc, s0, v3
	s_mov_b64 s[0:1], 0
	s_and_saveexec_b64 s[58:59], vcc
	s_xor_b64 s[58:59], exec, s[58:59]
	s_cbranch_execz .LBB7_878
; %bb.856:
	s_movk_i32 s0, 0x80
	v_cmp_eq_u16_e32 vcc, s0, v3
	s_mov_b64 s[60:61], -1
                                        ; implicit-def: $sgpr56_sgpr57
	s_and_saveexec_b64 s[0:1], vcc
; %bb.857:
	s_mov_b32 s57, 0x7ff80000
	s_brev_b32 s56, 4
	s_xor_b64 s[60:61], exec, -1
; %bb.858:
	s_or_b64 exec, exec, s[0:1]
	s_and_b64 s[0:1], s[60:61], exec
	s_or_saveexec_b64 s[58:59], s[58:59]
	v_pk_mov_b32 v[0:1], s[56:57], s[56:57] op_sel:[0,1]
	s_xor_b64 exec, exec, s[58:59]
	s_cbranch_execnz .LBB7_879
.LBB7_859:
	s_or_b64 exec, exec, s[58:59]
	s_and_saveexec_b64 s[56:57], s[0:1]
	s_cbranch_execz .LBB7_861
.LBB7_860:
	v_and_b32_e32 v1, 0xffff, v3
	v_lshlrev_b32_e32 v0, 24, v3
	v_and_b32_e32 v3, 3, v1
	v_ffbh_u32_e32 v9, v3
	v_min_u32_e32 v9, 32, v9
	v_subrev_u32_e32 v12, 29, v9
	v_bfe_u32 v5, v1, 2, 5
	v_lshlrev_b32_e32 v1, v12, v1
	v_sub_u32_e32 v9, 30, v9
	v_and_b32_e32 v1, 3, v1
	v_cmp_eq_u32_e32 vcc, 0, v5
	v_cndmask_b32_e32 v5, v5, v9, vcc
	v_cndmask_b32_e32 v1, v3, v1, vcc
	v_mov_b32_e32 v3, 0x37800000
	v_lshlrev_b32_e32 v1, 21, v1
	v_and_b32_e32 v0, 0x80000000, v0
	v_lshl_add_u32 v3, v5, 23, v3
	v_or3_b32 v0, v0, v3, v1
	v_cvt_f64_f32_e32 v[0:1], v0
.LBB7_861:
	s_or_b64 exec, exec, s[56:57]
	s_mov_b64 s[0:1], 0
	s_branch .LBB7_867
.LBB7_862:
	s_mov_b64 s[56:57], -1
                                        ; implicit-def: $vgpr0_vgpr1
	s_branch .LBB7_873
.LBB7_863:
	s_or_saveexec_b64 s[58:59], s[58:59]
	v_pk_mov_b32 v[0:1], s[56:57], s[56:57] op_sel:[0,1]
	s_xor_b64 exec, exec, s[58:59]
	s_cbranch_execz .LBB7_846
.LBB7_864:
	v_cmp_ne_u16_e32 vcc, 0, v3
	s_andn2_b64 s[0:1], s[0:1], exec
	s_and_b64 s[56:57], vcc, exec
	v_pk_mov_b32 v[0:1], 0, 0
	s_or_b64 s[0:1], s[0:1], s[56:57]
	s_or_b64 exec, exec, s[58:59]
	s_and_saveexec_b64 s[56:57], s[0:1]
	s_cbranch_execnz .LBB7_847
	s_branch .LBB7_848
.LBB7_865:
	s_mov_b64 s[0:1], -1
                                        ; implicit-def: $vgpr0_vgpr1
	s_branch .LBB7_870
.LBB7_866:
	s_mov_b64 s[0:1], -1
                                        ; implicit-def: $vgpr0_vgpr1
.LBB7_867:
	s_and_b64 vcc, exec, s[0:1]
	s_cbranch_vccz .LBB7_869
; %bb.868:
	global_load_ubyte v0, v[6:7], off
	s_mov_b32 s0, 0x7f800000
	s_waitcnt vmcnt(0)
	v_lshlrev_b32_e32 v0, 24, v0
	v_and_b32_e32 v1, 0x7f000000, v0
	v_ffbh_u32_e32 v3, v1
	v_min_u32_e32 v3, 32, v3
	v_sub_u32_e64 v3, v3, 4 clamp
	v_lshlrev_b32_e32 v9, v3, v1
	v_lshlrev_b32_e32 v3, 23, v3
	v_lshrrev_b32_e32 v9, 4, v9
	v_add_u32_e32 v5, 0x1000000, v1
	v_sub_u32_e32 v3, v9, v3
	v_ashrrev_i32_e32 v5, 8, v5
	v_add_u32_e32 v3, 0x3c000000, v3
	v_and_or_b32 v3, v5, s0, v3
	v_cmp_ne_u32_e32 vcc, 0, v1
	v_cndmask_b32_e32 v1, 0, v3, vcc
	s_brev_b32 s0, 1
	v_and_or_b32 v0, v0, s0, v1
	v_cvt_f64_f32_e32 v[0:1], v0
.LBB7_869:
	s_mov_b64 s[0:1], 0
.LBB7_870:
	s_andn2_b64 vcc, exec, s[0:1]
	s_cbranch_vccnz .LBB7_872
; %bb.871:
	global_load_ubyte v0, v[6:7], off
	s_movk_i32 s0, 0x7f00
	s_brev_b32 s1, 16
	s_waitcnt vmcnt(0)
	v_lshlrev_b16_e32 v1, 8, v0
	v_lshlrev_b32_e32 v0, 25, v0
	v_lshrrev_b32_e32 v3, 4, v0
	v_and_or_b32 v5, v1, s0, 0.5
	v_or_b32_e32 v3, 0x70000000, v3
	v_add_f32_e32 v5, -0.5, v5
	v_mul_f32_e32 v3, 0x7800000, v3
	v_cmp_gt_u32_e32 vcc, s1, v0
	v_bfe_i32 v1, v1, 0, 16
	v_cndmask_b32_e32 v0, v3, v5, vcc
	s_brev_b32 s0, 1
	v_and_or_b32 v0, v1, s0, v0
	v_cvt_f64_f32_e32 v[0:1], v0
.LBB7_872:
	s_mov_b64 s[56:57], 0
	s_mov_b64 s[0:1], -1
.LBB7_873:
	s_andn2_b64 vcc, exec, s[56:57]
	s_cbranch_vccnz .LBB7_886
; %bb.874:
	v_mov_b32_e32 v0, 14
	v_cmp_gt_i16_sdwa s[56:57], v8, v0 src0_sel:BYTE_0 src1_sel:DWORD
	s_and_b64 vcc, exec, s[56:57]
	s_cbranch_vccz .LBB7_877
; %bb.875:
	v_mov_b32_e32 v0, 15
	v_cmp_eq_u16_sdwa s[54:55], v8, v0 src0_sel:BYTE_0 src1_sel:DWORD
	s_and_b64 vcc, exec, s[54:55]
	s_cbranch_vccz .LBB7_880
; %bb.876:
	global_load_ushort v0, v[6:7], off
	s_mov_b64 s[0:1], -1
	s_mov_b64 s[54:55], 0
	s_waitcnt vmcnt(0)
	v_lshlrev_b32_e32 v0, 16, v0
	v_cvt_f64_f32_e32 v[0:1], v0
	s_branch .LBB7_881
.LBB7_877:
	s_mov_b64 s[56:57], -1
                                        ; implicit-def: $vgpr0_vgpr1
	s_branch .LBB7_882
.LBB7_878:
	s_or_saveexec_b64 s[58:59], s[58:59]
	v_pk_mov_b32 v[0:1], s[56:57], s[56:57] op_sel:[0,1]
	s_xor_b64 exec, exec, s[58:59]
	s_cbranch_execz .LBB7_859
.LBB7_879:
	v_cmp_ne_u16_e32 vcc, 0, v3
	s_andn2_b64 s[0:1], s[0:1], exec
	s_and_b64 s[56:57], vcc, exec
	v_pk_mov_b32 v[0:1], 0, 0
	s_or_b64 s[0:1], s[0:1], s[56:57]
	s_or_b64 exec, exec, s[58:59]
	s_and_saveexec_b64 s[56:57], s[0:1]
	s_cbranch_execnz .LBB7_860
	s_branch .LBB7_861
.LBB7_880:
	s_mov_b64 s[54:55], -1
                                        ; implicit-def: $vgpr0_vgpr1
.LBB7_881:
	s_mov_b64 s[56:57], 0
.LBB7_882:
	s_and_b64 vcc, exec, s[56:57]
	s_cbranch_vccz .LBB7_886
; %bb.883:
	v_mov_b32_e32 v0, 11
	v_cmp_eq_u16_sdwa s[54:55], v8, v0 src0_sel:BYTE_0 src1_sel:DWORD
	s_and_b64 vcc, exec, s[54:55]
	s_cbranch_vccz .LBB7_885
; %bb.884:
	global_load_ubyte v1, v[6:7], off
	v_mov_b32_e32 v3, 0x3ff00000
	v_mov_b32_e32 v0, 0
	s_mov_b64 s[0:1], -1
	s_mov_b64 s[54:55], 0
	s_waitcnt vmcnt(0)
	v_cmp_ne_u16_e32 vcc, 0, v1
	v_cndmask_b32_e32 v1, 0, v3, vcc
	s_branch .LBB7_886
.LBB7_885:
	s_mov_b64 s[54:55], -1
                                        ; implicit-def: $vgpr0_vgpr1
.LBB7_886:
	s_mov_b64 s[56:57], 0
.LBB7_887:
	s_and_b64 vcc, exec, s[56:57]
	s_cbranch_vccz .LBB7_936
; %bb.888:
	v_mov_b32_e32 v0, 5
	v_cmp_lt_i16_sdwa s[0:1], v8, v0 src0_sel:BYTE_0 src1_sel:DWORD
	s_and_b64 vcc, exec, s[0:1]
	s_cbranch_vccnz .LBB7_893
; %bb.889:
	v_mov_b32_e32 v0, 8
	v_cmp_lt_i16_sdwa s[0:1], v8, v0 src0_sel:BYTE_0 src1_sel:DWORD
	s_and_b64 vcc, exec, s[0:1]
	s_cbranch_vccnz .LBB7_894
	;; [unrolled: 5-line block ×3, first 2 shown]
; %bb.891:
	v_cmp_gt_i16_sdwa s[0:1], v8, v0 src0_sel:BYTE_0 src1_sel:DWORD
	s_and_b64 vcc, exec, s[0:1]
	s_cbranch_vccz .LBB7_896
; %bb.892:
	global_load_dwordx2 v[0:1], v[6:7], off
	s_mov_b64 s[0:1], 0
	s_branch .LBB7_897
.LBB7_893:
	s_mov_b64 s[0:1], -1
                                        ; implicit-def: $vgpr0_vgpr1
	s_branch .LBB7_915
.LBB7_894:
	s_mov_b64 s[0:1], -1
                                        ; implicit-def: $vgpr0_vgpr1
	s_branch .LBB7_903
.LBB7_895:
	s_mov_b64 s[0:1], -1
                                        ; implicit-def: $vgpr0_vgpr1
	s_branch .LBB7_900
.LBB7_896:
	s_mov_b64 s[0:1], -1
                                        ; implicit-def: $vgpr0_vgpr1
.LBB7_897:
	s_andn2_b64 vcc, exec, s[0:1]
	s_cbranch_vccnz .LBB7_899
; %bb.898:
	global_load_dword v0, v[6:7], off
	s_waitcnt vmcnt(0)
	v_cvt_f64_f32_e32 v[0:1], v0
.LBB7_899:
	s_mov_b64 s[0:1], 0
.LBB7_900:
	s_andn2_b64 vcc, exec, s[0:1]
	s_cbranch_vccnz .LBB7_902
; %bb.901:
	global_load_dword v0, v[6:7], off
	s_waitcnt vmcnt(0)
	v_cvt_f32_f16_e32 v0, v0
	v_cvt_f64_f32_e32 v[0:1], v0
.LBB7_902:
	s_mov_b64 s[0:1], 0
.LBB7_903:
	s_andn2_b64 vcc, exec, s[0:1]
	s_cbranch_vccnz .LBB7_914
; %bb.904:
	s_waitcnt vmcnt(0)
	v_mov_b32_e32 v0, 6
	v_cmp_lt_i16_sdwa s[0:1], v8, v0 src0_sel:BYTE_0 src1_sel:DWORD
	s_and_b64 vcc, exec, s[0:1]
	s_cbranch_vccnz .LBB7_907
; %bb.905:
	v_cmp_gt_i16_sdwa s[0:1], v8, v0 src0_sel:BYTE_0 src1_sel:DWORD
	s_and_b64 vcc, exec, s[0:1]
	s_cbranch_vccz .LBB7_908
; %bb.906:
	global_load_dwordx2 v[0:1], v[6:7], off
	s_mov_b64 s[0:1], 0
	s_branch .LBB7_909
.LBB7_907:
	s_mov_b64 s[0:1], -1
                                        ; implicit-def: $vgpr0_vgpr1
	s_branch .LBB7_912
.LBB7_908:
	s_mov_b64 s[0:1], -1
                                        ; implicit-def: $vgpr0_vgpr1
.LBB7_909:
	s_andn2_b64 vcc, exec, s[0:1]
	s_cbranch_vccnz .LBB7_911
; %bb.910:
	global_load_dword v0, v[6:7], off
	s_waitcnt vmcnt(0)
	v_cvt_f64_f32_e32 v[0:1], v0
.LBB7_911:
	s_mov_b64 s[0:1], 0
.LBB7_912:
	s_andn2_b64 vcc, exec, s[0:1]
	s_cbranch_vccnz .LBB7_914
; %bb.913:
	global_load_ushort v0, v[6:7], off
	s_waitcnt vmcnt(0)
	v_cvt_f32_f16_e32 v0, v0
	v_cvt_f64_f32_e32 v[0:1], v0
.LBB7_914:
	s_mov_b64 s[0:1], 0
.LBB7_915:
	s_andn2_b64 vcc, exec, s[0:1]
	s_cbranch_vccnz .LBB7_935
; %bb.916:
	s_waitcnt vmcnt(0)
	v_mov_b32_e32 v0, 2
	v_cmp_lt_i16_sdwa s[0:1], v8, v0 src0_sel:BYTE_0 src1_sel:DWORD
	s_and_b64 vcc, exec, s[0:1]
	s_cbranch_vccnz .LBB7_920
; %bb.917:
	v_mov_b32_e32 v0, 3
	v_cmp_lt_i16_sdwa s[0:1], v8, v0 src0_sel:BYTE_0 src1_sel:DWORD
	s_and_b64 vcc, exec, s[0:1]
	s_cbranch_vccnz .LBB7_921
; %bb.918:
	v_cmp_gt_i16_sdwa s[0:1], v8, v0 src0_sel:BYTE_0 src1_sel:DWORD
	s_and_b64 vcc, exec, s[0:1]
	s_cbranch_vccz .LBB7_922
; %bb.919:
	global_load_dwordx2 v[0:1], v[6:7], off
	s_mov_b64 s[0:1], 0
	s_waitcnt vmcnt(0)
	v_cvt_f64_i32_e32 v[12:13], v1
	v_cvt_f64_u32_e32 v[0:1], v0
	v_ldexp_f64 v[12:13], v[12:13], 32
	v_add_f64 v[0:1], v[12:13], v[0:1]
	s_branch .LBB7_923
.LBB7_920:
	s_mov_b64 s[0:1], -1
                                        ; implicit-def: $vgpr0_vgpr1
	s_branch .LBB7_929
.LBB7_921:
	s_mov_b64 s[0:1], -1
                                        ; implicit-def: $vgpr0_vgpr1
	s_branch .LBB7_926
.LBB7_922:
	s_mov_b64 s[0:1], -1
                                        ; implicit-def: $vgpr0_vgpr1
.LBB7_923:
	s_andn2_b64 vcc, exec, s[0:1]
	s_cbranch_vccnz .LBB7_925
; %bb.924:
	global_load_dword v0, v[6:7], off
	s_waitcnt vmcnt(0)
	v_cvt_f64_i32_e32 v[0:1], v0
.LBB7_925:
	s_mov_b64 s[0:1], 0
.LBB7_926:
	s_andn2_b64 vcc, exec, s[0:1]
	s_cbranch_vccnz .LBB7_928
; %bb.927:
	global_load_sshort v0, v[6:7], off
	s_waitcnt vmcnt(0)
	v_cvt_f64_i32_e32 v[0:1], v0
.LBB7_928:
	s_mov_b64 s[0:1], 0
.LBB7_929:
	s_andn2_b64 vcc, exec, s[0:1]
	s_cbranch_vccnz .LBB7_935
; %bb.930:
	v_mov_b32_e32 v0, 0
	v_cmp_gt_i16_sdwa s[0:1], v8, v0 src0_sel:BYTE_0 src1_sel:DWORD
	s_and_b64 vcc, exec, s[0:1]
	s_cbranch_vccz .LBB7_932
; %bb.931:
	global_load_sbyte v0, v[6:7], off
	s_mov_b64 s[0:1], 0
	s_waitcnt vmcnt(0)
	v_cvt_f64_i32_e32 v[0:1], v0
	s_branch .LBB7_933
.LBB7_932:
	s_mov_b64 s[0:1], -1
                                        ; implicit-def: $vgpr0_vgpr1
.LBB7_933:
	s_andn2_b64 vcc, exec, s[0:1]
	s_cbranch_vccnz .LBB7_935
; %bb.934:
	global_load_ubyte v0, v[6:7], off
	s_waitcnt vmcnt(0)
	v_cvt_f64_u32_e32 v[0:1], v0
.LBB7_935:
	s_mov_b64 s[0:1], -1
.LBB7_936:
	s_andn2_b64 vcc, exec, s[0:1]
	s_cbranch_vccnz .LBB7_944
; %bb.937:
	v_mov_b32_e32 v3, s25
	v_add_co_u32_e32 v4, vcc, s24, v4
	v_addc_co_u32_e32 v5, vcc, 0, v3, vcc
	v_mov_b32_e32 v3, 11
	v_cmp_lt_i16_sdwa s[0:1], v11, v3 src0_sel:BYTE_0 src1_sel:DWORD
	s_and_b64 vcc, exec, s[0:1]
	s_cbranch_vccnz .LBB7_946
; %bb.938:
	v_mov_b32_e32 v3, 25
	v_cmp_gt_i16_sdwa s[0:1], v11, v3 src0_sel:BYTE_0 src1_sel:DWORD
	s_and_b64 vcc, exec, s[0:1]
	s_cbranch_vccz .LBB7_947
; %bb.939:
	v_mov_b32_e32 v3, 28
	v_cmp_gt_i16_sdwa s[0:1], v11, v3 src0_sel:BYTE_0 src1_sel:DWORD
	s_and_b64 vcc, exec, s[0:1]
	s_cbranch_vccz .LBB7_948
	;; [unrolled: 5-line block ×4, first 2 shown]
; %bb.942:
	v_mov_b32_e32 v3, 46
	v_cmp_eq_u16_sdwa s[0:1], v11, v3 src0_sel:BYTE_0 src1_sel:DWORD
	s_mov_b64 s[58:59], 0
	s_and_b64 vcc, exec, s[0:1]
	s_cbranch_vccz .LBB7_953
; %bb.943:
	global_load_dword v3, v[4:5], off
	s_mov_b64 s[0:1], -1
	s_mov_b64 s[56:57], 0
	s_waitcnt vmcnt(0)
	v_lshlrev_b32_e32 v3, 16, v3
	v_cvt_f64_f32_e32 v[6:7], v3
	s_branch .LBB7_954
.LBB7_944:
	s_mov_b64 s[60:61], 0
	s_mov_b64 s[0:1], s[48:49]
	;; [unrolled: 1-line block ×3, first 2 shown]
.LBB7_945:
                                        ; implicit-def: $vgpr16
	s_branch .LBB7_1192
.LBB7_946:
	s_mov_b64 s[58:59], -1
	s_mov_b64 s[0:1], 0
                                        ; implicit-def: $vgpr6_vgpr7
	s_mov_b64 s[56:57], s[46:47]
	s_branch .LBB7_1019
.LBB7_947:
	s_mov_b64 s[58:59], -1
	s_mov_b64 s[0:1], 0
	s_mov_b64 s[56:57], s[46:47]
                                        ; implicit-def: $vgpr6_vgpr7
	s_branch .LBB7_983
.LBB7_948:
	s_mov_b64 s[58:59], -1
	s_mov_b64 s[0:1], 0
	s_mov_b64 s[56:57], s[46:47]
                                        ; implicit-def: $vgpr6_vgpr7
	s_branch .LBB7_964
.LBB7_949:
	s_mov_b64 s[58:59], -1
	s_mov_b64 s[0:1], 0
	s_mov_b64 s[56:57], s[46:47]
                                        ; implicit-def: $vgpr6_vgpr7
	s_branch .LBB7_959
.LBB7_950:
	s_mov_b64 s[58:59], -1
	s_mov_b64 s[0:1], 0
	s_mov_b64 s[56:57], s[46:47]
                                        ; implicit-def: $vgpr6_vgpr7
	s_branch .LBB7_954
.LBB7_951:
	s_or_saveexec_b64 s[54:55], s[54:55]
                                        ; implicit-def: $sgpr56
	s_xor_b64 exec, exec, s[54:55]
	s_cbranch_execz .LBB7_716
.LBB7_952:
	s_mov_b32 s56, 0x42800000
	v_add_f32_e64 v3, |v2|, s56
	v_and_b32_e32 v3, 0xff, v3
	v_cmp_ne_u32_e32 vcc, 0, v3
	s_andn2_b64 s[52:53], s[52:53], exec
	s_and_b64 s[58:59], vcc, exec
	s_mov_b32 s56, 0
	s_or_b64 s[52:53], s[52:53], s[58:59]
	s_or_b64 exec, exec, s[54:55]
	v_mov_b32_e32 v6, s56
	s_and_saveexec_b64 s[54:55], s[52:53]
	s_cbranch_execnz .LBB7_717
	s_branch .LBB7_718
.LBB7_953:
	s_mov_b64 s[56:57], -1
                                        ; implicit-def: $vgpr6_vgpr7
	s_mov_b64 s[0:1], 0
.LBB7_954:
	s_and_b64 vcc, exec, s[58:59]
	s_cbranch_vccz .LBB7_958
; %bb.955:
	v_mov_b32_e32 v3, 44
	v_cmp_eq_u16_sdwa s[56:57], v11, v3 src0_sel:BYTE_0 src1_sel:DWORD
	s_and_b64 vcc, exec, s[56:57]
	s_cbranch_vccz .LBB7_957
; %bb.956:
	global_load_ubyte v3, v[4:5], off
	s_movk_i32 s56, 0xff
	v_bfrev_b32_e32 v9, 4
	v_mov_b32_e32 v12, 0x7ff80000
	v_bfrev_b32_e32 v13, 28
	s_mov_b64 s[0:1], -1
	s_waitcnt vmcnt(0)
	v_lshlrev_b32_e32 v6, 23, v3
	v_cvt_f64_f32_e32 v[6:7], v6
	v_cmp_ne_u32_e32 vcc, s56, v3
	v_cndmask_b32_e32 v6, v9, v6, vcc
	v_cndmask_b32_e32 v7, v12, v7, vcc
	v_cmp_ne_u32_e32 vcc, 0, v3
	v_cndmask_b32_e32 v7, v13, v7, vcc
	v_cndmask_b32_e32 v6, 0, v6, vcc
	s_mov_b64 s[56:57], 0
	s_branch .LBB7_958
.LBB7_957:
	s_mov_b64 s[56:57], -1
                                        ; implicit-def: $vgpr6_vgpr7
.LBB7_958:
	s_mov_b64 s[58:59], 0
.LBB7_959:
	s_and_b64 vcc, exec, s[58:59]
	s_cbranch_vccz .LBB7_963
; %bb.960:
	v_mov_b32_e32 v3, 29
	v_cmp_eq_u16_sdwa s[56:57], v11, v3 src0_sel:BYTE_0 src1_sel:DWORD
	s_and_b64 vcc, exec, s[56:57]
	s_cbranch_vccz .LBB7_962
; %bb.961:
	global_load_dwordx2 v[6:7], v[4:5], off
	s_mov_b64 s[0:1], -1
	s_mov_b64 s[56:57], 0
	s_mov_b64 s[58:59], 0
	s_waitcnt vmcnt(0)
	v_cvt_f64_u32_e32 v[12:13], v7
	v_cvt_f64_u32_e32 v[6:7], v6
	v_ldexp_f64 v[12:13], v[12:13], 32
	v_add_f64 v[6:7], v[12:13], v[6:7]
	s_branch .LBB7_964
.LBB7_962:
	s_mov_b64 s[56:57], -1
                                        ; implicit-def: $vgpr6_vgpr7
.LBB7_963:
	s_mov_b64 s[58:59], 0
.LBB7_964:
	s_and_b64 vcc, exec, s[58:59]
	s_cbranch_vccz .LBB7_982
; %bb.965:
	v_mov_b32_e32 v3, 27
	v_cmp_lt_i16_sdwa s[0:1], v11, v3 src0_sel:BYTE_0 src1_sel:DWORD
	s_and_b64 vcc, exec, s[0:1]
	s_cbranch_vccnz .LBB7_968
; %bb.966:
	v_cmp_gt_i16_sdwa s[0:1], v11, v3 src0_sel:BYTE_0 src1_sel:DWORD
	s_and_b64 vcc, exec, s[0:1]
	s_cbranch_vccz .LBB7_969
; %bb.967:
	global_load_dword v3, v[4:5], off
	s_mov_b64 s[0:1], 0
	s_waitcnt vmcnt(0)
	v_cvt_f64_u32_e32 v[6:7], v3
	s_branch .LBB7_970
.LBB7_968:
	s_mov_b64 s[0:1], -1
                                        ; implicit-def: $vgpr6_vgpr7
	s_branch .LBB7_973
.LBB7_969:
	s_mov_b64 s[0:1], -1
                                        ; implicit-def: $vgpr6_vgpr7
.LBB7_970:
	s_andn2_b64 vcc, exec, s[0:1]
	s_cbranch_vccnz .LBB7_972
; %bb.971:
	global_load_ushort v3, v[4:5], off
	s_waitcnt vmcnt(0)
	v_cvt_f64_u32_e32 v[6:7], v3
.LBB7_972:
	s_mov_b64 s[0:1], 0
.LBB7_973:
	s_andn2_b64 vcc, exec, s[0:1]
	s_cbranch_vccnz .LBB7_981
; %bb.974:
	global_load_ubyte v3, v[4:5], off
	s_movk_i32 s0, 0x7f
                                        ; implicit-def: $sgpr58_sgpr59
	s_waitcnt vmcnt(0)
	v_cmp_lt_i16_e32 vcc, s0, v3
	s_mov_b64 s[0:1], 0
	s_and_saveexec_b64 s[60:61], vcc
	s_xor_b64 s[60:61], exec, s[60:61]
	s_cbranch_execz .LBB7_995
; %bb.975:
	s_movk_i32 s0, 0x80
	v_cmp_eq_u16_e32 vcc, s0, v3
	s_mov_b64 s[62:63], -1
                                        ; implicit-def: $sgpr58_sgpr59
	s_and_saveexec_b64 s[0:1], vcc
; %bb.976:
	s_mov_b32 s59, 0x7ff80000
	s_brev_b32 s58, 4
	s_xor_b64 s[62:63], exec, -1
; %bb.977:
	s_or_b64 exec, exec, s[0:1]
	s_and_b64 s[0:1], s[62:63], exec
	s_or_saveexec_b64 s[60:61], s[60:61]
	v_pk_mov_b32 v[6:7], s[58:59], s[58:59] op_sel:[0,1]
	s_xor_b64 exec, exec, s[60:61]
	s_cbranch_execnz .LBB7_996
.LBB7_978:
	s_or_b64 exec, exec, s[60:61]
	s_and_saveexec_b64 s[58:59], s[0:1]
	s_cbranch_execz .LBB7_980
.LBB7_979:
	v_lshlrev_b32_e32 v6, 24, v3
	v_and_b32_e32 v3, 0xffff, v3
	v_and_b32_e32 v7, 7, v3
	v_ffbh_u32_e32 v12, v7
	v_min_u32_e32 v12, 32, v12
	v_subrev_u32_e32 v13, 28, v12
	v_bfe_u32 v9, v3, 3, 4
	v_lshlrev_b32_e32 v3, v13, v3
	v_sub_u32_e32 v12, 29, v12
	v_and_b32_e32 v3, 7, v3
	v_cmp_eq_u32_e32 vcc, 0, v9
	v_cndmask_b32_e32 v9, v9, v12, vcc
	v_cndmask_b32_e32 v3, v7, v3, vcc
	v_mov_b32_e32 v7, 0x3b800000
	v_lshlrev_b32_e32 v3, 20, v3
	v_and_b32_e32 v6, 0x80000000, v6
	v_lshl_add_u32 v7, v9, 23, v7
	v_or3_b32 v3, v6, v7, v3
	v_cvt_f64_f32_e32 v[6:7], v3
.LBB7_980:
	s_or_b64 exec, exec, s[58:59]
.LBB7_981:
	s_mov_b64 s[0:1], -1
.LBB7_982:
	s_mov_b64 s[58:59], 0
.LBB7_983:
	s_and_b64 vcc, exec, s[58:59]
	s_cbranch_vccz .LBB7_1018
; %bb.984:
	v_mov_b32_e32 v3, 22
	v_cmp_gt_i16_sdwa s[58:59], v11, v3 src0_sel:BYTE_0 src1_sel:DWORD
	s_and_b64 vcc, exec, s[58:59]
	s_cbranch_vccz .LBB7_994
; %bb.985:
	v_mov_b32_e32 v3, 24
	v_cmp_lt_i16_sdwa s[0:1], v11, v3 src0_sel:BYTE_0 src1_sel:DWORD
	s_and_b64 vcc, exec, s[0:1]
	s_cbranch_vccnz .LBB7_997
; %bb.986:
	v_cmp_gt_i16_sdwa s[0:1], v11, v3 src0_sel:BYTE_0 src1_sel:DWORD
	s_and_b64 vcc, exec, s[0:1]
	s_cbranch_vccz .LBB7_998
; %bb.987:
	global_load_ubyte v3, v[4:5], off
	s_movk_i32 s0, 0x7f
                                        ; implicit-def: $sgpr58_sgpr59
	s_waitcnt vmcnt(0)
	v_cmp_lt_i16_e32 vcc, s0, v3
	s_mov_b64 s[0:1], 0
	s_and_saveexec_b64 s[60:61], vcc
	s_xor_b64 s[60:61], exec, s[60:61]
	s_cbranch_execz .LBB7_1010
; %bb.988:
	s_movk_i32 s0, 0x80
	v_cmp_eq_u16_e32 vcc, s0, v3
	s_mov_b64 s[62:63], -1
                                        ; implicit-def: $sgpr58_sgpr59
	s_and_saveexec_b64 s[0:1], vcc
; %bb.989:
	s_mov_b32 s59, 0x7ff80000
	s_brev_b32 s58, 4
	s_xor_b64 s[62:63], exec, -1
; %bb.990:
	s_or_b64 exec, exec, s[0:1]
	s_and_b64 s[0:1], s[62:63], exec
	s_or_saveexec_b64 s[60:61], s[60:61]
	v_pk_mov_b32 v[6:7], s[58:59], s[58:59] op_sel:[0,1]
	s_xor_b64 exec, exec, s[60:61]
	s_cbranch_execnz .LBB7_1011
.LBB7_991:
	s_or_b64 exec, exec, s[60:61]
	s_and_saveexec_b64 s[58:59], s[0:1]
	s_cbranch_execz .LBB7_993
.LBB7_992:
	v_lshlrev_b32_e32 v6, 24, v3
	v_and_b32_e32 v3, 0xffff, v3
	v_and_b32_e32 v7, 3, v3
	v_ffbh_u32_e32 v12, v7
	v_min_u32_e32 v12, 32, v12
	v_subrev_u32_e32 v13, 29, v12
	v_bfe_u32 v9, v3, 2, 5
	v_lshlrev_b32_e32 v3, v13, v3
	v_sub_u32_e32 v12, 30, v12
	v_and_b32_e32 v3, 3, v3
	v_cmp_eq_u32_e32 vcc, 0, v9
	v_cndmask_b32_e32 v9, v9, v12, vcc
	v_cndmask_b32_e32 v3, v7, v3, vcc
	v_mov_b32_e32 v7, 0x37800000
	v_lshlrev_b32_e32 v3, 21, v3
	v_and_b32_e32 v6, 0x80000000, v6
	v_lshl_add_u32 v7, v9, 23, v7
	v_or3_b32 v3, v6, v7, v3
	v_cvt_f64_f32_e32 v[6:7], v3
.LBB7_993:
	s_or_b64 exec, exec, s[58:59]
	s_mov_b64 s[0:1], 0
	s_branch .LBB7_999
.LBB7_994:
	s_mov_b64 s[58:59], -1
                                        ; implicit-def: $vgpr6_vgpr7
	s_branch .LBB7_1005
.LBB7_995:
	s_or_saveexec_b64 s[60:61], s[60:61]
	v_pk_mov_b32 v[6:7], s[58:59], s[58:59] op_sel:[0,1]
	s_xor_b64 exec, exec, s[60:61]
	s_cbranch_execz .LBB7_978
.LBB7_996:
	v_cmp_ne_u16_e32 vcc, 0, v3
	s_andn2_b64 s[0:1], s[0:1], exec
	s_and_b64 s[58:59], vcc, exec
	v_pk_mov_b32 v[6:7], 0, 0
	s_or_b64 s[0:1], s[0:1], s[58:59]
	s_or_b64 exec, exec, s[60:61]
	s_and_saveexec_b64 s[58:59], s[0:1]
	s_cbranch_execnz .LBB7_979
	s_branch .LBB7_980
.LBB7_997:
	s_mov_b64 s[0:1], -1
                                        ; implicit-def: $vgpr6_vgpr7
	s_branch .LBB7_1002
.LBB7_998:
	s_mov_b64 s[0:1], -1
                                        ; implicit-def: $vgpr6_vgpr7
.LBB7_999:
	s_and_b64 vcc, exec, s[0:1]
	s_cbranch_vccz .LBB7_1001
; %bb.1000:
	global_load_ubyte v3, v[4:5], off
	s_mov_b32 s0, 0x7f800000
	s_waitcnt vmcnt(0)
	v_lshlrev_b32_e32 v3, 24, v3
	v_and_b32_e32 v6, 0x7f000000, v3
	v_ffbh_u32_e32 v7, v6
	v_min_u32_e32 v7, 32, v7
	v_sub_u32_e64 v7, v7, 4 clamp
	v_lshlrev_b32_e32 v12, v7, v6
	v_lshlrev_b32_e32 v7, 23, v7
	v_lshrrev_b32_e32 v12, 4, v12
	v_add_u32_e32 v9, 0x1000000, v6
	v_sub_u32_e32 v7, v12, v7
	v_ashrrev_i32_e32 v9, 8, v9
	v_add_u32_e32 v7, 0x3c000000, v7
	v_and_or_b32 v7, v9, s0, v7
	v_cmp_ne_u32_e32 vcc, 0, v6
	v_cndmask_b32_e32 v6, 0, v7, vcc
	s_brev_b32 s0, 1
	v_and_or_b32 v3, v3, s0, v6
	v_cvt_f64_f32_e32 v[6:7], v3
.LBB7_1001:
	s_mov_b64 s[0:1], 0
.LBB7_1002:
	s_andn2_b64 vcc, exec, s[0:1]
	s_cbranch_vccnz .LBB7_1004
; %bb.1003:
	global_load_ubyte v3, v[4:5], off
	s_movk_i32 s0, 0x7f00
	s_brev_b32 s1, 16
	s_waitcnt vmcnt(0)
	v_lshlrev_b16_e32 v6, 8, v3
	v_lshlrev_b32_e32 v3, 25, v3
	v_lshrrev_b32_e32 v7, 4, v3
	v_and_or_b32 v9, v6, s0, 0.5
	v_or_b32_e32 v7, 0x70000000, v7
	v_add_f32_e32 v9, -0.5, v9
	v_mul_f32_e32 v7, 0x7800000, v7
	v_cmp_gt_u32_e32 vcc, s1, v3
	v_bfe_i32 v6, v6, 0, 16
	v_cndmask_b32_e32 v3, v7, v9, vcc
	s_brev_b32 s0, 1
	v_and_or_b32 v3, v6, s0, v3
	v_cvt_f64_f32_e32 v[6:7], v3
.LBB7_1004:
	s_mov_b64 s[58:59], 0
	s_mov_b64 s[0:1], -1
.LBB7_1005:
	s_andn2_b64 vcc, exec, s[58:59]
	s_cbranch_vccnz .LBB7_1018
; %bb.1006:
	v_mov_b32_e32 v3, 14
	v_cmp_gt_i16_sdwa s[58:59], v11, v3 src0_sel:BYTE_0 src1_sel:DWORD
	s_and_b64 vcc, exec, s[58:59]
	s_cbranch_vccz .LBB7_1009
; %bb.1007:
	v_mov_b32_e32 v3, 15
	v_cmp_eq_u16_sdwa s[56:57], v11, v3 src0_sel:BYTE_0 src1_sel:DWORD
	s_and_b64 vcc, exec, s[56:57]
	s_cbranch_vccz .LBB7_1012
; %bb.1008:
	global_load_ushort v3, v[4:5], off
	s_mov_b64 s[0:1], -1
	s_mov_b64 s[56:57], 0
	s_waitcnt vmcnt(0)
	v_lshlrev_b32_e32 v3, 16, v3
	v_cvt_f64_f32_e32 v[6:7], v3
	s_branch .LBB7_1013
.LBB7_1009:
	s_mov_b64 s[58:59], -1
                                        ; implicit-def: $vgpr6_vgpr7
	s_branch .LBB7_1014
.LBB7_1010:
	s_or_saveexec_b64 s[60:61], s[60:61]
	v_pk_mov_b32 v[6:7], s[58:59], s[58:59] op_sel:[0,1]
	s_xor_b64 exec, exec, s[60:61]
	s_cbranch_execz .LBB7_991
.LBB7_1011:
	v_cmp_ne_u16_e32 vcc, 0, v3
	s_andn2_b64 s[0:1], s[0:1], exec
	s_and_b64 s[58:59], vcc, exec
	v_pk_mov_b32 v[6:7], 0, 0
	s_or_b64 s[0:1], s[0:1], s[58:59]
	s_or_b64 exec, exec, s[60:61]
	s_and_saveexec_b64 s[58:59], s[0:1]
	s_cbranch_execnz .LBB7_992
	s_branch .LBB7_993
.LBB7_1012:
	s_mov_b64 s[56:57], -1
                                        ; implicit-def: $vgpr6_vgpr7
.LBB7_1013:
	s_mov_b64 s[58:59], 0
.LBB7_1014:
	s_and_b64 vcc, exec, s[58:59]
	s_cbranch_vccz .LBB7_1018
; %bb.1015:
	v_mov_b32_e32 v3, 11
	v_cmp_eq_u16_sdwa s[56:57], v11, v3 src0_sel:BYTE_0 src1_sel:DWORD
	s_and_b64 vcc, exec, s[56:57]
	s_cbranch_vccz .LBB7_1017
; %bb.1016:
	global_load_ubyte v3, v[4:5], off
	v_mov_b32_e32 v7, 0x3ff00000
	v_mov_b32_e32 v6, 0
	s_mov_b64 s[0:1], -1
	s_mov_b64 s[56:57], 0
	s_waitcnt vmcnt(0)
	v_cmp_ne_u16_e32 vcc, 0, v3
	v_cndmask_b32_e32 v7, 0, v7, vcc
	s_branch .LBB7_1018
.LBB7_1017:
	s_mov_b64 s[56:57], -1
                                        ; implicit-def: $vgpr6_vgpr7
.LBB7_1018:
	s_mov_b64 s[58:59], 0
.LBB7_1019:
	s_and_b64 vcc, exec, s[58:59]
	s_cbranch_vccz .LBB7_1068
; %bb.1020:
	v_mov_b32_e32 v3, 5
	v_cmp_lt_i16_sdwa s[0:1], v11, v3 src0_sel:BYTE_0 src1_sel:DWORD
	s_and_b64 vcc, exec, s[0:1]
	s_cbranch_vccnz .LBB7_1025
; %bb.1021:
	v_mov_b32_e32 v3, 8
	v_cmp_lt_i16_sdwa s[0:1], v11, v3 src0_sel:BYTE_0 src1_sel:DWORD
	s_and_b64 vcc, exec, s[0:1]
	s_cbranch_vccnz .LBB7_1026
	;; [unrolled: 5-line block ×3, first 2 shown]
; %bb.1023:
	v_cmp_gt_i16_sdwa s[0:1], v11, v3 src0_sel:BYTE_0 src1_sel:DWORD
	s_and_b64 vcc, exec, s[0:1]
	s_cbranch_vccz .LBB7_1028
; %bb.1024:
	global_load_dwordx2 v[6:7], v[4:5], off
	s_mov_b64 s[0:1], 0
	s_branch .LBB7_1029
.LBB7_1025:
	s_mov_b64 s[0:1], -1
                                        ; implicit-def: $vgpr6_vgpr7
	s_branch .LBB7_1047
.LBB7_1026:
	s_mov_b64 s[0:1], -1
                                        ; implicit-def: $vgpr6_vgpr7
	s_branch .LBB7_1035
.LBB7_1027:
	s_mov_b64 s[0:1], -1
                                        ; implicit-def: $vgpr6_vgpr7
	s_branch .LBB7_1032
.LBB7_1028:
	s_mov_b64 s[0:1], -1
                                        ; implicit-def: $vgpr6_vgpr7
.LBB7_1029:
	s_andn2_b64 vcc, exec, s[0:1]
	s_cbranch_vccnz .LBB7_1031
; %bb.1030:
	global_load_dword v3, v[4:5], off
	s_waitcnt vmcnt(0)
	v_cvt_f64_f32_e32 v[6:7], v3
.LBB7_1031:
	s_mov_b64 s[0:1], 0
.LBB7_1032:
	s_andn2_b64 vcc, exec, s[0:1]
	s_cbranch_vccnz .LBB7_1034
; %bb.1033:
	global_load_dword v3, v[4:5], off
	s_waitcnt vmcnt(0)
	v_cvt_f32_f16_e32 v3, v3
	v_cvt_f64_f32_e32 v[6:7], v3
.LBB7_1034:
	s_mov_b64 s[0:1], 0
.LBB7_1035:
	s_andn2_b64 vcc, exec, s[0:1]
	s_cbranch_vccnz .LBB7_1046
; %bb.1036:
	v_mov_b32_e32 v3, 6
	v_cmp_lt_i16_sdwa s[0:1], v11, v3 src0_sel:BYTE_0 src1_sel:DWORD
	s_and_b64 vcc, exec, s[0:1]
	s_cbranch_vccnz .LBB7_1039
; %bb.1037:
	v_cmp_gt_i16_sdwa s[0:1], v11, v3 src0_sel:BYTE_0 src1_sel:DWORD
	s_and_b64 vcc, exec, s[0:1]
	s_cbranch_vccz .LBB7_1040
; %bb.1038:
	global_load_dwordx2 v[6:7], v[4:5], off
	s_mov_b64 s[0:1], 0
	s_branch .LBB7_1041
.LBB7_1039:
	s_mov_b64 s[0:1], -1
                                        ; implicit-def: $vgpr6_vgpr7
	s_branch .LBB7_1044
.LBB7_1040:
	s_mov_b64 s[0:1], -1
                                        ; implicit-def: $vgpr6_vgpr7
.LBB7_1041:
	s_andn2_b64 vcc, exec, s[0:1]
	s_cbranch_vccnz .LBB7_1043
; %bb.1042:
	global_load_dword v3, v[4:5], off
	s_waitcnt vmcnt(0)
	v_cvt_f64_f32_e32 v[6:7], v3
.LBB7_1043:
	s_mov_b64 s[0:1], 0
.LBB7_1044:
	s_andn2_b64 vcc, exec, s[0:1]
	s_cbranch_vccnz .LBB7_1046
; %bb.1045:
	global_load_ushort v3, v[4:5], off
	s_waitcnt vmcnt(0)
	v_cvt_f32_f16_e32 v3, v3
	v_cvt_f64_f32_e32 v[6:7], v3
.LBB7_1046:
	s_mov_b64 s[0:1], 0
.LBB7_1047:
	s_andn2_b64 vcc, exec, s[0:1]
	s_cbranch_vccnz .LBB7_1067
; %bb.1048:
	v_mov_b32_e32 v3, 2
	v_cmp_lt_i16_sdwa s[0:1], v11, v3 src0_sel:BYTE_0 src1_sel:DWORD
	s_and_b64 vcc, exec, s[0:1]
	s_cbranch_vccnz .LBB7_1052
; %bb.1049:
	v_mov_b32_e32 v3, 3
	v_cmp_lt_i16_sdwa s[0:1], v11, v3 src0_sel:BYTE_0 src1_sel:DWORD
	s_and_b64 vcc, exec, s[0:1]
	s_cbranch_vccnz .LBB7_1053
; %bb.1050:
	v_cmp_gt_i16_sdwa s[0:1], v11, v3 src0_sel:BYTE_0 src1_sel:DWORD
	s_and_b64 vcc, exec, s[0:1]
	s_cbranch_vccz .LBB7_1054
; %bb.1051:
	global_load_dwordx2 v[6:7], v[4:5], off
	s_mov_b64 s[0:1], 0
	s_waitcnt vmcnt(0)
	v_cvt_f64_i32_e32 v[12:13], v7
	v_cvt_f64_u32_e32 v[6:7], v6
	v_ldexp_f64 v[12:13], v[12:13], 32
	v_add_f64 v[6:7], v[12:13], v[6:7]
	s_branch .LBB7_1055
.LBB7_1052:
	s_mov_b64 s[0:1], -1
                                        ; implicit-def: $vgpr6_vgpr7
	s_branch .LBB7_1061
.LBB7_1053:
	s_mov_b64 s[0:1], -1
                                        ; implicit-def: $vgpr6_vgpr7
	s_branch .LBB7_1058
.LBB7_1054:
	s_mov_b64 s[0:1], -1
                                        ; implicit-def: $vgpr6_vgpr7
.LBB7_1055:
	s_andn2_b64 vcc, exec, s[0:1]
	s_cbranch_vccnz .LBB7_1057
; %bb.1056:
	global_load_dword v3, v[4:5], off
	s_waitcnt vmcnt(0)
	v_cvt_f64_i32_e32 v[6:7], v3
.LBB7_1057:
	s_mov_b64 s[0:1], 0
.LBB7_1058:
	s_andn2_b64 vcc, exec, s[0:1]
	s_cbranch_vccnz .LBB7_1060
; %bb.1059:
	global_load_sshort v3, v[4:5], off
	s_waitcnt vmcnt(0)
	v_cvt_f64_i32_e32 v[6:7], v3
.LBB7_1060:
	s_mov_b64 s[0:1], 0
.LBB7_1061:
	s_andn2_b64 vcc, exec, s[0:1]
	s_cbranch_vccnz .LBB7_1067
; %bb.1062:
	v_mov_b32_e32 v3, 0
	v_cmp_gt_i16_sdwa s[0:1], v11, v3 src0_sel:BYTE_0 src1_sel:DWORD
	s_and_b64 vcc, exec, s[0:1]
	s_cbranch_vccz .LBB7_1064
; %bb.1063:
	global_load_sbyte v3, v[4:5], off
	s_mov_b64 s[0:1], 0
	s_waitcnt vmcnt(0)
	v_cvt_f64_i32_e32 v[6:7], v3
	s_branch .LBB7_1065
.LBB7_1064:
	s_mov_b64 s[0:1], -1
                                        ; implicit-def: $vgpr6_vgpr7
.LBB7_1065:
	s_andn2_b64 vcc, exec, s[0:1]
	s_cbranch_vccnz .LBB7_1067
; %bb.1066:
	global_load_ubyte v3, v[4:5], off
	s_waitcnt vmcnt(0)
	v_cvt_f64_u32_e32 v[6:7], v3
.LBB7_1067:
	s_mov_b64 s[0:1], -1
.LBB7_1068:
	s_andn2_b64 vcc, exec, s[0:1]
	s_cbranch_vccnz .LBB7_1076
; %bb.1069:
	s_waitcnt vmcnt(0)
	v_div_scale_f64 v[4:5], s[0:1], v[6:7], v[6:7], v[0:1]
	v_rcp_f64_e32 v[12:13], v[4:5]
	v_div_scale_f64 v[14:15], vcc, v[0:1], v[6:7], v[0:1]
	s_mov_b32 s0, 0
	v_fma_f64 v[18:19], -v[4:5], v[12:13], 1.0
	v_fmac_f64_e32 v[12:13], v[12:13], v[18:19]
	v_fma_f64 v[18:19], -v[4:5], v[12:13], 1.0
	v_fmac_f64_e32 v[12:13], v[12:13], v[18:19]
	v_mul_f64 v[18:19], v[14:15], v[12:13]
	v_fma_f64 v[4:5], -v[4:5], v[18:19], v[14:15]
	v_div_fmas_f64 v[4:5], v[4:5], v[12:13], v[18:19]
	v_div_fixup_f64 v[0:1], v[4:5], v[6:7], v[0:1]
	s_mov_b32 s1, 0x100000
	v_mov_b32_e32 v3, 0x100000
	v_cmp_ngt_f64_e32 vcc, s[0:1], v[0:1]
	s_mov_b32 s0, -2
	v_cndmask_b32_e32 v1, v3, v1, vcc
	v_cndmask_b32_e32 v0, 0, v0, vcc
	s_mov_b32 s1, 0x3fefffff
	v_mov_b32_e32 v3, 0x3fefffff
	v_cmp_nlt_f64_e32 vcc, s[0:1], v[0:1]
	v_cndmask_b32_e32 v1, v3, v1, vcc
	v_cndmask_b32_e32 v0, -2, v0, vcc
	v_mov_b32_e32 v3, s9
	v_add_co_u32_e32 v4, vcc, s8, v2
	v_mov_b32_e32 v2, 11
	v_addc_co_u32_e32 v5, vcc, 0, v3, vcc
	v_cmp_lt_i16_sdwa s[0:1], v10, v2 src0_sel:BYTE_0 src1_sel:DWORD
	s_and_b64 vcc, exec, s[0:1]
	s_cbranch_vccnz .LBB7_1077
; %bb.1070:
	v_mov_b32_e32 v2, 25
	v_cmp_gt_i16_sdwa s[0:1], v10, v2 src0_sel:BYTE_0 src1_sel:DWORD
	s_and_b64 vcc, exec, s[0:1]
	s_cbranch_vccz .LBB7_1078
; %bb.1071:
	v_mov_b32_e32 v2, 28
	v_cmp_gt_i16_sdwa s[0:1], v10, v2 src0_sel:BYTE_0 src1_sel:DWORD
	s_and_b64 vcc, exec, s[0:1]
	s_cbranch_vccz .LBB7_1079
	;; [unrolled: 5-line block ×4, first 2 shown]
; %bb.1074:
	v_mov_b32_e32 v2, 46
	v_cmp_eq_u16_sdwa s[58:59], v10, v2 src0_sel:BYTE_0 src1_sel:DWORD
	s_mov_b64 s[60:61], 0
	s_mov_b64 s[0:1], -1
	s_and_b64 vcc, exec, s[58:59]
	s_mov_b64 s[58:59], 0
	s_cbranch_vccz .LBB7_1082
; %bb.1075:
	v_cvt_f32_f64_e32 v2, v[0:1]
	v_bfe_u32 v3, v2, 16, 1
	s_movk_i32 s0, 0x7fff
	v_add3_u32 v3, v2, v3, s0
	v_lshrrev_b32_e32 v3, 16, v3
	v_mov_b32_e32 v6, 0x7fc0
	v_cmp_o_f32_e32 vcc, v2, v2
	v_cndmask_b32_e32 v2, v6, v3, vcc
	global_store_dword v[4:5], v2, off
	s_mov_b64 s[58:59], -1
	s_mov_b64 s[0:1], 0
	s_branch .LBB7_1082
.LBB7_1076:
	s_mov_b64 s[60:61], 0
                                        ; implicit-def: $vgpr16
	s_mov_b64 s[0:1], s[48:49]
	s_branch .LBB7_1192
.LBB7_1077:
	s_mov_b64 s[60:61], -1
	s_mov_b64 s[58:59], 0
	s_mov_b64 s[0:1], s[48:49]
	s_branch .LBB7_1151
.LBB7_1078:
	s_mov_b64 s[60:61], -1
	s_mov_b64 s[58:59], 0
	s_mov_b64 s[0:1], s[48:49]
	s_branch .LBB7_1109
.LBB7_1079:
	s_mov_b64 s[60:61], -1
	s_mov_b64 s[58:59], 0
	s_mov_b64 s[0:1], s[48:49]
	s_branch .LBB7_1092
.LBB7_1080:
	s_mov_b64 s[60:61], -1
	s_mov_b64 s[58:59], 0
	s_mov_b64 s[0:1], s[48:49]
	s_branch .LBB7_1088
.LBB7_1081:
	s_mov_b64 s[60:61], -1
	s_mov_b64 s[58:59], 0
	s_mov_b64 s[0:1], s[48:49]
.LBB7_1082:
	s_and_b64 vcc, exec, s[60:61]
	s_cbranch_vccz .LBB7_1087
; %bb.1083:
	v_mov_b32_e32 v2, 44
	v_cmp_eq_u16_sdwa s[60:61], v10, v2 src0_sel:BYTE_0 src1_sel:DWORD
	s_mov_b64 s[0:1], -1
	s_and_b64 vcc, exec, s[60:61]
	s_cbranch_vccz .LBB7_1087
; %bb.1084:
	v_cvt_f32_f64_e32 v2, v[0:1]
	v_bfe_u32 v3, v2, 23, 8
	s_movk_i32 s0, 0xff
	v_cmp_ne_u32_e32 vcc, s0, v3
	v_mov_b32_e32 v6, 0xff
	s_and_saveexec_b64 s[58:59], vcc
; %bb.1085:
	s_mov_b32 s0, 0x3fffff
	v_lshrrev_b32_e32 v6, 23, v2
	v_and_b32_e32 v7, 0x400000, v2
	v_and_or_b32 v2, v2, s0, v3
	v_cmp_ne_u32_e32 vcc, 0, v7
	v_cmp_ne_u32_e64 s[0:1], 0, v2
	s_and_b64 s[0:1], vcc, s[0:1]
	v_cndmask_b32_e64 v2, 0, 1, s[0:1]
	v_add_u32_e32 v6, v6, v2
; %bb.1086:
	s_or_b64 exec, exec, s[58:59]
	s_mov_b64 s[58:59], -1
	s_mov_b64 s[0:1], 0
	global_store_byte v[4:5], v6, off
.LBB7_1087:
	s_mov_b64 s[60:61], 0
.LBB7_1088:
	s_and_b64 vcc, exec, s[60:61]
	s_cbranch_vccz .LBB7_1091
; %bb.1089:
	v_mov_b32_e32 v2, 29
	v_cmp_eq_u16_sdwa s[60:61], v10, v2 src0_sel:BYTE_0 src1_sel:DWORD
	s_mov_b64 s[0:1], -1
	s_and_b64 vcc, exec, s[60:61]
	s_cbranch_vccz .LBB7_1091
; %bb.1090:
	v_trunc_f64_e32 v[2:3], v[0:1]
	s_movk_i32 s0, 0xffe0
	v_ldexp_f64 v[6:7], v[2:3], s0
	v_floor_f64_e32 v[6:7], v[6:7]
	v_fmac_f64_e32 v[2:3], 0xc1f00000, v[6:7]
	v_cvt_u32_f64_e32 v13, v[6:7]
	v_cvt_u32_f64_e32 v12, v[2:3]
	global_store_dwordx2 v[4:5], v[12:13], off
	s_mov_b64 s[58:59], -1
	s_mov_b64 s[0:1], 0
.LBB7_1091:
	s_mov_b64 s[60:61], 0
.LBB7_1092:
	s_and_b64 vcc, exec, s[60:61]
	s_cbranch_vccz .LBB7_1108
; %bb.1093:
	v_mov_b32_e32 v2, 27
	v_cmp_lt_i16_sdwa s[60:61], v10, v2 src0_sel:BYTE_0 src1_sel:DWORD
	s_mov_b64 s[58:59], -1
	s_and_b64 vcc, exec, s[60:61]
	s_cbranch_vccnz .LBB7_1099
; %bb.1094:
	v_cmp_gt_i16_sdwa s[60:61], v10, v2 src0_sel:BYTE_0 src1_sel:DWORD
	s_and_b64 vcc, exec, s[60:61]
	s_cbranch_vccz .LBB7_1096
; %bb.1095:
	v_cvt_u32_f64_e32 v2, v[0:1]
	s_mov_b64 s[58:59], 0
	global_store_dword v[4:5], v2, off
.LBB7_1096:
	s_andn2_b64 vcc, exec, s[58:59]
	s_cbranch_vccnz .LBB7_1098
; %bb.1097:
	v_cvt_u32_f64_e32 v2, v[0:1]
	global_store_short v[4:5], v2, off
.LBB7_1098:
	s_mov_b64 s[58:59], 0
.LBB7_1099:
	s_andn2_b64 vcc, exec, s[58:59]
	s_cbranch_vccnz .LBB7_1107
; %bb.1100:
	v_cvt_f32_f64_e32 v2, v[0:1]
	v_and_b32_e32 v3, 0x7fffffff, v2
	s_mov_b32 s58, 0x43800000
	v_cmp_gt_u32_e32 vcc, s58, v3
	v_mov_b32_e32 v6, 0x80
	s_and_saveexec_b64 s[58:59], vcc
	s_cbranch_execz .LBB7_1106
; %bb.1101:
	s_mov_b32 s60, 0x3bffffff
	v_cmp_lt_u32_e32 vcc, s60, v3
	s_mov_b64 s[60:61], 0
                                        ; implicit-def: $vgpr3
	s_and_saveexec_b64 s[62:63], vcc
	s_xor_b64 s[62:63], exec, s[62:63]
	s_cbranch_execz .LBB7_1219
; %bb.1102:
	v_bfe_u32 v3, v2, 20, 1
	s_mov_b32 s64, 0x487ffff
	v_add3_u32 v3, v2, v3, s64
	s_mov_b64 s[60:61], exec
	v_lshrrev_b32_e32 v3, 20, v3
	s_or_saveexec_b64 s[62:63], s[62:63]
                                        ; implicit-def: $sgpr64
	s_xor_b64 exec, exec, s[62:63]
	s_cbranch_execnz .LBB7_1220
.LBB7_1103:
	s_or_b64 exec, exec, s[62:63]
	v_mov_b32_e32 v6, s64
	s_and_saveexec_b64 s[62:63], s[60:61]
.LBB7_1104:
	v_lshrrev_b32_e32 v2, 24, v2
	s_movk_i32 s60, 0x80
	v_and_or_b32 v6, v2, s60, v3
.LBB7_1105:
	s_or_b64 exec, exec, s[62:63]
.LBB7_1106:
	s_or_b64 exec, exec, s[58:59]
	global_store_byte v[4:5], v6, off
.LBB7_1107:
	s_mov_b64 s[58:59], -1
.LBB7_1108:
	s_mov_b64 s[60:61], 0
.LBB7_1109:
	s_and_b64 vcc, exec, s[60:61]
	s_cbranch_vccz .LBB7_1150
; %bb.1110:
	v_mov_b32_e32 v2, 22
	v_cmp_gt_i16_sdwa s[62:63], v10, v2 src0_sel:BYTE_0 src1_sel:DWORD
	s_mov_b64 s[60:61], -1
	s_and_b64 vcc, exec, s[62:63]
	s_cbranch_vccz .LBB7_1142
; %bb.1111:
	v_mov_b32_e32 v2, 24
	v_cmp_lt_i16_sdwa s[60:61], v10, v2 src0_sel:BYTE_0 src1_sel:DWORD
	s_mov_b64 s[58:59], -1
	s_and_b64 vcc, exec, s[60:61]
	s_cbranch_vccnz .LBB7_1131
; %bb.1112:
	v_cmp_gt_i16_sdwa s[60:61], v10, v2 src0_sel:BYTE_0 src1_sel:DWORD
	s_and_b64 vcc, exec, s[60:61]
	s_cbranch_vccz .LBB7_1120
; %bb.1113:
	v_cvt_f32_f64_e32 v2, v[0:1]
	v_and_b32_e32 v3, 0x7fffffff, v2
	s_mov_b32 s58, 0x47800000
	v_cmp_gt_u32_e32 vcc, s58, v3
	v_mov_b32_e32 v6, 0x80
	s_and_saveexec_b64 s[58:59], vcc
	s_cbranch_execz .LBB7_1119
; %bb.1114:
	s_mov_b32 s60, 0x37ffffff
	v_cmp_lt_u32_e32 vcc, s60, v3
	s_mov_b64 s[60:61], 0
                                        ; implicit-def: $vgpr3
	s_and_saveexec_b64 s[62:63], vcc
	s_xor_b64 s[62:63], exec, s[62:63]
	s_cbranch_execz .LBB7_2281
; %bb.1115:
	v_bfe_u32 v3, v2, 21, 1
	s_mov_b32 s64, 0x88fffff
	v_add3_u32 v3, v2, v3, s64
	s_mov_b64 s[60:61], exec
	v_lshrrev_b32_e32 v3, 21, v3
	s_or_saveexec_b64 s[62:63], s[62:63]
                                        ; implicit-def: $sgpr64
	s_xor_b64 exec, exec, s[62:63]
	s_cbranch_execnz .LBB7_2282
.LBB7_1116:
	s_or_b64 exec, exec, s[62:63]
	v_mov_b32_e32 v6, s64
	s_and_saveexec_b64 s[62:63], s[60:61]
.LBB7_1117:
	v_lshrrev_b32_e32 v2, 24, v2
	s_movk_i32 s60, 0x80
	v_and_or_b32 v6, v2, s60, v3
.LBB7_1118:
	s_or_b64 exec, exec, s[62:63]
.LBB7_1119:
	s_or_b64 exec, exec, s[58:59]
	s_mov_b64 s[58:59], 0
	global_store_byte v[4:5], v6, off
.LBB7_1120:
	s_and_b64 vcc, exec, s[58:59]
	s_cbranch_vccz .LBB7_1130
; %bb.1121:
	v_cvt_f32_f64_e32 v2, v[0:1]
	v_and_b32_e32 v6, 0x7fffffff, v2
	s_mov_b32 s58, 0x43f00000
	v_cmp_gt_u32_e32 vcc, s58, v6
                                        ; implicit-def: $vgpr3
	s_and_saveexec_b64 s[58:59], vcc
	s_xor_b64 s[58:59], exec, s[58:59]
	s_cbranch_execz .LBB7_1127
; %bb.1122:
	s_mov_b32 s60, 0x3c7fffff
	v_cmp_lt_u32_e32 vcc, s60, v6
                                        ; implicit-def: $vgpr3
	s_and_saveexec_b64 s[60:61], vcc
	s_xor_b64 s[60:61], exec, s[60:61]
; %bb.1123:
	v_bfe_u32 v3, v2, 20, 1
	s_mov_b32 s62, 0x407ffff
	v_add3_u32 v3, v2, v3, s62
	v_lshrrev_b32_e32 v6, 20, v3
	v_and_b32_e32 v3, 0xff00000, v3
	s_mov_b32 s62, 0x7f00000
	v_mov_b32_e32 v7, 0x7e
	v_cmp_ne_u32_e32 vcc, s62, v3
	v_cndmask_b32_e32 v3, v7, v6, vcc
; %bb.1124:
	s_andn2_saveexec_b64 s[60:61], s[60:61]
; %bb.1125:
	s_mov_b32 s62, 0x46800000
	v_add_f32_e64 v3, |v2|, s62
; %bb.1126:
	s_or_b64 exec, exec, s[60:61]
                                        ; implicit-def: $vgpr6
.LBB7_1127:
	s_andn2_saveexec_b64 s[58:59], s[58:59]
; %bb.1128:
	s_mov_b32 s60, 0x7f800000
	v_mov_b32_e32 v3, 0x7e
	v_mov_b32_e32 v7, 0x7f
	v_cmp_lt_u32_e32 vcc, s60, v6
	v_cndmask_b32_e32 v3, v3, v7, vcc
; %bb.1129:
	s_or_b64 exec, exec, s[58:59]
	v_lshrrev_b32_e32 v2, 24, v2
	s_movk_i32 s58, 0x80
	v_and_or_b32 v2, v2, s58, v3
	global_store_byte v[4:5], v2, off
.LBB7_1130:
	s_mov_b64 s[58:59], 0
.LBB7_1131:
	s_andn2_b64 vcc, exec, s[58:59]
	s_cbranch_vccnz .LBB7_1141
; %bb.1132:
	v_cvt_f32_f64_e32 v2, v[0:1]
	v_and_b32_e32 v6, 0x7fffffff, v2
	s_mov_b32 s58, 0x47800000
	v_cmp_gt_u32_e32 vcc, s58, v6
                                        ; implicit-def: $vgpr3
	s_and_saveexec_b64 s[58:59], vcc
	s_xor_b64 s[58:59], exec, s[58:59]
	s_cbranch_execz .LBB7_1138
; %bb.1133:
	s_mov_b32 s60, 0x387fffff
	v_cmp_lt_u32_e32 vcc, s60, v6
                                        ; implicit-def: $vgpr3
	s_and_saveexec_b64 s[60:61], vcc
	s_xor_b64 s[60:61], exec, s[60:61]
; %bb.1134:
	v_bfe_u32 v3, v2, 21, 1
	s_mov_b32 s62, 0x80fffff
	v_add3_u32 v3, v2, v3, s62
	v_lshrrev_b32_e32 v3, 21, v3
; %bb.1135:
	s_andn2_saveexec_b64 s[60:61], s[60:61]
; %bb.1136:
	s_mov_b32 s62, 0x43000000
	v_add_f32_e64 v3, |v2|, s62
; %bb.1137:
	s_or_b64 exec, exec, s[60:61]
                                        ; implicit-def: $vgpr6
.LBB7_1138:
	s_andn2_saveexec_b64 s[58:59], s[58:59]
; %bb.1139:
	s_mov_b32 s60, 0x7f800000
	v_mov_b32_e32 v3, 0x7c
	v_mov_b32_e32 v7, 0x7f
	v_cmp_lt_u32_e32 vcc, s60, v6
	v_cndmask_b32_e32 v3, v3, v7, vcc
; %bb.1140:
	s_or_b64 exec, exec, s[58:59]
	v_lshrrev_b32_e32 v2, 24, v2
	s_movk_i32 s58, 0x80
	v_and_or_b32 v2, v2, s58, v3
	global_store_byte v[4:5], v2, off
.LBB7_1141:
	s_mov_b64 s[60:61], 0
	s_mov_b64 s[58:59], -1
.LBB7_1142:
	s_andn2_b64 vcc, exec, s[60:61]
	s_cbranch_vccnz .LBB7_1150
; %bb.1143:
	v_mov_b32_e32 v2, 14
	v_cmp_gt_i16_sdwa s[62:63], v10, v2 src0_sel:BYTE_0 src1_sel:DWORD
	s_mov_b64 s[60:61], -1
	s_and_b64 vcc, exec, s[62:63]
	s_cbranch_vccz .LBB7_1147
; %bb.1144:
	v_mov_b32_e32 v2, 15
	v_cmp_eq_u16_sdwa s[60:61], v10, v2 src0_sel:BYTE_0 src1_sel:DWORD
	s_mov_b64 s[0:1], -1
	s_and_b64 vcc, exec, s[60:61]
	s_cbranch_vccz .LBB7_1146
; %bb.1145:
	v_cvt_f32_f64_e32 v2, v[0:1]
	v_bfe_u32 v3, v2, 16, 1
	s_movk_i32 s0, 0x7fff
	v_add3_u32 v3, v2, v3, s0
	v_lshrrev_b32_e32 v3, 16, v3
	v_mov_b32_e32 v6, 0x7fc0
	v_cmp_o_f32_e32 vcc, v2, v2
	v_cndmask_b32_e32 v2, v6, v3, vcc
	global_store_short v[4:5], v2, off
	s_mov_b64 s[58:59], -1
	s_mov_b64 s[0:1], 0
.LBB7_1146:
	s_mov_b64 s[60:61], 0
.LBB7_1147:
	s_and_b64 vcc, exec, s[60:61]
	s_cbranch_vccz .LBB7_1150
; %bb.1148:
	v_mov_b32_e32 v2, 11
	v_cmp_eq_u16_sdwa s[60:61], v10, v2 src0_sel:BYTE_0 src1_sel:DWORD
	s_mov_b64 s[0:1], -1
	s_and_b64 vcc, exec, s[60:61]
	s_cbranch_vccz .LBB7_1150
; %bb.1149:
	v_mov_b32_e32 v2, 1
	s_mov_b64 s[58:59], -1
	s_mov_b64 s[0:1], 0
	global_store_byte v[4:5], v2, off
.LBB7_1150:
	s_mov_b64 s[60:61], 0
.LBB7_1151:
	s_and_b64 vcc, exec, s[60:61]
	s_cbranch_vccz .LBB7_1190
; %bb.1152:
	v_mov_b32_e32 v2, 5
	v_cmp_lt_i16_sdwa s[60:61], v10, v2 src0_sel:BYTE_0 src1_sel:DWORD
	s_mov_b64 s[58:59], -1
	s_and_b64 vcc, exec, s[60:61]
	s_cbranch_vccnz .LBB7_1173
; %bb.1153:
	v_mov_b32_e32 v2, 8
	v_cmp_lt_i16_sdwa s[60:61], v10, v2 src0_sel:BYTE_0 src1_sel:DWORD
	s_and_b64 vcc, exec, s[60:61]
	s_cbranch_vccnz .LBB7_1163
; %bb.1154:
	v_mov_b32_e32 v2, 9
	v_cmp_lt_i16_sdwa s[60:61], v10, v2 src0_sel:BYTE_0 src1_sel:DWORD
	s_and_b64 vcc, exec, s[60:61]
	s_cbranch_vccnz .LBB7_1160
; %bb.1155:
	v_cmp_gt_i16_sdwa s[60:61], v10, v2 src0_sel:BYTE_0 src1_sel:DWORD
	s_and_b64 vcc, exec, s[60:61]
	s_cbranch_vccz .LBB7_1157
; %bb.1156:
	v_mov_b32_e32 v2, 0
	v_mov_b32_e32 v3, v2
	s_mov_b64 s[58:59], 0
	global_store_dwordx4 v[4:5], v[0:3], off
.LBB7_1157:
	s_andn2_b64 vcc, exec, s[58:59]
	s_cbranch_vccnz .LBB7_1159
; %bb.1158:
	v_cvt_f32_f64_e32 v2, v[0:1]
	v_mov_b32_e32 v3, 0
	global_store_dwordx2 v[4:5], v[2:3], off
.LBB7_1159:
	s_mov_b64 s[58:59], 0
.LBB7_1160:
	s_andn2_b64 vcc, exec, s[58:59]
	s_cbranch_vccnz .LBB7_1162
; %bb.1161:
	v_cvt_f32_f64_e32 v2, v[0:1]
	v_cvt_f16_f32_e32 v2, v2
	global_store_dword v[4:5], v2, off
.LBB7_1162:
	s_mov_b64 s[58:59], 0
.LBB7_1163:
	s_andn2_b64 vcc, exec, s[58:59]
	s_cbranch_vccnz .LBB7_1172
; %bb.1164:
	v_mov_b32_e32 v2, 6
	v_cmp_lt_i16_sdwa s[60:61], v10, v2 src0_sel:BYTE_0 src1_sel:DWORD
	s_mov_b64 s[58:59], -1
	s_and_b64 vcc, exec, s[60:61]
	s_cbranch_vccnz .LBB7_1170
; %bb.1165:
	v_cmp_gt_i16_sdwa s[60:61], v10, v2 src0_sel:BYTE_0 src1_sel:DWORD
	s_and_b64 vcc, exec, s[60:61]
	s_cbranch_vccz .LBB7_1167
; %bb.1166:
	s_mov_b64 s[58:59], 0
	global_store_dwordx2 v[4:5], v[0:1], off
.LBB7_1167:
	s_andn2_b64 vcc, exec, s[58:59]
	s_cbranch_vccnz .LBB7_1169
; %bb.1168:
	v_cvt_f32_f64_e32 v2, v[0:1]
	global_store_dword v[4:5], v2, off
.LBB7_1169:
	s_mov_b64 s[58:59], 0
.LBB7_1170:
	s_andn2_b64 vcc, exec, s[58:59]
	s_cbranch_vccnz .LBB7_1172
; %bb.1171:
	v_cvt_f32_f64_e32 v2, v[0:1]
	v_cvt_f16_f32_e32 v2, v2
	global_store_short v[4:5], v2, off
.LBB7_1172:
	s_mov_b64 s[58:59], 0
.LBB7_1173:
	s_andn2_b64 vcc, exec, s[58:59]
	s_cbranch_vccnz .LBB7_1189
; %bb.1174:
	v_mov_b32_e32 v2, 2
	v_cmp_lt_i16_sdwa s[60:61], v10, v2 src0_sel:BYTE_0 src1_sel:DWORD
	s_mov_b64 s[58:59], -1
	s_and_b64 vcc, exec, s[60:61]
	s_cbranch_vccnz .LBB7_1184
; %bb.1175:
	v_mov_b32_e32 v2, 3
	v_cmp_lt_i16_sdwa s[60:61], v10, v2 src0_sel:BYTE_0 src1_sel:DWORD
	s_and_b64 vcc, exec, s[60:61]
	s_cbranch_vccnz .LBB7_1181
; %bb.1176:
	v_cmp_gt_i16_sdwa s[60:61], v10, v2 src0_sel:BYTE_0 src1_sel:DWORD
	s_and_b64 vcc, exec, s[60:61]
	s_cbranch_vccz .LBB7_1178
; %bb.1177:
	v_trunc_f64_e32 v[2:3], v[0:1]
	s_movk_i32 s58, 0xffe0
	v_ldexp_f64 v[6:7], v[2:3], s58
	v_floor_f64_e32 v[6:7], v[6:7]
	v_fmac_f64_e32 v[2:3], 0xc1f00000, v[6:7]
	v_cvt_i32_f64_e32 v13, v[6:7]
	v_cvt_u32_f64_e32 v12, v[2:3]
	s_mov_b64 s[58:59], 0
	global_store_dwordx2 v[4:5], v[12:13], off
.LBB7_1178:
	s_andn2_b64 vcc, exec, s[58:59]
	s_cbranch_vccnz .LBB7_1180
; %bb.1179:
	v_cvt_i32_f64_e32 v2, v[0:1]
	global_store_dword v[4:5], v2, off
.LBB7_1180:
	s_mov_b64 s[58:59], 0
.LBB7_1181:
	s_andn2_b64 vcc, exec, s[58:59]
	s_cbranch_vccnz .LBB7_1183
; %bb.1182:
	v_cvt_i32_f64_e32 v2, v[0:1]
	global_store_short v[4:5], v2, off
.LBB7_1183:
	s_mov_b64 s[58:59], 0
.LBB7_1184:
	s_andn2_b64 vcc, exec, s[58:59]
	s_cbranch_vccnz .LBB7_1189
; %bb.1185:
	v_mov_b32_e32 v2, 0
	v_cmp_gt_i16_sdwa s[60:61], v10, v2 src0_sel:BYTE_0 src1_sel:DWORD
	s_mov_b64 s[58:59], -1
	s_and_b64 vcc, exec, s[60:61]
	s_cbranch_vccz .LBB7_1187
; %bb.1186:
	v_cvt_i32_f64_e32 v2, v[0:1]
	s_mov_b64 s[58:59], 0
	global_store_byte v[4:5], v2, off
.LBB7_1187:
	s_andn2_b64 vcc, exec, s[58:59]
	s_cbranch_vccnz .LBB7_1189
; %bb.1188:
	v_trunc_f64_e32 v[0:1], v[0:1]
	s_movk_i32 s58, 0xffe0
	v_ldexp_f64 v[2:3], v[0:1], s58
	v_floor_f64_e32 v[2:3], v[2:3]
	v_fmac_f64_e32 v[0:1], 0xc1f00000, v[2:3]
	v_cvt_u32_f64_e32 v0, v[0:1]
	global_store_byte v[4:5], v0, off
.LBB7_1189:
	s_mov_b64 s[58:59], -1
.LBB7_1190:
	s_andn2_b64 vcc, exec, s[58:59]
	s_cbranch_vccnz .LBB7_1214
; %bb.1191:
	v_add_u32_e32 v16, 0x80, v16
	s_mov_b64 s[60:61], -1
.LBB7_1192:
	s_andn2_b64 s[58:59], s[48:49], exec
	s_and_b64 s[0:1], s[0:1], exec
	s_or_b64 s[58:59], s[58:59], s[0:1]
	s_andn2_b64 s[0:1], s[46:47], exec
	s_and_b64 s[56:57], s[56:57], exec
	s_or_b64 s[56:57], s[0:1], s[56:57]
	;; [unrolled: 3-line block ×3, first 2 shown]
	s_orn2_b64 s[64:65], s[60:61], exec
.LBB7_1193:
	s_or_b64 exec, exec, s[52:53]
	s_mov_b64 s[60:61], 0
	s_mov_b64 s[54:55], 0
	;; [unrolled: 1-line block ×3, first 2 shown]
                                        ; implicit-def: $vgpr1
                                        ; implicit-def: $vgpr6_vgpr7
                                        ; implicit-def: $vgpr0
                                        ; implicit-def: $vgpr2
                                        ; implicit-def: $vgpr4_vgpr5
	s_and_saveexec_b64 s[52:53], s[64:65]
	s_cbranch_execz .LBB7_1287
; %bb.1194:
	v_cmp_gt_i32_e32 vcc, s66, v16
	s_mov_b64 s[64:65], s[0:1]
	s_mov_b64 s[66:67], 0
                                        ; implicit-def: $vgpr1
                                        ; implicit-def: $vgpr6_vgpr7
                                        ; implicit-def: $vgpr0
                                        ; implicit-def: $vgpr2
                                        ; implicit-def: $vgpr4_vgpr5
	s_and_saveexec_b64 s[54:55], vcc
	s_cbranch_execz .LBB7_1286
; %bb.1195:
	s_andn2_b64 vcc, exec, s[20:21]
	s_cbranch_vccnz .LBB7_1202
; %bb.1196:
	s_andn2_b64 vcc, exec, s[34:35]
	s_waitcnt vmcnt(0)
	v_mov_b32_e32 v0, 0
	v_mov_b32_e32 v4, 0
	;; [unrolled: 1-line block ×3, first 2 shown]
	s_cbranch_vccnz .LBB7_1201
; %bb.1197:
	s_add_i32 s34, s69, 1
	s_and_b32 s60, s34, 30
	s_add_u32 s34, s2, 0xffffffec
	s_addc_u32 s35, s3, -1
	v_mov_b32_e32 v2, 0
	v_mov_b32_e32 v1, v16
	;; [unrolled: 1-line block ×4, first 2 shown]
.LBB7_1198:                             ; =>This Inner Loop Header: Depth=1
	s_mov_b64 s[62:63], s[34:35]
	s_load_dwordx4 s[64:67], s[62:63], 0x18
	s_load_dwordx2 s[70:71], s[62:63], 0x28
	s_load_dwordx2 s[76:77], s[62:63], 0xe8
	s_load_dwordx4 s[72:75], s[62:63], 0xd8
	s_add_u32 s34, s62, 24
	s_waitcnt lgkmcnt(0)
	v_mul_hi_u32 v3, s65, v1
	v_add_u32_e32 v3, v1, v3
	v_lshrrev_b32_e32 v3, s66, v3
	v_mul_lo_u32 v5, v3, s64
	v_mul_hi_u32 v6, s70, v3
	v_sub_u32_e32 v1, v1, v5
	v_add_u32_e32 v5, v3, v6
	v_mul_lo_u32 v6, v1, s72
	v_mul_lo_u32 v7, v1, s73
	;; [unrolled: 1-line block ×3, first 2 shown]
	v_lshrrev_b32_e32 v1, s71, v5
	v_mul_lo_u32 v5, v1, s67
	v_sub_u32_e32 v3, v3, v5
	s_addc_u32 s35, s63, 0
	s_add_i32 s60, s60, -2
	v_mul_lo_u32 v5, v3, s75
	v_mul_lo_u32 v12, v3, s76
	;; [unrolled: 1-line block ×3, first 2 shown]
	s_cmp_eq_u32 s60, 0
	v_add3_u32 v2, v6, v2, v5
	v_add3_u32 v0, v9, v0, v3
	;; [unrolled: 1-line block ×3, first 2 shown]
	s_cbranch_scc0 .LBB7_1198
; %bb.1199:
	s_bitcmp1_b32 s69, 0
	s_cselect_b64 s[60:61], -1, 0
	s_and_b64 vcc, exec, s[60:61]
	s_cbranch_vccnz .LBB7_1201
; %bb.1200:
	s_load_dwordx2 s[60:61], s[34:35], 0x18
	s_load_dword s62, s[34:35], 0x20
	s_load_dword s63, s[34:35], 0xe0
	s_nop 0
	s_load_dwordx2 s[34:35], s[34:35], 0xd8
	s_waitcnt lgkmcnt(0)
	v_mul_hi_u32 v3, s61, v1
	v_add_u32_e32 v3, v1, v3
	v_lshrrev_b32_e32 v3, s62, v3
	v_mul_lo_u32 v3, v3, s60
	v_sub_u32_e32 v1, v1, v3
	v_mad_u64_u32 v[2:3], s[60:61], v1, s34, v[2:3]
	v_mad_u64_u32 v[4:5], s[34:35], v1, s35, v[4:5]
	;; [unrolled: 1-line block ×3, first 2 shown]
.LBB7_1201:
	s_mov_b64 s[34:35], 0
	s_branch .LBB7_1203
.LBB7_1202:
	s_mov_b64 s[34:35], -1
                                        ; implicit-def: $vgpr0
                                        ; implicit-def: $vgpr4
                                        ; implicit-def: $vgpr2
.LBB7_1203:
	s_andn2_b64 vcc, exec, s[34:35]
	s_cbranch_vccnz .LBB7_1206
; %bb.1204:
	s_waitcnt vmcnt(0) lgkmcnt(0)
	v_mul_hi_u32 v0, s17, v16
	v_add_u32_e32 v0, v16, v0
	v_lshrrev_b32_e32 v1, s18, v0
	v_mul_lo_u32 v0, v1, s16
	v_sub_u32_e32 v3, v16, v0
	v_mul_lo_u32 v2, v3, s12
	v_mul_lo_u32 v0, v3, s14
	s_andn2_b64 vcc, exec, s[30:31]
	v_mul_lo_u32 v4, v3, s13
	s_cbranch_vccnz .LBB7_1206
; %bb.1205:
	v_mul_hi_u32 v3, s28, v1
	v_add_u32_e32 v3, v1, v3
	v_lshrrev_b32_e32 v3, s29, v3
	v_mul_lo_u32 v3, v3, s19
	v_sub_u32_e32 v1, v1, v3
	v_mad_u64_u32 v[2:3], s[12:13], v1, s15, v[2:3]
	v_mad_u64_u32 v[4:5], s[12:13], v1, s26, v[4:5]
	;; [unrolled: 1-line block ×3, first 2 shown]
.LBB7_1206:
	s_waitcnt vmcnt(0) lgkmcnt(0)
	v_mov_b32_e32 v1, s11
	v_add_co_u32_e32 v6, vcc, s10, v4
	v_addc_co_u32_e32 v7, vcc, 0, v1, vcc
	v_and_b32_e32 v1, 0xff, v8
	v_cmp_gt_i16_e32 vcc, 11, v1
	s_cbranch_vccnz .LBB7_1213
; %bb.1207:
	v_cmp_lt_i16_e32 vcc, 25, v1
	s_mov_b64 s[12:13], 0
	s_cbranch_vccz .LBB7_1215
; %bb.1208:
	v_cmp_lt_i16_e32 vcc, 28, v1
	s_cbranch_vccz .LBB7_1216
; %bb.1209:
	v_cmp_lt_i16_e32 vcc, 43, v1
	;; [unrolled: 3-line block ×3, first 2 shown]
	s_cbranch_vccz .LBB7_1218
; %bb.1211:
	v_cmp_eq_u16_e32 vcc, 46, v1
	s_mov_b64 s[16:17], 0
	s_cbranch_vccz .LBB7_1221
; %bb.1212:
	global_load_dword v3, v[6:7], off
	s_mov_b64 s[10:11], 0
	s_mov_b64 s[14:15], -1
	s_waitcnt vmcnt(0)
	v_lshlrev_b32_e32 v3, 16, v3
	v_cvt_f64_f32_e32 v[4:5], v3
	s_branch .LBB7_1222
.LBB7_1213:
	s_mov_b64 s[16:17], -1
	s_mov_b64 s[14:15], 0
	s_mov_b64 s[12:13], 0
	;; [unrolled: 1-line block ×3, first 2 shown]
                                        ; implicit-def: $vgpr4_vgpr5
	s_branch .LBB7_1285
.LBB7_1214:
	s_mov_b64 s[60:61], 0
	s_branch .LBB7_945
.LBB7_1215:
	s_mov_b64 s[16:17], -1
	s_mov_b64 s[14:15], 0
	s_mov_b64 s[10:11], s[0:1]
                                        ; implicit-def: $vgpr4_vgpr5
	s_branch .LBB7_1251
.LBB7_1216:
	s_mov_b64 s[16:17], -1
	s_mov_b64 s[14:15], 0
	s_mov_b64 s[10:11], s[0:1]
                                        ; implicit-def: $vgpr4_vgpr5
	s_branch .LBB7_1232
.LBB7_1217:
	s_mov_b64 s[16:17], -1
	s_mov_b64 s[14:15], 0
	s_mov_b64 s[10:11], s[0:1]
                                        ; implicit-def: $vgpr4_vgpr5
	s_branch .LBB7_1227
.LBB7_1218:
	s_mov_b64 s[16:17], -1
	s_mov_b64 s[14:15], 0
	s_mov_b64 s[10:11], s[0:1]
                                        ; implicit-def: $vgpr4_vgpr5
	s_branch .LBB7_1222
.LBB7_1219:
	s_or_saveexec_b64 s[62:63], s[62:63]
                                        ; implicit-def: $sgpr64
	s_xor_b64 exec, exec, s[62:63]
	s_cbranch_execz .LBB7_1103
.LBB7_1220:
	s_mov_b32 s64, 0x46000000
	v_add_f32_e64 v3, |v2|, s64
	v_and_b32_e32 v3, 0xff, v3
	v_cmp_ne_u32_e32 vcc, 0, v3
	s_andn2_b64 s[60:61], s[60:61], exec
	s_and_b64 s[70:71], vcc, exec
	s_mov_b32 s64, 0
	s_or_b64 s[60:61], s[60:61], s[70:71]
	s_or_b64 exec, exec, s[62:63]
	v_mov_b32_e32 v6, s64
	s_and_saveexec_b64 s[62:63], s[60:61]
	s_cbranch_execnz .LBB7_1104
	s_branch .LBB7_1105
.LBB7_1221:
	s_mov_b64 s[10:11], -1
                                        ; implicit-def: $vgpr4_vgpr5
	s_mov_b64 s[14:15], 0
.LBB7_1222:
	s_and_b64 vcc, exec, s[16:17]
	s_cbranch_vccz .LBB7_1226
; %bb.1223:
	v_cmp_eq_u16_e32 vcc, 44, v1
	s_cbranch_vccz .LBB7_1225
; %bb.1224:
	global_load_ubyte v3, v[6:7], off
	s_movk_i32 s14, 0xff
	v_bfrev_b32_e32 v8, 4
	v_mov_b32_e32 v9, 0x7ff80000
	v_bfrev_b32_e32 v12, 28
	s_mov_b64 s[10:11], 0
	s_waitcnt vmcnt(0)
	v_lshlrev_b32_e32 v4, 23, v3
	v_cvt_f64_f32_e32 v[4:5], v4
	v_cmp_ne_u32_e32 vcc, s14, v3
	v_cndmask_b32_e32 v4, v8, v4, vcc
	v_cndmask_b32_e32 v5, v9, v5, vcc
	v_cmp_ne_u32_e32 vcc, 0, v3
	v_cndmask_b32_e32 v5, v12, v5, vcc
	v_cndmask_b32_e32 v4, 0, v4, vcc
	s_mov_b64 s[14:15], -1
	s_branch .LBB7_1226
.LBB7_1225:
	s_mov_b64 s[10:11], -1
                                        ; implicit-def: $vgpr4_vgpr5
.LBB7_1226:
	s_mov_b64 s[16:17], 0
.LBB7_1227:
	s_and_b64 vcc, exec, s[16:17]
	s_cbranch_vccz .LBB7_1231
; %bb.1228:
	v_cmp_eq_u16_e32 vcc, 29, v1
	s_cbranch_vccz .LBB7_1230
; %bb.1229:
	global_load_dwordx2 v[4:5], v[6:7], off
	s_mov_b64 s[10:11], 0
	s_mov_b64 s[14:15], -1
	s_mov_b64 s[16:17], 0
	s_waitcnt vmcnt(0)
	v_cvt_f64_u32_e32 v[8:9], v5
	v_cvt_f64_u32_e32 v[4:5], v4
	v_ldexp_f64 v[8:9], v[8:9], 32
	v_add_f64 v[4:5], v[8:9], v[4:5]
	s_branch .LBB7_1232
.LBB7_1230:
	s_mov_b64 s[10:11], -1
                                        ; implicit-def: $vgpr4_vgpr5
.LBB7_1231:
	s_mov_b64 s[16:17], 0
.LBB7_1232:
	s_and_b64 vcc, exec, s[16:17]
	s_cbranch_vccz .LBB7_1250
; %bb.1233:
	v_cmp_gt_i16_e32 vcc, 27, v1
	s_cbranch_vccnz .LBB7_1236
; %bb.1234:
	v_cmp_lt_i16_e32 vcc, 27, v1
	s_cbranch_vccz .LBB7_1237
; %bb.1235:
	global_load_dword v3, v[6:7], off
	s_mov_b64 s[14:15], 0
	s_waitcnt vmcnt(0)
	v_cvt_f64_u32_e32 v[4:5], v3
	s_branch .LBB7_1238
.LBB7_1236:
	s_mov_b64 s[14:15], -1
                                        ; implicit-def: $vgpr4_vgpr5
	s_branch .LBB7_1241
.LBB7_1237:
	s_mov_b64 s[14:15], -1
                                        ; implicit-def: $vgpr4_vgpr5
.LBB7_1238:
	s_andn2_b64 vcc, exec, s[14:15]
	s_cbranch_vccnz .LBB7_1240
; %bb.1239:
	global_load_ushort v3, v[6:7], off
	s_waitcnt vmcnt(0)
	v_cvt_f64_u32_e32 v[4:5], v3
.LBB7_1240:
	s_mov_b64 s[14:15], 0
.LBB7_1241:
	s_andn2_b64 vcc, exec, s[14:15]
	s_cbranch_vccnz .LBB7_1249
; %bb.1242:
	global_load_ubyte v3, v[6:7], off
	s_movk_i32 s14, 0x7f
                                        ; implicit-def: $sgpr16_sgpr17
	s_waitcnt vmcnt(0)
	v_cmp_lt_i16_e32 vcc, s14, v3
	s_mov_b64 s[14:15], 0
	s_and_saveexec_b64 s[18:19], vcc
	s_xor_b64 s[18:19], exec, s[18:19]
	s_cbranch_execz .LBB7_1263
; %bb.1243:
	s_movk_i32 s14, 0x80
	v_cmp_eq_u16_e32 vcc, s14, v3
	s_mov_b64 s[26:27], -1
                                        ; implicit-def: $sgpr16_sgpr17
	s_and_saveexec_b64 s[14:15], vcc
; %bb.1244:
	s_mov_b32 s17, 0x7ff80000
	s_brev_b32 s16, 4
	s_xor_b64 s[26:27], exec, -1
; %bb.1245:
	s_or_b64 exec, exec, s[14:15]
	s_and_b64 s[14:15], s[26:27], exec
	s_or_saveexec_b64 s[18:19], s[18:19]
	v_pk_mov_b32 v[4:5], s[16:17], s[16:17] op_sel:[0,1]
	s_xor_b64 exec, exec, s[18:19]
	s_cbranch_execnz .LBB7_1264
.LBB7_1246:
	s_or_b64 exec, exec, s[18:19]
	s_and_saveexec_b64 s[16:17], s[14:15]
	s_cbranch_execz .LBB7_1248
.LBB7_1247:
	v_lshlrev_b32_e32 v4, 24, v3
	v_and_b32_e32 v3, 0xffff, v3
	v_and_b32_e32 v5, 7, v3
	v_ffbh_u32_e32 v9, v5
	v_min_u32_e32 v9, 32, v9
	v_subrev_u32_e32 v12, 28, v9
	v_bfe_u32 v8, v3, 3, 4
	v_lshlrev_b32_e32 v3, v12, v3
	v_sub_u32_e32 v9, 29, v9
	v_and_b32_e32 v3, 7, v3
	v_cmp_eq_u32_e32 vcc, 0, v8
	v_cndmask_b32_e32 v8, v8, v9, vcc
	v_cndmask_b32_e32 v3, v5, v3, vcc
	v_mov_b32_e32 v5, 0x3b800000
	v_lshlrev_b32_e32 v3, 20, v3
	v_and_b32_e32 v4, 0x80000000, v4
	v_lshl_add_u32 v5, v8, 23, v5
	v_or3_b32 v3, v4, v5, v3
	v_cvt_f64_f32_e32 v[4:5], v3
.LBB7_1248:
	s_or_b64 exec, exec, s[16:17]
.LBB7_1249:
	s_mov_b64 s[14:15], -1
.LBB7_1250:
	s_mov_b64 s[16:17], 0
.LBB7_1251:
	s_and_b64 vcc, exec, s[16:17]
	s_cbranch_vccz .LBB7_1284
; %bb.1252:
	v_cmp_lt_i16_e32 vcc, 22, v1
	s_cbranch_vccz .LBB7_1262
; %bb.1253:
	v_cmp_gt_i16_e32 vcc, 24, v1
	s_cbranch_vccnz .LBB7_1265
; %bb.1254:
	v_cmp_lt_i16_e32 vcc, 24, v1
	s_cbranch_vccz .LBB7_1266
; %bb.1255:
	global_load_ubyte v3, v[6:7], off
	s_movk_i32 s12, 0x7f
                                        ; implicit-def: $sgpr14_sgpr15
	s_waitcnt vmcnt(0)
	v_cmp_lt_i16_e32 vcc, s12, v3
	s_mov_b64 s[12:13], 0
	s_and_saveexec_b64 s[16:17], vcc
	s_xor_b64 s[16:17], exec, s[16:17]
	s_cbranch_execz .LBB7_1278
; %bb.1256:
	s_movk_i32 s12, 0x80
	v_cmp_eq_u16_e32 vcc, s12, v3
	s_mov_b64 s[18:19], -1
                                        ; implicit-def: $sgpr14_sgpr15
	s_and_saveexec_b64 s[12:13], vcc
; %bb.1257:
	s_mov_b32 s15, 0x7ff80000
	s_brev_b32 s14, 4
	s_xor_b64 s[18:19], exec, -1
; %bb.1258:
	s_or_b64 exec, exec, s[12:13]
	s_and_b64 s[12:13], s[18:19], exec
	s_or_saveexec_b64 s[16:17], s[16:17]
	v_pk_mov_b32 v[4:5], s[14:15], s[14:15] op_sel:[0,1]
	s_xor_b64 exec, exec, s[16:17]
	s_cbranch_execnz .LBB7_1279
.LBB7_1259:
	s_or_b64 exec, exec, s[16:17]
	s_and_saveexec_b64 s[14:15], s[12:13]
	s_cbranch_execz .LBB7_1261
.LBB7_1260:
	v_lshlrev_b32_e32 v4, 24, v3
	v_and_b32_e32 v3, 0xffff, v3
	v_and_b32_e32 v5, 3, v3
	v_ffbh_u32_e32 v9, v5
	v_min_u32_e32 v9, 32, v9
	v_subrev_u32_e32 v12, 29, v9
	v_bfe_u32 v8, v3, 2, 5
	v_lshlrev_b32_e32 v3, v12, v3
	v_sub_u32_e32 v9, 30, v9
	v_and_b32_e32 v3, 3, v3
	v_cmp_eq_u32_e32 vcc, 0, v8
	v_cndmask_b32_e32 v8, v8, v9, vcc
	v_cndmask_b32_e32 v3, v5, v3, vcc
	v_mov_b32_e32 v5, 0x37800000
	v_lshlrev_b32_e32 v3, 21, v3
	v_and_b32_e32 v4, 0x80000000, v4
	v_lshl_add_u32 v5, v8, 23, v5
	v_or3_b32 v3, v4, v5, v3
	v_cvt_f64_f32_e32 v[4:5], v3
.LBB7_1261:
	s_or_b64 exec, exec, s[14:15]
	s_mov_b64 s[12:13], 0
	s_branch .LBB7_1267
.LBB7_1262:
	s_mov_b64 s[12:13], -1
                                        ; implicit-def: $vgpr4_vgpr5
	s_branch .LBB7_1273
.LBB7_1263:
	s_or_saveexec_b64 s[18:19], s[18:19]
	v_pk_mov_b32 v[4:5], s[16:17], s[16:17] op_sel:[0,1]
	s_xor_b64 exec, exec, s[18:19]
	s_cbranch_execz .LBB7_1246
.LBB7_1264:
	v_cmp_ne_u16_e32 vcc, 0, v3
	s_andn2_b64 s[14:15], s[14:15], exec
	s_and_b64 s[16:17], vcc, exec
	v_pk_mov_b32 v[4:5], 0, 0
	s_or_b64 s[14:15], s[14:15], s[16:17]
	s_or_b64 exec, exec, s[18:19]
	s_and_saveexec_b64 s[16:17], s[14:15]
	s_cbranch_execnz .LBB7_1247
	s_branch .LBB7_1248
.LBB7_1265:
	s_mov_b64 s[12:13], -1
                                        ; implicit-def: $vgpr4_vgpr5
	s_branch .LBB7_1270
.LBB7_1266:
	s_mov_b64 s[12:13], -1
                                        ; implicit-def: $vgpr4_vgpr5
.LBB7_1267:
	s_and_b64 vcc, exec, s[12:13]
	s_cbranch_vccz .LBB7_1269
; %bb.1268:
	global_load_ubyte v3, v[6:7], off
	s_mov_b32 s12, 0x7f800000
	s_waitcnt vmcnt(0)
	v_lshlrev_b32_e32 v3, 24, v3
	v_and_b32_e32 v4, 0x7f000000, v3
	v_ffbh_u32_e32 v5, v4
	v_min_u32_e32 v5, 32, v5
	v_sub_u32_e64 v5, v5, 4 clamp
	v_lshlrev_b32_e32 v9, v5, v4
	v_lshlrev_b32_e32 v5, 23, v5
	v_lshrrev_b32_e32 v9, 4, v9
	v_add_u32_e32 v8, 0x1000000, v4
	v_sub_u32_e32 v5, v9, v5
	v_ashrrev_i32_e32 v8, 8, v8
	v_add_u32_e32 v5, 0x3c000000, v5
	v_and_or_b32 v5, v8, s12, v5
	v_cmp_ne_u32_e32 vcc, 0, v4
	v_cndmask_b32_e32 v4, 0, v5, vcc
	s_brev_b32 s12, 1
	v_and_or_b32 v3, v3, s12, v4
	v_cvt_f64_f32_e32 v[4:5], v3
.LBB7_1269:
	s_mov_b64 s[12:13], 0
.LBB7_1270:
	s_andn2_b64 vcc, exec, s[12:13]
	s_cbranch_vccnz .LBB7_1272
; %bb.1271:
	global_load_ubyte v3, v[6:7], off
	s_movk_i32 s12, 0x7f00
	s_brev_b32 s13, 16
	s_waitcnt vmcnt(0)
	v_lshlrev_b16_e32 v4, 8, v3
	v_lshlrev_b32_e32 v3, 25, v3
	v_lshrrev_b32_e32 v5, 4, v3
	v_and_or_b32 v8, v4, s12, 0.5
	v_or_b32_e32 v5, 0x70000000, v5
	v_add_f32_e32 v8, -0.5, v8
	v_mul_f32_e32 v5, 0x7800000, v5
	v_cmp_gt_u32_e32 vcc, s13, v3
	v_bfe_i32 v4, v4, 0, 16
	v_cndmask_b32_e32 v3, v5, v8, vcc
	s_brev_b32 s12, 1
	v_and_or_b32 v3, v4, s12, v3
	v_cvt_f64_f32_e32 v[4:5], v3
.LBB7_1272:
	s_mov_b64 s[12:13], 0
	s_mov_b64 s[14:15], -1
.LBB7_1273:
	s_andn2_b64 vcc, exec, s[12:13]
	s_mov_b64 s[12:13], 0
	s_cbranch_vccnz .LBB7_1284
; %bb.1274:
	v_cmp_lt_i16_e32 vcc, 14, v1
	s_cbranch_vccz .LBB7_1277
; %bb.1275:
	v_cmp_eq_u16_e32 vcc, 15, v1
	s_cbranch_vccz .LBB7_1280
; %bb.1276:
	global_load_ushort v3, v[6:7], off
	s_mov_b64 s[10:11], 0
	s_mov_b64 s[14:15], -1
	s_waitcnt vmcnt(0)
	v_lshlrev_b32_e32 v3, 16, v3
	v_cvt_f64_f32_e32 v[4:5], v3
	s_branch .LBB7_1281
.LBB7_1277:
	s_mov_b64 s[16:17], -1
                                        ; implicit-def: $vgpr4_vgpr5
	s_branch .LBB7_1282
.LBB7_1278:
	s_or_saveexec_b64 s[16:17], s[16:17]
	v_pk_mov_b32 v[4:5], s[14:15], s[14:15] op_sel:[0,1]
	s_xor_b64 exec, exec, s[16:17]
	s_cbranch_execz .LBB7_1259
.LBB7_1279:
	v_cmp_ne_u16_e32 vcc, 0, v3
	s_andn2_b64 s[12:13], s[12:13], exec
	s_and_b64 s[14:15], vcc, exec
	v_pk_mov_b32 v[4:5], 0, 0
	s_or_b64 s[12:13], s[12:13], s[14:15]
	s_or_b64 exec, exec, s[16:17]
	s_and_saveexec_b64 s[14:15], s[12:13]
	s_cbranch_execnz .LBB7_1260
	s_branch .LBB7_1261
.LBB7_1280:
	s_mov_b64 s[10:11], -1
                                        ; implicit-def: $vgpr4_vgpr5
.LBB7_1281:
	s_mov_b64 s[16:17], 0
.LBB7_1282:
	s_and_b64 vcc, exec, s[16:17]
	s_cbranch_vccz .LBB7_1284
; %bb.1283:
	v_cmp_ne_u16_e32 vcc, 11, v1
	s_andn2_b64 s[10:11], s[10:11], exec
	s_and_b64 s[16:17], vcc, exec
	s_mov_b64 s[12:13], -1
	s_or_b64 s[10:11], s[10:11], s[16:17]
                                        ; implicit-def: $vgpr4_vgpr5
.LBB7_1284:
	s_mov_b64 s[16:17], 0
.LBB7_1285:
	s_and_b64 s[60:61], s[12:13], exec
	s_andn2_b64 s[12:13], s[0:1], exec
	s_and_b64 s[10:11], s[10:11], exec
	s_and_b64 s[62:63], s[14:15], exec
	;; [unrolled: 1-line block ×3, first 2 shown]
	s_or_b64 s[64:65], s[12:13], s[10:11]
.LBB7_1286:
	s_or_b64 exec, exec, s[54:55]
	s_andn2_b64 s[0:1], s[0:1], exec
	s_waitcnt lgkmcnt(0)
	s_and_b64 s[10:11], s[64:65], exec
	s_and_b64 s[62:63], s[62:63], exec
	;; [unrolled: 1-line block ×4, first 2 shown]
	s_or_b64 s[0:1], s[0:1], s[10:11]
.LBB7_1287:
	s_or_b64 exec, exec, s[52:53]
	s_waitcnt lgkmcnt(0)
	s_andn2_b64 s[10:11], s[48:49], exec
	s_and_b64 s[12:13], s[58:59], exec
	s_or_b64 s[48:49], s[10:11], s[12:13]
	s_andn2_b64 s[10:11], s[46:47], exec
	s_and_b64 s[12:13], s[56:57], exec
	s_or_b64 s[46:47], s[10:11], s[12:13]
	s_andn2_b64 s[10:11], s[44:45], exec
	s_and_b64 s[0:1], s[0:1], exec
	s_and_b64 s[56:57], s[62:63], exec
	;; [unrolled: 1-line block ×4, first 2 shown]
	s_or_b64 s[44:45], s[10:11], s[0:1]
.LBB7_1288:
	s_or_b64 exec, exec, s[50:51]
	s_andn2_b64 s[0:1], s[36:37], exec
	s_waitcnt lgkmcnt(0)
	s_and_b64 s[10:11], s[48:49], exec
	s_or_b64 s[36:37], s[0:1], s[10:11]
	s_andn2_b64 s[0:1], s[38:39], exec
	s_and_b64 s[10:11], s[46:47], exec
	s_or_b64 s[38:39], s[0:1], s[10:11]
	s_andn2_b64 s[0:1], s[40:41], exec
	s_and_b64 s[10:11], s[44:45], exec
	s_and_b64 s[48:49], s[56:57], exec
	;; [unrolled: 1-line block ×4, first 2 shown]
	s_or_b64 s[40:41], s[0:1], s[10:11]
	s_or_b64 exec, exec, s[42:43]
	s_mov_b64 s[10:11], 0
	s_and_saveexec_b64 s[0:1], s[40:41]
	s_cbranch_execz .LBB7_403
.LBB7_1289:
	s_mov_b64 s[10:11], exec
	s_andn2_b64 s[46:47], s[46:47], exec
	s_trap 2
                                        ; implicit-def: $vgpr4_vgpr5
	s_or_b64 exec, exec, s[0:1]
	s_and_saveexec_b64 s[0:1], s[46:47]
	s_xor_b64 s[0:1], exec, s[0:1]
	s_cbranch_execnz .LBB7_404
.LBB7_1290:
	s_or_b64 exec, exec, s[0:1]
	s_and_saveexec_b64 s[0:1], s[50:51]
	s_cbranch_execz .LBB7_1336
.LBB7_1291:
	s_waitcnt vmcnt(0)
	v_cmp_gt_i16_e32 vcc, 5, v1
	s_cbranch_vccnz .LBB7_1296
; %bb.1292:
	v_cmp_gt_i16_e32 vcc, 8, v1
	s_cbranch_vccnz .LBB7_1297
; %bb.1293:
	;; [unrolled: 3-line block ×3, first 2 shown]
	v_cmp_lt_i16_e32 vcc, 9, v1
	s_cbranch_vccz .LBB7_1299
; %bb.1295:
	global_load_dwordx2 v[4:5], v[6:7], off
	s_mov_b64 s[12:13], 0
	s_branch .LBB7_1300
.LBB7_1296:
                                        ; implicit-def: $vgpr4_vgpr5
	s_branch .LBB7_1317
.LBB7_1297:
                                        ; implicit-def: $vgpr4_vgpr5
	s_branch .LBB7_1306
.LBB7_1298:
	s_mov_b64 s[12:13], -1
                                        ; implicit-def: $vgpr4_vgpr5
	s_branch .LBB7_1303
.LBB7_1299:
	s_mov_b64 s[12:13], -1
                                        ; implicit-def: $vgpr4_vgpr5
.LBB7_1300:
	s_andn2_b64 vcc, exec, s[12:13]
	s_cbranch_vccnz .LBB7_1302
; %bb.1301:
	global_load_dword v3, v[6:7], off
	s_waitcnt vmcnt(0)
	v_cvt_f64_f32_e32 v[4:5], v3
.LBB7_1302:
	s_mov_b64 s[12:13], 0
.LBB7_1303:
	s_andn2_b64 vcc, exec, s[12:13]
	s_cbranch_vccnz .LBB7_1305
; %bb.1304:
	global_load_dword v3, v[6:7], off
	s_waitcnt vmcnt(0)
	v_cvt_f32_f16_e32 v3, v3
	v_cvt_f64_f32_e32 v[4:5], v3
.LBB7_1305:
	s_cbranch_execnz .LBB7_1316
.LBB7_1306:
	v_cmp_gt_i16_e32 vcc, 6, v1
	s_cbranch_vccnz .LBB7_1309
; %bb.1307:
	v_cmp_lt_i16_e32 vcc, 6, v1
	s_cbranch_vccz .LBB7_1310
; %bb.1308:
	global_load_dwordx2 v[4:5], v[6:7], off
	s_mov_b64 s[12:13], 0
	s_branch .LBB7_1311
.LBB7_1309:
	s_mov_b64 s[12:13], -1
                                        ; implicit-def: $vgpr4_vgpr5
	s_branch .LBB7_1314
.LBB7_1310:
	s_mov_b64 s[12:13], -1
                                        ; implicit-def: $vgpr4_vgpr5
.LBB7_1311:
	s_andn2_b64 vcc, exec, s[12:13]
	s_cbranch_vccnz .LBB7_1313
; %bb.1312:
	global_load_dword v3, v[6:7], off
	s_waitcnt vmcnt(0)
	v_cvt_f64_f32_e32 v[4:5], v3
.LBB7_1313:
	s_mov_b64 s[12:13], 0
.LBB7_1314:
	s_andn2_b64 vcc, exec, s[12:13]
	s_cbranch_vccnz .LBB7_1316
; %bb.1315:
	global_load_ushort v3, v[6:7], off
	s_waitcnt vmcnt(0)
	v_cvt_f32_f16_e32 v3, v3
	v_cvt_f64_f32_e32 v[4:5], v3
.LBB7_1316:
	s_cbranch_execnz .LBB7_1335
.LBB7_1317:
	v_cmp_gt_i16_e32 vcc, 2, v1
	s_cbranch_vccnz .LBB7_1321
; %bb.1318:
	v_cmp_gt_i16_e32 vcc, 3, v1
	s_cbranch_vccnz .LBB7_1322
; %bb.1319:
	v_cmp_lt_i16_e32 vcc, 3, v1
	s_cbranch_vccz .LBB7_1323
; %bb.1320:
	global_load_dwordx2 v[4:5], v[6:7], off
	s_mov_b64 s[12:13], 0
	s_waitcnt vmcnt(0)
	v_cvt_f64_i32_e32 v[8:9], v5
	v_cvt_f64_u32_e32 v[4:5], v4
	v_ldexp_f64 v[8:9], v[8:9], 32
	v_add_f64 v[4:5], v[8:9], v[4:5]
	s_branch .LBB7_1324
.LBB7_1321:
                                        ; implicit-def: $vgpr4_vgpr5
	s_branch .LBB7_1330
.LBB7_1322:
	s_mov_b64 s[12:13], -1
                                        ; implicit-def: $vgpr4_vgpr5
	s_branch .LBB7_1327
.LBB7_1323:
	s_mov_b64 s[12:13], -1
                                        ; implicit-def: $vgpr4_vgpr5
.LBB7_1324:
	s_andn2_b64 vcc, exec, s[12:13]
	s_cbranch_vccnz .LBB7_1326
; %bb.1325:
	global_load_dword v3, v[6:7], off
	s_waitcnt vmcnt(0)
	v_cvt_f64_i32_e32 v[4:5], v3
.LBB7_1326:
	s_mov_b64 s[12:13], 0
.LBB7_1327:
	s_andn2_b64 vcc, exec, s[12:13]
	s_cbranch_vccnz .LBB7_1329
; %bb.1328:
	global_load_sshort v3, v[6:7], off
	s_waitcnt vmcnt(0)
	v_cvt_f64_i32_e32 v[4:5], v3
.LBB7_1329:
	s_cbranch_execnz .LBB7_1335
.LBB7_1330:
	v_cmp_lt_i16_e32 vcc, 0, v1
	s_cbranch_vccz .LBB7_1332
; %bb.1331:
	global_load_sbyte v1, v[6:7], off
	s_mov_b64 s[12:13], 0
	s_waitcnt vmcnt(0)
	v_cvt_f64_i32_e32 v[4:5], v1
	s_branch .LBB7_1333
.LBB7_1332:
	s_mov_b64 s[12:13], -1
                                        ; implicit-def: $vgpr4_vgpr5
.LBB7_1333:
	s_andn2_b64 vcc, exec, s[12:13]
	s_cbranch_vccnz .LBB7_1335
; %bb.1334:
	global_load_ubyte v1, v[6:7], off
	s_waitcnt vmcnt(0)
	v_cvt_f64_u32_e32 v[4:5], v1
.LBB7_1335:
	s_or_b64 s[48:49], s[48:49], exec
.LBB7_1336:
	s_or_b64 exec, exec, s[0:1]
	s_mov_b64 s[14:15], 0
	s_mov_b64 s[18:19], 0
	;; [unrolled: 1-line block ×3, first 2 shown]
                                        ; implicit-def: $vgpr1
                                        ; implicit-def: $vgpr6_vgpr7
                                        ; implicit-def: $vgpr8_vgpr9
	s_and_saveexec_b64 s[0:1], s[48:49]
	s_cbranch_execz .LBB7_1344
; %bb.1337:
	s_waitcnt vmcnt(0)
	v_mov_b32_e32 v1, s25
	v_add_co_u32_e32 v6, vcc, s24, v0
	v_addc_co_u32_e32 v7, vcc, 0, v1, vcc
	v_and_b32_e32 v1, 0xff, v11
	v_cmp_gt_i16_e32 vcc, 11, v1
	s_cbranch_vccnz .LBB7_1347
; %bb.1338:
	v_cmp_lt_i16_e32 vcc, 25, v1
	s_cbranch_vccz .LBB7_1348
; %bb.1339:
	v_cmp_lt_i16_e32 vcc, 28, v1
	s_cbranch_vccz .LBB7_1349
	;; [unrolled: 3-line block ×4, first 2 shown]
; %bb.1342:
	v_cmp_eq_u16_e32 vcc, 46, v1
	s_cbranch_vccz .LBB7_1352
; %bb.1343:
	global_load_dword v0, v[6:7], off
	s_mov_b64 s[12:13], 0
	s_mov_b64 s[16:17], -1
	s_waitcnt vmcnt(0)
	v_lshlrev_b32_e32 v0, 16, v0
	v_cvt_f64_f32_e32 v[8:9], v0
	s_branch .LBB7_1354
.LBB7_1344:
	s_or_b64 exec, exec, s[0:1]
	s_and_saveexec_b64 s[0:1], s[38:39]
	s_cbranch_execnz .LBB7_1417
.LBB7_1345:
	s_or_b64 exec, exec, s[0:1]
	s_and_saveexec_b64 s[0:1], s[14:15]
	s_xor_b64 s[0:1], exec, s[0:1]
	s_cbranch_execz .LBB7_1418
.LBB7_1346:
	s_waitcnt vmcnt(0)
	global_load_ubyte v0, v[6:7], off
	v_mov_b32_e32 v3, 0x3ff00000
	v_mov_b32_e32 v8, 0
	s_or_b64 s[16:17], s[16:17], exec
	s_waitcnt vmcnt(0)
	v_cmp_ne_u16_e32 vcc, 0, v0
	v_cndmask_b32_e32 v9, 0, v3, vcc
	s_or_b64 exec, exec, s[0:1]
	s_and_saveexec_b64 s[0:1], s[18:19]
	s_cbranch_execz .LBB7_1464
	s_branch .LBB7_1419
.LBB7_1347:
	s_mov_b64 s[18:19], -1
                                        ; implicit-def: $vgpr8_vgpr9
	s_mov_b64 s[12:13], s[38:39]
	s_branch .LBB7_1416
.LBB7_1348:
	s_mov_b64 s[12:13], s[38:39]
                                        ; implicit-def: $vgpr8_vgpr9
	s_cbranch_execnz .LBB7_1383
	s_branch .LBB7_1415
.LBB7_1349:
	s_mov_b64 s[18:19], -1
	s_mov_b64 s[12:13], s[38:39]
                                        ; implicit-def: $vgpr8_vgpr9
	s_branch .LBB7_1364
.LBB7_1350:
	s_mov_b64 s[18:19], -1
	s_mov_b64 s[12:13], s[38:39]
                                        ; implicit-def: $vgpr8_vgpr9
	s_branch .LBB7_1359
.LBB7_1351:
	s_mov_b64 s[18:19], -1
	s_mov_b64 s[12:13], s[38:39]
	s_branch .LBB7_1353
.LBB7_1352:
	s_mov_b64 s[12:13], -1
.LBB7_1353:
                                        ; implicit-def: $vgpr8_vgpr9
.LBB7_1354:
	s_and_b64 vcc, exec, s[18:19]
	s_cbranch_vccz .LBB7_1358
; %bb.1355:
	v_cmp_eq_u16_e32 vcc, 44, v1
	s_cbranch_vccz .LBB7_1357
; %bb.1356:
	global_load_ubyte v0, v[6:7], off
	s_movk_i32 s16, 0xff
	v_bfrev_b32_e32 v3, 4
	v_mov_b32_e32 v11, 0x7ff80000
	v_bfrev_b32_e32 v12, 28
	s_mov_b64 s[12:13], 0
	s_waitcnt vmcnt(0)
	v_lshlrev_b32_e32 v8, 23, v0
	v_cvt_f64_f32_e32 v[8:9], v8
	v_cmp_ne_u32_e32 vcc, s16, v0
	v_cndmask_b32_e32 v3, v3, v8, vcc
	v_cndmask_b32_e32 v8, v11, v9, vcc
	v_cmp_ne_u32_e32 vcc, 0, v0
	v_cndmask_b32_e32 v9, v12, v8, vcc
	v_cndmask_b32_e32 v8, 0, v3, vcc
	s_mov_b64 s[16:17], -1
	s_branch .LBB7_1358
.LBB7_1357:
	s_mov_b64 s[12:13], -1
                                        ; implicit-def: $vgpr8_vgpr9
.LBB7_1358:
	s_mov_b64 s[18:19], 0
.LBB7_1359:
	s_and_b64 vcc, exec, s[18:19]
	s_cbranch_vccz .LBB7_1363
; %bb.1360:
	v_cmp_eq_u16_e32 vcc, 29, v1
	s_cbranch_vccz .LBB7_1362
; %bb.1361:
	global_load_dwordx2 v[8:9], v[6:7], off
	s_mov_b64 s[12:13], 0
	s_mov_b64 s[16:17], -1
	s_mov_b64 s[18:19], 0
	s_waitcnt vmcnt(0)
	v_cvt_f64_u32_e32 v[12:13], v9
	v_cvt_f64_u32_e32 v[8:9], v8
	v_ldexp_f64 v[12:13], v[12:13], 32
	v_add_f64 v[8:9], v[12:13], v[8:9]
	s_branch .LBB7_1364
.LBB7_1362:
	s_mov_b64 s[12:13], -1
                                        ; implicit-def: $vgpr8_vgpr9
.LBB7_1363:
	s_mov_b64 s[18:19], 0
.LBB7_1364:
	s_and_b64 vcc, exec, s[18:19]
	s_cbranch_vccz .LBB7_1382
; %bb.1365:
	v_cmp_gt_i16_e32 vcc, 27, v1
	s_cbranch_vccnz .LBB7_1368
; %bb.1366:
	v_cmp_lt_i16_e32 vcc, 27, v1
	s_cbranch_vccz .LBB7_1369
; %bb.1367:
	global_load_dword v0, v[6:7], off
	s_mov_b64 s[16:17], 0
	s_waitcnt vmcnt(0)
	v_cvt_f64_u32_e32 v[8:9], v0
	s_branch .LBB7_1370
.LBB7_1368:
	s_mov_b64 s[16:17], -1
                                        ; implicit-def: $vgpr8_vgpr9
	s_branch .LBB7_1373
.LBB7_1369:
	s_mov_b64 s[16:17], -1
                                        ; implicit-def: $vgpr8_vgpr9
.LBB7_1370:
	s_andn2_b64 vcc, exec, s[16:17]
	s_cbranch_vccnz .LBB7_1372
; %bb.1371:
	global_load_ushort v0, v[6:7], off
	s_waitcnt vmcnt(0)
	v_cvt_f64_u32_e32 v[8:9], v0
.LBB7_1372:
	s_mov_b64 s[16:17], 0
.LBB7_1373:
	s_andn2_b64 vcc, exec, s[16:17]
	s_cbranch_vccnz .LBB7_1381
; %bb.1374:
	global_load_ubyte v0, v[6:7], off
	s_movk_i32 s16, 0x7f
                                        ; implicit-def: $sgpr18_sgpr19
	s_waitcnt vmcnt(0)
	v_cmp_lt_i16_e32 vcc, s16, v0
	s_mov_b64 s[16:17], 0
	s_and_saveexec_b64 s[24:25], vcc
	s_xor_b64 s[24:25], exec, s[24:25]
	s_cbranch_execz .LBB7_1394
; %bb.1375:
	s_movk_i32 s16, 0x80
	v_cmp_eq_u16_e32 vcc, s16, v0
	s_mov_b64 s[26:27], -1
                                        ; implicit-def: $sgpr18_sgpr19
	s_and_saveexec_b64 s[16:17], vcc
; %bb.1376:
	s_mov_b32 s19, 0x7ff80000
	s_brev_b32 s18, 4
	s_xor_b64 s[26:27], exec, -1
; %bb.1377:
	s_or_b64 exec, exec, s[16:17]
	s_and_b64 s[16:17], s[26:27], exec
	s_or_saveexec_b64 s[24:25], s[24:25]
	v_pk_mov_b32 v[8:9], s[18:19], s[18:19] op_sel:[0,1]
	s_xor_b64 exec, exec, s[24:25]
	s_cbranch_execnz .LBB7_1395
.LBB7_1378:
	s_or_b64 exec, exec, s[24:25]
	s_and_saveexec_b64 s[18:19], s[16:17]
	s_cbranch_execz .LBB7_1380
.LBB7_1379:
	v_lshlrev_b32_e32 v3, 24, v0
	v_and_b32_e32 v0, 0xffff, v0
	v_and_b32_e32 v8, 7, v0
	v_ffbh_u32_e32 v11, v8
	v_min_u32_e32 v11, 32, v11
	v_subrev_u32_e32 v12, 28, v11
	v_bfe_u32 v9, v0, 3, 4
	v_lshlrev_b32_e32 v0, v12, v0
	v_sub_u32_e32 v11, 29, v11
	v_and_b32_e32 v0, 7, v0
	v_cmp_eq_u32_e32 vcc, 0, v9
	v_cndmask_b32_e32 v9, v9, v11, vcc
	v_cndmask_b32_e32 v0, v8, v0, vcc
	v_mov_b32_e32 v8, 0x3b800000
	v_lshlrev_b32_e32 v0, 20, v0
	v_and_b32_e32 v3, 0x80000000, v3
	v_lshl_add_u32 v8, v9, 23, v8
	v_or3_b32 v0, v3, v8, v0
	v_cvt_f64_f32_e32 v[8:9], v0
.LBB7_1380:
	s_or_b64 exec, exec, s[18:19]
.LBB7_1381:
	s_mov_b64 s[16:17], -1
.LBB7_1382:
	s_branch .LBB7_1415
.LBB7_1383:
	v_cmp_lt_i16_e32 vcc, 22, v1
	s_cbranch_vccz .LBB7_1393
; %bb.1384:
	v_cmp_gt_i16_e32 vcc, 24, v1
	s_cbranch_vccnz .LBB7_1396
; %bb.1385:
	v_cmp_lt_i16_e32 vcc, 24, v1
	s_cbranch_vccz .LBB7_1397
; %bb.1386:
	global_load_ubyte v0, v[6:7], off
	s_movk_i32 s14, 0x7f
                                        ; implicit-def: $sgpr16_sgpr17
	s_waitcnt vmcnt(0)
	v_cmp_lt_i16_e32 vcc, s14, v0
	s_mov_b64 s[14:15], 0
	s_and_saveexec_b64 s[18:19], vcc
	s_xor_b64 s[18:19], exec, s[18:19]
	s_cbranch_execz .LBB7_1409
; %bb.1387:
	s_movk_i32 s14, 0x80
	v_cmp_eq_u16_e32 vcc, s14, v0
	s_mov_b64 s[24:25], -1
                                        ; implicit-def: $sgpr16_sgpr17
	s_and_saveexec_b64 s[14:15], vcc
; %bb.1388:
	s_mov_b32 s17, 0x7ff80000
	s_brev_b32 s16, 4
	s_xor_b64 s[24:25], exec, -1
; %bb.1389:
	s_or_b64 exec, exec, s[14:15]
	s_and_b64 s[14:15], s[24:25], exec
	s_or_saveexec_b64 s[18:19], s[18:19]
	v_pk_mov_b32 v[8:9], s[16:17], s[16:17] op_sel:[0,1]
	s_xor_b64 exec, exec, s[18:19]
	s_cbranch_execnz .LBB7_1410
.LBB7_1390:
	s_or_b64 exec, exec, s[18:19]
	s_and_saveexec_b64 s[16:17], s[14:15]
	s_cbranch_execz .LBB7_1392
.LBB7_1391:
	v_lshlrev_b32_e32 v3, 24, v0
	v_and_b32_e32 v0, 0xffff, v0
	v_and_b32_e32 v8, 3, v0
	v_ffbh_u32_e32 v11, v8
	v_min_u32_e32 v11, 32, v11
	v_subrev_u32_e32 v12, 29, v11
	v_bfe_u32 v9, v0, 2, 5
	v_lshlrev_b32_e32 v0, v12, v0
	v_sub_u32_e32 v11, 30, v11
	v_and_b32_e32 v0, 3, v0
	v_cmp_eq_u32_e32 vcc, 0, v9
	v_cndmask_b32_e32 v9, v9, v11, vcc
	v_cndmask_b32_e32 v0, v8, v0, vcc
	v_mov_b32_e32 v8, 0x37800000
	v_lshlrev_b32_e32 v0, 21, v0
	v_and_b32_e32 v3, 0x80000000, v3
	v_lshl_add_u32 v8, v9, 23, v8
	v_or3_b32 v0, v3, v8, v0
	v_cvt_f64_f32_e32 v[8:9], v0
.LBB7_1392:
	s_or_b64 exec, exec, s[16:17]
	s_mov_b64 s[14:15], 0
	s_branch .LBB7_1398
.LBB7_1393:
	s_mov_b64 s[14:15], -1
                                        ; implicit-def: $vgpr8_vgpr9
	s_branch .LBB7_1404
.LBB7_1394:
	s_or_saveexec_b64 s[24:25], s[24:25]
	v_pk_mov_b32 v[8:9], s[18:19], s[18:19] op_sel:[0,1]
	s_xor_b64 exec, exec, s[24:25]
	s_cbranch_execz .LBB7_1378
.LBB7_1395:
	v_cmp_ne_u16_e32 vcc, 0, v0
	s_andn2_b64 s[16:17], s[16:17], exec
	s_and_b64 s[18:19], vcc, exec
	v_pk_mov_b32 v[8:9], 0, 0
	s_or_b64 s[16:17], s[16:17], s[18:19]
	s_or_b64 exec, exec, s[24:25]
	s_and_saveexec_b64 s[18:19], s[16:17]
	s_cbranch_execnz .LBB7_1379
	s_branch .LBB7_1380
.LBB7_1396:
	s_mov_b64 s[14:15], -1
                                        ; implicit-def: $vgpr8_vgpr9
	s_branch .LBB7_1401
.LBB7_1397:
	s_mov_b64 s[14:15], -1
                                        ; implicit-def: $vgpr8_vgpr9
.LBB7_1398:
	s_and_b64 vcc, exec, s[14:15]
	s_cbranch_vccz .LBB7_1400
; %bb.1399:
	global_load_ubyte v0, v[6:7], off
	s_mov_b32 s14, 0x7f800000
	s_waitcnt vmcnt(0)
	v_lshlrev_b32_e32 v0, 24, v0
	v_and_b32_e32 v3, 0x7f000000, v0
	v_ffbh_u32_e32 v8, v3
	v_min_u32_e32 v8, 32, v8
	v_sub_u32_e64 v8, v8, 4 clamp
	v_lshlrev_b32_e32 v11, v8, v3
	v_lshlrev_b32_e32 v8, 23, v8
	v_lshrrev_b32_e32 v11, 4, v11
	v_add_u32_e32 v9, 0x1000000, v3
	v_sub_u32_e32 v8, v11, v8
	v_ashrrev_i32_e32 v9, 8, v9
	v_add_u32_e32 v8, 0x3c000000, v8
	v_and_or_b32 v8, v9, s14, v8
	v_cmp_ne_u32_e32 vcc, 0, v3
	v_cndmask_b32_e32 v3, 0, v8, vcc
	s_brev_b32 s14, 1
	v_and_or_b32 v0, v0, s14, v3
	v_cvt_f64_f32_e32 v[8:9], v0
.LBB7_1400:
	s_mov_b64 s[14:15], 0
.LBB7_1401:
	s_andn2_b64 vcc, exec, s[14:15]
	s_cbranch_vccnz .LBB7_1403
; %bb.1402:
	global_load_ubyte v0, v[6:7], off
	s_movk_i32 s14, 0x7f00
	s_brev_b32 s15, 16
	s_waitcnt vmcnt(0)
	v_lshlrev_b16_e32 v3, 8, v0
	v_lshlrev_b32_e32 v0, 25, v0
	v_lshrrev_b32_e32 v8, 4, v0
	v_and_or_b32 v9, v3, s14, 0.5
	v_or_b32_e32 v8, 0x70000000, v8
	v_add_f32_e32 v9, -0.5, v9
	v_mul_f32_e32 v8, 0x7800000, v8
	v_cmp_gt_u32_e32 vcc, s15, v0
	v_bfe_i32 v3, v3, 0, 16
	v_cndmask_b32_e32 v0, v8, v9, vcc
	s_brev_b32 s14, 1
	v_and_or_b32 v0, v3, s14, v0
	v_cvt_f64_f32_e32 v[8:9], v0
.LBB7_1403:
	s_mov_b64 s[14:15], 0
	s_mov_b64 s[16:17], -1
.LBB7_1404:
	s_andn2_b64 vcc, exec, s[14:15]
	s_mov_b64 s[14:15], 0
	s_cbranch_vccnz .LBB7_1415
; %bb.1405:
	v_cmp_lt_i16_e32 vcc, 14, v1
	s_cbranch_vccz .LBB7_1408
; %bb.1406:
	v_cmp_eq_u16_e32 vcc, 15, v1
	s_cbranch_vccz .LBB7_1411
; %bb.1407:
	global_load_ushort v0, v[6:7], off
	s_mov_b64 s[12:13], 0
	s_mov_b64 s[16:17], -1
	s_waitcnt vmcnt(0)
	v_lshlrev_b32_e32 v0, 16, v0
	v_cvt_f64_f32_e32 v[8:9], v0
	s_branch .LBB7_1412
.LBB7_1408:
	s_mov_b64 s[18:19], -1
                                        ; implicit-def: $vgpr8_vgpr9
	s_branch .LBB7_1413
.LBB7_1409:
	s_or_saveexec_b64 s[18:19], s[18:19]
	v_pk_mov_b32 v[8:9], s[16:17], s[16:17] op_sel:[0,1]
	s_xor_b64 exec, exec, s[18:19]
	s_cbranch_execz .LBB7_1390
.LBB7_1410:
	v_cmp_ne_u16_e32 vcc, 0, v0
	s_andn2_b64 s[14:15], s[14:15], exec
	s_and_b64 s[16:17], vcc, exec
	v_pk_mov_b32 v[8:9], 0, 0
	s_or_b64 s[14:15], s[14:15], s[16:17]
	s_or_b64 exec, exec, s[18:19]
	s_and_saveexec_b64 s[16:17], s[14:15]
	s_cbranch_execnz .LBB7_1391
	s_branch .LBB7_1392
.LBB7_1411:
	s_mov_b64 s[12:13], -1
                                        ; implicit-def: $vgpr8_vgpr9
.LBB7_1412:
	s_mov_b64 s[18:19], 0
.LBB7_1413:
	s_and_b64 vcc, exec, s[18:19]
	s_cbranch_vccz .LBB7_1415
; %bb.1414:
	v_cmp_ne_u16_e32 vcc, 11, v1
	s_andn2_b64 s[12:13], s[12:13], exec
	s_and_b64 s[18:19], vcc, exec
	s_mov_b64 s[14:15], -1
	s_or_b64 s[12:13], s[12:13], s[18:19]
                                        ; implicit-def: $vgpr8_vgpr9
.LBB7_1415:
	s_mov_b64 s[18:19], 0
.LBB7_1416:
	s_andn2_b64 s[24:25], s[38:39], exec
	s_and_b64 s[12:13], s[12:13], exec
	s_and_b64 s[16:17], s[16:17], exec
	;; [unrolled: 1-line block ×4, first 2 shown]
	s_or_b64 s[38:39], s[24:25], s[12:13]
	s_or_b64 exec, exec, s[0:1]
	s_and_saveexec_b64 s[0:1], s[38:39]
	s_cbranch_execz .LBB7_1345
.LBB7_1417:
	s_or_b64 s[10:11], s[10:11], exec
	s_andn2_b64 s[14:15], s[14:15], exec
	s_trap 2
                                        ; implicit-def: $vgpr8_vgpr9
	s_or_b64 exec, exec, s[0:1]
	s_and_saveexec_b64 s[0:1], s[14:15]
	s_xor_b64 s[0:1], exec, s[0:1]
	s_cbranch_execnz .LBB7_1346
.LBB7_1418:
	s_or_b64 exec, exec, s[0:1]
	s_and_saveexec_b64 s[0:1], s[18:19]
	s_cbranch_execz .LBB7_1464
.LBB7_1419:
	s_waitcnt vmcnt(0)
	v_cmp_gt_i16_e32 vcc, 5, v1
	s_cbranch_vccnz .LBB7_1424
; %bb.1420:
	v_cmp_gt_i16_e32 vcc, 8, v1
	s_cbranch_vccnz .LBB7_1425
; %bb.1421:
	;; [unrolled: 3-line block ×3, first 2 shown]
	v_cmp_lt_i16_e32 vcc, 9, v1
	s_cbranch_vccz .LBB7_1427
; %bb.1423:
	global_load_dwordx2 v[8:9], v[6:7], off
	s_mov_b64 s[12:13], 0
	s_branch .LBB7_1428
.LBB7_1424:
                                        ; implicit-def: $vgpr8_vgpr9
	s_branch .LBB7_1445
.LBB7_1425:
                                        ; implicit-def: $vgpr8_vgpr9
	s_branch .LBB7_1434
.LBB7_1426:
	s_mov_b64 s[12:13], -1
                                        ; implicit-def: $vgpr8_vgpr9
	s_branch .LBB7_1431
.LBB7_1427:
	s_mov_b64 s[12:13], -1
                                        ; implicit-def: $vgpr8_vgpr9
.LBB7_1428:
	s_andn2_b64 vcc, exec, s[12:13]
	s_cbranch_vccnz .LBB7_1430
; %bb.1429:
	global_load_dword v0, v[6:7], off
	s_waitcnt vmcnt(0)
	v_cvt_f64_f32_e32 v[8:9], v0
.LBB7_1430:
	s_mov_b64 s[12:13], 0
.LBB7_1431:
	s_andn2_b64 vcc, exec, s[12:13]
	s_cbranch_vccnz .LBB7_1433
; %bb.1432:
	global_load_dword v0, v[6:7], off
	s_waitcnt vmcnt(0)
	v_cvt_f32_f16_e32 v0, v0
	v_cvt_f64_f32_e32 v[8:9], v0
.LBB7_1433:
	s_cbranch_execnz .LBB7_1444
.LBB7_1434:
	v_cmp_gt_i16_e32 vcc, 6, v1
	s_cbranch_vccnz .LBB7_1437
; %bb.1435:
	v_cmp_lt_i16_e32 vcc, 6, v1
	s_cbranch_vccz .LBB7_1438
; %bb.1436:
	global_load_dwordx2 v[8:9], v[6:7], off
	s_mov_b64 s[12:13], 0
	s_branch .LBB7_1439
.LBB7_1437:
	s_mov_b64 s[12:13], -1
                                        ; implicit-def: $vgpr8_vgpr9
	s_branch .LBB7_1442
.LBB7_1438:
	s_mov_b64 s[12:13], -1
                                        ; implicit-def: $vgpr8_vgpr9
.LBB7_1439:
	s_andn2_b64 vcc, exec, s[12:13]
	s_cbranch_vccnz .LBB7_1441
; %bb.1440:
	global_load_dword v0, v[6:7], off
	s_waitcnt vmcnt(0)
	v_cvt_f64_f32_e32 v[8:9], v0
.LBB7_1441:
	s_mov_b64 s[12:13], 0
.LBB7_1442:
	s_andn2_b64 vcc, exec, s[12:13]
	s_cbranch_vccnz .LBB7_1444
; %bb.1443:
	global_load_ushort v0, v[6:7], off
	s_waitcnt vmcnt(0)
	v_cvt_f32_f16_e32 v0, v0
	v_cvt_f64_f32_e32 v[8:9], v0
.LBB7_1444:
	s_cbranch_execnz .LBB7_1463
.LBB7_1445:
	v_cmp_gt_i16_e32 vcc, 2, v1
	s_cbranch_vccnz .LBB7_1449
; %bb.1446:
	v_cmp_gt_i16_e32 vcc, 3, v1
	s_cbranch_vccnz .LBB7_1450
; %bb.1447:
	v_cmp_lt_i16_e32 vcc, 3, v1
	s_cbranch_vccz .LBB7_1451
; %bb.1448:
	global_load_dwordx2 v[8:9], v[6:7], off
	s_mov_b64 s[12:13], 0
	s_waitcnt vmcnt(0)
	v_cvt_f64_i32_e32 v[12:13], v9
	v_cvt_f64_u32_e32 v[8:9], v8
	v_ldexp_f64 v[12:13], v[12:13], 32
	v_add_f64 v[8:9], v[12:13], v[8:9]
	s_branch .LBB7_1452
.LBB7_1449:
                                        ; implicit-def: $vgpr8_vgpr9
	s_branch .LBB7_1458
.LBB7_1450:
	s_mov_b64 s[12:13], -1
                                        ; implicit-def: $vgpr8_vgpr9
	s_branch .LBB7_1455
.LBB7_1451:
	s_mov_b64 s[12:13], -1
                                        ; implicit-def: $vgpr8_vgpr9
.LBB7_1452:
	s_andn2_b64 vcc, exec, s[12:13]
	s_cbranch_vccnz .LBB7_1454
; %bb.1453:
	global_load_dword v0, v[6:7], off
	s_waitcnt vmcnt(0)
	v_cvt_f64_i32_e32 v[8:9], v0
.LBB7_1454:
	s_mov_b64 s[12:13], 0
.LBB7_1455:
	s_andn2_b64 vcc, exec, s[12:13]
	s_cbranch_vccnz .LBB7_1457
; %bb.1456:
	global_load_sshort v0, v[6:7], off
	s_waitcnt vmcnt(0)
	v_cvt_f64_i32_e32 v[8:9], v0
.LBB7_1457:
	s_cbranch_execnz .LBB7_1463
.LBB7_1458:
	v_cmp_lt_i16_e32 vcc, 0, v1
	s_cbranch_vccz .LBB7_1460
; %bb.1459:
	global_load_sbyte v0, v[6:7], off
	s_mov_b64 s[12:13], 0
	s_waitcnt vmcnt(0)
	v_cvt_f64_i32_e32 v[8:9], v0
	s_branch .LBB7_1461
.LBB7_1460:
	s_mov_b64 s[12:13], -1
                                        ; implicit-def: $vgpr8_vgpr9
.LBB7_1461:
	s_andn2_b64 vcc, exec, s[12:13]
	s_cbranch_vccnz .LBB7_1463
; %bb.1462:
	global_load_ubyte v0, v[6:7], off
	s_waitcnt vmcnt(0)
	v_cvt_f64_u32_e32 v[8:9], v0
.LBB7_1463:
	s_or_b64 s[16:17], s[16:17], exec
.LBB7_1464:
	s_or_b64 exec, exec, s[0:1]
	s_mov_b64 s[18:19], 0
	s_mov_b64 s[14:15], 0
                                        ; implicit-def: $vgpr11
                                        ; implicit-def: $vgpr6_vgpr7
                                        ; implicit-def: $vgpr0_vgpr1
	s_and_saveexec_b64 s[12:13], s[16:17]
	s_cbranch_execz .LBB7_1539
; %bb.1465:
	s_waitcnt vmcnt(0)
	v_div_scale_f64 v[0:1], s[0:1], v[8:9], v[8:9], v[4:5]
	v_rcp_f64_e32 v[6:7], v[0:1]
	v_div_scale_f64 v[12:13], vcc, v[4:5], v[8:9], v[4:5]
	s_mov_b32 s0, 0
	v_fma_f64 v[14:15], -v[0:1], v[6:7], 1.0
	v_fmac_f64_e32 v[6:7], v[6:7], v[14:15]
	v_fma_f64 v[14:15], -v[0:1], v[6:7], 1.0
	v_fmac_f64_e32 v[6:7], v[6:7], v[14:15]
	v_mul_f64 v[14:15], v[12:13], v[6:7]
	v_fma_f64 v[0:1], -v[0:1], v[14:15], v[12:13]
	v_div_fmas_f64 v[0:1], v[0:1], v[6:7], v[14:15]
	v_div_fixup_f64 v[0:1], v[0:1], v[8:9], v[4:5]
	s_mov_b32 s1, 0x100000
	v_mov_b32_e32 v3, 0x100000
	v_cmp_ngt_f64_e32 vcc, s[0:1], v[0:1]
	s_mov_b32 s0, -2
	v_cndmask_b32_e32 v1, v3, v1, vcc
	v_cndmask_b32_e32 v0, 0, v0, vcc
	s_mov_b32 s1, 0x3fefffff
	v_mov_b32_e32 v3, 0x3fefffff
	v_cmp_nlt_f64_e32 vcc, s[0:1], v[0:1]
	v_cndmask_b32_e32 v1, v3, v1, vcc
	v_cndmask_b32_e32 v0, -2, v0, vcc
	v_mov_b32_e32 v3, s9
	v_add_co_u32_e32 v6, vcc, s8, v2
	v_addc_co_u32_e32 v7, vcc, 0, v3, vcc
	v_and_b32_e32 v11, 0xff, v10
	v_cmp_gt_i16_e32 vcc, 11, v11
	s_cbranch_vccnz .LBB7_1542
; %bb.1466:
	v_cmp_lt_i16_e32 vcc, 25, v11
	s_mov_b64 s[14:15], -1
	s_mov_b64 s[0:1], s[36:37]
	s_cbranch_vccz .LBB7_1499
; %bb.1467:
	v_cmp_lt_i16_e32 vcc, 28, v11
	s_mov_b64 s[8:9], -1
	s_mov_b64 s[0:1], s[36:37]
	s_cbranch_vccz .LBB7_1483
; %bb.1468:
	v_cmp_lt_i16_e32 vcc, 43, v11
	s_mov_b64 s[0:1], s[36:37]
	s_cbranch_vccz .LBB7_1479
; %bb.1469:
	v_cmp_lt_i16_e32 vcc, 45, v11
	s_mov_b64 s[0:1], s[36:37]
	s_cbranch_vccz .LBB7_1473
; %bb.1470:
	v_cmp_eq_u16_e32 vcc, 46, v11
	s_mov_b64 s[0:1], -1
	s_cbranch_vccz .LBB7_1472
; %bb.1471:
	v_cvt_f32_f64_e32 v2, v[0:1]
	v_bfe_u32 v3, v2, 16, 1
	s_movk_i32 s0, 0x7fff
	v_add3_u32 v3, v2, v3, s0
	v_lshrrev_b32_e32 v3, 16, v3
	v_mov_b32_e32 v4, 0x7fc0
	v_cmp_o_f32_e32 vcc, v2, v2
	v_cndmask_b32_e32 v2, v4, v3, vcc
	global_store_dword v[6:7], v2, off
	s_mov_b64 s[0:1], 0
.LBB7_1472:
	s_mov_b64 s[8:9], 0
.LBB7_1473:
	s_and_b64 vcc, exec, s[8:9]
	s_cbranch_vccz .LBB7_1478
; %bb.1474:
	v_cmp_eq_u16_e32 vcc, 44, v11
	s_mov_b64 s[0:1], -1
	s_cbranch_vccz .LBB7_1478
; %bb.1475:
	v_cvt_f32_f64_e32 v2, v[0:1]
	v_bfe_u32 v3, v2, 23, 8
	s_movk_i32 s0, 0xff
	v_cmp_ne_u32_e32 vcc, s0, v3
	v_mov_b32_e32 v4, 0xff
	s_and_saveexec_b64 s[8:9], vcc
; %bb.1476:
	s_mov_b32 s0, 0x3fffff
	v_lshrrev_b32_e32 v4, 23, v2
	v_and_b32_e32 v5, 0x400000, v2
	v_and_or_b32 v2, v2, s0, v3
	v_cmp_ne_u32_e32 vcc, 0, v5
	v_cmp_ne_u32_e64 s[0:1], 0, v2
	s_and_b64 s[0:1], vcc, s[0:1]
	v_cndmask_b32_e64 v2, 0, 1, s[0:1]
	v_add_u32_e32 v4, v4, v2
; %bb.1477:
	s_or_b64 exec, exec, s[8:9]
	s_mov_b64 s[0:1], 0
	global_store_byte v[6:7], v4, off
.LBB7_1478:
	s_mov_b64 s[8:9], 0
.LBB7_1479:
	s_and_b64 vcc, exec, s[8:9]
	s_cbranch_vccz .LBB7_1482
; %bb.1480:
	v_cmp_eq_u16_e32 vcc, 29, v11
	s_mov_b64 s[0:1], -1
	s_cbranch_vccz .LBB7_1482
; %bb.1481:
	v_trunc_f64_e32 v[2:3], v[0:1]
	s_movk_i32 s0, 0xffe0
	v_ldexp_f64 v[4:5], v[2:3], s0
	v_floor_f64_e32 v[4:5], v[4:5]
	v_fmac_f64_e32 v[2:3], 0xc1f00000, v[4:5]
	v_cvt_u32_f64_e32 v9, v[4:5]
	v_cvt_u32_f64_e32 v8, v[2:3]
	global_store_dwordx2 v[6:7], v[8:9], off
	s_mov_b64 s[0:1], 0
.LBB7_1482:
	s_mov_b64 s[8:9], 0
.LBB7_1483:
	s_and_b64 vcc, exec, s[8:9]
	s_cbranch_vccz .LBB7_1498
; %bb.1484:
	v_cmp_gt_i16_e32 vcc, 27, v11
	s_mov_b64 s[8:9], -1
	s_cbranch_vccnz .LBB7_1490
; %bb.1485:
	v_cmp_lt_i16_e32 vcc, 27, v11
	s_cbranch_vccz .LBB7_1487
; %bb.1486:
	v_cvt_u32_f64_e32 v2, v[0:1]
	s_mov_b64 s[8:9], 0
	global_store_dword v[6:7], v2, off
.LBB7_1487:
	s_andn2_b64 vcc, exec, s[8:9]
	s_cbranch_vccnz .LBB7_1489
; %bb.1488:
	v_cvt_u32_f64_e32 v2, v[0:1]
	global_store_short v[6:7], v2, off
.LBB7_1489:
	s_mov_b64 s[8:9], 0
.LBB7_1490:
	s_andn2_b64 vcc, exec, s[8:9]
	s_cbranch_vccnz .LBB7_1498
; %bb.1491:
	v_cvt_f32_f64_e32 v2, v[0:1]
	v_and_b32_e32 v3, 0x7fffffff, v2
	s_mov_b32 s8, 0x43800000
	v_cmp_gt_u32_e32 vcc, s8, v3
	v_mov_b32_e32 v4, 0x80
	s_and_saveexec_b64 s[8:9], vcc
	s_cbranch_execz .LBB7_1497
; %bb.1492:
	s_mov_b32 s14, 0x3bffffff
	v_cmp_lt_u32_e32 vcc, s14, v3
	s_mov_b64 s[14:15], 0
                                        ; implicit-def: $vgpr3
	s_and_saveexec_b64 s[16:17], vcc
	s_xor_b64 s[16:17], exec, s[16:17]
	s_cbranch_execz .LBB7_1639
; %bb.1493:
	v_bfe_u32 v3, v2, 20, 1
	s_mov_b32 s18, 0x487ffff
	v_add3_u32 v3, v2, v3, s18
	s_mov_b64 s[14:15], exec
	v_lshrrev_b32_e32 v3, 20, v3
	s_or_saveexec_b64 s[16:17], s[16:17]
                                        ; implicit-def: $sgpr18
	s_xor_b64 exec, exec, s[16:17]
	s_cbranch_execnz .LBB7_1640
.LBB7_1494:
	s_or_b64 exec, exec, s[16:17]
	v_mov_b32_e32 v4, s18
	s_and_saveexec_b64 s[16:17], s[14:15]
.LBB7_1495:
	v_lshrrev_b32_e32 v2, 24, v2
	s_movk_i32 s14, 0x80
	v_and_or_b32 v4, v2, s14, v3
.LBB7_1496:
	s_or_b64 exec, exec, s[16:17]
.LBB7_1497:
	s_or_b64 exec, exec, s[8:9]
	global_store_byte v[6:7], v4, off
.LBB7_1498:
	s_mov_b64 s[14:15], 0
.LBB7_1499:
	s_mov_b64 s[8:9], 0
	s_and_b64 vcc, exec, s[14:15]
	s_cbranch_vccz .LBB7_1543
; %bb.1500:
	v_cmp_lt_i16_e32 vcc, 22, v11
	s_mov_b64 s[14:15], -1
	s_cbranch_vccz .LBB7_1532
; %bb.1501:
	v_cmp_gt_i16_e32 vcc, 24, v11
	s_cbranch_vccnz .LBB7_1521
; %bb.1502:
	v_cmp_lt_i16_e32 vcc, 24, v11
	s_cbranch_vccz .LBB7_1510
; %bb.1503:
	v_cvt_f32_f64_e32 v2, v[0:1]
	v_and_b32_e32 v3, 0x7fffffff, v2
	s_mov_b32 s14, 0x47800000
	v_cmp_gt_u32_e32 vcc, s14, v3
	v_mov_b32_e32 v4, 0x80
	s_and_saveexec_b64 s[14:15], vcc
	s_cbranch_execz .LBB7_1509
; %bb.1504:
	s_mov_b32 s16, 0x37ffffff
	v_cmp_lt_u32_e32 vcc, s16, v3
	s_mov_b64 s[16:17], 0
                                        ; implicit-def: $vgpr3
	s_and_saveexec_b64 s[18:19], vcc
	s_xor_b64 s[18:19], exec, s[18:19]
	s_cbranch_execz .LBB7_1764
; %bb.1505:
	v_bfe_u32 v3, v2, 21, 1
	s_mov_b32 s24, 0x88fffff
	v_add3_u32 v3, v2, v3, s24
	s_mov_b64 s[16:17], exec
	v_lshrrev_b32_e32 v3, 21, v3
	s_or_saveexec_b64 s[18:19], s[18:19]
                                        ; implicit-def: $sgpr24
	s_xor_b64 exec, exec, s[18:19]
	s_cbranch_execnz .LBB7_1765
.LBB7_1506:
	s_or_b64 exec, exec, s[18:19]
	v_mov_b32_e32 v4, s24
	s_and_saveexec_b64 s[18:19], s[16:17]
.LBB7_1507:
	v_lshrrev_b32_e32 v2, 24, v2
	s_movk_i32 s16, 0x80
	v_and_or_b32 v4, v2, s16, v3
.LBB7_1508:
	s_or_b64 exec, exec, s[18:19]
.LBB7_1509:
	s_or_b64 exec, exec, s[14:15]
	s_mov_b64 s[14:15], 0
	global_store_byte v[6:7], v4, off
.LBB7_1510:
	s_and_b64 vcc, exec, s[14:15]
	s_cbranch_vccz .LBB7_1520
; %bb.1511:
	v_cvt_f32_f64_e32 v2, v[0:1]
	v_and_b32_e32 v4, 0x7fffffff, v2
	s_mov_b32 s14, 0x43f00000
	v_cmp_gt_u32_e32 vcc, s14, v4
                                        ; implicit-def: $vgpr3
	s_and_saveexec_b64 s[14:15], vcc
	s_xor_b64 s[14:15], exec, s[14:15]
	s_cbranch_execz .LBB7_1517
; %bb.1512:
	s_mov_b32 s16, 0x3c7fffff
	v_cmp_lt_u32_e32 vcc, s16, v4
                                        ; implicit-def: $vgpr3
	s_and_saveexec_b64 s[16:17], vcc
	s_xor_b64 s[16:17], exec, s[16:17]
; %bb.1513:
	v_bfe_u32 v3, v2, 20, 1
	s_mov_b32 s18, 0x407ffff
	v_add3_u32 v3, v2, v3, s18
	v_lshrrev_b32_e32 v4, 20, v3
	v_and_b32_e32 v3, 0xff00000, v3
	s_mov_b32 s18, 0x7f00000
	v_mov_b32_e32 v5, 0x7e
	v_cmp_ne_u32_e32 vcc, s18, v3
	v_cndmask_b32_e32 v3, v5, v4, vcc
; %bb.1514:
	s_andn2_saveexec_b64 s[16:17], s[16:17]
; %bb.1515:
	s_mov_b32 s18, 0x46800000
	v_add_f32_e64 v3, |v2|, s18
; %bb.1516:
	s_or_b64 exec, exec, s[16:17]
                                        ; implicit-def: $vgpr4
.LBB7_1517:
	s_andn2_saveexec_b64 s[14:15], s[14:15]
; %bb.1518:
	s_mov_b32 s16, 0x7f800000
	v_mov_b32_e32 v3, 0x7e
	v_mov_b32_e32 v5, 0x7f
	v_cmp_lt_u32_e32 vcc, s16, v4
	v_cndmask_b32_e32 v3, v3, v5, vcc
; %bb.1519:
	s_or_b64 exec, exec, s[14:15]
	v_lshrrev_b32_e32 v2, 24, v2
	s_movk_i32 s14, 0x80
	v_and_or_b32 v2, v2, s14, v3
	global_store_byte v[6:7], v2, off
.LBB7_1520:
	s_mov_b64 s[14:15], 0
.LBB7_1521:
	s_andn2_b64 vcc, exec, s[14:15]
	s_cbranch_vccnz .LBB7_1531
; %bb.1522:
	v_cvt_f32_f64_e32 v2, v[0:1]
	v_and_b32_e32 v4, 0x7fffffff, v2
	s_mov_b32 s14, 0x47800000
	v_cmp_gt_u32_e32 vcc, s14, v4
                                        ; implicit-def: $vgpr3
	s_and_saveexec_b64 s[14:15], vcc
	s_xor_b64 s[14:15], exec, s[14:15]
	s_cbranch_execz .LBB7_1528
; %bb.1523:
	s_mov_b32 s16, 0x387fffff
	v_cmp_lt_u32_e32 vcc, s16, v4
                                        ; implicit-def: $vgpr3
	s_and_saveexec_b64 s[16:17], vcc
	s_xor_b64 s[16:17], exec, s[16:17]
; %bb.1524:
	v_bfe_u32 v3, v2, 21, 1
	s_mov_b32 s18, 0x80fffff
	v_add3_u32 v3, v2, v3, s18
	v_lshrrev_b32_e32 v3, 21, v3
; %bb.1525:
	s_andn2_saveexec_b64 s[16:17], s[16:17]
; %bb.1526:
	s_mov_b32 s18, 0x43000000
	v_add_f32_e64 v3, |v2|, s18
; %bb.1527:
	s_or_b64 exec, exec, s[16:17]
                                        ; implicit-def: $vgpr4
.LBB7_1528:
	s_andn2_saveexec_b64 s[14:15], s[14:15]
; %bb.1529:
	s_mov_b32 s16, 0x7f800000
	v_mov_b32_e32 v3, 0x7c
	v_mov_b32_e32 v5, 0x7f
	v_cmp_lt_u32_e32 vcc, s16, v4
	v_cndmask_b32_e32 v3, v3, v5, vcc
; %bb.1530:
	s_or_b64 exec, exec, s[14:15]
	v_lshrrev_b32_e32 v2, 24, v2
	s_movk_i32 s14, 0x80
	v_and_or_b32 v2, v2, s14, v3
	global_store_byte v[6:7], v2, off
.LBB7_1531:
	s_mov_b64 s[14:15], 0
.LBB7_1532:
	s_andn2_b64 vcc, exec, s[14:15]
	s_mov_b64 s[16:17], 0
	s_cbranch_vccnz .LBB7_1544
; %bb.1533:
	v_cmp_lt_i16_e32 vcc, 14, v11
	s_mov_b64 s[14:15], -1
	s_cbranch_vccz .LBB7_1537
; %bb.1534:
	v_cmp_eq_u16_e32 vcc, 15, v11
	s_mov_b64 s[0:1], -1
	s_cbranch_vccz .LBB7_1536
; %bb.1535:
	v_cvt_f32_f64_e32 v2, v[0:1]
	v_bfe_u32 v3, v2, 16, 1
	s_movk_i32 s0, 0x7fff
	v_add3_u32 v3, v2, v3, s0
	v_lshrrev_b32_e32 v3, 16, v3
	v_mov_b32_e32 v4, 0x7fc0
	v_cmp_o_f32_e32 vcc, v2, v2
	v_cndmask_b32_e32 v2, v4, v3, vcc
	global_store_short v[6:7], v2, off
	s_mov_b64 s[0:1], 0
.LBB7_1536:
	s_mov_b64 s[14:15], 0
.LBB7_1537:
	s_and_b64 vcc, exec, s[14:15]
	s_cbranch_vccz .LBB7_1544
; %bb.1538:
	v_cmp_ne_u16_e32 vcc, 11, v11
	s_andn2_b64 s[0:1], s[0:1], exec
	s_and_b64 s[14:15], vcc, exec
	s_mov_b64 s[16:17], -1
	s_or_b64 s[0:1], s[0:1], s[14:15]
	s_branch .LBB7_1544
.LBB7_1539:
	s_or_b64 exec, exec, s[12:13]
	s_and_saveexec_b64 s[0:1], s[36:37]
	s_cbranch_execnz .LBB7_1545
.LBB7_1540:
	s_or_b64 exec, exec, s[0:1]
	s_and_saveexec_b64 s[0:1], s[18:19]
	s_xor_b64 s[0:1], exec, s[0:1]
	s_cbranch_execz .LBB7_1546
.LBB7_1541:
	v_mov_b32_e32 v2, 1
	s_waitcnt vmcnt(0)
	global_store_byte v[6:7], v2, off
	s_or_b64 exec, exec, s[0:1]
	s_and_saveexec_b64 s[0:1], s[14:15]
	s_xor_b64 s[0:1], exec, s[0:1]
	s_cbranch_execz .LBB7_1584
	s_branch .LBB7_1547
.LBB7_1542:
	s_mov_b64 s[16:17], 0
	s_mov_b64 s[8:9], -1
	s_mov_b64 s[0:1], s[36:37]
	s_branch .LBB7_1544
.LBB7_1543:
	s_mov_b64 s[16:17], 0
.LBB7_1544:
	s_and_b64 s[14:15], s[8:9], exec
	s_andn2_b64 s[8:9], s[36:37], exec
	s_and_b64 s[0:1], s[0:1], exec
	s_and_b64 s[18:19], s[16:17], exec
	s_or_b64 s[36:37], s[8:9], s[0:1]
	s_or_b64 exec, exec, s[12:13]
	s_and_saveexec_b64 s[0:1], s[36:37]
	s_cbranch_execz .LBB7_1540
.LBB7_1545:
	s_or_b64 s[10:11], s[10:11], exec
	s_andn2_b64 s[18:19], s[18:19], exec
	s_trap 2
	s_or_b64 exec, exec, s[0:1]
	s_and_saveexec_b64 s[0:1], s[18:19]
	s_xor_b64 s[0:1], exec, s[0:1]
	s_cbranch_execnz .LBB7_1541
.LBB7_1546:
	s_or_b64 exec, exec, s[0:1]
	s_and_saveexec_b64 s[0:1], s[14:15]
	s_xor_b64 s[0:1], exec, s[0:1]
	s_cbranch_execz .LBB7_1584
.LBB7_1547:
	s_waitcnt vmcnt(0)
	v_cmp_gt_i16_e32 vcc, 5, v11
	s_mov_b64 s[8:9], -1
	s_cbranch_vccnz .LBB7_1568
; %bb.1548:
	v_cmp_gt_i16_e32 vcc, 8, v11
	s_cbranch_vccnz .LBB7_1558
; %bb.1549:
	v_cmp_gt_i16_e32 vcc, 9, v11
	s_cbranch_vccnz .LBB7_1555
; %bb.1550:
	v_cmp_lt_i16_e32 vcc, 9, v11
	s_cbranch_vccz .LBB7_1552
; %bb.1551:
	v_mov_b32_e32 v2, 0
	v_mov_b32_e32 v3, v2
	s_mov_b64 s[8:9], 0
	global_store_dwordx4 v[6:7], v[0:3], off
.LBB7_1552:
	s_andn2_b64 vcc, exec, s[8:9]
	s_cbranch_vccnz .LBB7_1554
; %bb.1553:
	v_cvt_f32_f64_e32 v2, v[0:1]
	v_mov_b32_e32 v3, 0
	global_store_dwordx2 v[6:7], v[2:3], off
.LBB7_1554:
	s_mov_b64 s[8:9], 0
.LBB7_1555:
	s_andn2_b64 vcc, exec, s[8:9]
	s_cbranch_vccnz .LBB7_1557
; %bb.1556:
	v_cvt_f32_f64_e32 v2, v[0:1]
	v_cvt_f16_f32_e32 v2, v2
	global_store_dword v[6:7], v2, off
.LBB7_1557:
	s_mov_b64 s[8:9], 0
.LBB7_1558:
	s_andn2_b64 vcc, exec, s[8:9]
	s_cbranch_vccnz .LBB7_1567
; %bb.1559:
	v_cmp_gt_i16_e32 vcc, 6, v11
	s_mov_b64 s[8:9], -1
	s_cbranch_vccnz .LBB7_1565
; %bb.1560:
	v_cmp_lt_i16_e32 vcc, 6, v11
	s_cbranch_vccz .LBB7_1562
; %bb.1561:
	s_mov_b64 s[8:9], 0
	global_store_dwordx2 v[6:7], v[0:1], off
.LBB7_1562:
	s_andn2_b64 vcc, exec, s[8:9]
	s_cbranch_vccnz .LBB7_1564
; %bb.1563:
	v_cvt_f32_f64_e32 v2, v[0:1]
	global_store_dword v[6:7], v2, off
.LBB7_1564:
	s_mov_b64 s[8:9], 0
.LBB7_1565:
	s_andn2_b64 vcc, exec, s[8:9]
	s_cbranch_vccnz .LBB7_1567
; %bb.1566:
	v_cvt_f32_f64_e32 v2, v[0:1]
	v_cvt_f16_f32_e32 v2, v2
	global_store_short v[6:7], v2, off
.LBB7_1567:
	s_mov_b64 s[8:9], 0
.LBB7_1568:
	s_andn2_b64 vcc, exec, s[8:9]
	s_cbranch_vccnz .LBB7_1584
; %bb.1569:
	v_cmp_gt_i16_e32 vcc, 2, v11
	s_mov_b64 s[8:9], -1
	s_cbranch_vccnz .LBB7_1579
; %bb.1570:
	v_cmp_gt_i16_e32 vcc, 3, v11
	s_cbranch_vccnz .LBB7_1576
; %bb.1571:
	v_cmp_lt_i16_e32 vcc, 3, v11
	s_cbranch_vccz .LBB7_1573
; %bb.1572:
	v_trunc_f64_e32 v[2:3], v[0:1]
	s_movk_i32 s8, 0xffe0
	v_ldexp_f64 v[4:5], v[2:3], s8
	v_floor_f64_e32 v[4:5], v[4:5]
	v_fmac_f64_e32 v[2:3], 0xc1f00000, v[4:5]
	v_cvt_i32_f64_e32 v9, v[4:5]
	v_cvt_u32_f64_e32 v8, v[2:3]
	s_mov_b64 s[8:9], 0
	global_store_dwordx2 v[6:7], v[8:9], off
.LBB7_1573:
	s_andn2_b64 vcc, exec, s[8:9]
	s_cbranch_vccnz .LBB7_1575
; %bb.1574:
	v_cvt_i32_f64_e32 v2, v[0:1]
	global_store_dword v[6:7], v2, off
.LBB7_1575:
	s_mov_b64 s[8:9], 0
.LBB7_1576:
	s_andn2_b64 vcc, exec, s[8:9]
	s_cbranch_vccnz .LBB7_1578
; %bb.1577:
	v_cvt_i32_f64_e32 v2, v[0:1]
	global_store_short v[6:7], v2, off
.LBB7_1578:
	s_mov_b64 s[8:9], 0
.LBB7_1579:
	s_andn2_b64 vcc, exec, s[8:9]
	s_cbranch_vccnz .LBB7_1584
; %bb.1580:
	v_cmp_lt_i16_e32 vcc, 0, v11
	s_mov_b64 s[8:9], -1
	s_cbranch_vccz .LBB7_1582
; %bb.1581:
	v_cvt_i32_f64_e32 v2, v[0:1]
	s_mov_b64 s[8:9], 0
	global_store_byte v[6:7], v2, off
.LBB7_1582:
	s_andn2_b64 vcc, exec, s[8:9]
	s_cbranch_vccnz .LBB7_1584
; %bb.1583:
	v_trunc_f64_e32 v[0:1], v[0:1]
	s_movk_i32 s8, 0xffe0
	v_ldexp_f64 v[2:3], v[0:1], s8
	v_floor_f64_e32 v[2:3], v[2:3]
	v_fmac_f64_e32 v[0:1], 0xc1f00000, v[2:3]
	v_cvt_u32_f64_e32 v0, v[0:1]
	global_store_byte v[6:7], v0, off
.LBB7_1584:
	s_or_b64 exec, exec, s[0:1]
	s_and_b64 s[12:13], s[10:11], exec
                                        ; implicit-def: $vgpr24
                                        ; implicit-def: $vgpr16
.LBB7_1585:
	s_or_saveexec_b64 s[14:15], s[22:23]
	s_mov_b64 s[0:1], 0
                                        ; implicit-def: $vgpr4_vgpr5
                                        ; implicit-def: $vgpr6
                                        ; implicit-def: $vgpr0_vgpr1
	s_xor_b64 exec, exec, s[14:15]
	s_cbranch_execz .LBB7_3115
; %bb.1586:
	s_waitcnt vmcnt(0)
	v_cndmask_b32_e64 v0, 0, 1, s[20:21]
	v_cmp_ne_u32_e64 s[0:1], 1, v0
	s_andn2_b64 vcc, exec, s[20:21]
	s_cbranch_vccnz .LBB7_1592
; %bb.1587:
	s_cmp_lg_u32 s33, 0
	v_mov_b32_e32 v12, 0
	v_mov_b32_e32 v0, 0
	;; [unrolled: 1-line block ×3, first 2 shown]
	s_cbranch_scc0 .LBB7_1593
; %bb.1588:
	s_min_u32 s8, s68, 15
	s_add_i32 s6, s8, 1
	s_and_b32 s9, s6, 30
	s_add_u32 s6, s2, 0xffffffec
	s_addc_u32 s7, s3, -1
	v_mov_b32_e32 v2, 0
	v_mov_b32_e32 v1, v16
	;; [unrolled: 1-line block ×4, first 2 shown]
.LBB7_1589:                             ; =>This Inner Loop Header: Depth=1
	s_mov_b64 s[10:11], s[6:7]
	s_load_dwordx4 s[16:19], s[10:11], 0x18
	s_load_dwordx2 s[24:25], s[10:11], 0x28
	s_load_dwordx2 s[26:27], s[10:11], 0xe8
	s_load_dwordx4 s[20:23], s[10:11], 0xd8
	s_add_u32 s6, s10, 24
	s_waitcnt lgkmcnt(0)
	v_mul_hi_u32 v3, s17, v1
	v_add_u32_e32 v3, v1, v3
	v_lshrrev_b32_e32 v3, s18, v3
	v_mul_lo_u32 v4, v3, s16
	v_mul_hi_u32 v5, s24, v3
	v_sub_u32_e32 v1, v1, v4
	v_add_u32_e32 v4, v3, v5
	v_mul_lo_u32 v5, v1, s20
	v_mul_lo_u32 v6, v1, s21
	;; [unrolled: 1-line block ×3, first 2 shown]
	v_lshrrev_b32_e32 v1, s25, v4
	v_mul_lo_u32 v4, v1, s19
	v_sub_u32_e32 v3, v3, v4
	s_addc_u32 s7, s11, 0
	s_add_i32 s9, s9, -2
	v_mul_lo_u32 v4, v3, s23
	v_mul_lo_u32 v8, v3, s26
	;; [unrolled: 1-line block ×3, first 2 shown]
	s_cmp_lg_u32 s9, 0
	v_add3_u32 v2, v5, v2, v4
	v_add3_u32 v12, v7, v12, v3
	;; [unrolled: 1-line block ×3, first 2 shown]
	s_cbranch_scc1 .LBB7_1589
; %bb.1590:
	s_bitcmp1_b32 s8, 0
	s_cselect_b64 s[8:9], -1, 0
	s_and_b64 vcc, exec, s[8:9]
	s_cbranch_vccnz .LBB7_1593
; %bb.1591:
	s_load_dwordx2 s[8:9], s[6:7], 0x18
	s_load_dword s16, s[6:7], 0x20
	s_load_dword s17, s[6:7], 0xe0
	s_load_dwordx2 s[10:11], s[6:7], 0xd8
	s_waitcnt lgkmcnt(0)
	v_mul_hi_u32 v3, s9, v1
	v_add_u32_e32 v3, v1, v3
	v_lshrrev_b32_e32 v3, s16, v3
	v_mul_lo_u32 v3, v3, s8
	v_sub_u32_e32 v4, v1, v3
	v_mad_u64_u32 v[2:3], s[6:7], v4, s10, v[2:3]
	v_mad_u64_u32 v[0:1], s[6:7], v4, s11, v[0:1]
	;; [unrolled: 1-line block ×3, first 2 shown]
	s_cbranch_execz .LBB7_1594
	s_branch .LBB7_1596
.LBB7_1592:
                                        ; implicit-def: $vgpr12
                                        ; implicit-def: $vgpr0
                                        ; implicit-def: $vgpr2
	s_branch .LBB7_1594
.LBB7_1593:
	s_cbranch_execnz .LBB7_1596
.LBB7_1594:
	s_load_dwordx4 s[8:11], s[2:3], 0x4
	s_load_dwordx4 s[16:19], s[2:3], 0xc4
	s_cmp_lt_u32 s33, 2
	s_waitcnt lgkmcnt(0)
	v_mul_hi_u32 v0, s9, v16
	v_add_u32_e32 v0, v16, v0
	v_lshrrev_b32_e32 v1, s10, v0
	v_mul_lo_u32 v0, v1, s8
	v_sub_u32_e32 v0, v16, v0
	v_mul_lo_u32 v2, v0, s16
	v_mul_lo_u32 v12, v0, s18
	;; [unrolled: 1-line block ×3, first 2 shown]
	s_cbranch_scc1 .LBB7_1596
; %bb.1595:
	s_load_dwordx4 s[8:11], s[2:3], 0x10
	s_load_dwordx4 s[16:19], s[2:3], 0xd0
	s_waitcnt lgkmcnt(0)
	v_mul_hi_u32 v3, s9, v1
	v_add_u32_e32 v3, v1, v3
	v_lshrrev_b32_e32 v3, s10, v3
	v_mul_lo_u32 v3, v3, s8
	v_sub_u32_e32 v4, v1, v3
	v_mad_u64_u32 v[2:3], s[6:7], v4, s16, v[2:3]
	v_mad_u64_u32 v[0:1], s[6:7], v4, s17, v[0:1]
	;; [unrolled: 1-line block ×3, first 2 shown]
.LBB7_1596:
	s_and_b64 vcc, exec, s[0:1]
	v_add_u32_e32 v1, 0x80, v16
	s_cbranch_vccnz .LBB7_1602
; %bb.1597:
	s_cmp_lg_u32 s33, 0
	v_mov_b32_e32 v18, 0
	v_mov_b32_e32 v14, 0
	v_mov_b32_e32 v8, 0
	s_cbranch_scc0 .LBB7_1603
; %bb.1598:
	s_min_u32 s8, s68, 15
	s_add_i32 s6, s8, 1
	s_and_b32 s9, s6, 30
	s_add_u32 s6, s2, 0xffffffec
	s_addc_u32 s7, s3, -1
	v_mov_b32_e32 v8, 0
	v_mov_b32_e32 v3, v1
	;; [unrolled: 1-line block ×4, first 2 shown]
.LBB7_1599:                             ; =>This Inner Loop Header: Depth=1
	s_mov_b64 s[10:11], s[6:7]
	s_load_dwordx4 s[16:19], s[10:11], 0x18
	s_load_dwordx2 s[24:25], s[10:11], 0x28
	s_load_dwordx2 s[26:27], s[10:11], 0xe8
	s_load_dwordx4 s[20:23], s[10:11], 0xd8
	s_add_u32 s6, s10, 24
	s_waitcnt lgkmcnt(0)
	v_mul_hi_u32 v4, s17, v3
	v_add_u32_e32 v4, v3, v4
	v_lshrrev_b32_e32 v4, s18, v4
	v_mul_lo_u32 v5, v4, s16
	v_mul_hi_u32 v6, s24, v4
	v_sub_u32_e32 v3, v3, v5
	v_add_u32_e32 v5, v4, v6
	v_mul_lo_u32 v6, v3, s20
	v_mul_lo_u32 v7, v3, s21
	;; [unrolled: 1-line block ×3, first 2 shown]
	v_lshrrev_b32_e32 v3, s25, v5
	v_mul_lo_u32 v5, v3, s19
	v_sub_u32_e32 v4, v4, v5
	s_addc_u32 s7, s11, 0
	s_add_i32 s9, s9, -2
	v_mul_lo_u32 v5, v4, s23
	v_mul_lo_u32 v10, v4, s26
	;; [unrolled: 1-line block ×3, first 2 shown]
	s_cmp_lg_u32 s9, 0
	v_add3_u32 v8, v6, v8, v5
	v_add3_u32 v18, v9, v18, v4
	;; [unrolled: 1-line block ×3, first 2 shown]
	s_cbranch_scc1 .LBB7_1599
; %bb.1600:
	s_bitcmp1_b32 s8, 0
	s_cselect_b64 s[8:9], -1, 0
	s_and_b64 vcc, exec, s[8:9]
	s_cbranch_vccnz .LBB7_1603
; %bb.1601:
	s_load_dwordx2 s[8:9], s[6:7], 0x18
	s_load_dword s16, s[6:7], 0x20
	s_load_dword s17, s[6:7], 0xe0
	s_load_dwordx2 s[10:11], s[6:7], 0xd8
	s_waitcnt lgkmcnt(0)
	v_mul_hi_u32 v4, s9, v3
	v_add_u32_e32 v4, v3, v4
	v_lshrrev_b32_e32 v4, s16, v4
	v_mul_lo_u32 v4, v4, s8
	v_sub_u32_e32 v3, v3, v4
	v_mad_u64_u32 v[8:9], s[6:7], v3, s10, v[8:9]
	v_mad_u64_u32 v[14:15], s[6:7], v3, s11, v[14:15]
	;; [unrolled: 1-line block ×3, first 2 shown]
	s_cbranch_execz .LBB7_1604
	s_branch .LBB7_1606
.LBB7_1602:
                                        ; implicit-def: $vgpr18
                                        ; implicit-def: $vgpr14
                                        ; implicit-def: $vgpr8
	s_branch .LBB7_1604
.LBB7_1603:
	s_cbranch_execnz .LBB7_1606
.LBB7_1604:
	s_load_dwordx4 s[8:11], s[2:3], 0x4
	s_load_dwordx4 s[16:19], s[2:3], 0xc4
	s_cmp_lt_u32 s33, 2
	s_waitcnt lgkmcnt(0)
	v_mul_hi_u32 v3, s9, v1
	v_add_u32_e32 v3, v1, v3
	v_lshrrev_b32_e32 v3, s10, v3
	v_mul_lo_u32 v4, v3, s8
	v_sub_u32_e32 v1, v1, v4
	v_mul_lo_u32 v8, v1, s16
	v_mul_lo_u32 v18, v1, s18
	;; [unrolled: 1-line block ×3, first 2 shown]
	s_cbranch_scc1 .LBB7_1606
; %bb.1605:
	s_load_dwordx4 s[8:11], s[2:3], 0x10
	s_load_dwordx4 s[16:19], s[2:3], 0xd0
	s_waitcnt lgkmcnt(0)
	v_mul_hi_u32 v1, s9, v3
	v_add_u32_e32 v1, v3, v1
	v_lshrrev_b32_e32 v1, s10, v1
	v_mul_lo_u32 v1, v1, s8
	v_sub_u32_e32 v1, v3, v1
	v_mad_u64_u32 v[8:9], s[6:7], v1, s16, v[8:9]
	v_mad_u64_u32 v[14:15], s[6:7], v1, s17, v[14:15]
	;; [unrolled: 1-line block ×3, first 2 shown]
.LBB7_1606:
	s_and_b64 vcc, exec, s[0:1]
	v_add_u32_e32 v1, 0x100, v16
	s_cbranch_vccnz .LBB7_1612
; %bb.1607:
	s_cmp_lg_u32 s33, 0
	v_mov_b32_e32 v22, 0
	v_mov_b32_e32 v20, 0
	;; [unrolled: 1-line block ×3, first 2 shown]
	s_cbranch_scc0 .LBB7_1613
; %bb.1608:
	s_min_u32 s8, s68, 15
	s_add_i32 s6, s8, 1
	s_and_b32 s9, s6, 30
	s_add_u32 s6, s2, 0xffffffec
	s_addc_u32 s7, s3, -1
	v_mov_b32_e32 v6, 0
	v_mov_b32_e32 v3, v1
	;; [unrolled: 1-line block ×4, first 2 shown]
.LBB7_1609:                             ; =>This Inner Loop Header: Depth=1
	s_mov_b64 s[10:11], s[6:7]
	s_load_dwordx4 s[16:19], s[10:11], 0x18
	s_load_dwordx2 s[24:25], s[10:11], 0x28
	s_load_dwordx2 s[26:27], s[10:11], 0xe8
	s_load_dwordx4 s[20:23], s[10:11], 0xd8
	s_add_u32 s6, s10, 24
	s_waitcnt lgkmcnt(0)
	v_mul_hi_u32 v4, s17, v3
	v_add_u32_e32 v4, v3, v4
	v_lshrrev_b32_e32 v4, s18, v4
	v_mul_lo_u32 v5, v4, s16
	v_mul_hi_u32 v7, s24, v4
	v_sub_u32_e32 v3, v3, v5
	v_add_u32_e32 v5, v4, v7
	v_mul_lo_u32 v7, v3, s20
	v_mul_lo_u32 v9, v3, s21
	;; [unrolled: 1-line block ×3, first 2 shown]
	v_lshrrev_b32_e32 v3, s25, v5
	v_mul_lo_u32 v5, v3, s19
	v_sub_u32_e32 v4, v4, v5
	s_addc_u32 s7, s11, 0
	s_add_i32 s9, s9, -2
	v_mul_lo_u32 v5, v4, s23
	v_mul_lo_u32 v11, v4, s26
	;; [unrolled: 1-line block ×3, first 2 shown]
	s_cmp_lg_u32 s9, 0
	v_add3_u32 v6, v7, v6, v5
	v_add3_u32 v22, v10, v22, v4
	;; [unrolled: 1-line block ×3, first 2 shown]
	s_cbranch_scc1 .LBB7_1609
; %bb.1610:
	s_bitcmp1_b32 s8, 0
	s_cselect_b64 s[8:9], -1, 0
	s_and_b64 vcc, exec, s[8:9]
	s_cbranch_vccnz .LBB7_1613
; %bb.1611:
	s_load_dwordx2 s[8:9], s[6:7], 0x18
	s_load_dword s16, s[6:7], 0x20
	s_load_dword s17, s[6:7], 0xe0
	s_load_dwordx2 s[10:11], s[6:7], 0xd8
	s_waitcnt lgkmcnt(0)
	v_mul_hi_u32 v4, s9, v3
	v_add_u32_e32 v4, v3, v4
	v_lshrrev_b32_e32 v4, s16, v4
	v_mul_lo_u32 v4, v4, s8
	v_sub_u32_e32 v3, v3, v4
	v_mad_u64_u32 v[6:7], s[6:7], v3, s10, v[6:7]
	v_mad_u64_u32 v[20:21], s[6:7], v3, s11, v[20:21]
	;; [unrolled: 1-line block ×3, first 2 shown]
	s_cbranch_execz .LBB7_1614
	s_branch .LBB7_1616
.LBB7_1612:
                                        ; implicit-def: $vgpr22
                                        ; implicit-def: $vgpr20
                                        ; implicit-def: $vgpr6
	s_branch .LBB7_1614
.LBB7_1613:
	s_cbranch_execnz .LBB7_1616
.LBB7_1614:
	s_load_dwordx4 s[8:11], s[2:3], 0x4
	s_load_dwordx4 s[16:19], s[2:3], 0xc4
	s_cmp_lt_u32 s33, 2
	s_waitcnt lgkmcnt(0)
	v_mul_hi_u32 v3, s9, v1
	v_add_u32_e32 v3, v1, v3
	v_lshrrev_b32_e32 v3, s10, v3
	v_mul_lo_u32 v4, v3, s8
	v_sub_u32_e32 v1, v1, v4
	v_mul_lo_u32 v6, v1, s16
	v_mul_lo_u32 v22, v1, s18
	;; [unrolled: 1-line block ×3, first 2 shown]
	s_cbranch_scc1 .LBB7_1616
; %bb.1615:
	s_load_dwordx4 s[8:11], s[2:3], 0x10
	s_load_dwordx4 s[16:19], s[2:3], 0xd0
	s_waitcnt lgkmcnt(0)
	v_mul_hi_u32 v1, s9, v3
	v_add_u32_e32 v1, v3, v1
	v_lshrrev_b32_e32 v1, s10, v1
	v_mul_lo_u32 v1, v1, s8
	v_sub_u32_e32 v1, v3, v1
	v_mad_u64_u32 v[6:7], s[6:7], v1, s16, v[6:7]
	v_mad_u64_u32 v[20:21], s[6:7], v1, s17, v[20:21]
	;; [unrolled: 1-line block ×3, first 2 shown]
.LBB7_1616:
	s_and_b64 vcc, exec, s[0:1]
	s_cbranch_vccnz .LBB7_1622
; %bb.1617:
	s_cmp_lg_u32 s33, 0
	v_mov_b32_e32 v10, 0
	v_mov_b32_e32 v16, 0
	v_mov_b32_e32 v4, 0
	s_cbranch_scc0 .LBB7_1623
; %bb.1618:
	s_min_u32 s6, s68, 15
	s_add_i32 s0, s6, 1
	s_and_b32 s7, s0, 30
	s_add_u32 s0, s2, 0xffffffec
	s_addc_u32 s1, s3, -1
	v_mov_b32_e32 v4, 0
	v_mov_b32_e32 v1, v24
	;; [unrolled: 1-line block ×4, first 2 shown]
.LBB7_1619:                             ; =>This Inner Loop Header: Depth=1
	s_mov_b64 s[20:21], s[0:1]
	s_load_dwordx4 s[8:11], s[20:21], 0x18
	s_load_dwordx2 s[22:23], s[20:21], 0x28
	s_load_dwordx2 s[24:25], s[20:21], 0xe8
	s_load_dwordx4 s[16:19], s[20:21], 0xd8
	s_add_u32 s0, s20, 24
	s_waitcnt lgkmcnt(0)
	v_mul_hi_u32 v3, s9, v1
	v_add_u32_e32 v3, v1, v3
	v_lshrrev_b32_e32 v3, s10, v3
	v_mul_lo_u32 v5, v3, s8
	v_mul_hi_u32 v7, s22, v3
	v_sub_u32_e32 v1, v1, v5
	v_add_u32_e32 v5, v3, v7
	v_mul_lo_u32 v7, v1, s16
	v_mul_lo_u32 v9, v1, s17
	;; [unrolled: 1-line block ×3, first 2 shown]
	v_lshrrev_b32_e32 v1, s23, v5
	v_mul_lo_u32 v5, v1, s11
	v_sub_u32_e32 v3, v3, v5
	s_addc_u32 s1, s21, 0
	s_add_i32 s7, s7, -2
	v_mul_lo_u32 v5, v3, s19
	v_mul_lo_u32 v13, v3, s24
	;; [unrolled: 1-line block ×3, first 2 shown]
	s_cmp_lg_u32 s7, 0
	v_add3_u32 v4, v7, v4, v5
	v_add3_u32 v10, v11, v10, v3
	v_add3_u32 v16, v9, v16, v13
	s_cbranch_scc1 .LBB7_1619
; %bb.1620:
	s_bitcmp1_b32 s6, 0
	s_cselect_b64 s[6:7], -1, 0
	s_and_b64 vcc, exec, s[6:7]
	s_cbranch_vccnz .LBB7_1623
; %bb.1621:
	s_load_dwordx2 s[6:7], s[0:1], 0x18
	s_load_dword s10, s[0:1], 0x20
	s_load_dword s11, s[0:1], 0xe0
	s_load_dwordx2 s[8:9], s[0:1], 0xd8
	s_waitcnt lgkmcnt(0)
	v_mul_hi_u32 v3, s7, v1
	v_add_u32_e32 v3, v1, v3
	v_lshrrev_b32_e32 v3, s10, v3
	v_mul_lo_u32 v3, v3, s6
	v_sub_u32_e32 v1, v1, v3
	v_mad_u64_u32 v[4:5], s[0:1], v1, s8, v[4:5]
	v_mad_u64_u32 v[16:17], s[0:1], v1, s9, v[16:17]
	;; [unrolled: 1-line block ×3, first 2 shown]
	s_cbranch_execz .LBB7_1624
	s_branch .LBB7_1626
.LBB7_1622:
                                        ; implicit-def: $vgpr10
                                        ; implicit-def: $vgpr16
                                        ; implicit-def: $vgpr4
	s_branch .LBB7_1624
.LBB7_1623:
	s_cbranch_execnz .LBB7_1626
.LBB7_1624:
	s_load_dwordx4 s[8:11], s[2:3], 0x4
	s_load_dwordx4 s[16:19], s[2:3], 0xc4
	s_cmp_lt_u32 s33, 2
	s_waitcnt lgkmcnt(0)
	v_mul_hi_u32 v1, s9, v24
	v_add_u32_e32 v1, v24, v1
	v_lshrrev_b32_e32 v1, s10, v1
	v_mul_lo_u32 v3, v1, s8
	v_sub_u32_e32 v3, v24, v3
	v_mul_lo_u32 v4, v3, s16
	v_mul_lo_u32 v10, v3, s18
	;; [unrolled: 1-line block ×3, first 2 shown]
	s_cbranch_scc1 .LBB7_1626
; %bb.1625:
	s_load_dwordx4 s[8:11], s[2:3], 0x10
	s_load_dwordx4 s[16:19], s[2:3], 0xd0
	s_waitcnt lgkmcnt(0)
	v_mul_hi_u32 v3, s9, v1
	v_add_u32_e32 v3, v1, v3
	v_lshrrev_b32_e32 v3, s10, v3
	v_mul_lo_u32 v3, v3, s8
	v_sub_u32_e32 v1, v1, v3
	v_mad_u64_u32 v[4:5], s[0:1], v1, s16, v[4:5]
	v_mad_u64_u32 v[16:17], s[0:1], v1, s17, v[16:17]
	;; [unrolled: 1-line block ×3, first 2 shown]
.LBB7_1626:
	s_load_dword s26, s[4:5], 0x1a8
	s_load_dwordx4 s[8:11], s[2:3], 0x188
	s_waitcnt lgkmcnt(0)
	s_lshr_b32 s27, s26, 16
	v_mov_b32_e32 v1, s11
	v_add_co_u32_e32 v24, vcc, s10, v0
	v_mov_b32_e32 v0, 11
	v_addc_co_u32_e32 v25, vcc, 0, v1, vcc
	v_cmp_lt_i16_sdwa s[0:1], s27, v0 src0_sel:BYTE_0 src1_sel:DWORD
	s_and_b64 vcc, exec, s[0:1]
	s_cbranch_vccnz .LBB7_1633
; %bb.1627:
	v_mov_b32_e32 v0, 25
	v_cmp_gt_i16_sdwa s[0:1], s27, v0 src0_sel:BYTE_0 src1_sel:DWORD
	s_mov_b64 s[6:7], 0
	s_and_b64 vcc, exec, s[0:1]
	s_cbranch_vccz .LBB7_1635
; %bb.1628:
	v_mov_b32_e32 v0, 28
	v_cmp_gt_i16_sdwa s[0:1], s27, v0 src0_sel:BYTE_0 src1_sel:DWORD
	s_and_b64 vcc, exec, s[0:1]
	s_cbranch_vccz .LBB7_1636
; %bb.1629:
	v_mov_b32_e32 v0, 43
	v_cmp_gt_i16_sdwa s[0:1], s27, v0 src0_sel:BYTE_0 src1_sel:DWORD
	;; [unrolled: 5-line block ×3, first 2 shown]
	s_and_b64 vcc, exec, s[0:1]
	s_cbranch_vccz .LBB7_1638
; %bb.1631:
	v_mov_b32_e32 v0, 46
	v_cmp_eq_u16_sdwa s[0:1], s27, v0 src0_sel:BYTE_0 src1_sel:DWORD
	s_mov_b64 s[4:5], 0
	s_and_b64 vcc, exec, s[0:1]
	s_cbranch_vccz .LBB7_1641
; %bb.1632:
	global_load_dword v0, v[24:25], off
	s_mov_b64 s[0:1], 0
	s_mov_b64 s[16:17], -1
	s_waitcnt vmcnt(0)
	v_lshlrev_b32_e32 v0, 16, v0
	v_cvt_f64_f32_e32 v[0:1], v0
	s_branch .LBB7_1642
.LBB7_1633:
	s_mov_b64 s[16:17], 0
                                        ; implicit-def: $vgpr0_vgpr1
	s_mov_b64 s[4:5], s[12:13]
	s_cbranch_execnz .LBB7_1705
.LBB7_1634:
	s_andn2_b64 vcc, exec, s[16:17]
	s_cbranch_vccz .LBB7_1750
	s_branch .LBB7_3113
.LBB7_1635:
	s_mov_b64 s[16:17], 0
	s_mov_b64 s[0:1], 0
                                        ; implicit-def: $vgpr0_vgpr1
	s_cbranch_execnz .LBB7_1670
	s_branch .LBB7_1701
.LBB7_1636:
	s_mov_b64 s[4:5], -1
	s_mov_b64 s[16:17], 0
	s_mov_b64 s[0:1], 0
                                        ; implicit-def: $vgpr0_vgpr1
	s_branch .LBB7_1651
.LBB7_1637:
	s_mov_b64 s[16:17], 0
	s_mov_b64 s[0:1], 0
                                        ; implicit-def: $vgpr0_vgpr1
	s_cbranch_execnz .LBB7_1647
	s_branch .LBB7_1650
.LBB7_1638:
	s_mov_b64 s[4:5], -1
	s_mov_b64 s[16:17], 0
	s_mov_b64 s[0:1], 0
                                        ; implicit-def: $vgpr0_vgpr1
	s_branch .LBB7_1642
.LBB7_1639:
	s_or_saveexec_b64 s[16:17], s[16:17]
                                        ; implicit-def: $sgpr18
	s_xor_b64 exec, exec, s[16:17]
	s_cbranch_execz .LBB7_1494
.LBB7_1640:
	s_mov_b32 s18, 0x46000000
	v_add_f32_e64 v3, |v2|, s18
	v_and_b32_e32 v3, 0xff, v3
	v_cmp_ne_u32_e32 vcc, 0, v3
	s_andn2_b64 s[14:15], s[14:15], exec
	s_and_b64 s[24:25], vcc, exec
	s_mov_b32 s18, 0
	s_or_b64 s[14:15], s[14:15], s[24:25]
	s_or_b64 exec, exec, s[16:17]
	v_mov_b32_e32 v4, s18
	s_and_saveexec_b64 s[16:17], s[14:15]
	s_cbranch_execnz .LBB7_1495
	s_branch .LBB7_1496
.LBB7_1641:
	s_mov_b64 s[0:1], -1
                                        ; implicit-def: $vgpr0_vgpr1
	s_mov_b64 s[16:17], 0
.LBB7_1642:
	s_and_b64 vcc, exec, s[4:5]
	s_cbranch_vccz .LBB7_1645
; %bb.1643:
	v_mov_b32_e32 v0, 44
	v_cmp_eq_u16_sdwa s[0:1], s27, v0 src0_sel:BYTE_0 src1_sel:DWORD
	s_and_b64 vcc, exec, s[0:1]
	s_cbranch_vccz .LBB7_1646
; %bb.1644:
	global_load_ubyte v3, v[24:25], off
	s_movk_i32 s4, 0xff
	v_bfrev_b32_e32 v5, 4
	v_mov_b32_e32 v7, 0x7ff80000
	v_bfrev_b32_e32 v9, 28
	s_mov_b64 s[0:1], 0
	s_mov_b64 s[16:17], -1
	s_waitcnt vmcnt(0)
	v_lshlrev_b32_e32 v0, 23, v3
	v_cvt_f64_f32_e32 v[0:1], v0
	v_cmp_ne_u32_e32 vcc, s4, v3
	v_cndmask_b32_e32 v0, v5, v0, vcc
	v_cndmask_b32_e32 v1, v7, v1, vcc
	v_cmp_ne_u32_e32 vcc, 0, v3
	v_cndmask_b32_e32 v1, v9, v1, vcc
	v_cndmask_b32_e32 v0, 0, v0, vcc
.LBB7_1645:
	s_branch .LBB7_1650
.LBB7_1646:
	s_mov_b64 s[0:1], -1
                                        ; implicit-def: $vgpr0_vgpr1
	s_branch .LBB7_1650
.LBB7_1647:
	v_mov_b32_e32 v0, 29
	v_cmp_eq_u16_sdwa s[0:1], s27, v0 src0_sel:BYTE_0 src1_sel:DWORD
	s_and_b64 vcc, exec, s[0:1]
	s_cbranch_vccz .LBB7_1649
; %bb.1648:
	global_load_dwordx2 v[0:1], v[24:25], off
	s_mov_b64 s[0:1], 0
	s_mov_b64 s[16:17], -1
	s_mov_b64 s[4:5], 0
	s_waitcnt vmcnt(0)
	v_cvt_f64_u32_e32 v[26:27], v1
	v_cvt_f64_u32_e32 v[0:1], v0
	v_ldexp_f64 v[26:27], v[26:27], 32
	v_add_f64 v[0:1], v[26:27], v[0:1]
	s_branch .LBB7_1651
.LBB7_1649:
	s_mov_b64 s[0:1], -1
                                        ; implicit-def: $vgpr0_vgpr1
.LBB7_1650:
	s_mov_b64 s[4:5], 0
.LBB7_1651:
	s_and_b64 vcc, exec, s[4:5]
	s_cbranch_vccz .LBB7_1669
; %bb.1652:
	v_mov_b32_e32 v0, 27
	v_cmp_lt_i16_sdwa s[4:5], s27, v0 src0_sel:BYTE_0 src1_sel:DWORD
	s_and_b64 vcc, exec, s[4:5]
	s_cbranch_vccnz .LBB7_1655
; %bb.1653:
	v_cmp_gt_i16_sdwa s[4:5], s27, v0 src0_sel:BYTE_0 src1_sel:DWORD
	s_and_b64 vcc, exec, s[4:5]
	s_cbranch_vccz .LBB7_1656
; %bb.1654:
	global_load_dword v0, v[24:25], off
	s_mov_b64 s[4:5], 0
	s_waitcnt vmcnt(0)
	v_cvt_f64_u32_e32 v[0:1], v0
	s_branch .LBB7_1657
.LBB7_1655:
	s_mov_b64 s[4:5], -1
                                        ; implicit-def: $vgpr0_vgpr1
	s_branch .LBB7_1660
.LBB7_1656:
	s_mov_b64 s[4:5], -1
                                        ; implicit-def: $vgpr0_vgpr1
.LBB7_1657:
	s_andn2_b64 vcc, exec, s[4:5]
	s_cbranch_vccnz .LBB7_1659
; %bb.1658:
	global_load_ushort v0, v[24:25], off
	s_waitcnt vmcnt(0)
	v_cvt_f64_u32_e32 v[0:1], v0
.LBB7_1659:
	s_mov_b64 s[4:5], 0
.LBB7_1660:
	s_andn2_b64 vcc, exec, s[4:5]
	s_cbranch_vccnz .LBB7_1668
; %bb.1661:
	global_load_ubyte v3, v[24:25], off
	s_movk_i32 s4, 0x7f
                                        ; implicit-def: $sgpr16_sgpr17
	s_waitcnt vmcnt(0)
	v_cmp_lt_i16_e32 vcc, s4, v3
	s_mov_b64 s[4:5], 0
	s_and_saveexec_b64 s[18:19], vcc
	s_xor_b64 s[18:19], exec, s[18:19]
	s_cbranch_execz .LBB7_1681
; %bb.1662:
	s_movk_i32 s4, 0x80
	v_cmp_eq_u16_e32 vcc, s4, v3
	s_mov_b64 s[20:21], -1
                                        ; implicit-def: $sgpr16_sgpr17
	s_and_saveexec_b64 s[4:5], vcc
; %bb.1663:
	s_mov_b32 s17, 0x7ff80000
	s_brev_b32 s16, 4
	s_xor_b64 s[20:21], exec, -1
; %bb.1664:
	s_or_b64 exec, exec, s[4:5]
	s_and_b64 s[4:5], s[20:21], exec
	s_or_saveexec_b64 s[18:19], s[18:19]
	v_pk_mov_b32 v[0:1], s[16:17], s[16:17] op_sel:[0,1]
	s_xor_b64 exec, exec, s[18:19]
	s_cbranch_execnz .LBB7_1682
.LBB7_1665:
	s_or_b64 exec, exec, s[18:19]
	s_and_saveexec_b64 s[16:17], s[4:5]
	s_cbranch_execz .LBB7_1667
.LBB7_1666:
	v_and_b32_e32 v1, 0xffff, v3
	v_lshlrev_b32_e32 v0, 24, v3
	v_and_b32_e32 v3, 7, v1
	v_ffbh_u32_e32 v7, v3
	v_min_u32_e32 v7, 32, v7
	v_subrev_u32_e32 v9, 28, v7
	v_bfe_u32 v5, v1, 3, 4
	v_lshlrev_b32_e32 v1, v9, v1
	v_sub_u32_e32 v7, 29, v7
	v_and_b32_e32 v1, 7, v1
	v_cmp_eq_u32_e32 vcc, 0, v5
	v_cndmask_b32_e32 v5, v5, v7, vcc
	v_cndmask_b32_e32 v1, v3, v1, vcc
	v_mov_b32_e32 v3, 0x3b800000
	v_lshlrev_b32_e32 v1, 20, v1
	v_and_b32_e32 v0, 0x80000000, v0
	v_lshl_add_u32 v3, v5, 23, v3
	v_or3_b32 v0, v0, v3, v1
	v_cvt_f64_f32_e32 v[0:1], v0
.LBB7_1667:
	s_or_b64 exec, exec, s[16:17]
.LBB7_1668:
	s_mov_b64 s[16:17], -1
.LBB7_1669:
	s_branch .LBB7_1701
.LBB7_1670:
	v_mov_b32_e32 v0, 22
	v_cmp_gt_i16_sdwa s[4:5], s27, v0 src0_sel:BYTE_0 src1_sel:DWORD
	s_and_b64 vcc, exec, s[4:5]
	s_cbranch_vccz .LBB7_1680
; %bb.1671:
	v_mov_b32_e32 v0, 24
	v_cmp_lt_i16_sdwa s[4:5], s27, v0 src0_sel:BYTE_0 src1_sel:DWORD
	s_and_b64 vcc, exec, s[4:5]
	s_cbranch_vccnz .LBB7_1683
; %bb.1672:
	v_cmp_gt_i16_sdwa s[4:5], s27, v0 src0_sel:BYTE_0 src1_sel:DWORD
	s_and_b64 vcc, exec, s[4:5]
	s_cbranch_vccz .LBB7_1684
; %bb.1673:
	global_load_ubyte v3, v[24:25], off
	s_movk_i32 s4, 0x7f
                                        ; implicit-def: $sgpr6_sgpr7
	s_waitcnt vmcnt(0)
	v_cmp_lt_i16_e32 vcc, s4, v3
	s_mov_b64 s[4:5], 0
	s_and_saveexec_b64 s[16:17], vcc
	s_xor_b64 s[16:17], exec, s[16:17]
	s_cbranch_execz .LBB7_1695
; %bb.1674:
	s_movk_i32 s4, 0x80
	v_cmp_eq_u16_e32 vcc, s4, v3
	s_mov_b64 s[18:19], -1
                                        ; implicit-def: $sgpr6_sgpr7
	s_and_saveexec_b64 s[4:5], vcc
; %bb.1675:
	s_mov_b32 s7, 0x7ff80000
	s_brev_b32 s6, 4
	s_xor_b64 s[18:19], exec, -1
; %bb.1676:
	s_or_b64 exec, exec, s[4:5]
	s_and_b64 s[4:5], s[18:19], exec
	s_or_saveexec_b64 s[16:17], s[16:17]
	v_pk_mov_b32 v[0:1], s[6:7], s[6:7] op_sel:[0,1]
	s_xor_b64 exec, exec, s[16:17]
	s_cbranch_execnz .LBB7_1696
.LBB7_1677:
	s_or_b64 exec, exec, s[16:17]
	s_and_saveexec_b64 s[6:7], s[4:5]
	s_cbranch_execz .LBB7_1679
.LBB7_1678:
	v_and_b32_e32 v1, 0xffff, v3
	v_lshlrev_b32_e32 v0, 24, v3
	v_and_b32_e32 v3, 3, v1
	v_ffbh_u32_e32 v7, v3
	v_min_u32_e32 v7, 32, v7
	v_subrev_u32_e32 v9, 29, v7
	v_bfe_u32 v5, v1, 2, 5
	v_lshlrev_b32_e32 v1, v9, v1
	v_sub_u32_e32 v7, 30, v7
	v_and_b32_e32 v1, 3, v1
	v_cmp_eq_u32_e32 vcc, 0, v5
	v_cndmask_b32_e32 v5, v5, v7, vcc
	v_cndmask_b32_e32 v1, v3, v1, vcc
	v_mov_b32_e32 v3, 0x37800000
	v_lshlrev_b32_e32 v1, 21, v1
	v_and_b32_e32 v0, 0x80000000, v0
	v_lshl_add_u32 v3, v5, 23, v3
	v_or3_b32 v0, v0, v3, v1
	v_cvt_f64_f32_e32 v[0:1], v0
.LBB7_1679:
	s_or_b64 exec, exec, s[6:7]
	s_mov_b64 s[4:5], 0
	s_branch .LBB7_1685
.LBB7_1680:
                                        ; implicit-def: $vgpr0_vgpr1
	s_mov_b64 s[6:7], 0
	s_branch .LBB7_1691
.LBB7_1681:
	s_or_saveexec_b64 s[18:19], s[18:19]
	v_pk_mov_b32 v[0:1], s[16:17], s[16:17] op_sel:[0,1]
	s_xor_b64 exec, exec, s[18:19]
	s_cbranch_execz .LBB7_1665
.LBB7_1682:
	v_cmp_ne_u16_e32 vcc, 0, v3
	s_andn2_b64 s[4:5], s[4:5], exec
	s_and_b64 s[16:17], vcc, exec
	v_pk_mov_b32 v[0:1], 0, 0
	s_or_b64 s[4:5], s[4:5], s[16:17]
	s_or_b64 exec, exec, s[18:19]
	s_and_saveexec_b64 s[16:17], s[4:5]
	s_cbranch_execnz .LBB7_1666
	s_branch .LBB7_1667
.LBB7_1683:
	s_mov_b64 s[4:5], -1
                                        ; implicit-def: $vgpr0_vgpr1
	s_branch .LBB7_1688
.LBB7_1684:
	s_mov_b64 s[4:5], -1
                                        ; implicit-def: $vgpr0_vgpr1
.LBB7_1685:
	s_and_b64 vcc, exec, s[4:5]
	s_cbranch_vccz .LBB7_1687
; %bb.1686:
	global_load_ubyte v0, v[24:25], off
	s_mov_b32 s4, 0x7f800000
	s_waitcnt vmcnt(0)
	v_lshlrev_b32_e32 v0, 24, v0
	v_and_b32_e32 v1, 0x7f000000, v0
	v_ffbh_u32_e32 v3, v1
	v_min_u32_e32 v3, 32, v3
	v_sub_u32_e64 v3, v3, 4 clamp
	v_lshlrev_b32_e32 v7, v3, v1
	v_lshlrev_b32_e32 v3, 23, v3
	v_lshrrev_b32_e32 v7, 4, v7
	v_add_u32_e32 v5, 0x1000000, v1
	v_sub_u32_e32 v3, v7, v3
	v_ashrrev_i32_e32 v5, 8, v5
	v_add_u32_e32 v3, 0x3c000000, v3
	v_and_or_b32 v3, v5, s4, v3
	v_cmp_ne_u32_e32 vcc, 0, v1
	v_cndmask_b32_e32 v1, 0, v3, vcc
	s_brev_b32 s4, 1
	v_and_or_b32 v0, v0, s4, v1
	v_cvt_f64_f32_e32 v[0:1], v0
.LBB7_1687:
	s_mov_b64 s[4:5], 0
.LBB7_1688:
	s_andn2_b64 vcc, exec, s[4:5]
	s_cbranch_vccnz .LBB7_1690
; %bb.1689:
	global_load_ubyte v0, v[24:25], off
	s_movk_i32 s4, 0x7f00
	s_brev_b32 s5, 16
	s_waitcnt vmcnt(0)
	v_lshlrev_b16_e32 v1, 8, v0
	v_lshlrev_b32_e32 v0, 25, v0
	v_lshrrev_b32_e32 v3, 4, v0
	v_and_or_b32 v5, v1, s4, 0.5
	v_or_b32_e32 v3, 0x70000000, v3
	v_add_f32_e32 v5, -0.5, v5
	v_mul_f32_e32 v3, 0x7800000, v3
	v_cmp_gt_u32_e32 vcc, s5, v0
	v_bfe_i32 v1, v1, 0, 16
	v_cndmask_b32_e32 v0, v3, v5, vcc
	s_brev_b32 s4, 1
	v_and_or_b32 v0, v1, s4, v0
	v_cvt_f64_f32_e32 v[0:1], v0
.LBB7_1690:
	s_mov_b64 s[16:17], -1
	s_mov_b64 s[6:7], 0
	s_cbranch_execnz .LBB7_1701
.LBB7_1691:
	v_mov_b32_e32 v0, 14
	v_cmp_gt_i16_sdwa s[4:5], s27, v0 src0_sel:BYTE_0 src1_sel:DWORD
	s_and_b64 vcc, exec, s[4:5]
	s_cbranch_vccz .LBB7_1694
; %bb.1692:
	v_mov_b32_e32 v0, 15
	v_cmp_eq_u16_sdwa s[0:1], s27, v0 src0_sel:BYTE_0 src1_sel:DWORD
	s_and_b64 vcc, exec, s[0:1]
	s_cbranch_vccz .LBB7_1697
; %bb.1693:
	global_load_ushort v0, v[24:25], off
	s_mov_b64 s[0:1], 0
	s_mov_b64 s[16:17], -1
	s_waitcnt vmcnt(0)
	v_lshlrev_b32_e32 v0, 16, v0
	v_cvt_f64_f32_e32 v[0:1], v0
	s_branch .LBB7_1698
.LBB7_1694:
	s_mov_b64 s[4:5], -1
                                        ; implicit-def: $vgpr0_vgpr1
	s_branch .LBB7_1699
.LBB7_1695:
	s_or_saveexec_b64 s[16:17], s[16:17]
	v_pk_mov_b32 v[0:1], s[6:7], s[6:7] op_sel:[0,1]
	s_xor_b64 exec, exec, s[16:17]
	s_cbranch_execz .LBB7_1677
.LBB7_1696:
	v_cmp_ne_u16_e32 vcc, 0, v3
	s_andn2_b64 s[4:5], s[4:5], exec
	s_and_b64 s[6:7], vcc, exec
	v_pk_mov_b32 v[0:1], 0, 0
	s_or_b64 s[4:5], s[4:5], s[6:7]
	s_or_b64 exec, exec, s[16:17]
	s_and_saveexec_b64 s[6:7], s[4:5]
	s_cbranch_execnz .LBB7_1678
	s_branch .LBB7_1679
.LBB7_1697:
	s_mov_b64 s[0:1], -1
                                        ; implicit-def: $vgpr0_vgpr1
.LBB7_1698:
	s_mov_b64 s[4:5], 0
.LBB7_1699:
	s_and_b64 vcc, exec, s[4:5]
	s_cbranch_vccz .LBB7_1701
; %bb.1700:
	v_mov_b32_e32 v0, 11
	v_cmp_ne_u16_sdwa s[0:1], s27, v0 src0_sel:BYTE_0 src1_sel:DWORD
	s_mov_b64 s[6:7], -1
                                        ; implicit-def: $vgpr0_vgpr1
.LBB7_1701:
	s_and_b64 vcc, exec, s[0:1]
	s_mov_b64 s[4:5], s[12:13]
	s_cbranch_vccnz .LBB7_1762
; %bb.1702:
	s_andn2_b64 vcc, exec, s[6:7]
	s_cbranch_vccnz .LBB7_1704
.LBB7_1703:
	global_load_ubyte v1, v[24:25], off
	v_mov_b32_e32 v3, 0x3ff00000
	v_mov_b32_e32 v0, 0
	s_mov_b64 s[16:17], -1
	s_waitcnt vmcnt(0)
	v_cmp_ne_u16_e32 vcc, 0, v1
	v_cndmask_b32_e32 v1, 0, v3, vcc
.LBB7_1704:
	s_branch .LBB7_1634
.LBB7_1705:
	v_mov_b32_e32 v0, 5
	v_cmp_lt_i16_sdwa s[0:1], s27, v0 src0_sel:BYTE_0 src1_sel:DWORD
	s_and_b64 vcc, exec, s[0:1]
	s_cbranch_vccnz .LBB7_1710
; %bb.1706:
	v_mov_b32_e32 v0, 8
	v_cmp_lt_i16_sdwa s[0:1], s27, v0 src0_sel:BYTE_0 src1_sel:DWORD
	s_and_b64 vcc, exec, s[0:1]
	s_cbranch_vccnz .LBB7_1711
; %bb.1707:
	;; [unrolled: 5-line block ×3, first 2 shown]
	v_cmp_gt_i16_sdwa s[0:1], s27, v0 src0_sel:BYTE_0 src1_sel:DWORD
	s_and_b64 vcc, exec, s[0:1]
	s_cbranch_vccz .LBB7_1713
; %bb.1709:
	global_load_dwordx2 v[0:1], v[24:25], off
	s_mov_b64 s[0:1], 0
	s_branch .LBB7_1714
.LBB7_1710:
                                        ; implicit-def: $vgpr0_vgpr1
	s_branch .LBB7_1731
.LBB7_1711:
                                        ; implicit-def: $vgpr0_vgpr1
	s_branch .LBB7_1720
.LBB7_1712:
	s_mov_b64 s[0:1], -1
                                        ; implicit-def: $vgpr0_vgpr1
	s_branch .LBB7_1717
.LBB7_1713:
	s_mov_b64 s[0:1], -1
                                        ; implicit-def: $vgpr0_vgpr1
.LBB7_1714:
	s_andn2_b64 vcc, exec, s[0:1]
	s_cbranch_vccnz .LBB7_1716
; %bb.1715:
	global_load_dword v0, v[24:25], off
	s_waitcnt vmcnt(0)
	v_cvt_f64_f32_e32 v[0:1], v0
.LBB7_1716:
	s_mov_b64 s[0:1], 0
.LBB7_1717:
	s_andn2_b64 vcc, exec, s[0:1]
	s_cbranch_vccnz .LBB7_1719
; %bb.1718:
	global_load_dword v0, v[24:25], off
	s_waitcnt vmcnt(0)
	v_cvt_f32_f16_e32 v0, v0
	v_cvt_f64_f32_e32 v[0:1], v0
.LBB7_1719:
	s_cbranch_execnz .LBB7_1730
.LBB7_1720:
	s_waitcnt vmcnt(0)
	v_mov_b32_e32 v0, 6
	v_cmp_lt_i16_sdwa s[0:1], s27, v0 src0_sel:BYTE_0 src1_sel:DWORD
	s_and_b64 vcc, exec, s[0:1]
	s_cbranch_vccnz .LBB7_1723
; %bb.1721:
	v_cmp_gt_i16_sdwa s[0:1], s27, v0 src0_sel:BYTE_0 src1_sel:DWORD
	s_and_b64 vcc, exec, s[0:1]
	s_cbranch_vccz .LBB7_1724
; %bb.1722:
	global_load_dwordx2 v[0:1], v[24:25], off
	s_mov_b64 s[0:1], 0
	s_branch .LBB7_1725
.LBB7_1723:
	s_mov_b64 s[0:1], -1
                                        ; implicit-def: $vgpr0_vgpr1
	s_branch .LBB7_1728
.LBB7_1724:
	s_mov_b64 s[0:1], -1
                                        ; implicit-def: $vgpr0_vgpr1
.LBB7_1725:
	s_andn2_b64 vcc, exec, s[0:1]
	s_cbranch_vccnz .LBB7_1727
; %bb.1726:
	global_load_dword v0, v[24:25], off
	s_waitcnt vmcnt(0)
	v_cvt_f64_f32_e32 v[0:1], v0
.LBB7_1727:
	s_mov_b64 s[0:1], 0
.LBB7_1728:
	s_andn2_b64 vcc, exec, s[0:1]
	s_cbranch_vccnz .LBB7_1730
; %bb.1729:
	global_load_ushort v0, v[24:25], off
	s_waitcnt vmcnt(0)
	v_cvt_f32_f16_e32 v0, v0
	v_cvt_f64_f32_e32 v[0:1], v0
.LBB7_1730:
	s_cbranch_execnz .LBB7_1749
.LBB7_1731:
	s_waitcnt vmcnt(0)
	v_mov_b32_e32 v0, 2
	v_cmp_lt_i16_sdwa s[0:1], s27, v0 src0_sel:BYTE_0 src1_sel:DWORD
	s_and_b64 vcc, exec, s[0:1]
	s_cbranch_vccnz .LBB7_1735
; %bb.1732:
	v_mov_b32_e32 v0, 3
	v_cmp_lt_i16_sdwa s[0:1], s27, v0 src0_sel:BYTE_0 src1_sel:DWORD
	s_and_b64 vcc, exec, s[0:1]
	s_cbranch_vccnz .LBB7_1736
; %bb.1733:
	v_cmp_gt_i16_sdwa s[0:1], s27, v0 src0_sel:BYTE_0 src1_sel:DWORD
	s_and_b64 vcc, exec, s[0:1]
	s_cbranch_vccz .LBB7_1737
; %bb.1734:
	global_load_dwordx2 v[0:1], v[24:25], off
	s_mov_b64 s[0:1], 0
	s_waitcnt vmcnt(0)
	v_cvt_f64_i32_e32 v[26:27], v1
	v_cvt_f64_u32_e32 v[0:1], v0
	v_ldexp_f64 v[26:27], v[26:27], 32
	v_add_f64 v[0:1], v[26:27], v[0:1]
	s_branch .LBB7_1738
.LBB7_1735:
                                        ; implicit-def: $vgpr0_vgpr1
	s_branch .LBB7_1744
.LBB7_1736:
	s_mov_b64 s[0:1], -1
                                        ; implicit-def: $vgpr0_vgpr1
	s_branch .LBB7_1741
.LBB7_1737:
	s_mov_b64 s[0:1], -1
                                        ; implicit-def: $vgpr0_vgpr1
.LBB7_1738:
	s_andn2_b64 vcc, exec, s[0:1]
	s_cbranch_vccnz .LBB7_1740
; %bb.1739:
	global_load_dword v0, v[24:25], off
	s_waitcnt vmcnt(0)
	v_cvt_f64_i32_e32 v[0:1], v0
.LBB7_1740:
	s_mov_b64 s[0:1], 0
.LBB7_1741:
	s_andn2_b64 vcc, exec, s[0:1]
	s_cbranch_vccnz .LBB7_1743
; %bb.1742:
	global_load_sshort v0, v[24:25], off
	s_waitcnt vmcnt(0)
	v_cvt_f64_i32_e32 v[0:1], v0
.LBB7_1743:
	s_cbranch_execnz .LBB7_1749
.LBB7_1744:
	v_mov_b32_e32 v0, 0
	v_cmp_gt_i16_sdwa s[0:1], s27, v0 src0_sel:BYTE_0 src1_sel:DWORD
	s_and_b64 vcc, exec, s[0:1]
	s_cbranch_vccz .LBB7_1746
; %bb.1745:
	global_load_sbyte v0, v[24:25], off
	s_mov_b64 s[0:1], 0
	s_waitcnt vmcnt(0)
	v_cvt_f64_i32_e32 v[0:1], v0
	s_branch .LBB7_1747
.LBB7_1746:
	s_mov_b64 s[0:1], -1
                                        ; implicit-def: $vgpr0_vgpr1
.LBB7_1747:
	s_andn2_b64 vcc, exec, s[0:1]
	s_cbranch_vccnz .LBB7_1749
; %bb.1748:
	global_load_ubyte v0, v[24:25], off
	s_waitcnt vmcnt(0)
	v_cvt_f64_u32_e32 v[0:1], v0
.LBB7_1749:
.LBB7_1750:
	s_load_dwordx2 s[0:1], s[2:3], 0x198
	s_lshr_b32 s28, s26, 24
	v_cmp_lt_i16_e64 s[2:3], s28, 11
	s_waitcnt lgkmcnt(0)
	v_mov_b32_e32 v3, s1
	v_add_co_u32_e32 v24, vcc, s0, v12
	v_addc_co_u32_e32 v25, vcc, 0, v3, vcc
	s_and_b64 vcc, exec, s[2:3]
	s_cbranch_vccnz .LBB7_1757
; %bb.1751:
	v_cmp_gt_i16_e64 s[6:7], s28, 25
	s_mov_b64 s[16:17], 0
	s_and_b64 vcc, exec, s[6:7]
	s_cbranch_vccz .LBB7_1759
; %bb.1752:
	v_cmp_gt_i16_e64 s[6:7], s28, 28
	s_and_b64 vcc, exec, s[6:7]
	s_cbranch_vccz .LBB7_1760
; %bb.1753:
	v_cmp_gt_i16_e64 s[6:7], s28, 43
	;; [unrolled: 4-line block ×3, first 2 shown]
	s_and_b64 vcc, exec, s[6:7]
	s_cbranch_vccz .LBB7_1763
; %bb.1755:
	v_cmp_eq_u16_e64 s[6:7], s28, 46
	s_mov_b64 s[20:21], 0
	s_and_b64 vcc, exec, s[6:7]
	s_cbranch_vccz .LBB7_1766
; %bb.1756:
	global_load_dword v3, v[24:25], off
	s_mov_b64 s[6:7], 0
	s_mov_b64 s[18:19], -1
	s_waitcnt vmcnt(0)
	v_lshlrev_b32_e32 v3, 16, v3
	v_cvt_f64_f32_e32 v[12:13], v3
	s_branch .LBB7_1767
.LBB7_1757:
	s_mov_b64 s[18:19], 0
                                        ; implicit-def: $vgpr12_vgpr13
	s_cbranch_execnz .LBB7_1832
.LBB7_1758:
	s_andn2_b64 vcc, exec, s[18:19]
	s_cbranch_vccnz .LBB7_3113
	s_branch .LBB7_1879
.LBB7_1759:
	s_mov_b64 s[18:19], 0
	s_mov_b64 s[6:7], 0
                                        ; implicit-def: $vgpr12_vgpr13
	s_cbranch_execnz .LBB7_1796
	s_branch .LBB7_1828
.LBB7_1760:
	s_mov_b64 s[20:21], -1
	s_mov_b64 s[18:19], 0
	s_mov_b64 s[6:7], 0
                                        ; implicit-def: $vgpr12_vgpr13
	s_branch .LBB7_1777
.LBB7_1761:
	s_mov_b64 s[20:21], -1
	s_mov_b64 s[18:19], 0
	s_mov_b64 s[6:7], 0
                                        ; implicit-def: $vgpr12_vgpr13
	s_branch .LBB7_1772
.LBB7_1762:
	s_or_b64 s[4:5], s[12:13], exec
	s_trap 2
                                        ; implicit-def: $vgpr0_vgpr1
	s_cbranch_execz .LBB7_1703
	s_branch .LBB7_1704
.LBB7_1763:
	s_mov_b64 s[20:21], -1
	s_mov_b64 s[18:19], 0
	s_mov_b64 s[6:7], 0
                                        ; implicit-def: $vgpr12_vgpr13
	s_branch .LBB7_1767
.LBB7_1764:
	s_or_saveexec_b64 s[18:19], s[18:19]
                                        ; implicit-def: $sgpr24
	s_xor_b64 exec, exec, s[18:19]
	s_cbranch_execz .LBB7_1506
.LBB7_1765:
	s_mov_b32 s24, 0x42800000
	v_add_f32_e64 v3, |v2|, s24
	v_and_b32_e32 v3, 0xff, v3
	v_cmp_ne_u32_e32 vcc, 0, v3
	s_andn2_b64 s[16:17], s[16:17], exec
	s_and_b64 s[26:27], vcc, exec
	s_mov_b32 s24, 0
	s_or_b64 s[16:17], s[16:17], s[26:27]
	s_or_b64 exec, exec, s[18:19]
	v_mov_b32_e32 v4, s24
	s_and_saveexec_b64 s[18:19], s[16:17]
	s_cbranch_execnz .LBB7_1507
	s_branch .LBB7_1508
.LBB7_1766:
	s_mov_b64 s[6:7], -1
                                        ; implicit-def: $vgpr12_vgpr13
	s_mov_b64 s[18:19], 0
.LBB7_1767:
	s_and_b64 vcc, exec, s[20:21]
	s_cbranch_vccz .LBB7_1771
; %bb.1768:
	v_cmp_eq_u16_e64 s[6:7], s28, 44
	s_and_b64 vcc, exec, s[6:7]
	s_cbranch_vccz .LBB7_1770
; %bb.1769:
	global_load_ubyte v3, v[24:25], off
	s_movk_i32 s18, 0xff
	v_bfrev_b32_e32 v5, 4
	v_mov_b32_e32 v7, 0x7ff80000
	v_bfrev_b32_e32 v9, 28
	s_mov_b64 s[6:7], 0
	s_waitcnt vmcnt(0)
	v_lshlrev_b32_e32 v11, 23, v3
	v_cvt_f64_f32_e32 v[12:13], v11
	v_cmp_ne_u32_e32 vcc, s18, v3
	v_cndmask_b32_e32 v5, v5, v12, vcc
	v_cndmask_b32_e32 v7, v7, v13, vcc
	v_cmp_ne_u32_e32 vcc, 0, v3
	v_cndmask_b32_e32 v13, v9, v7, vcc
	v_cndmask_b32_e32 v12, 0, v5, vcc
	s_mov_b64 s[18:19], -1
	s_branch .LBB7_1771
.LBB7_1770:
	s_mov_b64 s[6:7], -1
                                        ; implicit-def: $vgpr12_vgpr13
.LBB7_1771:
	s_mov_b64 s[20:21], 0
.LBB7_1772:
	s_and_b64 vcc, exec, s[20:21]
	s_cbranch_vccz .LBB7_1776
; %bb.1773:
	v_cmp_eq_u16_e64 s[6:7], s28, 29
	s_and_b64 vcc, exec, s[6:7]
	s_cbranch_vccz .LBB7_1775
; %bb.1774:
	global_load_dwordx2 v[12:13], v[24:25], off
	s_mov_b64 s[6:7], 0
	s_mov_b64 s[18:19], -1
	s_mov_b64 s[20:21], 0
	s_waitcnt vmcnt(0)
	v_cvt_f64_u32_e32 v[26:27], v13
	v_cvt_f64_u32_e32 v[12:13], v12
	v_ldexp_f64 v[26:27], v[26:27], 32
	v_add_f64 v[12:13], v[26:27], v[12:13]
	s_branch .LBB7_1777
.LBB7_1775:
	s_mov_b64 s[6:7], -1
                                        ; implicit-def: $vgpr12_vgpr13
.LBB7_1776:
	s_mov_b64 s[20:21], 0
.LBB7_1777:
	s_and_b64 vcc, exec, s[20:21]
	s_cbranch_vccz .LBB7_1795
; %bb.1778:
	v_cmp_lt_i16_e64 s[18:19], s28, 27
	s_and_b64 vcc, exec, s[18:19]
	s_cbranch_vccnz .LBB7_1781
; %bb.1779:
	v_cmp_gt_i16_e64 s[18:19], s28, 27
	s_and_b64 vcc, exec, s[18:19]
	s_cbranch_vccz .LBB7_1782
; %bb.1780:
	global_load_dword v3, v[24:25], off
	s_mov_b64 s[18:19], 0
	s_waitcnt vmcnt(0)
	v_cvt_f64_u32_e32 v[12:13], v3
	s_branch .LBB7_1783
.LBB7_1781:
	s_mov_b64 s[18:19], -1
                                        ; implicit-def: $vgpr12_vgpr13
	s_branch .LBB7_1786
.LBB7_1782:
	s_mov_b64 s[18:19], -1
                                        ; implicit-def: $vgpr12_vgpr13
.LBB7_1783:
	s_andn2_b64 vcc, exec, s[18:19]
	s_cbranch_vccnz .LBB7_1785
; %bb.1784:
	global_load_ushort v3, v[24:25], off
	s_waitcnt vmcnt(0)
	v_cvt_f64_u32_e32 v[12:13], v3
.LBB7_1785:
	s_mov_b64 s[18:19], 0
.LBB7_1786:
	s_andn2_b64 vcc, exec, s[18:19]
	s_cbranch_vccnz .LBB7_1794
; %bb.1787:
	global_load_ubyte v3, v[24:25], off
	s_movk_i32 s18, 0x7f
                                        ; implicit-def: $sgpr20_sgpr21
	s_waitcnt vmcnt(0)
	v_cmp_lt_i16_e32 vcc, s18, v3
	s_mov_b64 s[18:19], 0
	s_and_saveexec_b64 s[22:23], vcc
	s_xor_b64 s[22:23], exec, s[22:23]
	s_cbranch_execz .LBB7_1807
; %bb.1788:
	s_movk_i32 s18, 0x80
	v_cmp_eq_u16_e32 vcc, s18, v3
	s_mov_b64 s[24:25], -1
                                        ; implicit-def: $sgpr20_sgpr21
	s_and_saveexec_b64 s[18:19], vcc
; %bb.1789:
	s_mov_b32 s21, 0x7ff80000
	s_brev_b32 s20, 4
	s_xor_b64 s[24:25], exec, -1
; %bb.1790:
	s_or_b64 exec, exec, s[18:19]
	s_and_b64 s[18:19], s[24:25], exec
	s_or_saveexec_b64 s[22:23], s[22:23]
	v_pk_mov_b32 v[12:13], s[20:21], s[20:21] op_sel:[0,1]
	s_xor_b64 exec, exec, s[22:23]
	s_cbranch_execnz .LBB7_1808
.LBB7_1791:
	s_or_b64 exec, exec, s[22:23]
	s_and_saveexec_b64 s[20:21], s[18:19]
	s_cbranch_execz .LBB7_1793
.LBB7_1792:
	v_lshlrev_b32_e32 v5, 24, v3
	v_and_b32_e32 v3, 0xffff, v3
	v_and_b32_e32 v7, 7, v3
	v_ffbh_u32_e32 v11, v7
	v_min_u32_e32 v11, 32, v11
	v_subrev_u32_e32 v12, 28, v11
	v_bfe_u32 v9, v3, 3, 4
	v_lshlrev_b32_e32 v3, v12, v3
	v_sub_u32_e32 v11, 29, v11
	v_and_b32_e32 v3, 7, v3
	v_cmp_eq_u32_e32 vcc, 0, v9
	v_cndmask_b32_e32 v9, v9, v11, vcc
	v_cndmask_b32_e32 v3, v7, v3, vcc
	v_mov_b32_e32 v7, 0x3b800000
	v_lshlrev_b32_e32 v3, 20, v3
	v_and_b32_e32 v5, 0x80000000, v5
	v_lshl_add_u32 v7, v9, 23, v7
	v_or3_b32 v3, v5, v7, v3
	v_cvt_f64_f32_e32 v[12:13], v3
.LBB7_1793:
	s_or_b64 exec, exec, s[20:21]
.LBB7_1794:
	s_mov_b64 s[18:19], -1
.LBB7_1795:
	s_branch .LBB7_1828
.LBB7_1796:
	v_cmp_gt_i16_e64 s[16:17], s28, 22
	s_and_b64 vcc, exec, s[16:17]
	s_cbranch_vccz .LBB7_1806
; %bb.1797:
	v_cmp_lt_i16_e64 s[16:17], s28, 24
	s_and_b64 vcc, exec, s[16:17]
	s_cbranch_vccnz .LBB7_1809
; %bb.1798:
	v_cmp_gt_i16_e64 s[16:17], s28, 24
	s_and_b64 vcc, exec, s[16:17]
	s_cbranch_vccz .LBB7_1810
; %bb.1799:
	global_load_ubyte v3, v[24:25], off
	s_movk_i32 s16, 0x7f
                                        ; implicit-def: $sgpr18_sgpr19
	s_waitcnt vmcnt(0)
	v_cmp_lt_i16_e32 vcc, s16, v3
	s_mov_b64 s[16:17], 0
	s_and_saveexec_b64 s[20:21], vcc
	s_xor_b64 s[20:21], exec, s[20:21]
	s_cbranch_execz .LBB7_1822
; %bb.1800:
	s_movk_i32 s16, 0x80
	v_cmp_eq_u16_e32 vcc, s16, v3
	s_mov_b64 s[22:23], -1
                                        ; implicit-def: $sgpr18_sgpr19
	s_and_saveexec_b64 s[16:17], vcc
; %bb.1801:
	s_mov_b32 s19, 0x7ff80000
	s_brev_b32 s18, 4
	s_xor_b64 s[22:23], exec, -1
; %bb.1802:
	s_or_b64 exec, exec, s[16:17]
	s_and_b64 s[16:17], s[22:23], exec
	s_or_saveexec_b64 s[20:21], s[20:21]
	v_pk_mov_b32 v[12:13], s[18:19], s[18:19] op_sel:[0,1]
	s_xor_b64 exec, exec, s[20:21]
	s_cbranch_execnz .LBB7_1823
.LBB7_1803:
	s_or_b64 exec, exec, s[20:21]
	s_and_saveexec_b64 s[18:19], s[16:17]
	s_cbranch_execz .LBB7_1805
.LBB7_1804:
	v_lshlrev_b32_e32 v5, 24, v3
	v_and_b32_e32 v3, 0xffff, v3
	v_and_b32_e32 v7, 3, v3
	v_ffbh_u32_e32 v11, v7
	v_min_u32_e32 v11, 32, v11
	v_subrev_u32_e32 v12, 29, v11
	v_bfe_u32 v9, v3, 2, 5
	v_lshlrev_b32_e32 v3, v12, v3
	v_sub_u32_e32 v11, 30, v11
	v_and_b32_e32 v3, 3, v3
	v_cmp_eq_u32_e32 vcc, 0, v9
	v_cndmask_b32_e32 v9, v9, v11, vcc
	v_cndmask_b32_e32 v3, v7, v3, vcc
	v_mov_b32_e32 v7, 0x37800000
	v_lshlrev_b32_e32 v3, 21, v3
	v_and_b32_e32 v5, 0x80000000, v5
	v_lshl_add_u32 v7, v9, 23, v7
	v_or3_b32 v3, v5, v7, v3
	v_cvt_f64_f32_e32 v[12:13], v3
.LBB7_1805:
	s_or_b64 exec, exec, s[18:19]
	s_mov_b64 s[16:17], 0
	s_branch .LBB7_1811
.LBB7_1806:
	s_mov_b64 s[16:17], -1
                                        ; implicit-def: $vgpr12_vgpr13
	s_branch .LBB7_1817
.LBB7_1807:
	s_or_saveexec_b64 s[22:23], s[22:23]
	v_pk_mov_b32 v[12:13], s[20:21], s[20:21] op_sel:[0,1]
	s_xor_b64 exec, exec, s[22:23]
	s_cbranch_execz .LBB7_1791
.LBB7_1808:
	v_cmp_ne_u16_e32 vcc, 0, v3
	s_andn2_b64 s[18:19], s[18:19], exec
	s_and_b64 s[20:21], vcc, exec
	v_pk_mov_b32 v[12:13], 0, 0
	s_or_b64 s[18:19], s[18:19], s[20:21]
	s_or_b64 exec, exec, s[22:23]
	s_and_saveexec_b64 s[20:21], s[18:19]
	s_cbranch_execnz .LBB7_1792
	s_branch .LBB7_1793
.LBB7_1809:
	s_mov_b64 s[16:17], -1
                                        ; implicit-def: $vgpr12_vgpr13
	s_branch .LBB7_1814
.LBB7_1810:
	s_mov_b64 s[16:17], -1
                                        ; implicit-def: $vgpr12_vgpr13
.LBB7_1811:
	s_and_b64 vcc, exec, s[16:17]
	s_cbranch_vccz .LBB7_1813
; %bb.1812:
	global_load_ubyte v3, v[24:25], off
	s_mov_b32 s16, 0x7f800000
	s_waitcnt vmcnt(0)
	v_lshlrev_b32_e32 v3, 24, v3
	v_and_b32_e32 v5, 0x7f000000, v3
	v_ffbh_u32_e32 v7, v5
	v_min_u32_e32 v7, 32, v7
	v_sub_u32_e64 v7, v7, 4 clamp
	v_lshlrev_b32_e32 v11, v7, v5
	v_lshlrev_b32_e32 v7, 23, v7
	v_lshrrev_b32_e32 v11, 4, v11
	v_add_u32_e32 v9, 0x1000000, v5
	v_sub_u32_e32 v7, v11, v7
	v_ashrrev_i32_e32 v9, 8, v9
	v_add_u32_e32 v7, 0x3c000000, v7
	v_and_or_b32 v7, v9, s16, v7
	v_cmp_ne_u32_e32 vcc, 0, v5
	v_cndmask_b32_e32 v5, 0, v7, vcc
	s_brev_b32 s16, 1
	v_and_or_b32 v3, v3, s16, v5
	v_cvt_f64_f32_e32 v[12:13], v3
.LBB7_1813:
	s_mov_b64 s[16:17], 0
.LBB7_1814:
	s_andn2_b64 vcc, exec, s[16:17]
	s_cbranch_vccnz .LBB7_1816
; %bb.1815:
	global_load_ubyte v3, v[24:25], off
	s_movk_i32 s16, 0x7f00
	s_brev_b32 s17, 16
	s_waitcnt vmcnt(0)
	v_lshlrev_b16_e32 v5, 8, v3
	v_lshlrev_b32_e32 v3, 25, v3
	v_lshrrev_b32_e32 v7, 4, v3
	v_and_or_b32 v9, v5, s16, 0.5
	v_or_b32_e32 v7, 0x70000000, v7
	v_add_f32_e32 v9, -0.5, v9
	v_mul_f32_e32 v7, 0x7800000, v7
	v_cmp_gt_u32_e32 vcc, s17, v3
	v_bfe_i32 v5, v5, 0, 16
	v_cndmask_b32_e32 v3, v7, v9, vcc
	s_brev_b32 s16, 1
	v_and_or_b32 v3, v5, s16, v3
	v_cvt_f64_f32_e32 v[12:13], v3
.LBB7_1816:
	s_mov_b64 s[16:17], 0
	s_mov_b64 s[18:19], -1
.LBB7_1817:
	s_andn2_b64 vcc, exec, s[16:17]
	s_mov_b64 s[16:17], 0
	s_cbranch_vccnz .LBB7_1828
; %bb.1818:
	v_cmp_gt_i16_e64 s[16:17], s28, 14
	s_and_b64 vcc, exec, s[16:17]
	s_cbranch_vccz .LBB7_1821
; %bb.1819:
	v_cmp_eq_u16_e64 s[6:7], s28, 15
	s_and_b64 vcc, exec, s[6:7]
	s_cbranch_vccz .LBB7_1824
; %bb.1820:
	global_load_ushort v3, v[24:25], off
	s_mov_b64 s[6:7], 0
	s_mov_b64 s[18:19], -1
	s_waitcnt vmcnt(0)
	v_lshlrev_b32_e32 v3, 16, v3
	v_cvt_f64_f32_e32 v[12:13], v3
	s_branch .LBB7_1825
.LBB7_1821:
	s_mov_b64 s[20:21], -1
                                        ; implicit-def: $vgpr12_vgpr13
	s_branch .LBB7_1826
.LBB7_1822:
	s_or_saveexec_b64 s[20:21], s[20:21]
	v_pk_mov_b32 v[12:13], s[18:19], s[18:19] op_sel:[0,1]
	s_xor_b64 exec, exec, s[20:21]
	s_cbranch_execz .LBB7_1803
.LBB7_1823:
	v_cmp_ne_u16_e32 vcc, 0, v3
	s_andn2_b64 s[16:17], s[16:17], exec
	s_and_b64 s[18:19], vcc, exec
	v_pk_mov_b32 v[12:13], 0, 0
	s_or_b64 s[16:17], s[16:17], s[18:19]
	s_or_b64 exec, exec, s[20:21]
	s_and_saveexec_b64 s[18:19], s[16:17]
	s_cbranch_execnz .LBB7_1804
	s_branch .LBB7_1805
.LBB7_1824:
	s_mov_b64 s[6:7], -1
                                        ; implicit-def: $vgpr12_vgpr13
.LBB7_1825:
	s_mov_b64 s[20:21], 0
.LBB7_1826:
	s_mov_b64 s[16:17], 0
	s_and_b64 vcc, exec, s[20:21]
	s_cbranch_vccz .LBB7_1828
; %bb.1827:
	v_cmp_ne_u16_e64 s[6:7], s28, 11
	s_mov_b64 s[16:17], -1
                                        ; implicit-def: $vgpr12_vgpr13
.LBB7_1828:
	s_and_b64 vcc, exec, s[6:7]
	s_cbranch_vccnz .LBB7_1891
; %bb.1829:
	s_andn2_b64 vcc, exec, s[16:17]
	s_cbranch_vccnz .LBB7_1831
.LBB7_1830:
	global_load_ubyte v3, v[24:25], off
	v_mov_b32_e32 v5, 0x3ff00000
	v_mov_b32_e32 v12, 0
	s_mov_b64 s[18:19], -1
	s_waitcnt vmcnt(0)
	v_cmp_ne_u16_e32 vcc, 0, v3
	v_cndmask_b32_e32 v13, 0, v5, vcc
.LBB7_1831:
	s_branch .LBB7_1758
.LBB7_1832:
	v_cmp_lt_i16_e64 s[6:7], s28, 5
	s_and_b64 vcc, exec, s[6:7]
	s_cbranch_vccnz .LBB7_1837
; %bb.1833:
	v_cmp_lt_i16_e64 s[6:7], s28, 8
	s_and_b64 vcc, exec, s[6:7]
	s_cbranch_vccnz .LBB7_1838
; %bb.1834:
	;; [unrolled: 4-line block ×3, first 2 shown]
	v_cmp_gt_i16_e64 s[6:7], s28, 9
	s_and_b64 vcc, exec, s[6:7]
	s_cbranch_vccz .LBB7_1840
; %bb.1836:
	global_load_dwordx2 v[12:13], v[24:25], off
	s_mov_b64 s[6:7], 0
	s_branch .LBB7_1841
.LBB7_1837:
                                        ; implicit-def: $vgpr12_vgpr13
	s_branch .LBB7_1859
.LBB7_1838:
	s_mov_b64 s[6:7], -1
                                        ; implicit-def: $vgpr12_vgpr13
	s_branch .LBB7_1847
.LBB7_1839:
	s_mov_b64 s[6:7], -1
                                        ; implicit-def: $vgpr12_vgpr13
	s_branch .LBB7_1844
.LBB7_1840:
	s_mov_b64 s[6:7], -1
                                        ; implicit-def: $vgpr12_vgpr13
.LBB7_1841:
	s_andn2_b64 vcc, exec, s[6:7]
	s_cbranch_vccnz .LBB7_1843
; %bb.1842:
	global_load_dword v3, v[24:25], off
	s_waitcnt vmcnt(0)
	v_cvt_f64_f32_e32 v[12:13], v3
.LBB7_1843:
	s_mov_b64 s[6:7], 0
.LBB7_1844:
	s_andn2_b64 vcc, exec, s[6:7]
	s_cbranch_vccnz .LBB7_1846
; %bb.1845:
	global_load_dword v3, v[24:25], off
	s_waitcnt vmcnt(0)
	v_cvt_f32_f16_e32 v3, v3
	v_cvt_f64_f32_e32 v[12:13], v3
.LBB7_1846:
	s_mov_b64 s[6:7], 0
.LBB7_1847:
	s_andn2_b64 vcc, exec, s[6:7]
	s_cbranch_vccnz .LBB7_1858
; %bb.1848:
	v_cmp_lt_i16_e64 s[6:7], s28, 6
	s_and_b64 vcc, exec, s[6:7]
	s_cbranch_vccnz .LBB7_1851
; %bb.1849:
	v_cmp_gt_i16_e64 s[6:7], s28, 6
	s_and_b64 vcc, exec, s[6:7]
	s_cbranch_vccz .LBB7_1852
; %bb.1850:
	global_load_dwordx2 v[12:13], v[24:25], off
	s_mov_b64 s[6:7], 0
	s_branch .LBB7_1853
.LBB7_1851:
	s_mov_b64 s[6:7], -1
                                        ; implicit-def: $vgpr12_vgpr13
	s_branch .LBB7_1856
.LBB7_1852:
	s_mov_b64 s[6:7], -1
                                        ; implicit-def: $vgpr12_vgpr13
.LBB7_1853:
	s_andn2_b64 vcc, exec, s[6:7]
	s_cbranch_vccnz .LBB7_1855
; %bb.1854:
	global_load_dword v3, v[24:25], off
	s_waitcnt vmcnt(0)
	v_cvt_f64_f32_e32 v[12:13], v3
.LBB7_1855:
	s_mov_b64 s[6:7], 0
.LBB7_1856:
	s_andn2_b64 vcc, exec, s[6:7]
	s_cbranch_vccnz .LBB7_1858
; %bb.1857:
	global_load_ushort v3, v[24:25], off
	s_waitcnt vmcnt(0)
	v_cvt_f32_f16_e32 v3, v3
	v_cvt_f64_f32_e32 v[12:13], v3
.LBB7_1858:
	s_cbranch_execnz .LBB7_1878
.LBB7_1859:
	v_cmp_lt_i16_e64 s[6:7], s28, 2
	s_and_b64 vcc, exec, s[6:7]
	s_cbranch_vccnz .LBB7_1863
; %bb.1860:
	v_cmp_lt_i16_e64 s[6:7], s28, 3
	s_and_b64 vcc, exec, s[6:7]
	s_cbranch_vccnz .LBB7_1864
; %bb.1861:
	v_cmp_gt_i16_e64 s[6:7], s28, 3
	s_and_b64 vcc, exec, s[6:7]
	s_cbranch_vccz .LBB7_1865
; %bb.1862:
	global_load_dwordx2 v[12:13], v[24:25], off
	s_mov_b64 s[6:7], 0
	s_waitcnt vmcnt(0)
	v_cvt_f64_i32_e32 v[26:27], v13
	v_cvt_f64_u32_e32 v[12:13], v12
	v_ldexp_f64 v[26:27], v[26:27], 32
	v_add_f64 v[12:13], v[26:27], v[12:13]
	s_branch .LBB7_1866
.LBB7_1863:
	s_mov_b64 s[6:7], -1
                                        ; implicit-def: $vgpr12_vgpr13
	s_branch .LBB7_1872
.LBB7_1864:
	s_mov_b64 s[6:7], -1
                                        ; implicit-def: $vgpr12_vgpr13
	s_branch .LBB7_1869
.LBB7_1865:
	s_mov_b64 s[6:7], -1
                                        ; implicit-def: $vgpr12_vgpr13
.LBB7_1866:
	s_andn2_b64 vcc, exec, s[6:7]
	s_cbranch_vccnz .LBB7_1868
; %bb.1867:
	global_load_dword v3, v[24:25], off
	s_waitcnt vmcnt(0)
	v_cvt_f64_i32_e32 v[12:13], v3
.LBB7_1868:
	s_mov_b64 s[6:7], 0
.LBB7_1869:
	s_andn2_b64 vcc, exec, s[6:7]
	s_cbranch_vccnz .LBB7_1871
; %bb.1870:
	global_load_sshort v3, v[24:25], off
	s_waitcnt vmcnt(0)
	v_cvt_f64_i32_e32 v[12:13], v3
.LBB7_1871:
	s_mov_b64 s[6:7], 0
.LBB7_1872:
	s_andn2_b64 vcc, exec, s[6:7]
	s_cbranch_vccnz .LBB7_1878
; %bb.1873:
	v_cmp_gt_i16_e64 s[6:7], s28, 0
	s_and_b64 vcc, exec, s[6:7]
	s_cbranch_vccz .LBB7_1875
; %bb.1874:
	global_load_sbyte v3, v[24:25], off
	s_mov_b64 s[6:7], 0
	s_waitcnt vmcnt(0)
	v_cvt_f64_i32_e32 v[12:13], v3
	s_branch .LBB7_1876
.LBB7_1875:
	s_mov_b64 s[6:7], -1
                                        ; implicit-def: $vgpr12_vgpr13
.LBB7_1876:
	s_andn2_b64 vcc, exec, s[6:7]
	s_cbranch_vccnz .LBB7_1878
; %bb.1877:
	global_load_ubyte v3, v[24:25], off
	s_waitcnt vmcnt(0)
	v_cvt_f64_u32_e32 v[12:13], v3
.LBB7_1878:
.LBB7_1879:
	v_mov_b32_e32 v3, s11
	v_add_co_u32_e32 v24, vcc, s10, v14
	v_addc_co_u32_e32 v25, vcc, 0, v3, vcc
	v_mov_b32_e32 v3, 11
	v_cmp_lt_i16_sdwa s[6:7], s27, v3 src0_sel:BYTE_0 src1_sel:DWORD
	s_and_b64 vcc, exec, s[6:7]
	s_cbranch_vccnz .LBB7_1886
; %bb.1880:
	v_mov_b32_e32 v3, 25
	v_cmp_gt_i16_sdwa s[6:7], s27, v3 src0_sel:BYTE_0 src1_sel:DWORD
	s_mov_b64 s[16:17], 0
	s_and_b64 vcc, exec, s[6:7]
	s_cbranch_vccz .LBB7_1888
; %bb.1881:
	v_mov_b32_e32 v3, 28
	v_cmp_gt_i16_sdwa s[6:7], s27, v3 src0_sel:BYTE_0 src1_sel:DWORD
	s_and_b64 vcc, exec, s[6:7]
	s_cbranch_vccz .LBB7_1889
; %bb.1882:
	v_mov_b32_e32 v3, 43
	v_cmp_gt_i16_sdwa s[6:7], s27, v3 src0_sel:BYTE_0 src1_sel:DWORD
	s_and_b64 vcc, exec, s[6:7]
	s_cbranch_vccz .LBB7_1890
; %bb.1883:
	v_mov_b32_e32 v3, 45
	v_cmp_gt_i16_sdwa s[6:7], s27, v3 src0_sel:BYTE_0 src1_sel:DWORD
	s_and_b64 vcc, exec, s[6:7]
	s_cbranch_vccz .LBB7_1892
; %bb.1884:
	v_mov_b32_e32 v3, 46
	v_cmp_eq_u16_sdwa s[6:7], s27, v3 src0_sel:BYTE_0 src1_sel:DWORD
	s_mov_b64 s[20:21], 0
	s_and_b64 vcc, exec, s[6:7]
	s_cbranch_vccz .LBB7_1893
; %bb.1885:
	global_load_dword v3, v[24:25], off
	s_mov_b64 s[6:7], 0
	s_mov_b64 s[18:19], -1
	s_waitcnt vmcnt(0)
	v_lshlrev_b32_e32 v3, 16, v3
	v_cvt_f64_f32_e32 v[14:15], v3
	s_branch .LBB7_1894
.LBB7_1886:
	s_mov_b64 s[18:19], 0
                                        ; implicit-def: $vgpr14_vgpr15
	s_cbranch_execnz .LBB7_1960
.LBB7_1887:
	s_andn2_b64 vcc, exec, s[18:19]
	s_cbranch_vccnz .LBB7_3113
	s_branch .LBB7_2008
.LBB7_1888:
	s_mov_b64 s[20:21], -1
	s_mov_b64 s[18:19], 0
	s_mov_b64 s[6:7], 0
                                        ; implicit-def: $vgpr14_vgpr15
	s_branch .LBB7_1923
.LBB7_1889:
	s_mov_b64 s[20:21], -1
	s_mov_b64 s[18:19], 0
	s_mov_b64 s[6:7], 0
                                        ; implicit-def: $vgpr14_vgpr15
	s_branch .LBB7_1904
.LBB7_1890:
	s_mov_b64 s[20:21], -1
	s_mov_b64 s[18:19], 0
	s_mov_b64 s[6:7], 0
                                        ; implicit-def: $vgpr14_vgpr15
	s_branch .LBB7_1899
.LBB7_1891:
	s_trap 2
	s_or_b64 s[4:5], s[4:5], exec
                                        ; implicit-def: $vgpr12_vgpr13
	s_cbranch_execz .LBB7_1830
	s_branch .LBB7_1831
.LBB7_1892:
	s_mov_b64 s[20:21], -1
	s_mov_b64 s[18:19], 0
	s_mov_b64 s[6:7], 0
                                        ; implicit-def: $vgpr14_vgpr15
	s_branch .LBB7_1894
.LBB7_1893:
	s_mov_b64 s[6:7], -1
                                        ; implicit-def: $vgpr14_vgpr15
	s_mov_b64 s[18:19], 0
.LBB7_1894:
	s_and_b64 vcc, exec, s[20:21]
	s_cbranch_vccz .LBB7_1898
; %bb.1895:
	v_mov_b32_e32 v3, 44
	v_cmp_eq_u16_sdwa s[6:7], s27, v3 src0_sel:BYTE_0 src1_sel:DWORD
	s_and_b64 vcc, exec, s[6:7]
	s_cbranch_vccz .LBB7_1897
; %bb.1896:
	global_load_ubyte v3, v[24:25], off
	s_movk_i32 s18, 0xff
	v_bfrev_b32_e32 v5, 4
	v_mov_b32_e32 v7, 0x7ff80000
	v_bfrev_b32_e32 v9, 28
	s_mov_b64 s[6:7], 0
	s_waitcnt vmcnt(0)
	v_lshlrev_b32_e32 v11, 23, v3
	v_cvt_f64_f32_e32 v[14:15], v11
	v_cmp_ne_u32_e32 vcc, s18, v3
	v_cndmask_b32_e32 v5, v5, v14, vcc
	v_cndmask_b32_e32 v7, v7, v15, vcc
	v_cmp_ne_u32_e32 vcc, 0, v3
	v_cndmask_b32_e32 v15, v9, v7, vcc
	v_cndmask_b32_e32 v14, 0, v5, vcc
	s_mov_b64 s[18:19], -1
	s_branch .LBB7_1898
.LBB7_1897:
	s_mov_b64 s[6:7], -1
                                        ; implicit-def: $vgpr14_vgpr15
.LBB7_1898:
	s_mov_b64 s[20:21], 0
.LBB7_1899:
	s_and_b64 vcc, exec, s[20:21]
	s_cbranch_vccz .LBB7_1903
; %bb.1900:
	v_mov_b32_e32 v3, 29
	v_cmp_eq_u16_sdwa s[6:7], s27, v3 src0_sel:BYTE_0 src1_sel:DWORD
	s_and_b64 vcc, exec, s[6:7]
	s_cbranch_vccz .LBB7_1902
; %bb.1901:
	global_load_dwordx2 v[14:15], v[24:25], off
	s_mov_b64 s[6:7], 0
	s_mov_b64 s[18:19], -1
	s_mov_b64 s[20:21], 0
	s_waitcnt vmcnt(0)
	v_cvt_f64_u32_e32 v[26:27], v15
	v_cvt_f64_u32_e32 v[14:15], v14
	v_ldexp_f64 v[26:27], v[26:27], 32
	v_add_f64 v[14:15], v[26:27], v[14:15]
	s_branch .LBB7_1904
.LBB7_1902:
	s_mov_b64 s[6:7], -1
                                        ; implicit-def: $vgpr14_vgpr15
.LBB7_1903:
	s_mov_b64 s[20:21], 0
.LBB7_1904:
	s_and_b64 vcc, exec, s[20:21]
	s_cbranch_vccz .LBB7_1922
; %bb.1905:
	v_mov_b32_e32 v3, 27
	v_cmp_lt_i16_sdwa s[18:19], s27, v3 src0_sel:BYTE_0 src1_sel:DWORD
	s_and_b64 vcc, exec, s[18:19]
	s_cbranch_vccnz .LBB7_1908
; %bb.1906:
	v_cmp_gt_i16_sdwa s[18:19], s27, v3 src0_sel:BYTE_0 src1_sel:DWORD
	s_and_b64 vcc, exec, s[18:19]
	s_cbranch_vccz .LBB7_1909
; %bb.1907:
	global_load_dword v3, v[24:25], off
	s_mov_b64 s[18:19], 0
	s_waitcnt vmcnt(0)
	v_cvt_f64_u32_e32 v[14:15], v3
	s_branch .LBB7_1910
.LBB7_1908:
	s_mov_b64 s[18:19], -1
                                        ; implicit-def: $vgpr14_vgpr15
	s_branch .LBB7_1913
.LBB7_1909:
	s_mov_b64 s[18:19], -1
                                        ; implicit-def: $vgpr14_vgpr15
.LBB7_1910:
	s_andn2_b64 vcc, exec, s[18:19]
	s_cbranch_vccnz .LBB7_1912
; %bb.1911:
	global_load_ushort v3, v[24:25], off
	s_waitcnt vmcnt(0)
	v_cvt_f64_u32_e32 v[14:15], v3
.LBB7_1912:
	s_mov_b64 s[18:19], 0
.LBB7_1913:
	s_andn2_b64 vcc, exec, s[18:19]
	s_cbranch_vccnz .LBB7_1921
; %bb.1914:
	global_load_ubyte v3, v[24:25], off
	s_movk_i32 s18, 0x7f
                                        ; implicit-def: $sgpr20_sgpr21
	s_waitcnt vmcnt(0)
	v_cmp_lt_i16_e32 vcc, s18, v3
	s_mov_b64 s[18:19], 0
	s_and_saveexec_b64 s[22:23], vcc
	s_xor_b64 s[22:23], exec, s[22:23]
	s_cbranch_execz .LBB7_1935
; %bb.1915:
	s_movk_i32 s18, 0x80
	v_cmp_eq_u16_e32 vcc, s18, v3
	s_mov_b64 s[24:25], -1
                                        ; implicit-def: $sgpr20_sgpr21
	s_and_saveexec_b64 s[18:19], vcc
; %bb.1916:
	s_mov_b32 s21, 0x7ff80000
	s_brev_b32 s20, 4
	s_xor_b64 s[24:25], exec, -1
; %bb.1917:
	s_or_b64 exec, exec, s[18:19]
	s_and_b64 s[18:19], s[24:25], exec
	s_or_saveexec_b64 s[22:23], s[22:23]
	v_pk_mov_b32 v[14:15], s[20:21], s[20:21] op_sel:[0,1]
	s_xor_b64 exec, exec, s[22:23]
	s_cbranch_execnz .LBB7_1936
.LBB7_1918:
	s_or_b64 exec, exec, s[22:23]
	s_and_saveexec_b64 s[20:21], s[18:19]
	s_cbranch_execz .LBB7_1920
.LBB7_1919:
	v_lshlrev_b32_e32 v5, 24, v3
	v_and_b32_e32 v3, 0xffff, v3
	v_and_b32_e32 v7, 7, v3
	v_ffbh_u32_e32 v11, v7
	v_min_u32_e32 v11, 32, v11
	v_subrev_u32_e32 v14, 28, v11
	v_bfe_u32 v9, v3, 3, 4
	v_lshlrev_b32_e32 v3, v14, v3
	v_sub_u32_e32 v11, 29, v11
	v_and_b32_e32 v3, 7, v3
	v_cmp_eq_u32_e32 vcc, 0, v9
	v_cndmask_b32_e32 v9, v9, v11, vcc
	v_cndmask_b32_e32 v3, v7, v3, vcc
	v_mov_b32_e32 v7, 0x3b800000
	v_lshlrev_b32_e32 v3, 20, v3
	v_and_b32_e32 v5, 0x80000000, v5
	v_lshl_add_u32 v7, v9, 23, v7
	v_or3_b32 v3, v5, v7, v3
	v_cvt_f64_f32_e32 v[14:15], v3
.LBB7_1920:
	s_or_b64 exec, exec, s[20:21]
.LBB7_1921:
	s_mov_b64 s[18:19], -1
.LBB7_1922:
	s_mov_b64 s[20:21], 0
.LBB7_1923:
	s_and_b64 vcc, exec, s[20:21]
	s_cbranch_vccz .LBB7_1956
; %bb.1924:
	v_mov_b32_e32 v3, 22
	v_cmp_gt_i16_sdwa s[16:17], s27, v3 src0_sel:BYTE_0 src1_sel:DWORD
	s_and_b64 vcc, exec, s[16:17]
	s_cbranch_vccz .LBB7_1934
; %bb.1925:
	v_mov_b32_e32 v3, 24
	v_cmp_lt_i16_sdwa s[16:17], s27, v3 src0_sel:BYTE_0 src1_sel:DWORD
	s_and_b64 vcc, exec, s[16:17]
	s_cbranch_vccnz .LBB7_1937
; %bb.1926:
	v_cmp_gt_i16_sdwa s[16:17], s27, v3 src0_sel:BYTE_0 src1_sel:DWORD
	s_and_b64 vcc, exec, s[16:17]
	s_cbranch_vccz .LBB7_1938
; %bb.1927:
	global_load_ubyte v3, v[24:25], off
	s_movk_i32 s16, 0x7f
                                        ; implicit-def: $sgpr18_sgpr19
	s_waitcnt vmcnt(0)
	v_cmp_lt_i16_e32 vcc, s16, v3
	s_mov_b64 s[16:17], 0
	s_and_saveexec_b64 s[20:21], vcc
	s_xor_b64 s[20:21], exec, s[20:21]
	s_cbranch_execz .LBB7_1950
; %bb.1928:
	s_movk_i32 s16, 0x80
	v_cmp_eq_u16_e32 vcc, s16, v3
	s_mov_b64 s[22:23], -1
                                        ; implicit-def: $sgpr18_sgpr19
	s_and_saveexec_b64 s[16:17], vcc
; %bb.1929:
	s_mov_b32 s19, 0x7ff80000
	s_brev_b32 s18, 4
	s_xor_b64 s[22:23], exec, -1
; %bb.1930:
	s_or_b64 exec, exec, s[16:17]
	s_and_b64 s[16:17], s[22:23], exec
	s_or_saveexec_b64 s[20:21], s[20:21]
	v_pk_mov_b32 v[14:15], s[18:19], s[18:19] op_sel:[0,1]
	s_xor_b64 exec, exec, s[20:21]
	s_cbranch_execnz .LBB7_1951
.LBB7_1931:
	s_or_b64 exec, exec, s[20:21]
	s_and_saveexec_b64 s[18:19], s[16:17]
	s_cbranch_execz .LBB7_1933
.LBB7_1932:
	v_lshlrev_b32_e32 v5, 24, v3
	v_and_b32_e32 v3, 0xffff, v3
	v_and_b32_e32 v7, 3, v3
	v_ffbh_u32_e32 v11, v7
	v_min_u32_e32 v11, 32, v11
	v_subrev_u32_e32 v14, 29, v11
	v_bfe_u32 v9, v3, 2, 5
	v_lshlrev_b32_e32 v3, v14, v3
	v_sub_u32_e32 v11, 30, v11
	v_and_b32_e32 v3, 3, v3
	v_cmp_eq_u32_e32 vcc, 0, v9
	v_cndmask_b32_e32 v9, v9, v11, vcc
	v_cndmask_b32_e32 v3, v7, v3, vcc
	v_mov_b32_e32 v7, 0x37800000
	v_lshlrev_b32_e32 v3, 21, v3
	v_and_b32_e32 v5, 0x80000000, v5
	v_lshl_add_u32 v7, v9, 23, v7
	v_or3_b32 v3, v5, v7, v3
	v_cvt_f64_f32_e32 v[14:15], v3
.LBB7_1933:
	s_or_b64 exec, exec, s[18:19]
	s_mov_b64 s[16:17], 0
	s_branch .LBB7_1939
.LBB7_1934:
	s_mov_b64 s[16:17], -1
                                        ; implicit-def: $vgpr14_vgpr15
	s_branch .LBB7_1945
.LBB7_1935:
	s_or_saveexec_b64 s[22:23], s[22:23]
	v_pk_mov_b32 v[14:15], s[20:21], s[20:21] op_sel:[0,1]
	s_xor_b64 exec, exec, s[22:23]
	s_cbranch_execz .LBB7_1918
.LBB7_1936:
	v_cmp_ne_u16_e32 vcc, 0, v3
	s_andn2_b64 s[18:19], s[18:19], exec
	s_and_b64 s[20:21], vcc, exec
	v_pk_mov_b32 v[14:15], 0, 0
	s_or_b64 s[18:19], s[18:19], s[20:21]
	s_or_b64 exec, exec, s[22:23]
	s_and_saveexec_b64 s[20:21], s[18:19]
	s_cbranch_execnz .LBB7_1919
	s_branch .LBB7_1920
.LBB7_1937:
	s_mov_b64 s[16:17], -1
                                        ; implicit-def: $vgpr14_vgpr15
	s_branch .LBB7_1942
.LBB7_1938:
	s_mov_b64 s[16:17], -1
                                        ; implicit-def: $vgpr14_vgpr15
.LBB7_1939:
	s_and_b64 vcc, exec, s[16:17]
	s_cbranch_vccz .LBB7_1941
; %bb.1940:
	global_load_ubyte v3, v[24:25], off
	s_mov_b32 s16, 0x7f800000
	s_waitcnt vmcnt(0)
	v_lshlrev_b32_e32 v3, 24, v3
	v_and_b32_e32 v5, 0x7f000000, v3
	v_ffbh_u32_e32 v7, v5
	v_min_u32_e32 v7, 32, v7
	v_sub_u32_e64 v7, v7, 4 clamp
	v_lshlrev_b32_e32 v11, v7, v5
	v_lshlrev_b32_e32 v7, 23, v7
	v_lshrrev_b32_e32 v11, 4, v11
	v_add_u32_e32 v9, 0x1000000, v5
	v_sub_u32_e32 v7, v11, v7
	v_ashrrev_i32_e32 v9, 8, v9
	v_add_u32_e32 v7, 0x3c000000, v7
	v_and_or_b32 v7, v9, s16, v7
	v_cmp_ne_u32_e32 vcc, 0, v5
	v_cndmask_b32_e32 v5, 0, v7, vcc
	s_brev_b32 s16, 1
	v_and_or_b32 v3, v3, s16, v5
	v_cvt_f64_f32_e32 v[14:15], v3
.LBB7_1941:
	s_mov_b64 s[16:17], 0
.LBB7_1942:
	s_andn2_b64 vcc, exec, s[16:17]
	s_cbranch_vccnz .LBB7_1944
; %bb.1943:
	global_load_ubyte v3, v[24:25], off
	s_movk_i32 s16, 0x7f00
	s_brev_b32 s17, 16
	s_waitcnt vmcnt(0)
	v_lshlrev_b16_e32 v5, 8, v3
	v_lshlrev_b32_e32 v3, 25, v3
	v_lshrrev_b32_e32 v7, 4, v3
	v_and_or_b32 v9, v5, s16, 0.5
	v_or_b32_e32 v7, 0x70000000, v7
	v_add_f32_e32 v9, -0.5, v9
	v_mul_f32_e32 v7, 0x7800000, v7
	v_cmp_gt_u32_e32 vcc, s17, v3
	v_bfe_i32 v5, v5, 0, 16
	v_cndmask_b32_e32 v3, v7, v9, vcc
	s_brev_b32 s16, 1
	v_and_or_b32 v3, v5, s16, v3
	v_cvt_f64_f32_e32 v[14:15], v3
.LBB7_1944:
	s_mov_b64 s[16:17], 0
	s_mov_b64 s[18:19], -1
.LBB7_1945:
	s_andn2_b64 vcc, exec, s[16:17]
	s_mov_b64 s[16:17], 0
	s_cbranch_vccnz .LBB7_1956
; %bb.1946:
	v_mov_b32_e32 v3, 14
	v_cmp_gt_i16_sdwa s[16:17], s27, v3 src0_sel:BYTE_0 src1_sel:DWORD
	s_and_b64 vcc, exec, s[16:17]
	s_cbranch_vccz .LBB7_1949
; %bb.1947:
	v_mov_b32_e32 v3, 15
	v_cmp_eq_u16_sdwa s[6:7], s27, v3 src0_sel:BYTE_0 src1_sel:DWORD
	s_and_b64 vcc, exec, s[6:7]
	s_cbranch_vccz .LBB7_1952
; %bb.1948:
	global_load_ushort v3, v[24:25], off
	s_mov_b64 s[6:7], 0
	s_mov_b64 s[18:19], -1
	s_waitcnt vmcnt(0)
	v_lshlrev_b32_e32 v3, 16, v3
	v_cvt_f64_f32_e32 v[14:15], v3
	s_branch .LBB7_1953
.LBB7_1949:
	s_mov_b64 s[20:21], -1
                                        ; implicit-def: $vgpr14_vgpr15
	s_branch .LBB7_1954
.LBB7_1950:
	s_or_saveexec_b64 s[20:21], s[20:21]
	v_pk_mov_b32 v[14:15], s[18:19], s[18:19] op_sel:[0,1]
	s_xor_b64 exec, exec, s[20:21]
	s_cbranch_execz .LBB7_1931
.LBB7_1951:
	v_cmp_ne_u16_e32 vcc, 0, v3
	s_andn2_b64 s[16:17], s[16:17], exec
	s_and_b64 s[18:19], vcc, exec
	v_pk_mov_b32 v[14:15], 0, 0
	s_or_b64 s[16:17], s[16:17], s[18:19]
	s_or_b64 exec, exec, s[20:21]
	s_and_saveexec_b64 s[18:19], s[16:17]
	s_cbranch_execnz .LBB7_1932
	s_branch .LBB7_1933
.LBB7_1952:
	s_mov_b64 s[6:7], -1
                                        ; implicit-def: $vgpr14_vgpr15
.LBB7_1953:
	s_mov_b64 s[20:21], 0
.LBB7_1954:
	s_mov_b64 s[16:17], 0
	s_and_b64 vcc, exec, s[20:21]
	s_cbranch_vccz .LBB7_1956
; %bb.1955:
	v_mov_b32_e32 v3, 11
	v_cmp_ne_u16_sdwa s[6:7], s27, v3 src0_sel:BYTE_0 src1_sel:DWORD
	s_mov_b64 s[16:17], -1
                                        ; implicit-def: $vgpr14_vgpr15
.LBB7_1956:
	s_and_b64 vcc, exec, s[6:7]
	s_cbranch_vccnz .LBB7_2019
; %bb.1957:
	s_andn2_b64 vcc, exec, s[16:17]
	s_cbranch_vccnz .LBB7_1959
.LBB7_1958:
	global_load_ubyte v3, v[24:25], off
	v_mov_b32_e32 v5, 0x3ff00000
	v_mov_b32_e32 v14, 0
	s_mov_b64 s[18:19], -1
	s_waitcnt vmcnt(0)
	v_cmp_ne_u16_e32 vcc, 0, v3
	v_cndmask_b32_e32 v15, 0, v5, vcc
.LBB7_1959:
	s_branch .LBB7_1887
.LBB7_1960:
	v_mov_b32_e32 v3, 5
	v_cmp_lt_i16_sdwa s[6:7], s27, v3 src0_sel:BYTE_0 src1_sel:DWORD
	s_and_b64 vcc, exec, s[6:7]
	s_cbranch_vccnz .LBB7_1965
; %bb.1961:
	v_mov_b32_e32 v3, 8
	v_cmp_lt_i16_sdwa s[6:7], s27, v3 src0_sel:BYTE_0 src1_sel:DWORD
	s_and_b64 vcc, exec, s[6:7]
	s_cbranch_vccnz .LBB7_1966
; %bb.1962:
	v_mov_b32_e32 v3, 9
	v_cmp_lt_i16_sdwa s[6:7], s27, v3 src0_sel:BYTE_0 src1_sel:DWORD
	s_and_b64 vcc, exec, s[6:7]
	s_cbranch_vccnz .LBB7_1967
; %bb.1963:
	v_cmp_gt_i16_sdwa s[6:7], s27, v3 src0_sel:BYTE_0 src1_sel:DWORD
	s_and_b64 vcc, exec, s[6:7]
	s_cbranch_vccz .LBB7_1968
; %bb.1964:
	global_load_dwordx2 v[14:15], v[24:25], off
	s_mov_b64 s[6:7], 0
	s_branch .LBB7_1969
.LBB7_1965:
	s_mov_b64 s[6:7], -1
                                        ; implicit-def: $vgpr14_vgpr15
	s_branch .LBB7_1987
.LBB7_1966:
	s_mov_b64 s[6:7], -1
                                        ; implicit-def: $vgpr14_vgpr15
	s_branch .LBB7_1975
.LBB7_1967:
	s_mov_b64 s[6:7], -1
                                        ; implicit-def: $vgpr14_vgpr15
	s_branch .LBB7_1972
.LBB7_1968:
	s_mov_b64 s[6:7], -1
                                        ; implicit-def: $vgpr14_vgpr15
.LBB7_1969:
	s_andn2_b64 vcc, exec, s[6:7]
	s_cbranch_vccnz .LBB7_1971
; %bb.1970:
	global_load_dword v3, v[24:25], off
	s_waitcnt vmcnt(0)
	v_cvt_f64_f32_e32 v[14:15], v3
.LBB7_1971:
	s_mov_b64 s[6:7], 0
.LBB7_1972:
	s_andn2_b64 vcc, exec, s[6:7]
	s_cbranch_vccnz .LBB7_1974
; %bb.1973:
	global_load_dword v3, v[24:25], off
	s_waitcnt vmcnt(0)
	v_cvt_f32_f16_e32 v3, v3
	v_cvt_f64_f32_e32 v[14:15], v3
.LBB7_1974:
	s_mov_b64 s[6:7], 0
.LBB7_1975:
	s_andn2_b64 vcc, exec, s[6:7]
	s_cbranch_vccnz .LBB7_1986
; %bb.1976:
	v_mov_b32_e32 v3, 6
	v_cmp_lt_i16_sdwa s[6:7], s27, v3 src0_sel:BYTE_0 src1_sel:DWORD
	s_and_b64 vcc, exec, s[6:7]
	s_cbranch_vccnz .LBB7_1979
; %bb.1977:
	v_cmp_gt_i16_sdwa s[6:7], s27, v3 src0_sel:BYTE_0 src1_sel:DWORD
	s_and_b64 vcc, exec, s[6:7]
	s_cbranch_vccz .LBB7_1980
; %bb.1978:
	global_load_dwordx2 v[14:15], v[24:25], off
	s_mov_b64 s[6:7], 0
	s_branch .LBB7_1981
.LBB7_1979:
	s_mov_b64 s[6:7], -1
                                        ; implicit-def: $vgpr14_vgpr15
	s_branch .LBB7_1984
.LBB7_1980:
	s_mov_b64 s[6:7], -1
                                        ; implicit-def: $vgpr14_vgpr15
.LBB7_1981:
	s_andn2_b64 vcc, exec, s[6:7]
	s_cbranch_vccnz .LBB7_1983
; %bb.1982:
	global_load_dword v3, v[24:25], off
	s_waitcnt vmcnt(0)
	v_cvt_f64_f32_e32 v[14:15], v3
.LBB7_1983:
	s_mov_b64 s[6:7], 0
.LBB7_1984:
	s_andn2_b64 vcc, exec, s[6:7]
	s_cbranch_vccnz .LBB7_1986
; %bb.1985:
	global_load_ushort v3, v[24:25], off
	s_waitcnt vmcnt(0)
	v_cvt_f32_f16_e32 v3, v3
	v_cvt_f64_f32_e32 v[14:15], v3
.LBB7_1986:
	s_mov_b64 s[6:7], 0
.LBB7_1987:
	s_andn2_b64 vcc, exec, s[6:7]
	s_cbranch_vccnz .LBB7_2007
; %bb.1988:
	v_mov_b32_e32 v3, 2
	v_cmp_lt_i16_sdwa s[6:7], s27, v3 src0_sel:BYTE_0 src1_sel:DWORD
	s_and_b64 vcc, exec, s[6:7]
	s_cbranch_vccnz .LBB7_1992
; %bb.1989:
	v_mov_b32_e32 v3, 3
	v_cmp_lt_i16_sdwa s[6:7], s27, v3 src0_sel:BYTE_0 src1_sel:DWORD
	s_and_b64 vcc, exec, s[6:7]
	s_cbranch_vccnz .LBB7_1993
; %bb.1990:
	v_cmp_gt_i16_sdwa s[6:7], s27, v3 src0_sel:BYTE_0 src1_sel:DWORD
	s_and_b64 vcc, exec, s[6:7]
	s_cbranch_vccz .LBB7_1994
; %bb.1991:
	global_load_dwordx2 v[14:15], v[24:25], off
	s_mov_b64 s[6:7], 0
	s_waitcnt vmcnt(0)
	v_cvt_f64_i32_e32 v[26:27], v15
	v_cvt_f64_u32_e32 v[14:15], v14
	v_ldexp_f64 v[26:27], v[26:27], 32
	v_add_f64 v[14:15], v[26:27], v[14:15]
	s_branch .LBB7_1995
.LBB7_1992:
	s_mov_b64 s[6:7], -1
                                        ; implicit-def: $vgpr14_vgpr15
	s_branch .LBB7_2001
.LBB7_1993:
	s_mov_b64 s[6:7], -1
                                        ; implicit-def: $vgpr14_vgpr15
	s_branch .LBB7_1998
.LBB7_1994:
	s_mov_b64 s[6:7], -1
                                        ; implicit-def: $vgpr14_vgpr15
.LBB7_1995:
	s_andn2_b64 vcc, exec, s[6:7]
	s_cbranch_vccnz .LBB7_1997
; %bb.1996:
	global_load_dword v3, v[24:25], off
	s_waitcnt vmcnt(0)
	v_cvt_f64_i32_e32 v[14:15], v3
.LBB7_1997:
	s_mov_b64 s[6:7], 0
.LBB7_1998:
	s_andn2_b64 vcc, exec, s[6:7]
	s_cbranch_vccnz .LBB7_2000
; %bb.1999:
	global_load_sshort v3, v[24:25], off
	s_waitcnt vmcnt(0)
	v_cvt_f64_i32_e32 v[14:15], v3
.LBB7_2000:
	s_mov_b64 s[6:7], 0
.LBB7_2001:
	s_andn2_b64 vcc, exec, s[6:7]
	s_cbranch_vccnz .LBB7_2007
; %bb.2002:
	v_mov_b32_e32 v3, 0
	v_cmp_gt_i16_sdwa s[6:7], s27, v3 src0_sel:BYTE_0 src1_sel:DWORD
	s_and_b64 vcc, exec, s[6:7]
	s_cbranch_vccz .LBB7_2004
; %bb.2003:
	global_load_sbyte v3, v[24:25], off
	s_mov_b64 s[6:7], 0
	s_waitcnt vmcnt(0)
	v_cvt_f64_i32_e32 v[14:15], v3
	s_branch .LBB7_2005
.LBB7_2004:
	s_mov_b64 s[6:7], -1
                                        ; implicit-def: $vgpr14_vgpr15
.LBB7_2005:
	s_andn2_b64 vcc, exec, s[6:7]
	s_cbranch_vccnz .LBB7_2007
; %bb.2006:
	global_load_ubyte v3, v[24:25], off
	s_waitcnt vmcnt(0)
	v_cvt_f64_u32_e32 v[14:15], v3
.LBB7_2007:
.LBB7_2008:
	v_mov_b32_e32 v3, s1
	v_add_co_u32_e32 v24, vcc, s0, v18
	v_addc_co_u32_e32 v25, vcc, 0, v3, vcc
	s_and_b64 vcc, exec, s[2:3]
	s_cbranch_vccnz .LBB7_2015
; %bb.2009:
	v_cmp_gt_i16_e64 s[6:7], s28, 25
	s_mov_b64 s[16:17], 0
	s_and_b64 vcc, exec, s[6:7]
	s_cbranch_vccz .LBB7_2016
; %bb.2010:
	v_cmp_gt_i16_e64 s[6:7], s28, 28
	s_and_b64 vcc, exec, s[6:7]
	s_cbranch_vccz .LBB7_2017
; %bb.2011:
	v_cmp_gt_i16_e64 s[6:7], s28, 43
	;; [unrolled: 4-line block ×3, first 2 shown]
	s_and_b64 vcc, exec, s[6:7]
	s_cbranch_vccz .LBB7_2020
; %bb.2013:
	v_cmp_eq_u16_e64 s[6:7], s28, 46
	s_mov_b64 s[20:21], 0
	s_and_b64 vcc, exec, s[6:7]
	s_cbranch_vccz .LBB7_2021
; %bb.2014:
	global_load_dword v3, v[24:25], off
	s_mov_b64 s[6:7], 0
	s_mov_b64 s[18:19], -1
	s_waitcnt vmcnt(0)
	v_lshlrev_b32_e32 v3, 16, v3
	v_cvt_f64_f32_e32 v[18:19], v3
	s_branch .LBB7_2022
.LBB7_2015:
	s_mov_b64 s[6:7], -1
	s_mov_b64 s[18:19], 0
                                        ; implicit-def: $vgpr18_vgpr19
	s_branch .LBB7_2088
.LBB7_2016:
	s_mov_b64 s[20:21], -1
	s_mov_b64 s[18:19], 0
	s_mov_b64 s[6:7], 0
                                        ; implicit-def: $vgpr18_vgpr19
	s_branch .LBB7_2051
.LBB7_2017:
	s_mov_b64 s[20:21], -1
	s_mov_b64 s[18:19], 0
	s_mov_b64 s[6:7], 0
                                        ; implicit-def: $vgpr18_vgpr19
	s_branch .LBB7_2032
.LBB7_2018:
	s_mov_b64 s[20:21], -1
	s_mov_b64 s[18:19], 0
	s_mov_b64 s[6:7], 0
                                        ; implicit-def: $vgpr18_vgpr19
	s_branch .LBB7_2027
.LBB7_2019:
	s_trap 2
	s_or_b64 s[4:5], s[4:5], exec
                                        ; implicit-def: $vgpr14_vgpr15
	s_cbranch_execz .LBB7_1958
	s_branch .LBB7_1959
.LBB7_2020:
	s_mov_b64 s[20:21], -1
	s_mov_b64 s[18:19], 0
	s_mov_b64 s[6:7], 0
                                        ; implicit-def: $vgpr18_vgpr19
	s_branch .LBB7_2022
.LBB7_2021:
	s_mov_b64 s[6:7], -1
                                        ; implicit-def: $vgpr18_vgpr19
	s_mov_b64 s[18:19], 0
.LBB7_2022:
	s_and_b64 vcc, exec, s[20:21]
	s_cbranch_vccz .LBB7_2026
; %bb.2023:
	v_cmp_eq_u16_e64 s[6:7], s28, 44
	s_and_b64 vcc, exec, s[6:7]
	s_cbranch_vccz .LBB7_2025
; %bb.2024:
	global_load_ubyte v3, v[24:25], off
	s_movk_i32 s18, 0xff
	v_bfrev_b32_e32 v5, 4
	v_mov_b32_e32 v7, 0x7ff80000
	v_bfrev_b32_e32 v9, 28
	s_mov_b64 s[6:7], 0
	s_waitcnt vmcnt(0)
	v_lshlrev_b32_e32 v11, 23, v3
	v_cvt_f64_f32_e32 v[18:19], v11
	v_cmp_ne_u32_e32 vcc, s18, v3
	v_cndmask_b32_e32 v5, v5, v18, vcc
	v_cndmask_b32_e32 v7, v7, v19, vcc
	v_cmp_ne_u32_e32 vcc, 0, v3
	v_cndmask_b32_e32 v19, v9, v7, vcc
	v_cndmask_b32_e32 v18, 0, v5, vcc
	s_mov_b64 s[18:19], -1
	s_branch .LBB7_2026
.LBB7_2025:
	s_mov_b64 s[6:7], -1
                                        ; implicit-def: $vgpr18_vgpr19
.LBB7_2026:
	s_mov_b64 s[20:21], 0
.LBB7_2027:
	s_and_b64 vcc, exec, s[20:21]
	s_cbranch_vccz .LBB7_2031
; %bb.2028:
	v_cmp_eq_u16_e64 s[6:7], s28, 29
	s_and_b64 vcc, exec, s[6:7]
	s_cbranch_vccz .LBB7_2030
; %bb.2029:
	global_load_dwordx2 v[18:19], v[24:25], off
	s_mov_b64 s[6:7], 0
	s_mov_b64 s[18:19], -1
	s_mov_b64 s[20:21], 0
	s_waitcnt vmcnt(0)
	v_cvt_f64_u32_e32 v[26:27], v19
	v_cvt_f64_u32_e32 v[18:19], v18
	v_ldexp_f64 v[26:27], v[26:27], 32
	v_add_f64 v[18:19], v[26:27], v[18:19]
	s_branch .LBB7_2032
.LBB7_2030:
	s_mov_b64 s[6:7], -1
                                        ; implicit-def: $vgpr18_vgpr19
.LBB7_2031:
	s_mov_b64 s[20:21], 0
.LBB7_2032:
	s_and_b64 vcc, exec, s[20:21]
	s_cbranch_vccz .LBB7_2050
; %bb.2033:
	v_cmp_lt_i16_e64 s[18:19], s28, 27
	s_and_b64 vcc, exec, s[18:19]
	s_cbranch_vccnz .LBB7_2036
; %bb.2034:
	v_cmp_gt_i16_e64 s[18:19], s28, 27
	s_and_b64 vcc, exec, s[18:19]
	s_cbranch_vccz .LBB7_2037
; %bb.2035:
	global_load_dword v3, v[24:25], off
	s_mov_b64 s[18:19], 0
	s_waitcnt vmcnt(0)
	v_cvt_f64_u32_e32 v[18:19], v3
	s_branch .LBB7_2038
.LBB7_2036:
	s_mov_b64 s[18:19], -1
                                        ; implicit-def: $vgpr18_vgpr19
	s_branch .LBB7_2041
.LBB7_2037:
	s_mov_b64 s[18:19], -1
                                        ; implicit-def: $vgpr18_vgpr19
.LBB7_2038:
	s_andn2_b64 vcc, exec, s[18:19]
	s_cbranch_vccnz .LBB7_2040
; %bb.2039:
	global_load_ushort v3, v[24:25], off
	s_waitcnt vmcnt(0)
	v_cvt_f64_u32_e32 v[18:19], v3
.LBB7_2040:
	s_mov_b64 s[18:19], 0
.LBB7_2041:
	s_andn2_b64 vcc, exec, s[18:19]
	s_cbranch_vccnz .LBB7_2049
; %bb.2042:
	global_load_ubyte v3, v[24:25], off
	s_movk_i32 s18, 0x7f
                                        ; implicit-def: $sgpr20_sgpr21
	s_waitcnt vmcnt(0)
	v_cmp_lt_i16_e32 vcc, s18, v3
	s_mov_b64 s[18:19], 0
	s_and_saveexec_b64 s[22:23], vcc
	s_xor_b64 s[22:23], exec, s[22:23]
	s_cbranch_execz .LBB7_2063
; %bb.2043:
	s_movk_i32 s18, 0x80
	v_cmp_eq_u16_e32 vcc, s18, v3
	s_mov_b64 s[24:25], -1
                                        ; implicit-def: $sgpr20_sgpr21
	s_and_saveexec_b64 s[18:19], vcc
; %bb.2044:
	s_mov_b32 s21, 0x7ff80000
	s_brev_b32 s20, 4
	s_xor_b64 s[24:25], exec, -1
; %bb.2045:
	s_or_b64 exec, exec, s[18:19]
	s_and_b64 s[18:19], s[24:25], exec
	s_or_saveexec_b64 s[22:23], s[22:23]
	v_pk_mov_b32 v[18:19], s[20:21], s[20:21] op_sel:[0,1]
	s_xor_b64 exec, exec, s[22:23]
	s_cbranch_execnz .LBB7_2064
.LBB7_2046:
	s_or_b64 exec, exec, s[22:23]
	s_and_saveexec_b64 s[20:21], s[18:19]
	s_cbranch_execz .LBB7_2048
.LBB7_2047:
	v_lshlrev_b32_e32 v5, 24, v3
	v_and_b32_e32 v3, 0xffff, v3
	v_and_b32_e32 v7, 7, v3
	v_ffbh_u32_e32 v11, v7
	v_min_u32_e32 v11, 32, v11
	v_subrev_u32_e32 v17, 28, v11
	v_bfe_u32 v9, v3, 3, 4
	v_lshlrev_b32_e32 v3, v17, v3
	v_sub_u32_e32 v11, 29, v11
	v_and_b32_e32 v3, 7, v3
	v_cmp_eq_u32_e32 vcc, 0, v9
	v_cndmask_b32_e32 v9, v9, v11, vcc
	v_cndmask_b32_e32 v3, v7, v3, vcc
	v_mov_b32_e32 v7, 0x3b800000
	v_lshlrev_b32_e32 v3, 20, v3
	v_and_b32_e32 v5, 0x80000000, v5
	v_lshl_add_u32 v7, v9, 23, v7
	v_or3_b32 v3, v5, v7, v3
	v_cvt_f64_f32_e32 v[18:19], v3
.LBB7_2048:
	s_or_b64 exec, exec, s[20:21]
.LBB7_2049:
	s_mov_b64 s[18:19], -1
.LBB7_2050:
	s_mov_b64 s[20:21], 0
.LBB7_2051:
	s_and_b64 vcc, exec, s[20:21]
	s_cbranch_vccz .LBB7_2084
; %bb.2052:
	v_cmp_gt_i16_e64 s[16:17], s28, 22
	s_and_b64 vcc, exec, s[16:17]
	s_cbranch_vccz .LBB7_2062
; %bb.2053:
	v_cmp_lt_i16_e64 s[16:17], s28, 24
	s_and_b64 vcc, exec, s[16:17]
	s_cbranch_vccnz .LBB7_2065
; %bb.2054:
	v_cmp_gt_i16_e64 s[16:17], s28, 24
	s_and_b64 vcc, exec, s[16:17]
	s_cbranch_vccz .LBB7_2066
; %bb.2055:
	global_load_ubyte v3, v[24:25], off
	s_movk_i32 s16, 0x7f
                                        ; implicit-def: $sgpr18_sgpr19
	s_waitcnt vmcnt(0)
	v_cmp_lt_i16_e32 vcc, s16, v3
	s_mov_b64 s[16:17], 0
	s_and_saveexec_b64 s[20:21], vcc
	s_xor_b64 s[20:21], exec, s[20:21]
	s_cbranch_execz .LBB7_2078
; %bb.2056:
	s_movk_i32 s16, 0x80
	v_cmp_eq_u16_e32 vcc, s16, v3
	s_mov_b64 s[22:23], -1
                                        ; implicit-def: $sgpr18_sgpr19
	s_and_saveexec_b64 s[16:17], vcc
; %bb.2057:
	s_mov_b32 s19, 0x7ff80000
	s_brev_b32 s18, 4
	s_xor_b64 s[22:23], exec, -1
; %bb.2058:
	s_or_b64 exec, exec, s[16:17]
	s_and_b64 s[16:17], s[22:23], exec
	s_or_saveexec_b64 s[20:21], s[20:21]
	v_pk_mov_b32 v[18:19], s[18:19], s[18:19] op_sel:[0,1]
	s_xor_b64 exec, exec, s[20:21]
	s_cbranch_execnz .LBB7_2079
.LBB7_2059:
	s_or_b64 exec, exec, s[20:21]
	s_and_saveexec_b64 s[18:19], s[16:17]
	s_cbranch_execz .LBB7_2061
.LBB7_2060:
	v_lshlrev_b32_e32 v5, 24, v3
	v_and_b32_e32 v3, 0xffff, v3
	v_and_b32_e32 v7, 3, v3
	v_ffbh_u32_e32 v11, v7
	v_min_u32_e32 v11, 32, v11
	v_subrev_u32_e32 v17, 29, v11
	v_bfe_u32 v9, v3, 2, 5
	v_lshlrev_b32_e32 v3, v17, v3
	v_sub_u32_e32 v11, 30, v11
	v_and_b32_e32 v3, 3, v3
	v_cmp_eq_u32_e32 vcc, 0, v9
	v_cndmask_b32_e32 v9, v9, v11, vcc
	v_cndmask_b32_e32 v3, v7, v3, vcc
	v_mov_b32_e32 v7, 0x37800000
	v_lshlrev_b32_e32 v3, 21, v3
	v_and_b32_e32 v5, 0x80000000, v5
	v_lshl_add_u32 v7, v9, 23, v7
	v_or3_b32 v3, v5, v7, v3
	v_cvt_f64_f32_e32 v[18:19], v3
.LBB7_2061:
	s_or_b64 exec, exec, s[18:19]
	s_mov_b64 s[16:17], 0
	s_branch .LBB7_2067
.LBB7_2062:
	s_mov_b64 s[16:17], -1
                                        ; implicit-def: $vgpr18_vgpr19
	s_branch .LBB7_2073
.LBB7_2063:
	s_or_saveexec_b64 s[22:23], s[22:23]
	v_pk_mov_b32 v[18:19], s[20:21], s[20:21] op_sel:[0,1]
	s_xor_b64 exec, exec, s[22:23]
	s_cbranch_execz .LBB7_2046
.LBB7_2064:
	v_cmp_ne_u16_e32 vcc, 0, v3
	s_andn2_b64 s[18:19], s[18:19], exec
	s_and_b64 s[20:21], vcc, exec
	v_pk_mov_b32 v[18:19], 0, 0
	s_or_b64 s[18:19], s[18:19], s[20:21]
	s_or_b64 exec, exec, s[22:23]
	s_and_saveexec_b64 s[20:21], s[18:19]
	s_cbranch_execnz .LBB7_2047
	s_branch .LBB7_2048
.LBB7_2065:
	s_mov_b64 s[16:17], -1
                                        ; implicit-def: $vgpr18_vgpr19
	s_branch .LBB7_2070
.LBB7_2066:
	s_mov_b64 s[16:17], -1
                                        ; implicit-def: $vgpr18_vgpr19
.LBB7_2067:
	s_and_b64 vcc, exec, s[16:17]
	s_cbranch_vccz .LBB7_2069
; %bb.2068:
	global_load_ubyte v3, v[24:25], off
	s_mov_b32 s16, 0x7f800000
	s_waitcnt vmcnt(0)
	v_lshlrev_b32_e32 v3, 24, v3
	v_and_b32_e32 v5, 0x7f000000, v3
	v_ffbh_u32_e32 v7, v5
	v_min_u32_e32 v7, 32, v7
	v_sub_u32_e64 v7, v7, 4 clamp
	v_lshlrev_b32_e32 v11, v7, v5
	v_lshlrev_b32_e32 v7, 23, v7
	v_lshrrev_b32_e32 v11, 4, v11
	v_add_u32_e32 v9, 0x1000000, v5
	v_sub_u32_e32 v7, v11, v7
	v_ashrrev_i32_e32 v9, 8, v9
	v_add_u32_e32 v7, 0x3c000000, v7
	v_and_or_b32 v7, v9, s16, v7
	v_cmp_ne_u32_e32 vcc, 0, v5
	v_cndmask_b32_e32 v5, 0, v7, vcc
	s_brev_b32 s16, 1
	v_and_or_b32 v3, v3, s16, v5
	v_cvt_f64_f32_e32 v[18:19], v3
.LBB7_2069:
	s_mov_b64 s[16:17], 0
.LBB7_2070:
	s_andn2_b64 vcc, exec, s[16:17]
	s_cbranch_vccnz .LBB7_2072
; %bb.2071:
	global_load_ubyte v3, v[24:25], off
	s_movk_i32 s16, 0x7f00
	s_brev_b32 s17, 16
	s_waitcnt vmcnt(0)
	v_lshlrev_b16_e32 v5, 8, v3
	v_lshlrev_b32_e32 v3, 25, v3
	v_lshrrev_b32_e32 v7, 4, v3
	v_and_or_b32 v9, v5, s16, 0.5
	v_or_b32_e32 v7, 0x70000000, v7
	v_add_f32_e32 v9, -0.5, v9
	v_mul_f32_e32 v7, 0x7800000, v7
	v_cmp_gt_u32_e32 vcc, s17, v3
	v_bfe_i32 v5, v5, 0, 16
	v_cndmask_b32_e32 v3, v7, v9, vcc
	s_brev_b32 s16, 1
	v_and_or_b32 v3, v5, s16, v3
	v_cvt_f64_f32_e32 v[18:19], v3
.LBB7_2072:
	s_mov_b64 s[16:17], 0
	s_mov_b64 s[18:19], -1
.LBB7_2073:
	s_andn2_b64 vcc, exec, s[16:17]
	s_mov_b64 s[16:17], 0
	s_cbranch_vccnz .LBB7_2084
; %bb.2074:
	v_cmp_gt_i16_e64 s[16:17], s28, 14
	s_and_b64 vcc, exec, s[16:17]
	s_cbranch_vccz .LBB7_2077
; %bb.2075:
	v_cmp_eq_u16_e64 s[6:7], s28, 15
	s_and_b64 vcc, exec, s[6:7]
	s_cbranch_vccz .LBB7_2080
; %bb.2076:
	global_load_ushort v3, v[24:25], off
	s_mov_b64 s[6:7], 0
	s_mov_b64 s[18:19], -1
	s_waitcnt vmcnt(0)
	v_lshlrev_b32_e32 v3, 16, v3
	v_cvt_f64_f32_e32 v[18:19], v3
	s_branch .LBB7_2081
.LBB7_2077:
	s_mov_b64 s[20:21], -1
                                        ; implicit-def: $vgpr18_vgpr19
	s_branch .LBB7_2082
.LBB7_2078:
	s_or_saveexec_b64 s[20:21], s[20:21]
	v_pk_mov_b32 v[18:19], s[18:19], s[18:19] op_sel:[0,1]
	s_xor_b64 exec, exec, s[20:21]
	s_cbranch_execz .LBB7_2059
.LBB7_2079:
	v_cmp_ne_u16_e32 vcc, 0, v3
	s_andn2_b64 s[16:17], s[16:17], exec
	s_and_b64 s[18:19], vcc, exec
	v_pk_mov_b32 v[18:19], 0, 0
	s_or_b64 s[16:17], s[16:17], s[18:19]
	s_or_b64 exec, exec, s[20:21]
	s_and_saveexec_b64 s[18:19], s[16:17]
	s_cbranch_execnz .LBB7_2060
	s_branch .LBB7_2061
.LBB7_2080:
	s_mov_b64 s[6:7], -1
                                        ; implicit-def: $vgpr18_vgpr19
.LBB7_2081:
	s_mov_b64 s[20:21], 0
.LBB7_2082:
	s_mov_b64 s[16:17], 0
	s_and_b64 vcc, exec, s[20:21]
	s_cbranch_vccz .LBB7_2084
; %bb.2083:
	v_cmp_ne_u16_e64 s[6:7], s28, 11
	s_mov_b64 s[16:17], -1
                                        ; implicit-def: $vgpr18_vgpr19
.LBB7_2084:
	s_and_b64 vcc, exec, s[6:7]
	s_cbranch_vccnz .LBB7_2149
; %bb.2085:
	s_andn2_b64 vcc, exec, s[16:17]
	s_cbranch_vccnz .LBB7_2087
.LBB7_2086:
	global_load_ubyte v3, v[24:25], off
	v_mov_b32_e32 v5, 0x3ff00000
	v_mov_b32_e32 v18, 0
	s_mov_b64 s[18:19], -1
	s_waitcnt vmcnt(0)
	v_cmp_ne_u16_e32 vcc, 0, v3
	v_cndmask_b32_e32 v19, 0, v5, vcc
.LBB7_2087:
	s_mov_b64 s[6:7], 0
.LBB7_2088:
	s_and_b64 vcc, exec, s[6:7]
	s_cbranch_vccz .LBB7_2137
; %bb.2089:
	v_cmp_lt_i16_e64 s[6:7], s28, 5
	s_and_b64 vcc, exec, s[6:7]
	s_cbranch_vccnz .LBB7_2094
; %bb.2090:
	v_cmp_lt_i16_e64 s[6:7], s28, 8
	s_and_b64 vcc, exec, s[6:7]
	s_cbranch_vccnz .LBB7_2095
	;; [unrolled: 4-line block ×3, first 2 shown]
; %bb.2092:
	v_cmp_gt_i16_e64 s[6:7], s28, 9
	s_and_b64 vcc, exec, s[6:7]
	s_cbranch_vccz .LBB7_2097
; %bb.2093:
	global_load_dwordx2 v[18:19], v[24:25], off
	s_mov_b64 s[6:7], 0
	s_branch .LBB7_2098
.LBB7_2094:
	s_mov_b64 s[6:7], -1
                                        ; implicit-def: $vgpr18_vgpr19
	s_branch .LBB7_2116
.LBB7_2095:
	s_mov_b64 s[6:7], -1
                                        ; implicit-def: $vgpr18_vgpr19
	s_branch .LBB7_2104
.LBB7_2096:
	s_mov_b64 s[6:7], -1
                                        ; implicit-def: $vgpr18_vgpr19
	s_branch .LBB7_2101
.LBB7_2097:
	s_mov_b64 s[6:7], -1
                                        ; implicit-def: $vgpr18_vgpr19
.LBB7_2098:
	s_andn2_b64 vcc, exec, s[6:7]
	s_cbranch_vccnz .LBB7_2100
; %bb.2099:
	global_load_dword v3, v[24:25], off
	s_waitcnt vmcnt(0)
	v_cvt_f64_f32_e32 v[18:19], v3
.LBB7_2100:
	s_mov_b64 s[6:7], 0
.LBB7_2101:
	s_andn2_b64 vcc, exec, s[6:7]
	s_cbranch_vccnz .LBB7_2103
; %bb.2102:
	global_load_dword v3, v[24:25], off
	s_waitcnt vmcnt(0)
	v_cvt_f32_f16_e32 v3, v3
	v_cvt_f64_f32_e32 v[18:19], v3
.LBB7_2103:
	s_mov_b64 s[6:7], 0
.LBB7_2104:
	s_andn2_b64 vcc, exec, s[6:7]
	s_cbranch_vccnz .LBB7_2115
; %bb.2105:
	v_cmp_lt_i16_e64 s[6:7], s28, 6
	s_and_b64 vcc, exec, s[6:7]
	s_cbranch_vccnz .LBB7_2108
; %bb.2106:
	v_cmp_gt_i16_e64 s[6:7], s28, 6
	s_and_b64 vcc, exec, s[6:7]
	s_cbranch_vccz .LBB7_2109
; %bb.2107:
	global_load_dwordx2 v[18:19], v[24:25], off
	s_mov_b64 s[6:7], 0
	s_branch .LBB7_2110
.LBB7_2108:
	s_mov_b64 s[6:7], -1
                                        ; implicit-def: $vgpr18_vgpr19
	s_branch .LBB7_2113
.LBB7_2109:
	s_mov_b64 s[6:7], -1
                                        ; implicit-def: $vgpr18_vgpr19
.LBB7_2110:
	s_andn2_b64 vcc, exec, s[6:7]
	s_cbranch_vccnz .LBB7_2112
; %bb.2111:
	global_load_dword v3, v[24:25], off
	s_waitcnt vmcnt(0)
	v_cvt_f64_f32_e32 v[18:19], v3
.LBB7_2112:
	s_mov_b64 s[6:7], 0
.LBB7_2113:
	s_andn2_b64 vcc, exec, s[6:7]
	s_cbranch_vccnz .LBB7_2115
; %bb.2114:
	global_load_ushort v3, v[24:25], off
	s_waitcnt vmcnt(0)
	v_cvt_f32_f16_e32 v3, v3
	v_cvt_f64_f32_e32 v[18:19], v3
.LBB7_2115:
	s_mov_b64 s[6:7], 0
.LBB7_2116:
	s_andn2_b64 vcc, exec, s[6:7]
	s_cbranch_vccnz .LBB7_2136
; %bb.2117:
	v_cmp_lt_i16_e64 s[6:7], s28, 2
	s_and_b64 vcc, exec, s[6:7]
	s_cbranch_vccnz .LBB7_2121
; %bb.2118:
	v_cmp_lt_i16_e64 s[6:7], s28, 3
	s_and_b64 vcc, exec, s[6:7]
	s_cbranch_vccnz .LBB7_2122
; %bb.2119:
	v_cmp_gt_i16_e64 s[6:7], s28, 3
	s_and_b64 vcc, exec, s[6:7]
	s_cbranch_vccz .LBB7_2123
; %bb.2120:
	global_load_dwordx2 v[18:19], v[24:25], off
	s_mov_b64 s[6:7], 0
	s_waitcnt vmcnt(0)
	v_cvt_f64_i32_e32 v[26:27], v19
	v_cvt_f64_u32_e32 v[18:19], v18
	v_ldexp_f64 v[26:27], v[26:27], 32
	v_add_f64 v[18:19], v[26:27], v[18:19]
	s_branch .LBB7_2124
.LBB7_2121:
	s_mov_b64 s[6:7], -1
                                        ; implicit-def: $vgpr18_vgpr19
	s_branch .LBB7_2130
.LBB7_2122:
	s_mov_b64 s[6:7], -1
                                        ; implicit-def: $vgpr18_vgpr19
	s_branch .LBB7_2127
.LBB7_2123:
	s_mov_b64 s[6:7], -1
                                        ; implicit-def: $vgpr18_vgpr19
.LBB7_2124:
	s_andn2_b64 vcc, exec, s[6:7]
	s_cbranch_vccnz .LBB7_2126
; %bb.2125:
	global_load_dword v3, v[24:25], off
	s_waitcnt vmcnt(0)
	v_cvt_f64_i32_e32 v[18:19], v3
.LBB7_2126:
	s_mov_b64 s[6:7], 0
.LBB7_2127:
	s_andn2_b64 vcc, exec, s[6:7]
	s_cbranch_vccnz .LBB7_2129
; %bb.2128:
	global_load_sshort v3, v[24:25], off
	s_waitcnt vmcnt(0)
	v_cvt_f64_i32_e32 v[18:19], v3
.LBB7_2129:
	s_mov_b64 s[6:7], 0
.LBB7_2130:
	s_andn2_b64 vcc, exec, s[6:7]
	s_cbranch_vccnz .LBB7_2136
; %bb.2131:
	v_cmp_gt_i16_e64 s[6:7], s28, 0
	s_and_b64 vcc, exec, s[6:7]
	s_cbranch_vccz .LBB7_2133
; %bb.2132:
	global_load_sbyte v3, v[24:25], off
	s_mov_b64 s[6:7], 0
	s_waitcnt vmcnt(0)
	v_cvt_f64_i32_e32 v[18:19], v3
	s_branch .LBB7_2134
.LBB7_2133:
	s_mov_b64 s[6:7], -1
                                        ; implicit-def: $vgpr18_vgpr19
.LBB7_2134:
	s_andn2_b64 vcc, exec, s[6:7]
	s_cbranch_vccnz .LBB7_2136
; %bb.2135:
	global_load_ubyte v3, v[24:25], off
	s_waitcnt vmcnt(0)
	v_cvt_f64_u32_e32 v[18:19], v3
.LBB7_2136:
	s_mov_b64 s[18:19], -1
.LBB7_2137:
	s_andn2_b64 vcc, exec, s[18:19]
	s_cbranch_vccnz .LBB7_3113
; %bb.2138:
	v_mov_b32_e32 v3, s11
	v_add_co_u32_e32 v24, vcc, s10, v20
	v_addc_co_u32_e32 v25, vcc, 0, v3, vcc
	v_mov_b32_e32 v3, 11
	v_cmp_lt_i16_sdwa s[6:7], s27, v3 src0_sel:BYTE_0 src1_sel:DWORD
	s_and_b64 vcc, exec, s[6:7]
	s_cbranch_vccnz .LBB7_2145
; %bb.2139:
	v_mov_b32_e32 v3, 25
	v_cmp_gt_i16_sdwa s[6:7], s27, v3 src0_sel:BYTE_0 src1_sel:DWORD
	s_mov_b64 s[16:17], 0
	s_and_b64 vcc, exec, s[6:7]
	s_cbranch_vccz .LBB7_2146
; %bb.2140:
	v_mov_b32_e32 v3, 28
	v_cmp_gt_i16_sdwa s[6:7], s27, v3 src0_sel:BYTE_0 src1_sel:DWORD
	s_and_b64 vcc, exec, s[6:7]
	s_cbranch_vccz .LBB7_2147
; %bb.2141:
	v_mov_b32_e32 v3, 43
	v_cmp_gt_i16_sdwa s[6:7], s27, v3 src0_sel:BYTE_0 src1_sel:DWORD
	;; [unrolled: 5-line block ×3, first 2 shown]
	s_and_b64 vcc, exec, s[6:7]
	s_cbranch_vccz .LBB7_2150
; %bb.2143:
	v_mov_b32_e32 v3, 46
	v_cmp_eq_u16_sdwa s[6:7], s27, v3 src0_sel:BYTE_0 src1_sel:DWORD
	s_mov_b64 s[20:21], 0
	s_and_b64 vcc, exec, s[6:7]
	s_cbranch_vccz .LBB7_2151
; %bb.2144:
	global_load_dword v3, v[24:25], off
	s_mov_b64 s[6:7], 0
	s_mov_b64 s[18:19], -1
	s_waitcnt vmcnt(0)
	v_lshlrev_b32_e32 v3, 16, v3
	v_cvt_f64_f32_e32 v[20:21], v3
	s_branch .LBB7_2152
.LBB7_2145:
	s_mov_b64 s[6:7], -1
	s_mov_b64 s[18:19], 0
                                        ; implicit-def: $vgpr20_vgpr21
	s_branch .LBB7_2218
.LBB7_2146:
	s_mov_b64 s[20:21], -1
	s_mov_b64 s[18:19], 0
	s_mov_b64 s[6:7], 0
                                        ; implicit-def: $vgpr20_vgpr21
	s_branch .LBB7_2181
.LBB7_2147:
	s_mov_b64 s[20:21], -1
	s_mov_b64 s[18:19], 0
	s_mov_b64 s[6:7], 0
                                        ; implicit-def: $vgpr20_vgpr21
	s_branch .LBB7_2162
.LBB7_2148:
	s_mov_b64 s[20:21], -1
	s_mov_b64 s[18:19], 0
	s_mov_b64 s[6:7], 0
                                        ; implicit-def: $vgpr20_vgpr21
	s_branch .LBB7_2157
.LBB7_2149:
	s_trap 2
	s_or_b64 s[4:5], s[4:5], exec
                                        ; implicit-def: $vgpr18_vgpr19
	s_cbranch_execz .LBB7_2086
	s_branch .LBB7_2087
.LBB7_2150:
	s_mov_b64 s[20:21], -1
	s_mov_b64 s[18:19], 0
	s_mov_b64 s[6:7], 0
                                        ; implicit-def: $vgpr20_vgpr21
	s_branch .LBB7_2152
.LBB7_2151:
	s_mov_b64 s[6:7], -1
                                        ; implicit-def: $vgpr20_vgpr21
	s_mov_b64 s[18:19], 0
.LBB7_2152:
	s_and_b64 vcc, exec, s[20:21]
	s_cbranch_vccz .LBB7_2156
; %bb.2153:
	v_mov_b32_e32 v3, 44
	v_cmp_eq_u16_sdwa s[6:7], s27, v3 src0_sel:BYTE_0 src1_sel:DWORD
	s_and_b64 vcc, exec, s[6:7]
	s_cbranch_vccz .LBB7_2155
; %bb.2154:
	global_load_ubyte v3, v[24:25], off
	s_movk_i32 s18, 0xff
	v_bfrev_b32_e32 v5, 4
	v_mov_b32_e32 v7, 0x7ff80000
	v_bfrev_b32_e32 v9, 28
	s_mov_b64 s[6:7], 0
	s_waitcnt vmcnt(0)
	v_lshlrev_b32_e32 v11, 23, v3
	v_cvt_f64_f32_e32 v[20:21], v11
	v_cmp_ne_u32_e32 vcc, s18, v3
	v_cndmask_b32_e32 v5, v5, v20, vcc
	v_cndmask_b32_e32 v7, v7, v21, vcc
	v_cmp_ne_u32_e32 vcc, 0, v3
	v_cndmask_b32_e32 v21, v9, v7, vcc
	v_cndmask_b32_e32 v20, 0, v5, vcc
	s_mov_b64 s[18:19], -1
	s_branch .LBB7_2156
.LBB7_2155:
	s_mov_b64 s[6:7], -1
                                        ; implicit-def: $vgpr20_vgpr21
.LBB7_2156:
	s_mov_b64 s[20:21], 0
.LBB7_2157:
	s_and_b64 vcc, exec, s[20:21]
	s_cbranch_vccz .LBB7_2161
; %bb.2158:
	v_mov_b32_e32 v3, 29
	v_cmp_eq_u16_sdwa s[6:7], s27, v3 src0_sel:BYTE_0 src1_sel:DWORD
	s_and_b64 vcc, exec, s[6:7]
	s_cbranch_vccz .LBB7_2160
; %bb.2159:
	global_load_dwordx2 v[20:21], v[24:25], off
	s_mov_b64 s[6:7], 0
	s_mov_b64 s[18:19], -1
	s_mov_b64 s[20:21], 0
	s_waitcnt vmcnt(0)
	v_cvt_f64_u32_e32 v[26:27], v21
	v_cvt_f64_u32_e32 v[20:21], v20
	v_ldexp_f64 v[26:27], v[26:27], 32
	v_add_f64 v[20:21], v[26:27], v[20:21]
	s_branch .LBB7_2162
.LBB7_2160:
	s_mov_b64 s[6:7], -1
                                        ; implicit-def: $vgpr20_vgpr21
.LBB7_2161:
	s_mov_b64 s[20:21], 0
.LBB7_2162:
	s_and_b64 vcc, exec, s[20:21]
	s_cbranch_vccz .LBB7_2180
; %bb.2163:
	v_mov_b32_e32 v3, 27
	v_cmp_lt_i16_sdwa s[18:19], s27, v3 src0_sel:BYTE_0 src1_sel:DWORD
	s_and_b64 vcc, exec, s[18:19]
	s_cbranch_vccnz .LBB7_2166
; %bb.2164:
	v_cmp_gt_i16_sdwa s[18:19], s27, v3 src0_sel:BYTE_0 src1_sel:DWORD
	s_and_b64 vcc, exec, s[18:19]
	s_cbranch_vccz .LBB7_2167
; %bb.2165:
	global_load_dword v3, v[24:25], off
	s_mov_b64 s[18:19], 0
	s_waitcnt vmcnt(0)
	v_cvt_f64_u32_e32 v[20:21], v3
	s_branch .LBB7_2168
.LBB7_2166:
	s_mov_b64 s[18:19], -1
                                        ; implicit-def: $vgpr20_vgpr21
	s_branch .LBB7_2171
.LBB7_2167:
	s_mov_b64 s[18:19], -1
                                        ; implicit-def: $vgpr20_vgpr21
.LBB7_2168:
	s_andn2_b64 vcc, exec, s[18:19]
	s_cbranch_vccnz .LBB7_2170
; %bb.2169:
	global_load_ushort v3, v[24:25], off
	s_waitcnt vmcnt(0)
	v_cvt_f64_u32_e32 v[20:21], v3
.LBB7_2170:
	s_mov_b64 s[18:19], 0
.LBB7_2171:
	s_andn2_b64 vcc, exec, s[18:19]
	s_cbranch_vccnz .LBB7_2179
; %bb.2172:
	global_load_ubyte v3, v[24:25], off
	s_movk_i32 s18, 0x7f
                                        ; implicit-def: $sgpr20_sgpr21
	s_waitcnt vmcnt(0)
	v_cmp_lt_i16_e32 vcc, s18, v3
	s_mov_b64 s[18:19], 0
	s_and_saveexec_b64 s[22:23], vcc
	s_xor_b64 s[22:23], exec, s[22:23]
	s_cbranch_execz .LBB7_2193
; %bb.2173:
	s_movk_i32 s18, 0x80
	v_cmp_eq_u16_e32 vcc, s18, v3
	s_mov_b64 s[24:25], -1
                                        ; implicit-def: $sgpr20_sgpr21
	s_and_saveexec_b64 s[18:19], vcc
; %bb.2174:
	s_mov_b32 s21, 0x7ff80000
	s_brev_b32 s20, 4
	s_xor_b64 s[24:25], exec, -1
; %bb.2175:
	s_or_b64 exec, exec, s[18:19]
	s_and_b64 s[18:19], s[24:25], exec
	s_or_saveexec_b64 s[22:23], s[22:23]
	v_pk_mov_b32 v[20:21], s[20:21], s[20:21] op_sel:[0,1]
	s_xor_b64 exec, exec, s[22:23]
	s_cbranch_execnz .LBB7_2194
.LBB7_2176:
	s_or_b64 exec, exec, s[22:23]
	s_and_saveexec_b64 s[20:21], s[18:19]
	s_cbranch_execz .LBB7_2178
.LBB7_2177:
	v_lshlrev_b32_e32 v5, 24, v3
	v_and_b32_e32 v3, 0xffff, v3
	v_and_b32_e32 v7, 7, v3
	v_ffbh_u32_e32 v11, v7
	v_min_u32_e32 v11, 32, v11
	v_subrev_u32_e32 v17, 28, v11
	v_bfe_u32 v9, v3, 3, 4
	v_lshlrev_b32_e32 v3, v17, v3
	v_sub_u32_e32 v11, 29, v11
	v_and_b32_e32 v3, 7, v3
	v_cmp_eq_u32_e32 vcc, 0, v9
	v_cndmask_b32_e32 v9, v9, v11, vcc
	v_cndmask_b32_e32 v3, v7, v3, vcc
	v_mov_b32_e32 v7, 0x3b800000
	v_lshlrev_b32_e32 v3, 20, v3
	v_and_b32_e32 v5, 0x80000000, v5
	v_lshl_add_u32 v7, v9, 23, v7
	v_or3_b32 v3, v5, v7, v3
	v_cvt_f64_f32_e32 v[20:21], v3
.LBB7_2178:
	s_or_b64 exec, exec, s[20:21]
.LBB7_2179:
	s_mov_b64 s[18:19], -1
.LBB7_2180:
	s_mov_b64 s[20:21], 0
.LBB7_2181:
	s_and_b64 vcc, exec, s[20:21]
	s_cbranch_vccz .LBB7_2214
; %bb.2182:
	v_mov_b32_e32 v3, 22
	v_cmp_gt_i16_sdwa s[16:17], s27, v3 src0_sel:BYTE_0 src1_sel:DWORD
	s_and_b64 vcc, exec, s[16:17]
	s_cbranch_vccz .LBB7_2192
; %bb.2183:
	v_mov_b32_e32 v3, 24
	v_cmp_lt_i16_sdwa s[16:17], s27, v3 src0_sel:BYTE_0 src1_sel:DWORD
	s_and_b64 vcc, exec, s[16:17]
	s_cbranch_vccnz .LBB7_2195
; %bb.2184:
	v_cmp_gt_i16_sdwa s[16:17], s27, v3 src0_sel:BYTE_0 src1_sel:DWORD
	s_and_b64 vcc, exec, s[16:17]
	s_cbranch_vccz .LBB7_2196
; %bb.2185:
	global_load_ubyte v3, v[24:25], off
	s_movk_i32 s16, 0x7f
                                        ; implicit-def: $sgpr18_sgpr19
	s_waitcnt vmcnt(0)
	v_cmp_lt_i16_e32 vcc, s16, v3
	s_mov_b64 s[16:17], 0
	s_and_saveexec_b64 s[20:21], vcc
	s_xor_b64 s[20:21], exec, s[20:21]
	s_cbranch_execz .LBB7_2208
; %bb.2186:
	s_movk_i32 s16, 0x80
	v_cmp_eq_u16_e32 vcc, s16, v3
	s_mov_b64 s[22:23], -1
                                        ; implicit-def: $sgpr18_sgpr19
	s_and_saveexec_b64 s[16:17], vcc
; %bb.2187:
	s_mov_b32 s19, 0x7ff80000
	s_brev_b32 s18, 4
	s_xor_b64 s[22:23], exec, -1
; %bb.2188:
	s_or_b64 exec, exec, s[16:17]
	s_and_b64 s[16:17], s[22:23], exec
	s_or_saveexec_b64 s[20:21], s[20:21]
	v_pk_mov_b32 v[20:21], s[18:19], s[18:19] op_sel:[0,1]
	s_xor_b64 exec, exec, s[20:21]
	s_cbranch_execnz .LBB7_2209
.LBB7_2189:
	s_or_b64 exec, exec, s[20:21]
	s_and_saveexec_b64 s[18:19], s[16:17]
	s_cbranch_execz .LBB7_2191
.LBB7_2190:
	v_lshlrev_b32_e32 v5, 24, v3
	v_and_b32_e32 v3, 0xffff, v3
	v_and_b32_e32 v7, 3, v3
	v_ffbh_u32_e32 v11, v7
	v_min_u32_e32 v11, 32, v11
	v_subrev_u32_e32 v17, 29, v11
	v_bfe_u32 v9, v3, 2, 5
	v_lshlrev_b32_e32 v3, v17, v3
	v_sub_u32_e32 v11, 30, v11
	v_and_b32_e32 v3, 3, v3
	v_cmp_eq_u32_e32 vcc, 0, v9
	v_cndmask_b32_e32 v9, v9, v11, vcc
	v_cndmask_b32_e32 v3, v7, v3, vcc
	v_mov_b32_e32 v7, 0x37800000
	v_lshlrev_b32_e32 v3, 21, v3
	v_and_b32_e32 v5, 0x80000000, v5
	v_lshl_add_u32 v7, v9, 23, v7
	v_or3_b32 v3, v5, v7, v3
	v_cvt_f64_f32_e32 v[20:21], v3
.LBB7_2191:
	s_or_b64 exec, exec, s[18:19]
	s_mov_b64 s[16:17], 0
	s_branch .LBB7_2197
.LBB7_2192:
	s_mov_b64 s[16:17], -1
                                        ; implicit-def: $vgpr20_vgpr21
	s_branch .LBB7_2203
.LBB7_2193:
	s_or_saveexec_b64 s[22:23], s[22:23]
	v_pk_mov_b32 v[20:21], s[20:21], s[20:21] op_sel:[0,1]
	s_xor_b64 exec, exec, s[22:23]
	s_cbranch_execz .LBB7_2176
.LBB7_2194:
	v_cmp_ne_u16_e32 vcc, 0, v3
	s_andn2_b64 s[18:19], s[18:19], exec
	s_and_b64 s[20:21], vcc, exec
	v_pk_mov_b32 v[20:21], 0, 0
	s_or_b64 s[18:19], s[18:19], s[20:21]
	s_or_b64 exec, exec, s[22:23]
	s_and_saveexec_b64 s[20:21], s[18:19]
	s_cbranch_execnz .LBB7_2177
	s_branch .LBB7_2178
.LBB7_2195:
	s_mov_b64 s[16:17], -1
                                        ; implicit-def: $vgpr20_vgpr21
	s_branch .LBB7_2200
.LBB7_2196:
	s_mov_b64 s[16:17], -1
                                        ; implicit-def: $vgpr20_vgpr21
.LBB7_2197:
	s_and_b64 vcc, exec, s[16:17]
	s_cbranch_vccz .LBB7_2199
; %bb.2198:
	global_load_ubyte v3, v[24:25], off
	s_mov_b32 s16, 0x7f800000
	s_waitcnt vmcnt(0)
	v_lshlrev_b32_e32 v3, 24, v3
	v_and_b32_e32 v5, 0x7f000000, v3
	v_ffbh_u32_e32 v7, v5
	v_min_u32_e32 v7, 32, v7
	v_sub_u32_e64 v7, v7, 4 clamp
	v_lshlrev_b32_e32 v11, v7, v5
	v_lshlrev_b32_e32 v7, 23, v7
	v_lshrrev_b32_e32 v11, 4, v11
	v_add_u32_e32 v9, 0x1000000, v5
	v_sub_u32_e32 v7, v11, v7
	v_ashrrev_i32_e32 v9, 8, v9
	v_add_u32_e32 v7, 0x3c000000, v7
	v_and_or_b32 v7, v9, s16, v7
	v_cmp_ne_u32_e32 vcc, 0, v5
	v_cndmask_b32_e32 v5, 0, v7, vcc
	s_brev_b32 s16, 1
	v_and_or_b32 v3, v3, s16, v5
	v_cvt_f64_f32_e32 v[20:21], v3
.LBB7_2199:
	s_mov_b64 s[16:17], 0
.LBB7_2200:
	s_andn2_b64 vcc, exec, s[16:17]
	s_cbranch_vccnz .LBB7_2202
; %bb.2201:
	global_load_ubyte v3, v[24:25], off
	s_movk_i32 s16, 0x7f00
	s_brev_b32 s17, 16
	s_waitcnt vmcnt(0)
	v_lshlrev_b16_e32 v5, 8, v3
	v_lshlrev_b32_e32 v3, 25, v3
	v_lshrrev_b32_e32 v7, 4, v3
	v_and_or_b32 v9, v5, s16, 0.5
	v_or_b32_e32 v7, 0x70000000, v7
	v_add_f32_e32 v9, -0.5, v9
	v_mul_f32_e32 v7, 0x7800000, v7
	v_cmp_gt_u32_e32 vcc, s17, v3
	v_bfe_i32 v5, v5, 0, 16
	v_cndmask_b32_e32 v3, v7, v9, vcc
	s_brev_b32 s16, 1
	v_and_or_b32 v3, v5, s16, v3
	v_cvt_f64_f32_e32 v[20:21], v3
.LBB7_2202:
	s_mov_b64 s[16:17], 0
	s_mov_b64 s[18:19], -1
.LBB7_2203:
	s_andn2_b64 vcc, exec, s[16:17]
	s_mov_b64 s[16:17], 0
	s_cbranch_vccnz .LBB7_2214
; %bb.2204:
	v_mov_b32_e32 v3, 14
	v_cmp_gt_i16_sdwa s[16:17], s27, v3 src0_sel:BYTE_0 src1_sel:DWORD
	s_and_b64 vcc, exec, s[16:17]
	s_cbranch_vccz .LBB7_2207
; %bb.2205:
	v_mov_b32_e32 v3, 15
	v_cmp_eq_u16_sdwa s[6:7], s27, v3 src0_sel:BYTE_0 src1_sel:DWORD
	s_and_b64 vcc, exec, s[6:7]
	s_cbranch_vccz .LBB7_2210
; %bb.2206:
	global_load_ushort v3, v[24:25], off
	s_mov_b64 s[6:7], 0
	s_mov_b64 s[18:19], -1
	s_waitcnt vmcnt(0)
	v_lshlrev_b32_e32 v3, 16, v3
	v_cvt_f64_f32_e32 v[20:21], v3
	s_branch .LBB7_2211
.LBB7_2207:
	s_mov_b64 s[20:21], -1
                                        ; implicit-def: $vgpr20_vgpr21
	s_branch .LBB7_2212
.LBB7_2208:
	s_or_saveexec_b64 s[20:21], s[20:21]
	v_pk_mov_b32 v[20:21], s[18:19], s[18:19] op_sel:[0,1]
	s_xor_b64 exec, exec, s[20:21]
	s_cbranch_execz .LBB7_2189
.LBB7_2209:
	v_cmp_ne_u16_e32 vcc, 0, v3
	s_andn2_b64 s[16:17], s[16:17], exec
	s_and_b64 s[18:19], vcc, exec
	v_pk_mov_b32 v[20:21], 0, 0
	s_or_b64 s[16:17], s[16:17], s[18:19]
	s_or_b64 exec, exec, s[20:21]
	s_and_saveexec_b64 s[18:19], s[16:17]
	s_cbranch_execnz .LBB7_2190
	s_branch .LBB7_2191
.LBB7_2210:
	s_mov_b64 s[6:7], -1
                                        ; implicit-def: $vgpr20_vgpr21
.LBB7_2211:
	s_mov_b64 s[20:21], 0
.LBB7_2212:
	s_mov_b64 s[16:17], 0
	s_and_b64 vcc, exec, s[20:21]
	s_cbranch_vccz .LBB7_2214
; %bb.2213:
	v_mov_b32_e32 v3, 11
	v_cmp_ne_u16_sdwa s[6:7], s27, v3 src0_sel:BYTE_0 src1_sel:DWORD
	s_mov_b64 s[16:17], -1
                                        ; implicit-def: $vgpr20_vgpr21
.LBB7_2214:
	s_and_b64 vcc, exec, s[6:7]
	s_cbranch_vccnz .LBB7_2279
; %bb.2215:
	s_andn2_b64 vcc, exec, s[16:17]
	s_cbranch_vccnz .LBB7_2217
.LBB7_2216:
	global_load_ubyte v3, v[24:25], off
	v_mov_b32_e32 v5, 0x3ff00000
	v_mov_b32_e32 v20, 0
	s_mov_b64 s[18:19], -1
	s_waitcnt vmcnt(0)
	v_cmp_ne_u16_e32 vcc, 0, v3
	v_cndmask_b32_e32 v21, 0, v5, vcc
.LBB7_2217:
	s_mov_b64 s[6:7], 0
.LBB7_2218:
	s_and_b64 vcc, exec, s[6:7]
	s_cbranch_vccz .LBB7_2267
; %bb.2219:
	v_mov_b32_e32 v3, 5
	v_cmp_lt_i16_sdwa s[6:7], s27, v3 src0_sel:BYTE_0 src1_sel:DWORD
	s_and_b64 vcc, exec, s[6:7]
	s_cbranch_vccnz .LBB7_2224
; %bb.2220:
	v_mov_b32_e32 v3, 8
	v_cmp_lt_i16_sdwa s[6:7], s27, v3 src0_sel:BYTE_0 src1_sel:DWORD
	s_and_b64 vcc, exec, s[6:7]
	s_cbranch_vccnz .LBB7_2225
; %bb.2221:
	v_mov_b32_e32 v3, 9
	v_cmp_lt_i16_sdwa s[6:7], s27, v3 src0_sel:BYTE_0 src1_sel:DWORD
	s_and_b64 vcc, exec, s[6:7]
	s_cbranch_vccnz .LBB7_2226
; %bb.2222:
	v_cmp_gt_i16_sdwa s[6:7], s27, v3 src0_sel:BYTE_0 src1_sel:DWORD
	s_and_b64 vcc, exec, s[6:7]
	s_cbranch_vccz .LBB7_2227
; %bb.2223:
	global_load_dwordx2 v[20:21], v[24:25], off
	s_mov_b64 s[6:7], 0
	s_branch .LBB7_2228
.LBB7_2224:
	s_mov_b64 s[6:7], -1
                                        ; implicit-def: $vgpr20_vgpr21
	s_branch .LBB7_2246
.LBB7_2225:
	s_mov_b64 s[6:7], -1
                                        ; implicit-def: $vgpr20_vgpr21
	s_branch .LBB7_2234
.LBB7_2226:
	s_mov_b64 s[6:7], -1
                                        ; implicit-def: $vgpr20_vgpr21
	s_branch .LBB7_2231
.LBB7_2227:
	s_mov_b64 s[6:7], -1
                                        ; implicit-def: $vgpr20_vgpr21
.LBB7_2228:
	s_andn2_b64 vcc, exec, s[6:7]
	s_cbranch_vccnz .LBB7_2230
; %bb.2229:
	global_load_dword v3, v[24:25], off
	s_waitcnt vmcnt(0)
	v_cvt_f64_f32_e32 v[20:21], v3
.LBB7_2230:
	s_mov_b64 s[6:7], 0
.LBB7_2231:
	s_andn2_b64 vcc, exec, s[6:7]
	s_cbranch_vccnz .LBB7_2233
; %bb.2232:
	global_load_dword v3, v[24:25], off
	s_waitcnt vmcnt(0)
	v_cvt_f32_f16_e32 v3, v3
	v_cvt_f64_f32_e32 v[20:21], v3
.LBB7_2233:
	s_mov_b64 s[6:7], 0
.LBB7_2234:
	s_andn2_b64 vcc, exec, s[6:7]
	s_cbranch_vccnz .LBB7_2245
; %bb.2235:
	v_mov_b32_e32 v3, 6
	v_cmp_lt_i16_sdwa s[6:7], s27, v3 src0_sel:BYTE_0 src1_sel:DWORD
	s_and_b64 vcc, exec, s[6:7]
	s_cbranch_vccnz .LBB7_2238
; %bb.2236:
	v_cmp_gt_i16_sdwa s[6:7], s27, v3 src0_sel:BYTE_0 src1_sel:DWORD
	s_and_b64 vcc, exec, s[6:7]
	s_cbranch_vccz .LBB7_2239
; %bb.2237:
	global_load_dwordx2 v[20:21], v[24:25], off
	s_mov_b64 s[6:7], 0
	s_branch .LBB7_2240
.LBB7_2238:
	s_mov_b64 s[6:7], -1
                                        ; implicit-def: $vgpr20_vgpr21
	s_branch .LBB7_2243
.LBB7_2239:
	s_mov_b64 s[6:7], -1
                                        ; implicit-def: $vgpr20_vgpr21
.LBB7_2240:
	s_andn2_b64 vcc, exec, s[6:7]
	s_cbranch_vccnz .LBB7_2242
; %bb.2241:
	global_load_dword v3, v[24:25], off
	s_waitcnt vmcnt(0)
	v_cvt_f64_f32_e32 v[20:21], v3
.LBB7_2242:
	s_mov_b64 s[6:7], 0
.LBB7_2243:
	s_andn2_b64 vcc, exec, s[6:7]
	s_cbranch_vccnz .LBB7_2245
; %bb.2244:
	global_load_ushort v3, v[24:25], off
	s_waitcnt vmcnt(0)
	v_cvt_f32_f16_e32 v3, v3
	v_cvt_f64_f32_e32 v[20:21], v3
.LBB7_2245:
	s_mov_b64 s[6:7], 0
.LBB7_2246:
	s_andn2_b64 vcc, exec, s[6:7]
	s_cbranch_vccnz .LBB7_2266
; %bb.2247:
	v_mov_b32_e32 v3, 2
	v_cmp_lt_i16_sdwa s[6:7], s27, v3 src0_sel:BYTE_0 src1_sel:DWORD
	s_and_b64 vcc, exec, s[6:7]
	s_cbranch_vccnz .LBB7_2251
; %bb.2248:
	v_mov_b32_e32 v3, 3
	v_cmp_lt_i16_sdwa s[6:7], s27, v3 src0_sel:BYTE_0 src1_sel:DWORD
	s_and_b64 vcc, exec, s[6:7]
	s_cbranch_vccnz .LBB7_2252
; %bb.2249:
	v_cmp_gt_i16_sdwa s[6:7], s27, v3 src0_sel:BYTE_0 src1_sel:DWORD
	s_and_b64 vcc, exec, s[6:7]
	s_cbranch_vccz .LBB7_2253
; %bb.2250:
	global_load_dwordx2 v[20:21], v[24:25], off
	s_mov_b64 s[6:7], 0
	s_waitcnt vmcnt(0)
	v_cvt_f64_i32_e32 v[26:27], v21
	v_cvt_f64_u32_e32 v[20:21], v20
	v_ldexp_f64 v[26:27], v[26:27], 32
	v_add_f64 v[20:21], v[26:27], v[20:21]
	s_branch .LBB7_2254
.LBB7_2251:
	s_mov_b64 s[6:7], -1
                                        ; implicit-def: $vgpr20_vgpr21
	s_branch .LBB7_2260
.LBB7_2252:
	s_mov_b64 s[6:7], -1
                                        ; implicit-def: $vgpr20_vgpr21
	s_branch .LBB7_2257
.LBB7_2253:
	s_mov_b64 s[6:7], -1
                                        ; implicit-def: $vgpr20_vgpr21
.LBB7_2254:
	s_andn2_b64 vcc, exec, s[6:7]
	s_cbranch_vccnz .LBB7_2256
; %bb.2255:
	global_load_dword v3, v[24:25], off
	s_waitcnt vmcnt(0)
	v_cvt_f64_i32_e32 v[20:21], v3
.LBB7_2256:
	s_mov_b64 s[6:7], 0
.LBB7_2257:
	s_andn2_b64 vcc, exec, s[6:7]
	s_cbranch_vccnz .LBB7_2259
; %bb.2258:
	global_load_sshort v3, v[24:25], off
	s_waitcnt vmcnt(0)
	v_cvt_f64_i32_e32 v[20:21], v3
.LBB7_2259:
	s_mov_b64 s[6:7], 0
.LBB7_2260:
	s_andn2_b64 vcc, exec, s[6:7]
	s_cbranch_vccnz .LBB7_2266
; %bb.2261:
	v_mov_b32_e32 v3, 0
	v_cmp_gt_i16_sdwa s[6:7], s27, v3 src0_sel:BYTE_0 src1_sel:DWORD
	s_and_b64 vcc, exec, s[6:7]
	s_cbranch_vccz .LBB7_2263
; %bb.2262:
	global_load_sbyte v3, v[24:25], off
	s_mov_b64 s[6:7], 0
	s_waitcnt vmcnt(0)
	v_cvt_f64_i32_e32 v[20:21], v3
	s_branch .LBB7_2264
.LBB7_2263:
	s_mov_b64 s[6:7], -1
                                        ; implicit-def: $vgpr20_vgpr21
.LBB7_2264:
	s_andn2_b64 vcc, exec, s[6:7]
	s_cbranch_vccnz .LBB7_2266
; %bb.2265:
	global_load_ubyte v3, v[24:25], off
	s_waitcnt vmcnt(0)
	v_cvt_f64_u32_e32 v[20:21], v3
.LBB7_2266:
	s_mov_b64 s[18:19], -1
.LBB7_2267:
	s_andn2_b64 vcc, exec, s[18:19]
	s_cbranch_vccnz .LBB7_3113
; %bb.2268:
	v_mov_b32_e32 v3, s1
	v_add_co_u32_e32 v24, vcc, s0, v22
	v_addc_co_u32_e32 v25, vcc, 0, v3, vcc
	s_and_b64 vcc, exec, s[2:3]
	s_cbranch_vccnz .LBB7_2275
; %bb.2269:
	v_cmp_gt_i16_e64 s[6:7], s28, 25
	s_mov_b64 s[16:17], 0
	s_and_b64 vcc, exec, s[6:7]
	s_cbranch_vccz .LBB7_2276
; %bb.2270:
	v_cmp_gt_i16_e64 s[6:7], s28, 28
	s_and_b64 vcc, exec, s[6:7]
	s_cbranch_vccz .LBB7_2277
; %bb.2271:
	v_cmp_gt_i16_e64 s[6:7], s28, 43
	;; [unrolled: 4-line block ×3, first 2 shown]
	s_and_b64 vcc, exec, s[6:7]
	s_cbranch_vccz .LBB7_2280
; %bb.2273:
	v_cmp_eq_u16_e64 s[6:7], s28, 46
	s_mov_b64 s[20:21], 0
	s_and_b64 vcc, exec, s[6:7]
	s_cbranch_vccz .LBB7_2283
; %bb.2274:
	global_load_dword v3, v[24:25], off
	s_mov_b64 s[6:7], 0
	s_mov_b64 s[18:19], -1
	s_waitcnt vmcnt(0)
	v_lshlrev_b32_e32 v3, 16, v3
	v_cvt_f64_f32_e32 v[22:23], v3
	s_branch .LBB7_2284
.LBB7_2275:
	s_mov_b64 s[6:7], -1
	s_mov_b64 s[18:19], 0
                                        ; implicit-def: $vgpr22_vgpr23
	s_branch .LBB7_2350
.LBB7_2276:
	s_mov_b64 s[20:21], -1
	s_mov_b64 s[18:19], 0
	s_mov_b64 s[6:7], 0
                                        ; implicit-def: $vgpr22_vgpr23
	s_branch .LBB7_2313
.LBB7_2277:
	s_mov_b64 s[20:21], -1
	s_mov_b64 s[18:19], 0
	s_mov_b64 s[6:7], 0
                                        ; implicit-def: $vgpr22_vgpr23
	s_branch .LBB7_2294
.LBB7_2278:
	s_mov_b64 s[20:21], -1
	s_mov_b64 s[18:19], 0
	s_mov_b64 s[6:7], 0
                                        ; implicit-def: $vgpr22_vgpr23
	s_branch .LBB7_2289
.LBB7_2279:
	s_trap 2
	s_or_b64 s[4:5], s[4:5], exec
                                        ; implicit-def: $vgpr20_vgpr21
	s_cbranch_execz .LBB7_2216
	s_branch .LBB7_2217
.LBB7_2280:
	s_mov_b64 s[20:21], -1
	s_mov_b64 s[18:19], 0
	s_mov_b64 s[6:7], 0
                                        ; implicit-def: $vgpr22_vgpr23
	s_branch .LBB7_2284
.LBB7_2281:
	s_or_saveexec_b64 s[62:63], s[62:63]
                                        ; implicit-def: $sgpr64
	s_xor_b64 exec, exec, s[62:63]
	s_cbranch_execz .LBB7_1116
.LBB7_2282:
	s_mov_b32 s64, 0x42800000
	v_add_f32_e64 v3, |v2|, s64
	v_and_b32_e32 v3, 0xff, v3
	v_cmp_ne_u32_e32 vcc, 0, v3
	s_andn2_b64 s[60:61], s[60:61], exec
	s_and_b64 s[70:71], vcc, exec
	s_mov_b32 s64, 0
	s_or_b64 s[60:61], s[60:61], s[70:71]
	s_or_b64 exec, exec, s[62:63]
	v_mov_b32_e32 v6, s64
	s_and_saveexec_b64 s[62:63], s[60:61]
	s_cbranch_execnz .LBB7_1117
	s_branch .LBB7_1118
.LBB7_2283:
	s_mov_b64 s[6:7], -1
                                        ; implicit-def: $vgpr22_vgpr23
	s_mov_b64 s[18:19], 0
.LBB7_2284:
	s_and_b64 vcc, exec, s[20:21]
	s_cbranch_vccz .LBB7_2288
; %bb.2285:
	v_cmp_eq_u16_e64 s[6:7], s28, 44
	s_and_b64 vcc, exec, s[6:7]
	s_cbranch_vccz .LBB7_2287
; %bb.2286:
	global_load_ubyte v3, v[24:25], off
	s_movk_i32 s18, 0xff
	v_bfrev_b32_e32 v5, 4
	v_mov_b32_e32 v7, 0x7ff80000
	v_bfrev_b32_e32 v9, 28
	s_mov_b64 s[6:7], 0
	s_waitcnt vmcnt(0)
	v_lshlrev_b32_e32 v11, 23, v3
	v_cvt_f64_f32_e32 v[22:23], v11
	v_cmp_ne_u32_e32 vcc, s18, v3
	v_cndmask_b32_e32 v5, v5, v22, vcc
	v_cndmask_b32_e32 v7, v7, v23, vcc
	v_cmp_ne_u32_e32 vcc, 0, v3
	v_cndmask_b32_e32 v23, v9, v7, vcc
	v_cndmask_b32_e32 v22, 0, v5, vcc
	s_mov_b64 s[18:19], -1
	s_branch .LBB7_2288
.LBB7_2287:
	s_mov_b64 s[6:7], -1
                                        ; implicit-def: $vgpr22_vgpr23
.LBB7_2288:
	s_mov_b64 s[20:21], 0
.LBB7_2289:
	s_and_b64 vcc, exec, s[20:21]
	s_cbranch_vccz .LBB7_2293
; %bb.2290:
	v_cmp_eq_u16_e64 s[6:7], s28, 29
	s_and_b64 vcc, exec, s[6:7]
	s_cbranch_vccz .LBB7_2292
; %bb.2291:
	global_load_dwordx2 v[22:23], v[24:25], off
	s_mov_b64 s[6:7], 0
	s_mov_b64 s[18:19], -1
	s_mov_b64 s[20:21], 0
	s_waitcnt vmcnt(0)
	v_cvt_f64_u32_e32 v[26:27], v23
	v_cvt_f64_u32_e32 v[22:23], v22
	v_ldexp_f64 v[26:27], v[26:27], 32
	v_add_f64 v[22:23], v[26:27], v[22:23]
	s_branch .LBB7_2294
.LBB7_2292:
	s_mov_b64 s[6:7], -1
                                        ; implicit-def: $vgpr22_vgpr23
.LBB7_2293:
	s_mov_b64 s[20:21], 0
.LBB7_2294:
	s_and_b64 vcc, exec, s[20:21]
	s_cbranch_vccz .LBB7_2312
; %bb.2295:
	v_cmp_lt_i16_e64 s[18:19], s28, 27
	s_and_b64 vcc, exec, s[18:19]
	s_cbranch_vccnz .LBB7_2298
; %bb.2296:
	v_cmp_gt_i16_e64 s[18:19], s28, 27
	s_and_b64 vcc, exec, s[18:19]
	s_cbranch_vccz .LBB7_2299
; %bb.2297:
	global_load_dword v3, v[24:25], off
	s_mov_b64 s[18:19], 0
	s_waitcnt vmcnt(0)
	v_cvt_f64_u32_e32 v[22:23], v3
	s_branch .LBB7_2300
.LBB7_2298:
	s_mov_b64 s[18:19], -1
                                        ; implicit-def: $vgpr22_vgpr23
	s_branch .LBB7_2303
.LBB7_2299:
	s_mov_b64 s[18:19], -1
                                        ; implicit-def: $vgpr22_vgpr23
.LBB7_2300:
	s_andn2_b64 vcc, exec, s[18:19]
	s_cbranch_vccnz .LBB7_2302
; %bb.2301:
	global_load_ushort v3, v[24:25], off
	s_waitcnt vmcnt(0)
	v_cvt_f64_u32_e32 v[22:23], v3
.LBB7_2302:
	s_mov_b64 s[18:19], 0
.LBB7_2303:
	s_andn2_b64 vcc, exec, s[18:19]
	s_cbranch_vccnz .LBB7_2311
; %bb.2304:
	global_load_ubyte v3, v[24:25], off
	s_movk_i32 s18, 0x7f
                                        ; implicit-def: $sgpr20_sgpr21
	s_waitcnt vmcnt(0)
	v_cmp_lt_i16_e32 vcc, s18, v3
	s_mov_b64 s[18:19], 0
	s_and_saveexec_b64 s[22:23], vcc
	s_xor_b64 s[22:23], exec, s[22:23]
	s_cbranch_execz .LBB7_2325
; %bb.2305:
	s_movk_i32 s18, 0x80
	v_cmp_eq_u16_e32 vcc, s18, v3
	s_mov_b64 s[24:25], -1
                                        ; implicit-def: $sgpr20_sgpr21
	s_and_saveexec_b64 s[18:19], vcc
; %bb.2306:
	s_mov_b32 s21, 0x7ff80000
	s_brev_b32 s20, 4
	s_xor_b64 s[24:25], exec, -1
; %bb.2307:
	s_or_b64 exec, exec, s[18:19]
	s_and_b64 s[18:19], s[24:25], exec
	s_or_saveexec_b64 s[22:23], s[22:23]
	v_pk_mov_b32 v[22:23], s[20:21], s[20:21] op_sel:[0,1]
	s_xor_b64 exec, exec, s[22:23]
	s_cbranch_execnz .LBB7_2326
.LBB7_2308:
	s_or_b64 exec, exec, s[22:23]
	s_and_saveexec_b64 s[20:21], s[18:19]
	s_cbranch_execz .LBB7_2310
.LBB7_2309:
	v_lshlrev_b32_e32 v5, 24, v3
	v_and_b32_e32 v3, 0xffff, v3
	v_and_b32_e32 v7, 7, v3
	v_ffbh_u32_e32 v11, v7
	v_min_u32_e32 v11, 32, v11
	v_subrev_u32_e32 v17, 28, v11
	v_bfe_u32 v9, v3, 3, 4
	v_lshlrev_b32_e32 v3, v17, v3
	v_sub_u32_e32 v11, 29, v11
	v_and_b32_e32 v3, 7, v3
	v_cmp_eq_u32_e32 vcc, 0, v9
	v_cndmask_b32_e32 v9, v9, v11, vcc
	v_cndmask_b32_e32 v3, v7, v3, vcc
	v_mov_b32_e32 v7, 0x3b800000
	v_lshlrev_b32_e32 v3, 20, v3
	v_and_b32_e32 v5, 0x80000000, v5
	v_lshl_add_u32 v7, v9, 23, v7
	v_or3_b32 v3, v5, v7, v3
	v_cvt_f64_f32_e32 v[22:23], v3
.LBB7_2310:
	s_or_b64 exec, exec, s[20:21]
.LBB7_2311:
	s_mov_b64 s[18:19], -1
.LBB7_2312:
	s_mov_b64 s[20:21], 0
.LBB7_2313:
	s_and_b64 vcc, exec, s[20:21]
	s_cbranch_vccz .LBB7_2346
; %bb.2314:
	v_cmp_gt_i16_e64 s[16:17], s28, 22
	s_and_b64 vcc, exec, s[16:17]
	s_cbranch_vccz .LBB7_2324
; %bb.2315:
	v_cmp_lt_i16_e64 s[16:17], s28, 24
	s_and_b64 vcc, exec, s[16:17]
	s_cbranch_vccnz .LBB7_2327
; %bb.2316:
	v_cmp_gt_i16_e64 s[16:17], s28, 24
	s_and_b64 vcc, exec, s[16:17]
	s_cbranch_vccz .LBB7_2328
; %bb.2317:
	global_load_ubyte v3, v[24:25], off
	s_movk_i32 s16, 0x7f
                                        ; implicit-def: $sgpr18_sgpr19
	s_waitcnt vmcnt(0)
	v_cmp_lt_i16_e32 vcc, s16, v3
	s_mov_b64 s[16:17], 0
	s_and_saveexec_b64 s[20:21], vcc
	s_xor_b64 s[20:21], exec, s[20:21]
	s_cbranch_execz .LBB7_2340
; %bb.2318:
	s_movk_i32 s16, 0x80
	v_cmp_eq_u16_e32 vcc, s16, v3
	s_mov_b64 s[22:23], -1
                                        ; implicit-def: $sgpr18_sgpr19
	s_and_saveexec_b64 s[16:17], vcc
; %bb.2319:
	s_mov_b32 s19, 0x7ff80000
	s_brev_b32 s18, 4
	s_xor_b64 s[22:23], exec, -1
; %bb.2320:
	s_or_b64 exec, exec, s[16:17]
	s_and_b64 s[16:17], s[22:23], exec
	s_or_saveexec_b64 s[20:21], s[20:21]
	v_pk_mov_b32 v[22:23], s[18:19], s[18:19] op_sel:[0,1]
	s_xor_b64 exec, exec, s[20:21]
	s_cbranch_execnz .LBB7_2341
.LBB7_2321:
	s_or_b64 exec, exec, s[20:21]
	s_and_saveexec_b64 s[18:19], s[16:17]
	s_cbranch_execz .LBB7_2323
.LBB7_2322:
	v_lshlrev_b32_e32 v5, 24, v3
	v_and_b32_e32 v3, 0xffff, v3
	v_and_b32_e32 v7, 3, v3
	v_ffbh_u32_e32 v11, v7
	v_min_u32_e32 v11, 32, v11
	v_subrev_u32_e32 v17, 29, v11
	v_bfe_u32 v9, v3, 2, 5
	v_lshlrev_b32_e32 v3, v17, v3
	v_sub_u32_e32 v11, 30, v11
	v_and_b32_e32 v3, 3, v3
	v_cmp_eq_u32_e32 vcc, 0, v9
	v_cndmask_b32_e32 v9, v9, v11, vcc
	v_cndmask_b32_e32 v3, v7, v3, vcc
	v_mov_b32_e32 v7, 0x37800000
	v_lshlrev_b32_e32 v3, 21, v3
	v_and_b32_e32 v5, 0x80000000, v5
	v_lshl_add_u32 v7, v9, 23, v7
	v_or3_b32 v3, v5, v7, v3
	v_cvt_f64_f32_e32 v[22:23], v3
.LBB7_2323:
	s_or_b64 exec, exec, s[18:19]
	s_mov_b64 s[16:17], 0
	s_branch .LBB7_2329
.LBB7_2324:
	s_mov_b64 s[16:17], -1
                                        ; implicit-def: $vgpr22_vgpr23
	s_branch .LBB7_2335
.LBB7_2325:
	s_or_saveexec_b64 s[22:23], s[22:23]
	v_pk_mov_b32 v[22:23], s[20:21], s[20:21] op_sel:[0,1]
	s_xor_b64 exec, exec, s[22:23]
	s_cbranch_execz .LBB7_2308
.LBB7_2326:
	v_cmp_ne_u16_e32 vcc, 0, v3
	s_andn2_b64 s[18:19], s[18:19], exec
	s_and_b64 s[20:21], vcc, exec
	v_pk_mov_b32 v[22:23], 0, 0
	s_or_b64 s[18:19], s[18:19], s[20:21]
	s_or_b64 exec, exec, s[22:23]
	s_and_saveexec_b64 s[20:21], s[18:19]
	s_cbranch_execnz .LBB7_2309
	s_branch .LBB7_2310
.LBB7_2327:
	s_mov_b64 s[16:17], -1
                                        ; implicit-def: $vgpr22_vgpr23
	s_branch .LBB7_2332
.LBB7_2328:
	s_mov_b64 s[16:17], -1
                                        ; implicit-def: $vgpr22_vgpr23
.LBB7_2329:
	s_and_b64 vcc, exec, s[16:17]
	s_cbranch_vccz .LBB7_2331
; %bb.2330:
	global_load_ubyte v3, v[24:25], off
	s_mov_b32 s16, 0x7f800000
	s_waitcnt vmcnt(0)
	v_lshlrev_b32_e32 v3, 24, v3
	v_and_b32_e32 v5, 0x7f000000, v3
	v_ffbh_u32_e32 v7, v5
	v_min_u32_e32 v7, 32, v7
	v_sub_u32_e64 v7, v7, 4 clamp
	v_lshlrev_b32_e32 v11, v7, v5
	v_lshlrev_b32_e32 v7, 23, v7
	v_lshrrev_b32_e32 v11, 4, v11
	v_add_u32_e32 v9, 0x1000000, v5
	v_sub_u32_e32 v7, v11, v7
	v_ashrrev_i32_e32 v9, 8, v9
	v_add_u32_e32 v7, 0x3c000000, v7
	v_and_or_b32 v7, v9, s16, v7
	v_cmp_ne_u32_e32 vcc, 0, v5
	v_cndmask_b32_e32 v5, 0, v7, vcc
	s_brev_b32 s16, 1
	v_and_or_b32 v3, v3, s16, v5
	v_cvt_f64_f32_e32 v[22:23], v3
.LBB7_2331:
	s_mov_b64 s[16:17], 0
.LBB7_2332:
	s_andn2_b64 vcc, exec, s[16:17]
	s_cbranch_vccnz .LBB7_2334
; %bb.2333:
	global_load_ubyte v3, v[24:25], off
	s_movk_i32 s16, 0x7f00
	s_brev_b32 s17, 16
	s_waitcnt vmcnt(0)
	v_lshlrev_b16_e32 v5, 8, v3
	v_lshlrev_b32_e32 v3, 25, v3
	v_lshrrev_b32_e32 v7, 4, v3
	v_and_or_b32 v9, v5, s16, 0.5
	v_or_b32_e32 v7, 0x70000000, v7
	v_add_f32_e32 v9, -0.5, v9
	v_mul_f32_e32 v7, 0x7800000, v7
	v_cmp_gt_u32_e32 vcc, s17, v3
	v_bfe_i32 v5, v5, 0, 16
	v_cndmask_b32_e32 v3, v7, v9, vcc
	s_brev_b32 s16, 1
	v_and_or_b32 v3, v5, s16, v3
	v_cvt_f64_f32_e32 v[22:23], v3
.LBB7_2334:
	s_mov_b64 s[16:17], 0
	s_mov_b64 s[18:19], -1
.LBB7_2335:
	s_andn2_b64 vcc, exec, s[16:17]
	s_mov_b64 s[16:17], 0
	s_cbranch_vccnz .LBB7_2346
; %bb.2336:
	v_cmp_gt_i16_e64 s[16:17], s28, 14
	s_and_b64 vcc, exec, s[16:17]
	s_cbranch_vccz .LBB7_2339
; %bb.2337:
	v_cmp_eq_u16_e64 s[6:7], s28, 15
	s_and_b64 vcc, exec, s[6:7]
	s_cbranch_vccz .LBB7_2342
; %bb.2338:
	global_load_ushort v3, v[24:25], off
	s_mov_b64 s[6:7], 0
	s_mov_b64 s[18:19], -1
	s_waitcnt vmcnt(0)
	v_lshlrev_b32_e32 v3, 16, v3
	v_cvt_f64_f32_e32 v[22:23], v3
	s_branch .LBB7_2343
.LBB7_2339:
	s_mov_b64 s[20:21], -1
                                        ; implicit-def: $vgpr22_vgpr23
	s_branch .LBB7_2344
.LBB7_2340:
	s_or_saveexec_b64 s[20:21], s[20:21]
	v_pk_mov_b32 v[22:23], s[18:19], s[18:19] op_sel:[0,1]
	s_xor_b64 exec, exec, s[20:21]
	s_cbranch_execz .LBB7_2321
.LBB7_2341:
	v_cmp_ne_u16_e32 vcc, 0, v3
	s_andn2_b64 s[16:17], s[16:17], exec
	s_and_b64 s[18:19], vcc, exec
	v_pk_mov_b32 v[22:23], 0, 0
	s_or_b64 s[16:17], s[16:17], s[18:19]
	s_or_b64 exec, exec, s[20:21]
	s_and_saveexec_b64 s[18:19], s[16:17]
	s_cbranch_execnz .LBB7_2322
	s_branch .LBB7_2323
.LBB7_2342:
	s_mov_b64 s[6:7], -1
                                        ; implicit-def: $vgpr22_vgpr23
.LBB7_2343:
	s_mov_b64 s[20:21], 0
.LBB7_2344:
	s_mov_b64 s[16:17], 0
	s_and_b64 vcc, exec, s[20:21]
	s_cbranch_vccz .LBB7_2346
; %bb.2345:
	v_cmp_ne_u16_e64 s[6:7], s28, 11
	s_mov_b64 s[16:17], -1
                                        ; implicit-def: $vgpr22_vgpr23
.LBB7_2346:
	s_and_b64 vcc, exec, s[6:7]
	s_cbranch_vccnz .LBB7_2411
; %bb.2347:
	s_andn2_b64 vcc, exec, s[16:17]
	s_cbranch_vccnz .LBB7_2349
.LBB7_2348:
	global_load_ubyte v3, v[24:25], off
	v_mov_b32_e32 v5, 0x3ff00000
	v_mov_b32_e32 v22, 0
	s_mov_b64 s[18:19], -1
	s_waitcnt vmcnt(0)
	v_cmp_ne_u16_e32 vcc, 0, v3
	v_cndmask_b32_e32 v23, 0, v5, vcc
.LBB7_2349:
	s_mov_b64 s[6:7], 0
.LBB7_2350:
	s_and_b64 vcc, exec, s[6:7]
	s_cbranch_vccz .LBB7_2399
; %bb.2351:
	v_cmp_lt_i16_e64 s[6:7], s28, 5
	s_and_b64 vcc, exec, s[6:7]
	s_cbranch_vccnz .LBB7_2356
; %bb.2352:
	v_cmp_lt_i16_e64 s[6:7], s28, 8
	s_and_b64 vcc, exec, s[6:7]
	s_cbranch_vccnz .LBB7_2357
	;; [unrolled: 4-line block ×3, first 2 shown]
; %bb.2354:
	v_cmp_gt_i16_e64 s[6:7], s28, 9
	s_and_b64 vcc, exec, s[6:7]
	s_cbranch_vccz .LBB7_2359
; %bb.2355:
	global_load_dwordx2 v[22:23], v[24:25], off
	s_mov_b64 s[6:7], 0
	s_branch .LBB7_2360
.LBB7_2356:
	s_mov_b64 s[6:7], -1
                                        ; implicit-def: $vgpr22_vgpr23
	s_branch .LBB7_2378
.LBB7_2357:
	s_mov_b64 s[6:7], -1
                                        ; implicit-def: $vgpr22_vgpr23
	s_branch .LBB7_2366
.LBB7_2358:
	s_mov_b64 s[6:7], -1
                                        ; implicit-def: $vgpr22_vgpr23
	s_branch .LBB7_2363
.LBB7_2359:
	s_mov_b64 s[6:7], -1
                                        ; implicit-def: $vgpr22_vgpr23
.LBB7_2360:
	s_andn2_b64 vcc, exec, s[6:7]
	s_cbranch_vccnz .LBB7_2362
; %bb.2361:
	global_load_dword v3, v[24:25], off
	s_waitcnt vmcnt(0)
	v_cvt_f64_f32_e32 v[22:23], v3
.LBB7_2362:
	s_mov_b64 s[6:7], 0
.LBB7_2363:
	s_andn2_b64 vcc, exec, s[6:7]
	s_cbranch_vccnz .LBB7_2365
; %bb.2364:
	global_load_dword v3, v[24:25], off
	s_waitcnt vmcnt(0)
	v_cvt_f32_f16_e32 v3, v3
	v_cvt_f64_f32_e32 v[22:23], v3
.LBB7_2365:
	s_mov_b64 s[6:7], 0
.LBB7_2366:
	s_andn2_b64 vcc, exec, s[6:7]
	s_cbranch_vccnz .LBB7_2377
; %bb.2367:
	v_cmp_lt_i16_e64 s[6:7], s28, 6
	s_and_b64 vcc, exec, s[6:7]
	s_cbranch_vccnz .LBB7_2370
; %bb.2368:
	v_cmp_gt_i16_e64 s[6:7], s28, 6
	s_and_b64 vcc, exec, s[6:7]
	s_cbranch_vccz .LBB7_2371
; %bb.2369:
	global_load_dwordx2 v[22:23], v[24:25], off
	s_mov_b64 s[6:7], 0
	s_branch .LBB7_2372
.LBB7_2370:
	s_mov_b64 s[6:7], -1
                                        ; implicit-def: $vgpr22_vgpr23
	s_branch .LBB7_2375
.LBB7_2371:
	s_mov_b64 s[6:7], -1
                                        ; implicit-def: $vgpr22_vgpr23
.LBB7_2372:
	s_andn2_b64 vcc, exec, s[6:7]
	s_cbranch_vccnz .LBB7_2374
; %bb.2373:
	global_load_dword v3, v[24:25], off
	s_waitcnt vmcnt(0)
	v_cvt_f64_f32_e32 v[22:23], v3
.LBB7_2374:
	s_mov_b64 s[6:7], 0
.LBB7_2375:
	s_andn2_b64 vcc, exec, s[6:7]
	s_cbranch_vccnz .LBB7_2377
; %bb.2376:
	global_load_ushort v3, v[24:25], off
	s_waitcnt vmcnt(0)
	v_cvt_f32_f16_e32 v3, v3
	v_cvt_f64_f32_e32 v[22:23], v3
.LBB7_2377:
	s_mov_b64 s[6:7], 0
.LBB7_2378:
	s_andn2_b64 vcc, exec, s[6:7]
	s_cbranch_vccnz .LBB7_2398
; %bb.2379:
	v_cmp_lt_i16_e64 s[6:7], s28, 2
	s_and_b64 vcc, exec, s[6:7]
	s_cbranch_vccnz .LBB7_2383
; %bb.2380:
	v_cmp_lt_i16_e64 s[6:7], s28, 3
	s_and_b64 vcc, exec, s[6:7]
	s_cbranch_vccnz .LBB7_2384
; %bb.2381:
	v_cmp_gt_i16_e64 s[6:7], s28, 3
	s_and_b64 vcc, exec, s[6:7]
	s_cbranch_vccz .LBB7_2385
; %bb.2382:
	global_load_dwordx2 v[22:23], v[24:25], off
	s_mov_b64 s[6:7], 0
	s_waitcnt vmcnt(0)
	v_cvt_f64_i32_e32 v[26:27], v23
	v_cvt_f64_u32_e32 v[22:23], v22
	v_ldexp_f64 v[26:27], v[26:27], 32
	v_add_f64 v[22:23], v[26:27], v[22:23]
	s_branch .LBB7_2386
.LBB7_2383:
	s_mov_b64 s[6:7], -1
                                        ; implicit-def: $vgpr22_vgpr23
	s_branch .LBB7_2392
.LBB7_2384:
	s_mov_b64 s[6:7], -1
                                        ; implicit-def: $vgpr22_vgpr23
	s_branch .LBB7_2389
.LBB7_2385:
	s_mov_b64 s[6:7], -1
                                        ; implicit-def: $vgpr22_vgpr23
.LBB7_2386:
	s_andn2_b64 vcc, exec, s[6:7]
	s_cbranch_vccnz .LBB7_2388
; %bb.2387:
	global_load_dword v3, v[24:25], off
	s_waitcnt vmcnt(0)
	v_cvt_f64_i32_e32 v[22:23], v3
.LBB7_2388:
	s_mov_b64 s[6:7], 0
.LBB7_2389:
	s_andn2_b64 vcc, exec, s[6:7]
	s_cbranch_vccnz .LBB7_2391
; %bb.2390:
	global_load_sshort v3, v[24:25], off
	s_waitcnt vmcnt(0)
	v_cvt_f64_i32_e32 v[22:23], v3
.LBB7_2391:
	s_mov_b64 s[6:7], 0
.LBB7_2392:
	s_andn2_b64 vcc, exec, s[6:7]
	s_cbranch_vccnz .LBB7_2398
; %bb.2393:
	v_cmp_gt_i16_e64 s[6:7], s28, 0
	s_and_b64 vcc, exec, s[6:7]
	s_cbranch_vccz .LBB7_2395
; %bb.2394:
	global_load_sbyte v3, v[24:25], off
	s_mov_b64 s[6:7], 0
	s_waitcnt vmcnt(0)
	v_cvt_f64_i32_e32 v[22:23], v3
	s_branch .LBB7_2396
.LBB7_2395:
	s_mov_b64 s[6:7], -1
                                        ; implicit-def: $vgpr22_vgpr23
.LBB7_2396:
	s_andn2_b64 vcc, exec, s[6:7]
	s_cbranch_vccnz .LBB7_2398
; %bb.2397:
	global_load_ubyte v3, v[24:25], off
	s_waitcnt vmcnt(0)
	v_cvt_f64_u32_e32 v[22:23], v3
.LBB7_2398:
	s_mov_b64 s[18:19], -1
.LBB7_2399:
	s_andn2_b64 vcc, exec, s[18:19]
	s_cbranch_vccnz .LBB7_3113
; %bb.2400:
	v_mov_b32_e32 v3, s11
	v_add_co_u32_e32 v24, vcc, s10, v16
	v_addc_co_u32_e32 v25, vcc, 0, v3, vcc
	v_mov_b32_e32 v3, 11
	v_cmp_lt_i16_sdwa s[6:7], s27, v3 src0_sel:BYTE_0 src1_sel:DWORD
	s_and_b64 vcc, exec, s[6:7]
	s_cbranch_vccnz .LBB7_2407
; %bb.2401:
	v_mov_b32_e32 v3, 25
	v_cmp_gt_i16_sdwa s[6:7], s27, v3 src0_sel:BYTE_0 src1_sel:DWORD
	s_mov_b64 s[10:11], 0
	s_and_b64 vcc, exec, s[6:7]
	s_cbranch_vccz .LBB7_2408
; %bb.2402:
	v_mov_b32_e32 v3, 28
	v_cmp_gt_i16_sdwa s[6:7], s27, v3 src0_sel:BYTE_0 src1_sel:DWORD
	s_and_b64 vcc, exec, s[6:7]
	s_cbranch_vccz .LBB7_2409
; %bb.2403:
	v_mov_b32_e32 v3, 43
	v_cmp_gt_i16_sdwa s[6:7], s27, v3 src0_sel:BYTE_0 src1_sel:DWORD
	;; [unrolled: 5-line block ×3, first 2 shown]
	s_and_b64 vcc, exec, s[6:7]
	s_cbranch_vccz .LBB7_2412
; %bb.2405:
	v_mov_b32_e32 v3, 46
	v_cmp_eq_u16_sdwa s[6:7], s27, v3 src0_sel:BYTE_0 src1_sel:DWORD
	s_mov_b64 s[18:19], 0
	s_and_b64 vcc, exec, s[6:7]
	s_cbranch_vccz .LBB7_2413
; %bb.2406:
	global_load_dword v3, v[24:25], off
	s_mov_b64 s[6:7], 0
	s_mov_b64 s[16:17], -1
	s_waitcnt vmcnt(0)
	v_lshlrev_b32_e32 v3, 16, v3
	v_cvt_f64_f32_e32 v[16:17], v3
	s_branch .LBB7_2414
.LBB7_2407:
	s_mov_b64 s[6:7], -1
	s_mov_b64 s[16:17], 0
                                        ; implicit-def: $vgpr16_vgpr17
	s_branch .LBB7_2480
.LBB7_2408:
	s_mov_b64 s[18:19], -1
	s_mov_b64 s[16:17], 0
	s_mov_b64 s[6:7], 0
                                        ; implicit-def: $vgpr16_vgpr17
	s_branch .LBB7_2443
.LBB7_2409:
	s_mov_b64 s[18:19], -1
	s_mov_b64 s[16:17], 0
	s_mov_b64 s[6:7], 0
                                        ; implicit-def: $vgpr16_vgpr17
	s_branch .LBB7_2424
.LBB7_2410:
	s_mov_b64 s[18:19], -1
	s_mov_b64 s[16:17], 0
	s_mov_b64 s[6:7], 0
                                        ; implicit-def: $vgpr16_vgpr17
	s_branch .LBB7_2419
.LBB7_2411:
	s_trap 2
	s_or_b64 s[4:5], s[4:5], exec
                                        ; implicit-def: $vgpr22_vgpr23
	s_cbranch_execz .LBB7_2348
	s_branch .LBB7_2349
.LBB7_2412:
	s_mov_b64 s[18:19], -1
	s_mov_b64 s[16:17], 0
	s_mov_b64 s[6:7], 0
                                        ; implicit-def: $vgpr16_vgpr17
	s_branch .LBB7_2414
.LBB7_2413:
	s_mov_b64 s[6:7], -1
                                        ; implicit-def: $vgpr16_vgpr17
	s_mov_b64 s[16:17], 0
.LBB7_2414:
	s_and_b64 vcc, exec, s[18:19]
	s_cbranch_vccz .LBB7_2418
; %bb.2415:
	v_mov_b32_e32 v3, 44
	v_cmp_eq_u16_sdwa s[6:7], s27, v3 src0_sel:BYTE_0 src1_sel:DWORD
	s_and_b64 vcc, exec, s[6:7]
	s_cbranch_vccz .LBB7_2417
; %bb.2416:
	global_load_ubyte v3, v[24:25], off
	s_movk_i32 s16, 0xff
	v_bfrev_b32_e32 v5, 4
	v_mov_b32_e32 v7, 0x7ff80000
	v_bfrev_b32_e32 v9, 28
	s_mov_b64 s[6:7], 0
	s_waitcnt vmcnt(0)
	v_lshlrev_b32_e32 v11, 23, v3
	v_cvt_f64_f32_e32 v[16:17], v11
	v_cmp_ne_u32_e32 vcc, s16, v3
	v_cndmask_b32_e32 v5, v5, v16, vcc
	v_cndmask_b32_e32 v7, v7, v17, vcc
	v_cmp_ne_u32_e32 vcc, 0, v3
	v_cndmask_b32_e32 v17, v9, v7, vcc
	v_cndmask_b32_e32 v16, 0, v5, vcc
	s_mov_b64 s[16:17], -1
	s_branch .LBB7_2418
.LBB7_2417:
	s_mov_b64 s[6:7], -1
                                        ; implicit-def: $vgpr16_vgpr17
.LBB7_2418:
	s_mov_b64 s[18:19], 0
.LBB7_2419:
	s_and_b64 vcc, exec, s[18:19]
	s_cbranch_vccz .LBB7_2423
; %bb.2420:
	v_mov_b32_e32 v3, 29
	v_cmp_eq_u16_sdwa s[6:7], s27, v3 src0_sel:BYTE_0 src1_sel:DWORD
	s_and_b64 vcc, exec, s[6:7]
	s_cbranch_vccz .LBB7_2422
; %bb.2421:
	global_load_dwordx2 v[16:17], v[24:25], off
	s_mov_b64 s[6:7], 0
	s_mov_b64 s[16:17], -1
	s_mov_b64 s[18:19], 0
	s_waitcnt vmcnt(0)
	v_cvt_f64_u32_e32 v[26:27], v17
	v_cvt_f64_u32_e32 v[16:17], v16
	v_ldexp_f64 v[26:27], v[26:27], 32
	v_add_f64 v[16:17], v[26:27], v[16:17]
	s_branch .LBB7_2424
.LBB7_2422:
	s_mov_b64 s[6:7], -1
                                        ; implicit-def: $vgpr16_vgpr17
.LBB7_2423:
	s_mov_b64 s[18:19], 0
.LBB7_2424:
	s_and_b64 vcc, exec, s[18:19]
	s_cbranch_vccz .LBB7_2442
; %bb.2425:
	v_mov_b32_e32 v3, 27
	v_cmp_lt_i16_sdwa s[16:17], s27, v3 src0_sel:BYTE_0 src1_sel:DWORD
	s_and_b64 vcc, exec, s[16:17]
	s_cbranch_vccnz .LBB7_2428
; %bb.2426:
	v_cmp_gt_i16_sdwa s[16:17], s27, v3 src0_sel:BYTE_0 src1_sel:DWORD
	s_and_b64 vcc, exec, s[16:17]
	s_cbranch_vccz .LBB7_2429
; %bb.2427:
	global_load_dword v3, v[24:25], off
	s_mov_b64 s[16:17], 0
	s_waitcnt vmcnt(0)
	v_cvt_f64_u32_e32 v[16:17], v3
	s_branch .LBB7_2430
.LBB7_2428:
	s_mov_b64 s[16:17], -1
                                        ; implicit-def: $vgpr16_vgpr17
	s_branch .LBB7_2433
.LBB7_2429:
	s_mov_b64 s[16:17], -1
                                        ; implicit-def: $vgpr16_vgpr17
.LBB7_2430:
	s_andn2_b64 vcc, exec, s[16:17]
	s_cbranch_vccnz .LBB7_2432
; %bb.2431:
	global_load_ushort v3, v[24:25], off
	s_waitcnt vmcnt(0)
	v_cvt_f64_u32_e32 v[16:17], v3
.LBB7_2432:
	s_mov_b64 s[16:17], 0
.LBB7_2433:
	s_andn2_b64 vcc, exec, s[16:17]
	s_cbranch_vccnz .LBB7_2441
; %bb.2434:
	global_load_ubyte v3, v[24:25], off
	s_movk_i32 s16, 0x7f
                                        ; implicit-def: $sgpr18_sgpr19
	s_waitcnt vmcnt(0)
	v_cmp_lt_i16_e32 vcc, s16, v3
	s_mov_b64 s[16:17], 0
	s_and_saveexec_b64 s[20:21], vcc
	s_xor_b64 s[20:21], exec, s[20:21]
	s_cbranch_execz .LBB7_2455
; %bb.2435:
	s_movk_i32 s16, 0x80
	v_cmp_eq_u16_e32 vcc, s16, v3
	s_mov_b64 s[22:23], -1
                                        ; implicit-def: $sgpr18_sgpr19
	s_and_saveexec_b64 s[16:17], vcc
; %bb.2436:
	s_mov_b32 s19, 0x7ff80000
	s_brev_b32 s18, 4
	s_xor_b64 s[22:23], exec, -1
; %bb.2437:
	s_or_b64 exec, exec, s[16:17]
	s_and_b64 s[16:17], s[22:23], exec
	s_or_saveexec_b64 s[20:21], s[20:21]
	v_pk_mov_b32 v[16:17], s[18:19], s[18:19] op_sel:[0,1]
	s_xor_b64 exec, exec, s[20:21]
	s_cbranch_execnz .LBB7_2456
.LBB7_2438:
	s_or_b64 exec, exec, s[20:21]
	s_and_saveexec_b64 s[18:19], s[16:17]
	s_cbranch_execz .LBB7_2440
.LBB7_2439:
	v_lshlrev_b32_e32 v5, 24, v3
	v_and_b32_e32 v3, 0xffff, v3
	v_and_b32_e32 v7, 7, v3
	v_ffbh_u32_e32 v11, v7
	v_min_u32_e32 v11, 32, v11
	v_subrev_u32_e32 v16, 28, v11
	v_bfe_u32 v9, v3, 3, 4
	v_lshlrev_b32_e32 v3, v16, v3
	v_sub_u32_e32 v11, 29, v11
	v_and_b32_e32 v3, 7, v3
	v_cmp_eq_u32_e32 vcc, 0, v9
	v_cndmask_b32_e32 v9, v9, v11, vcc
	v_cndmask_b32_e32 v3, v7, v3, vcc
	v_mov_b32_e32 v7, 0x3b800000
	v_lshlrev_b32_e32 v3, 20, v3
	v_and_b32_e32 v5, 0x80000000, v5
	v_lshl_add_u32 v7, v9, 23, v7
	v_or3_b32 v3, v5, v7, v3
	v_cvt_f64_f32_e32 v[16:17], v3
.LBB7_2440:
	s_or_b64 exec, exec, s[18:19]
.LBB7_2441:
	s_mov_b64 s[16:17], -1
.LBB7_2442:
	s_mov_b64 s[18:19], 0
.LBB7_2443:
	s_and_b64 vcc, exec, s[18:19]
	s_cbranch_vccz .LBB7_2476
; %bb.2444:
	v_mov_b32_e32 v3, 22
	v_cmp_gt_i16_sdwa s[10:11], s27, v3 src0_sel:BYTE_0 src1_sel:DWORD
	s_and_b64 vcc, exec, s[10:11]
	s_cbranch_vccz .LBB7_2454
; %bb.2445:
	v_mov_b32_e32 v3, 24
	v_cmp_lt_i16_sdwa s[10:11], s27, v3 src0_sel:BYTE_0 src1_sel:DWORD
	s_and_b64 vcc, exec, s[10:11]
	s_cbranch_vccnz .LBB7_2457
; %bb.2446:
	v_cmp_gt_i16_sdwa s[10:11], s27, v3 src0_sel:BYTE_0 src1_sel:DWORD
	s_and_b64 vcc, exec, s[10:11]
	s_cbranch_vccz .LBB7_2458
; %bb.2447:
	global_load_ubyte v3, v[24:25], off
	s_movk_i32 s10, 0x7f
                                        ; implicit-def: $sgpr16_sgpr17
	s_waitcnt vmcnt(0)
	v_cmp_lt_i16_e32 vcc, s10, v3
	s_mov_b64 s[10:11], 0
	s_and_saveexec_b64 s[18:19], vcc
	s_xor_b64 s[18:19], exec, s[18:19]
	s_cbranch_execz .LBB7_2470
; %bb.2448:
	s_movk_i32 s10, 0x80
	v_cmp_eq_u16_e32 vcc, s10, v3
	s_mov_b64 s[20:21], -1
                                        ; implicit-def: $sgpr16_sgpr17
	s_and_saveexec_b64 s[10:11], vcc
; %bb.2449:
	s_mov_b32 s17, 0x7ff80000
	s_brev_b32 s16, 4
	s_xor_b64 s[20:21], exec, -1
; %bb.2450:
	s_or_b64 exec, exec, s[10:11]
	s_and_b64 s[10:11], s[20:21], exec
	s_or_saveexec_b64 s[18:19], s[18:19]
	v_pk_mov_b32 v[16:17], s[16:17], s[16:17] op_sel:[0,1]
	s_xor_b64 exec, exec, s[18:19]
	s_cbranch_execnz .LBB7_2471
.LBB7_2451:
	s_or_b64 exec, exec, s[18:19]
	s_and_saveexec_b64 s[16:17], s[10:11]
	s_cbranch_execz .LBB7_2453
.LBB7_2452:
	v_lshlrev_b32_e32 v5, 24, v3
	v_and_b32_e32 v3, 0xffff, v3
	v_and_b32_e32 v7, 3, v3
	v_ffbh_u32_e32 v11, v7
	v_min_u32_e32 v11, 32, v11
	v_subrev_u32_e32 v16, 29, v11
	v_bfe_u32 v9, v3, 2, 5
	v_lshlrev_b32_e32 v3, v16, v3
	v_sub_u32_e32 v11, 30, v11
	v_and_b32_e32 v3, 3, v3
	v_cmp_eq_u32_e32 vcc, 0, v9
	v_cndmask_b32_e32 v9, v9, v11, vcc
	v_cndmask_b32_e32 v3, v7, v3, vcc
	v_mov_b32_e32 v7, 0x37800000
	v_lshlrev_b32_e32 v3, 21, v3
	v_and_b32_e32 v5, 0x80000000, v5
	v_lshl_add_u32 v7, v9, 23, v7
	v_or3_b32 v3, v5, v7, v3
	v_cvt_f64_f32_e32 v[16:17], v3
.LBB7_2453:
	s_or_b64 exec, exec, s[16:17]
	s_mov_b64 s[10:11], 0
	s_branch .LBB7_2459
.LBB7_2454:
	s_mov_b64 s[10:11], -1
                                        ; implicit-def: $vgpr16_vgpr17
	s_branch .LBB7_2465
.LBB7_2455:
	s_or_saveexec_b64 s[20:21], s[20:21]
	v_pk_mov_b32 v[16:17], s[18:19], s[18:19] op_sel:[0,1]
	s_xor_b64 exec, exec, s[20:21]
	s_cbranch_execz .LBB7_2438
.LBB7_2456:
	v_cmp_ne_u16_e32 vcc, 0, v3
	s_andn2_b64 s[16:17], s[16:17], exec
	s_and_b64 s[18:19], vcc, exec
	v_pk_mov_b32 v[16:17], 0, 0
	s_or_b64 s[16:17], s[16:17], s[18:19]
	s_or_b64 exec, exec, s[20:21]
	s_and_saveexec_b64 s[18:19], s[16:17]
	s_cbranch_execnz .LBB7_2439
	s_branch .LBB7_2440
.LBB7_2457:
	s_mov_b64 s[10:11], -1
                                        ; implicit-def: $vgpr16_vgpr17
	s_branch .LBB7_2462
.LBB7_2458:
	s_mov_b64 s[10:11], -1
                                        ; implicit-def: $vgpr16_vgpr17
.LBB7_2459:
	s_and_b64 vcc, exec, s[10:11]
	s_cbranch_vccz .LBB7_2461
; %bb.2460:
	global_load_ubyte v3, v[24:25], off
	s_mov_b32 s10, 0x7f800000
	s_waitcnt vmcnt(0)
	v_lshlrev_b32_e32 v3, 24, v3
	v_and_b32_e32 v5, 0x7f000000, v3
	v_ffbh_u32_e32 v7, v5
	v_min_u32_e32 v7, 32, v7
	v_sub_u32_e64 v7, v7, 4 clamp
	v_lshlrev_b32_e32 v11, v7, v5
	v_lshlrev_b32_e32 v7, 23, v7
	v_lshrrev_b32_e32 v11, 4, v11
	v_add_u32_e32 v9, 0x1000000, v5
	v_sub_u32_e32 v7, v11, v7
	v_ashrrev_i32_e32 v9, 8, v9
	v_add_u32_e32 v7, 0x3c000000, v7
	v_and_or_b32 v7, v9, s10, v7
	v_cmp_ne_u32_e32 vcc, 0, v5
	v_cndmask_b32_e32 v5, 0, v7, vcc
	s_brev_b32 s10, 1
	v_and_or_b32 v3, v3, s10, v5
	v_cvt_f64_f32_e32 v[16:17], v3
.LBB7_2461:
	s_mov_b64 s[10:11], 0
.LBB7_2462:
	s_andn2_b64 vcc, exec, s[10:11]
	s_cbranch_vccnz .LBB7_2464
; %bb.2463:
	global_load_ubyte v3, v[24:25], off
	s_movk_i32 s10, 0x7f00
	s_brev_b32 s11, 16
	s_waitcnt vmcnt(0)
	v_lshlrev_b16_e32 v5, 8, v3
	v_lshlrev_b32_e32 v3, 25, v3
	v_lshrrev_b32_e32 v7, 4, v3
	v_and_or_b32 v9, v5, s10, 0.5
	v_or_b32_e32 v7, 0x70000000, v7
	v_add_f32_e32 v9, -0.5, v9
	v_mul_f32_e32 v7, 0x7800000, v7
	v_cmp_gt_u32_e32 vcc, s11, v3
	v_bfe_i32 v5, v5, 0, 16
	v_cndmask_b32_e32 v3, v7, v9, vcc
	s_brev_b32 s10, 1
	v_and_or_b32 v3, v5, s10, v3
	v_cvt_f64_f32_e32 v[16:17], v3
.LBB7_2464:
	s_mov_b64 s[10:11], 0
	s_mov_b64 s[16:17], -1
.LBB7_2465:
	s_andn2_b64 vcc, exec, s[10:11]
	s_mov_b64 s[10:11], 0
	s_cbranch_vccnz .LBB7_2476
; %bb.2466:
	v_mov_b32_e32 v3, 14
	v_cmp_gt_i16_sdwa s[10:11], s27, v3 src0_sel:BYTE_0 src1_sel:DWORD
	s_and_b64 vcc, exec, s[10:11]
	s_cbranch_vccz .LBB7_2469
; %bb.2467:
	v_mov_b32_e32 v3, 15
	v_cmp_eq_u16_sdwa s[6:7], s27, v3 src0_sel:BYTE_0 src1_sel:DWORD
	s_and_b64 vcc, exec, s[6:7]
	s_cbranch_vccz .LBB7_2472
; %bb.2468:
	global_load_ushort v3, v[24:25], off
	s_mov_b64 s[6:7], 0
	s_mov_b64 s[16:17], -1
	s_waitcnt vmcnt(0)
	v_lshlrev_b32_e32 v3, 16, v3
	v_cvt_f64_f32_e32 v[16:17], v3
	s_branch .LBB7_2473
.LBB7_2469:
	s_mov_b64 s[18:19], -1
                                        ; implicit-def: $vgpr16_vgpr17
	s_branch .LBB7_2474
.LBB7_2470:
	s_or_saveexec_b64 s[18:19], s[18:19]
	v_pk_mov_b32 v[16:17], s[16:17], s[16:17] op_sel:[0,1]
	s_xor_b64 exec, exec, s[18:19]
	s_cbranch_execz .LBB7_2451
.LBB7_2471:
	v_cmp_ne_u16_e32 vcc, 0, v3
	s_andn2_b64 s[10:11], s[10:11], exec
	s_and_b64 s[16:17], vcc, exec
	v_pk_mov_b32 v[16:17], 0, 0
	s_or_b64 s[10:11], s[10:11], s[16:17]
	s_or_b64 exec, exec, s[18:19]
	s_and_saveexec_b64 s[16:17], s[10:11]
	s_cbranch_execnz .LBB7_2452
	s_branch .LBB7_2453
.LBB7_2472:
	s_mov_b64 s[6:7], -1
                                        ; implicit-def: $vgpr16_vgpr17
.LBB7_2473:
	s_mov_b64 s[18:19], 0
.LBB7_2474:
	s_mov_b64 s[10:11], 0
	s_and_b64 vcc, exec, s[18:19]
	s_cbranch_vccz .LBB7_2476
; %bb.2475:
	v_mov_b32_e32 v3, 11
	v_cmp_ne_u16_sdwa s[6:7], s27, v3 src0_sel:BYTE_0 src1_sel:DWORD
	s_mov_b64 s[10:11], -1
                                        ; implicit-def: $vgpr16_vgpr17
.LBB7_2476:
	s_and_b64 vcc, exec, s[6:7]
	s_cbranch_vccnz .LBB7_2541
; %bb.2477:
	s_andn2_b64 vcc, exec, s[10:11]
	s_cbranch_vccnz .LBB7_2479
.LBB7_2478:
	global_load_ubyte v3, v[24:25], off
	v_mov_b32_e32 v5, 0x3ff00000
	v_mov_b32_e32 v16, 0
	s_mov_b64 s[16:17], -1
	s_waitcnt vmcnt(0)
	v_cmp_ne_u16_e32 vcc, 0, v3
	v_cndmask_b32_e32 v17, 0, v5, vcc
.LBB7_2479:
	s_mov_b64 s[6:7], 0
.LBB7_2480:
	s_and_b64 vcc, exec, s[6:7]
	s_cbranch_vccz .LBB7_2529
; %bb.2481:
	v_mov_b32_e32 v3, 5
	v_cmp_lt_i16_sdwa s[6:7], s27, v3 src0_sel:BYTE_0 src1_sel:DWORD
	s_and_b64 vcc, exec, s[6:7]
	s_cbranch_vccnz .LBB7_2486
; %bb.2482:
	v_mov_b32_e32 v3, 8
	v_cmp_lt_i16_sdwa s[6:7], s27, v3 src0_sel:BYTE_0 src1_sel:DWORD
	s_and_b64 vcc, exec, s[6:7]
	s_cbranch_vccnz .LBB7_2487
; %bb.2483:
	v_mov_b32_e32 v3, 9
	v_cmp_lt_i16_sdwa s[6:7], s27, v3 src0_sel:BYTE_0 src1_sel:DWORD
	s_and_b64 vcc, exec, s[6:7]
	s_cbranch_vccnz .LBB7_2488
; %bb.2484:
	v_cmp_gt_i16_sdwa s[6:7], s27, v3 src0_sel:BYTE_0 src1_sel:DWORD
	s_and_b64 vcc, exec, s[6:7]
	s_cbranch_vccz .LBB7_2489
; %bb.2485:
	global_load_dwordx2 v[16:17], v[24:25], off
	s_mov_b64 s[6:7], 0
	s_branch .LBB7_2490
.LBB7_2486:
	s_mov_b64 s[6:7], -1
                                        ; implicit-def: $vgpr16_vgpr17
	s_branch .LBB7_2508
.LBB7_2487:
	s_mov_b64 s[6:7], -1
                                        ; implicit-def: $vgpr16_vgpr17
	s_branch .LBB7_2496
.LBB7_2488:
	s_mov_b64 s[6:7], -1
                                        ; implicit-def: $vgpr16_vgpr17
	s_branch .LBB7_2493
.LBB7_2489:
	s_mov_b64 s[6:7], -1
                                        ; implicit-def: $vgpr16_vgpr17
.LBB7_2490:
	s_andn2_b64 vcc, exec, s[6:7]
	s_cbranch_vccnz .LBB7_2492
; %bb.2491:
	global_load_dword v3, v[24:25], off
	s_waitcnt vmcnt(0)
	v_cvt_f64_f32_e32 v[16:17], v3
.LBB7_2492:
	s_mov_b64 s[6:7], 0
.LBB7_2493:
	s_andn2_b64 vcc, exec, s[6:7]
	s_cbranch_vccnz .LBB7_2495
; %bb.2494:
	global_load_dword v3, v[24:25], off
	s_waitcnt vmcnt(0)
	v_cvt_f32_f16_e32 v3, v3
	v_cvt_f64_f32_e32 v[16:17], v3
.LBB7_2495:
	s_mov_b64 s[6:7], 0
.LBB7_2496:
	s_andn2_b64 vcc, exec, s[6:7]
	s_cbranch_vccnz .LBB7_2507
; %bb.2497:
	v_mov_b32_e32 v3, 6
	v_cmp_lt_i16_sdwa s[6:7], s27, v3 src0_sel:BYTE_0 src1_sel:DWORD
	s_and_b64 vcc, exec, s[6:7]
	s_cbranch_vccnz .LBB7_2500
; %bb.2498:
	v_cmp_gt_i16_sdwa s[6:7], s27, v3 src0_sel:BYTE_0 src1_sel:DWORD
	s_and_b64 vcc, exec, s[6:7]
	s_cbranch_vccz .LBB7_2501
; %bb.2499:
	global_load_dwordx2 v[16:17], v[24:25], off
	s_mov_b64 s[6:7], 0
	s_branch .LBB7_2502
.LBB7_2500:
	s_mov_b64 s[6:7], -1
                                        ; implicit-def: $vgpr16_vgpr17
	s_branch .LBB7_2505
.LBB7_2501:
	s_mov_b64 s[6:7], -1
                                        ; implicit-def: $vgpr16_vgpr17
.LBB7_2502:
	s_andn2_b64 vcc, exec, s[6:7]
	s_cbranch_vccnz .LBB7_2504
; %bb.2503:
	global_load_dword v3, v[24:25], off
	s_waitcnt vmcnt(0)
	v_cvt_f64_f32_e32 v[16:17], v3
.LBB7_2504:
	s_mov_b64 s[6:7], 0
.LBB7_2505:
	s_andn2_b64 vcc, exec, s[6:7]
	s_cbranch_vccnz .LBB7_2507
; %bb.2506:
	global_load_ushort v3, v[24:25], off
	s_waitcnt vmcnt(0)
	v_cvt_f32_f16_e32 v3, v3
	v_cvt_f64_f32_e32 v[16:17], v3
.LBB7_2507:
	s_mov_b64 s[6:7], 0
.LBB7_2508:
	s_andn2_b64 vcc, exec, s[6:7]
	s_cbranch_vccnz .LBB7_2528
; %bb.2509:
	v_mov_b32_e32 v3, 2
	v_cmp_lt_i16_sdwa s[6:7], s27, v3 src0_sel:BYTE_0 src1_sel:DWORD
	s_and_b64 vcc, exec, s[6:7]
	s_cbranch_vccnz .LBB7_2513
; %bb.2510:
	v_mov_b32_e32 v3, 3
	v_cmp_lt_i16_sdwa s[6:7], s27, v3 src0_sel:BYTE_0 src1_sel:DWORD
	s_and_b64 vcc, exec, s[6:7]
	s_cbranch_vccnz .LBB7_2514
; %bb.2511:
	v_cmp_gt_i16_sdwa s[6:7], s27, v3 src0_sel:BYTE_0 src1_sel:DWORD
	s_and_b64 vcc, exec, s[6:7]
	s_cbranch_vccz .LBB7_2515
; %bb.2512:
	global_load_dwordx2 v[16:17], v[24:25], off
	s_mov_b64 s[6:7], 0
	s_waitcnt vmcnt(0)
	v_cvt_f64_i32_e32 v[26:27], v17
	v_cvt_f64_u32_e32 v[16:17], v16
	v_ldexp_f64 v[26:27], v[26:27], 32
	v_add_f64 v[16:17], v[26:27], v[16:17]
	s_branch .LBB7_2516
.LBB7_2513:
	s_mov_b64 s[6:7], -1
                                        ; implicit-def: $vgpr16_vgpr17
	s_branch .LBB7_2522
.LBB7_2514:
	s_mov_b64 s[6:7], -1
                                        ; implicit-def: $vgpr16_vgpr17
	s_branch .LBB7_2519
.LBB7_2515:
	s_mov_b64 s[6:7], -1
                                        ; implicit-def: $vgpr16_vgpr17
.LBB7_2516:
	s_andn2_b64 vcc, exec, s[6:7]
	s_cbranch_vccnz .LBB7_2518
; %bb.2517:
	global_load_dword v3, v[24:25], off
	s_waitcnt vmcnt(0)
	v_cvt_f64_i32_e32 v[16:17], v3
.LBB7_2518:
	s_mov_b64 s[6:7], 0
.LBB7_2519:
	s_andn2_b64 vcc, exec, s[6:7]
	s_cbranch_vccnz .LBB7_2521
; %bb.2520:
	global_load_sshort v3, v[24:25], off
	s_waitcnt vmcnt(0)
	v_cvt_f64_i32_e32 v[16:17], v3
.LBB7_2521:
	s_mov_b64 s[6:7], 0
.LBB7_2522:
	s_andn2_b64 vcc, exec, s[6:7]
	s_cbranch_vccnz .LBB7_2528
; %bb.2523:
	v_mov_b32_e32 v3, 0
	v_cmp_gt_i16_sdwa s[6:7], s27, v3 src0_sel:BYTE_0 src1_sel:DWORD
	s_and_b64 vcc, exec, s[6:7]
	s_cbranch_vccz .LBB7_2525
; %bb.2524:
	global_load_sbyte v3, v[24:25], off
	s_mov_b64 s[6:7], 0
	s_waitcnt vmcnt(0)
	v_cvt_f64_i32_e32 v[16:17], v3
	s_branch .LBB7_2526
.LBB7_2525:
	s_mov_b64 s[6:7], -1
                                        ; implicit-def: $vgpr16_vgpr17
.LBB7_2526:
	s_andn2_b64 vcc, exec, s[6:7]
	s_cbranch_vccnz .LBB7_2528
; %bb.2527:
	global_load_ubyte v3, v[24:25], off
	s_waitcnt vmcnt(0)
	v_cvt_f64_u32_e32 v[16:17], v3
.LBB7_2528:
	s_mov_b64 s[16:17], -1
.LBB7_2529:
	s_andn2_b64 vcc, exec, s[16:17]
	s_cbranch_vccnz .LBB7_3113
; %bb.2530:
	v_mov_b32_e32 v3, s1
	v_add_co_u32_e32 v24, vcc, s0, v10
	v_addc_co_u32_e32 v25, vcc, 0, v3, vcc
	s_and_b64 vcc, exec, s[2:3]
	s_cbranch_vccnz .LBB7_2537
; %bb.2531:
	v_cmp_gt_i16_e64 s[0:1], s28, 25
	s_mov_b64 s[2:3], 0
	s_and_b64 vcc, exec, s[0:1]
	s_cbranch_vccz .LBB7_2538
; %bb.2532:
	v_cmp_gt_i16_e64 s[0:1], s28, 28
	s_and_b64 vcc, exec, s[0:1]
	s_cbranch_vccz .LBB7_2539
; %bb.2533:
	v_cmp_gt_i16_e64 s[0:1], s28, 43
	;; [unrolled: 4-line block ×3, first 2 shown]
	s_and_b64 vcc, exec, s[0:1]
	s_cbranch_vccz .LBB7_2542
; %bb.2535:
	v_cmp_eq_u16_e64 s[0:1], s28, 46
	s_mov_b64 s[10:11], 0
	s_and_b64 vcc, exec, s[0:1]
	s_cbranch_vccz .LBB7_2543
; %bb.2536:
	global_load_dword v3, v[24:25], off
	s_mov_b64 s[0:1], 0
	s_mov_b64 s[6:7], -1
	s_waitcnt vmcnt(0)
	v_lshlrev_b32_e32 v3, 16, v3
	v_cvt_f64_f32_e32 v[10:11], v3
	s_branch .LBB7_2544
.LBB7_2537:
	s_mov_b64 s[0:1], -1
	s_mov_b64 s[6:7], 0
                                        ; implicit-def: $vgpr10_vgpr11
	s_branch .LBB7_2610
.LBB7_2538:
	s_mov_b64 s[10:11], -1
	s_mov_b64 s[6:7], 0
	s_mov_b64 s[0:1], 0
                                        ; implicit-def: $vgpr10_vgpr11
	s_branch .LBB7_2573
.LBB7_2539:
	s_mov_b64 s[10:11], -1
	s_mov_b64 s[6:7], 0
	s_mov_b64 s[0:1], 0
                                        ; implicit-def: $vgpr10_vgpr11
	s_branch .LBB7_2554
.LBB7_2540:
	s_mov_b64 s[10:11], -1
	s_mov_b64 s[6:7], 0
	s_mov_b64 s[0:1], 0
                                        ; implicit-def: $vgpr10_vgpr11
	s_branch .LBB7_2549
.LBB7_2541:
	s_trap 2
	s_or_b64 s[4:5], s[4:5], exec
                                        ; implicit-def: $vgpr16_vgpr17
	s_cbranch_execz .LBB7_2478
	s_branch .LBB7_2479
.LBB7_2542:
	s_mov_b64 s[10:11], -1
	s_mov_b64 s[6:7], 0
	s_mov_b64 s[0:1], 0
                                        ; implicit-def: $vgpr10_vgpr11
	s_branch .LBB7_2544
.LBB7_2543:
	s_mov_b64 s[0:1], -1
                                        ; implicit-def: $vgpr10_vgpr11
	s_mov_b64 s[6:7], 0
.LBB7_2544:
	s_and_b64 vcc, exec, s[10:11]
	s_cbranch_vccz .LBB7_2548
; %bb.2545:
	v_cmp_eq_u16_e64 s[0:1], s28, 44
	s_and_b64 vcc, exec, s[0:1]
	s_cbranch_vccz .LBB7_2547
; %bb.2546:
	global_load_ubyte v3, v[24:25], off
	s_movk_i32 s6, 0xff
	v_bfrev_b32_e32 v5, 4
	v_mov_b32_e32 v7, 0x7ff80000
	v_bfrev_b32_e32 v9, 28
	s_mov_b64 s[0:1], 0
	s_waitcnt vmcnt(0)
	v_lshlrev_b32_e32 v10, 23, v3
	v_cvt_f64_f32_e32 v[10:11], v10
	v_cmp_ne_u32_e32 vcc, s6, v3
	v_cndmask_b32_e32 v5, v5, v10, vcc
	v_cndmask_b32_e32 v7, v7, v11, vcc
	v_cmp_ne_u32_e32 vcc, 0, v3
	v_cndmask_b32_e32 v11, v9, v7, vcc
	v_cndmask_b32_e32 v10, 0, v5, vcc
	s_mov_b64 s[6:7], -1
	s_branch .LBB7_2548
.LBB7_2547:
	s_mov_b64 s[0:1], -1
                                        ; implicit-def: $vgpr10_vgpr11
.LBB7_2548:
	s_mov_b64 s[10:11], 0
.LBB7_2549:
	s_and_b64 vcc, exec, s[10:11]
	s_cbranch_vccz .LBB7_2553
; %bb.2550:
	v_cmp_eq_u16_e64 s[0:1], s28, 29
	s_and_b64 vcc, exec, s[0:1]
	s_cbranch_vccz .LBB7_2552
; %bb.2551:
	global_load_dwordx2 v[10:11], v[24:25], off
	s_mov_b64 s[0:1], 0
	s_mov_b64 s[6:7], -1
	s_mov_b64 s[10:11], 0
	s_waitcnt vmcnt(0)
	v_cvt_f64_u32_e32 v[26:27], v11
	v_cvt_f64_u32_e32 v[10:11], v10
	v_ldexp_f64 v[26:27], v[26:27], 32
	v_add_f64 v[10:11], v[26:27], v[10:11]
	s_branch .LBB7_2554
.LBB7_2552:
	s_mov_b64 s[0:1], -1
                                        ; implicit-def: $vgpr10_vgpr11
.LBB7_2553:
	s_mov_b64 s[10:11], 0
.LBB7_2554:
	s_and_b64 vcc, exec, s[10:11]
	s_cbranch_vccz .LBB7_2572
; %bb.2555:
	v_cmp_lt_i16_e64 s[6:7], s28, 27
	s_and_b64 vcc, exec, s[6:7]
	s_cbranch_vccnz .LBB7_2558
; %bb.2556:
	v_cmp_gt_i16_e64 s[6:7], s28, 27
	s_and_b64 vcc, exec, s[6:7]
	s_cbranch_vccz .LBB7_2559
; %bb.2557:
	global_load_dword v3, v[24:25], off
	s_mov_b64 s[6:7], 0
	s_waitcnt vmcnt(0)
	v_cvt_f64_u32_e32 v[10:11], v3
	s_branch .LBB7_2560
.LBB7_2558:
	s_mov_b64 s[6:7], -1
                                        ; implicit-def: $vgpr10_vgpr11
	s_branch .LBB7_2563
.LBB7_2559:
	s_mov_b64 s[6:7], -1
                                        ; implicit-def: $vgpr10_vgpr11
.LBB7_2560:
	s_andn2_b64 vcc, exec, s[6:7]
	s_cbranch_vccnz .LBB7_2562
; %bb.2561:
	global_load_ushort v3, v[24:25], off
	s_waitcnt vmcnt(0)
	v_cvt_f64_u32_e32 v[10:11], v3
.LBB7_2562:
	s_mov_b64 s[6:7], 0
.LBB7_2563:
	s_andn2_b64 vcc, exec, s[6:7]
	s_cbranch_vccnz .LBB7_2571
; %bb.2564:
	global_load_ubyte v3, v[24:25], off
	s_movk_i32 s6, 0x7f
                                        ; implicit-def: $sgpr10_sgpr11
	s_waitcnt vmcnt(0)
	v_cmp_lt_i16_e32 vcc, s6, v3
	s_mov_b64 s[6:7], 0
	s_and_saveexec_b64 s[16:17], vcc
	s_xor_b64 s[16:17], exec, s[16:17]
	s_cbranch_execz .LBB7_2585
; %bb.2565:
	s_movk_i32 s6, 0x80
	v_cmp_eq_u16_e32 vcc, s6, v3
	s_mov_b64 s[18:19], -1
                                        ; implicit-def: $sgpr10_sgpr11
	s_and_saveexec_b64 s[6:7], vcc
; %bb.2566:
	s_mov_b32 s11, 0x7ff80000
	s_brev_b32 s10, 4
	s_xor_b64 s[18:19], exec, -1
; %bb.2567:
	s_or_b64 exec, exec, s[6:7]
	s_and_b64 s[6:7], s[18:19], exec
	s_or_saveexec_b64 s[16:17], s[16:17]
	v_pk_mov_b32 v[10:11], s[10:11], s[10:11] op_sel:[0,1]
	s_xor_b64 exec, exec, s[16:17]
	s_cbranch_execnz .LBB7_2586
.LBB7_2568:
	s_or_b64 exec, exec, s[16:17]
	s_and_saveexec_b64 s[10:11], s[6:7]
	s_cbranch_execz .LBB7_2570
.LBB7_2569:
	v_lshlrev_b32_e32 v5, 24, v3
	v_and_b32_e32 v3, 0xffff, v3
	v_and_b32_e32 v7, 7, v3
	v_ffbh_u32_e32 v10, v7
	v_min_u32_e32 v10, 32, v10
	v_subrev_u32_e32 v11, 28, v10
	v_bfe_u32 v9, v3, 3, 4
	v_lshlrev_b32_e32 v3, v11, v3
	v_sub_u32_e32 v10, 29, v10
	v_and_b32_e32 v3, 7, v3
	v_cmp_eq_u32_e32 vcc, 0, v9
	v_cndmask_b32_e32 v9, v9, v10, vcc
	v_cndmask_b32_e32 v3, v7, v3, vcc
	v_mov_b32_e32 v7, 0x3b800000
	v_lshlrev_b32_e32 v3, 20, v3
	v_and_b32_e32 v5, 0x80000000, v5
	v_lshl_add_u32 v7, v9, 23, v7
	v_or3_b32 v3, v5, v7, v3
	v_cvt_f64_f32_e32 v[10:11], v3
.LBB7_2570:
	s_or_b64 exec, exec, s[10:11]
.LBB7_2571:
	s_mov_b64 s[6:7], -1
.LBB7_2572:
	s_mov_b64 s[10:11], 0
.LBB7_2573:
	s_and_b64 vcc, exec, s[10:11]
	s_cbranch_vccz .LBB7_2606
; %bb.2574:
	v_cmp_gt_i16_e64 s[2:3], s28, 22
	s_and_b64 vcc, exec, s[2:3]
	s_cbranch_vccz .LBB7_2584
; %bb.2575:
	v_cmp_lt_i16_e64 s[2:3], s28, 24
	s_and_b64 vcc, exec, s[2:3]
	s_cbranch_vccnz .LBB7_2587
; %bb.2576:
	v_cmp_gt_i16_e64 s[2:3], s28, 24
	s_and_b64 vcc, exec, s[2:3]
	s_cbranch_vccz .LBB7_2588
; %bb.2577:
	global_load_ubyte v3, v[24:25], off
	s_movk_i32 s2, 0x7f
                                        ; implicit-def: $sgpr6_sgpr7
	s_waitcnt vmcnt(0)
	v_cmp_lt_i16_e32 vcc, s2, v3
	s_mov_b64 s[2:3], 0
	s_and_saveexec_b64 s[10:11], vcc
	s_xor_b64 s[10:11], exec, s[10:11]
	s_cbranch_execz .LBB7_2600
; %bb.2578:
	s_movk_i32 s2, 0x80
	v_cmp_eq_u16_e32 vcc, s2, v3
	s_mov_b64 s[16:17], -1
                                        ; implicit-def: $sgpr6_sgpr7
	s_and_saveexec_b64 s[2:3], vcc
; %bb.2579:
	s_mov_b32 s7, 0x7ff80000
	s_brev_b32 s6, 4
	s_xor_b64 s[16:17], exec, -1
; %bb.2580:
	s_or_b64 exec, exec, s[2:3]
	s_and_b64 s[2:3], s[16:17], exec
	s_or_saveexec_b64 s[10:11], s[10:11]
	v_pk_mov_b32 v[10:11], s[6:7], s[6:7] op_sel:[0,1]
	s_xor_b64 exec, exec, s[10:11]
	s_cbranch_execnz .LBB7_2601
.LBB7_2581:
	s_or_b64 exec, exec, s[10:11]
	s_and_saveexec_b64 s[6:7], s[2:3]
	s_cbranch_execz .LBB7_2583
.LBB7_2582:
	v_lshlrev_b32_e32 v5, 24, v3
	v_and_b32_e32 v3, 0xffff, v3
	v_and_b32_e32 v7, 3, v3
	v_ffbh_u32_e32 v10, v7
	v_min_u32_e32 v10, 32, v10
	v_subrev_u32_e32 v11, 29, v10
	v_bfe_u32 v9, v3, 2, 5
	v_lshlrev_b32_e32 v3, v11, v3
	v_sub_u32_e32 v10, 30, v10
	v_and_b32_e32 v3, 3, v3
	v_cmp_eq_u32_e32 vcc, 0, v9
	v_cndmask_b32_e32 v9, v9, v10, vcc
	v_cndmask_b32_e32 v3, v7, v3, vcc
	v_mov_b32_e32 v7, 0x37800000
	v_lshlrev_b32_e32 v3, 21, v3
	v_and_b32_e32 v5, 0x80000000, v5
	v_lshl_add_u32 v7, v9, 23, v7
	v_or3_b32 v3, v5, v7, v3
	v_cvt_f64_f32_e32 v[10:11], v3
.LBB7_2583:
	s_or_b64 exec, exec, s[6:7]
	s_mov_b64 s[2:3], 0
	s_branch .LBB7_2589
.LBB7_2584:
	s_mov_b64 s[2:3], -1
                                        ; implicit-def: $vgpr10_vgpr11
	s_branch .LBB7_2595
.LBB7_2585:
	s_or_saveexec_b64 s[16:17], s[16:17]
	v_pk_mov_b32 v[10:11], s[10:11], s[10:11] op_sel:[0,1]
	s_xor_b64 exec, exec, s[16:17]
	s_cbranch_execz .LBB7_2568
.LBB7_2586:
	v_cmp_ne_u16_e32 vcc, 0, v3
	s_andn2_b64 s[6:7], s[6:7], exec
	s_and_b64 s[10:11], vcc, exec
	v_pk_mov_b32 v[10:11], 0, 0
	s_or_b64 s[6:7], s[6:7], s[10:11]
	s_or_b64 exec, exec, s[16:17]
	s_and_saveexec_b64 s[10:11], s[6:7]
	s_cbranch_execnz .LBB7_2569
	s_branch .LBB7_2570
.LBB7_2587:
	s_mov_b64 s[2:3], -1
                                        ; implicit-def: $vgpr10_vgpr11
	s_branch .LBB7_2592
.LBB7_2588:
	s_mov_b64 s[2:3], -1
                                        ; implicit-def: $vgpr10_vgpr11
.LBB7_2589:
	s_and_b64 vcc, exec, s[2:3]
	s_cbranch_vccz .LBB7_2591
; %bb.2590:
	global_load_ubyte v3, v[24:25], off
	s_mov_b32 s2, 0x7f800000
	s_waitcnt vmcnt(0)
	v_lshlrev_b32_e32 v3, 24, v3
	v_and_b32_e32 v5, 0x7f000000, v3
	v_ffbh_u32_e32 v7, v5
	v_min_u32_e32 v7, 32, v7
	v_sub_u32_e64 v7, v7, 4 clamp
	v_lshlrev_b32_e32 v10, v7, v5
	v_lshlrev_b32_e32 v7, 23, v7
	v_lshrrev_b32_e32 v10, 4, v10
	v_add_u32_e32 v9, 0x1000000, v5
	v_sub_u32_e32 v7, v10, v7
	v_ashrrev_i32_e32 v9, 8, v9
	v_add_u32_e32 v7, 0x3c000000, v7
	v_and_or_b32 v7, v9, s2, v7
	v_cmp_ne_u32_e32 vcc, 0, v5
	v_cndmask_b32_e32 v5, 0, v7, vcc
	s_brev_b32 s2, 1
	v_and_or_b32 v3, v3, s2, v5
	v_cvt_f64_f32_e32 v[10:11], v3
.LBB7_2591:
	s_mov_b64 s[2:3], 0
.LBB7_2592:
	s_andn2_b64 vcc, exec, s[2:3]
	s_cbranch_vccnz .LBB7_2594
; %bb.2593:
	global_load_ubyte v3, v[24:25], off
	s_movk_i32 s2, 0x7f00
	s_brev_b32 s3, 16
	s_waitcnt vmcnt(0)
	v_lshlrev_b16_e32 v5, 8, v3
	v_lshlrev_b32_e32 v3, 25, v3
	v_lshrrev_b32_e32 v7, 4, v3
	v_and_or_b32 v9, v5, s2, 0.5
	v_or_b32_e32 v7, 0x70000000, v7
	v_add_f32_e32 v9, -0.5, v9
	v_mul_f32_e32 v7, 0x7800000, v7
	v_cmp_gt_u32_e32 vcc, s3, v3
	v_bfe_i32 v5, v5, 0, 16
	v_cndmask_b32_e32 v3, v7, v9, vcc
	s_brev_b32 s2, 1
	v_and_or_b32 v3, v5, s2, v3
	v_cvt_f64_f32_e32 v[10:11], v3
.LBB7_2594:
	s_mov_b64 s[2:3], 0
	s_mov_b64 s[6:7], -1
.LBB7_2595:
	s_andn2_b64 vcc, exec, s[2:3]
	s_mov_b64 s[2:3], 0
	s_cbranch_vccnz .LBB7_2606
; %bb.2596:
	v_cmp_gt_i16_e64 s[2:3], s28, 14
	s_and_b64 vcc, exec, s[2:3]
	s_cbranch_vccz .LBB7_2599
; %bb.2597:
	v_cmp_eq_u16_e64 s[0:1], s28, 15
	s_and_b64 vcc, exec, s[0:1]
	s_cbranch_vccz .LBB7_2602
; %bb.2598:
	global_load_ushort v3, v[24:25], off
	s_mov_b64 s[0:1], 0
	s_mov_b64 s[6:7], -1
	s_waitcnt vmcnt(0)
	v_lshlrev_b32_e32 v3, 16, v3
	v_cvt_f64_f32_e32 v[10:11], v3
	s_branch .LBB7_2603
.LBB7_2599:
	s_mov_b64 s[10:11], -1
                                        ; implicit-def: $vgpr10_vgpr11
	s_branch .LBB7_2604
.LBB7_2600:
	s_or_saveexec_b64 s[10:11], s[10:11]
	v_pk_mov_b32 v[10:11], s[6:7], s[6:7] op_sel:[0,1]
	s_xor_b64 exec, exec, s[10:11]
	s_cbranch_execz .LBB7_2581
.LBB7_2601:
	v_cmp_ne_u16_e32 vcc, 0, v3
	s_andn2_b64 s[2:3], s[2:3], exec
	s_and_b64 s[6:7], vcc, exec
	v_pk_mov_b32 v[10:11], 0, 0
	s_or_b64 s[2:3], s[2:3], s[6:7]
	s_or_b64 exec, exec, s[10:11]
	s_and_saveexec_b64 s[6:7], s[2:3]
	s_cbranch_execnz .LBB7_2582
	s_branch .LBB7_2583
.LBB7_2602:
	s_mov_b64 s[0:1], -1
                                        ; implicit-def: $vgpr10_vgpr11
.LBB7_2603:
	s_mov_b64 s[10:11], 0
.LBB7_2604:
	s_mov_b64 s[2:3], 0
	s_and_b64 vcc, exec, s[10:11]
	s_cbranch_vccz .LBB7_2606
; %bb.2605:
	v_cmp_ne_u16_e64 s[0:1], s28, 11
	s_mov_b64 s[2:3], -1
                                        ; implicit-def: $vgpr10_vgpr11
.LBB7_2606:
	s_and_b64 vcc, exec, s[0:1]
	s_cbranch_vccnz .LBB7_2670
; %bb.2607:
	s_andn2_b64 vcc, exec, s[2:3]
	s_cbranch_vccnz .LBB7_2609
.LBB7_2608:
	global_load_ubyte v3, v[24:25], off
	v_mov_b32_e32 v5, 0x3ff00000
	v_mov_b32_e32 v10, 0
	s_mov_b64 s[6:7], -1
	s_waitcnt vmcnt(0)
	v_cmp_ne_u16_e32 vcc, 0, v3
	v_cndmask_b32_e32 v11, 0, v5, vcc
.LBB7_2609:
	s_mov_b64 s[0:1], 0
.LBB7_2610:
	s_and_b64 vcc, exec, s[0:1]
	s_cbranch_vccz .LBB7_2659
; %bb.2611:
	v_cmp_lt_i16_e64 s[0:1], s28, 5
	s_and_b64 vcc, exec, s[0:1]
	s_cbranch_vccnz .LBB7_2616
; %bb.2612:
	v_cmp_lt_i16_e64 s[0:1], s28, 8
	s_and_b64 vcc, exec, s[0:1]
	s_cbranch_vccnz .LBB7_2617
	;; [unrolled: 4-line block ×3, first 2 shown]
; %bb.2614:
	v_cmp_gt_i16_e64 s[0:1], s28, 9
	s_and_b64 vcc, exec, s[0:1]
	s_cbranch_vccz .LBB7_2619
; %bb.2615:
	global_load_dwordx2 v[10:11], v[24:25], off
	s_mov_b64 s[0:1], 0
	s_branch .LBB7_2620
.LBB7_2616:
	s_mov_b64 s[0:1], -1
                                        ; implicit-def: $vgpr10_vgpr11
	s_branch .LBB7_2638
.LBB7_2617:
	s_mov_b64 s[0:1], -1
                                        ; implicit-def: $vgpr10_vgpr11
	s_branch .LBB7_2626
.LBB7_2618:
	s_mov_b64 s[0:1], -1
                                        ; implicit-def: $vgpr10_vgpr11
	s_branch .LBB7_2623
.LBB7_2619:
	s_mov_b64 s[0:1], -1
                                        ; implicit-def: $vgpr10_vgpr11
.LBB7_2620:
	s_andn2_b64 vcc, exec, s[0:1]
	s_cbranch_vccnz .LBB7_2622
; %bb.2621:
	global_load_dword v3, v[24:25], off
	s_waitcnt vmcnt(0)
	v_cvt_f64_f32_e32 v[10:11], v3
.LBB7_2622:
	s_mov_b64 s[0:1], 0
.LBB7_2623:
	s_andn2_b64 vcc, exec, s[0:1]
	s_cbranch_vccnz .LBB7_2625
; %bb.2624:
	global_load_dword v3, v[24:25], off
	s_waitcnt vmcnt(0)
	v_cvt_f32_f16_e32 v3, v3
	v_cvt_f64_f32_e32 v[10:11], v3
.LBB7_2625:
	s_mov_b64 s[0:1], 0
.LBB7_2626:
	s_andn2_b64 vcc, exec, s[0:1]
	s_cbranch_vccnz .LBB7_2637
; %bb.2627:
	v_cmp_lt_i16_e64 s[0:1], s28, 6
	s_and_b64 vcc, exec, s[0:1]
	s_cbranch_vccnz .LBB7_2630
; %bb.2628:
	v_cmp_gt_i16_e64 s[0:1], s28, 6
	s_and_b64 vcc, exec, s[0:1]
	s_cbranch_vccz .LBB7_2631
; %bb.2629:
	global_load_dwordx2 v[10:11], v[24:25], off
	s_mov_b64 s[0:1], 0
	s_branch .LBB7_2632
.LBB7_2630:
	s_mov_b64 s[0:1], -1
                                        ; implicit-def: $vgpr10_vgpr11
	s_branch .LBB7_2635
.LBB7_2631:
	s_mov_b64 s[0:1], -1
                                        ; implicit-def: $vgpr10_vgpr11
.LBB7_2632:
	s_andn2_b64 vcc, exec, s[0:1]
	s_cbranch_vccnz .LBB7_2634
; %bb.2633:
	global_load_dword v3, v[24:25], off
	s_waitcnt vmcnt(0)
	v_cvt_f64_f32_e32 v[10:11], v3
.LBB7_2634:
	s_mov_b64 s[0:1], 0
.LBB7_2635:
	s_andn2_b64 vcc, exec, s[0:1]
	s_cbranch_vccnz .LBB7_2637
; %bb.2636:
	global_load_ushort v3, v[24:25], off
	s_waitcnt vmcnt(0)
	v_cvt_f32_f16_e32 v3, v3
	v_cvt_f64_f32_e32 v[10:11], v3
.LBB7_2637:
	s_mov_b64 s[0:1], 0
.LBB7_2638:
	s_andn2_b64 vcc, exec, s[0:1]
	s_cbranch_vccnz .LBB7_2658
; %bb.2639:
	v_cmp_lt_i16_e64 s[0:1], s28, 2
	s_and_b64 vcc, exec, s[0:1]
	s_cbranch_vccnz .LBB7_2643
; %bb.2640:
	v_cmp_lt_i16_e64 s[0:1], s28, 3
	s_and_b64 vcc, exec, s[0:1]
	s_cbranch_vccnz .LBB7_2644
; %bb.2641:
	v_cmp_gt_i16_e64 s[0:1], s28, 3
	s_and_b64 vcc, exec, s[0:1]
	s_cbranch_vccz .LBB7_2645
; %bb.2642:
	global_load_dwordx2 v[10:11], v[24:25], off
	s_mov_b64 s[0:1], 0
	s_waitcnt vmcnt(0)
	v_cvt_f64_i32_e32 v[26:27], v11
	v_cvt_f64_u32_e32 v[10:11], v10
	v_ldexp_f64 v[26:27], v[26:27], 32
	v_add_f64 v[10:11], v[26:27], v[10:11]
	s_branch .LBB7_2646
.LBB7_2643:
	s_mov_b64 s[0:1], -1
                                        ; implicit-def: $vgpr10_vgpr11
	s_branch .LBB7_2652
.LBB7_2644:
	s_mov_b64 s[0:1], -1
                                        ; implicit-def: $vgpr10_vgpr11
	s_branch .LBB7_2649
.LBB7_2645:
	s_mov_b64 s[0:1], -1
                                        ; implicit-def: $vgpr10_vgpr11
.LBB7_2646:
	s_andn2_b64 vcc, exec, s[0:1]
	s_cbranch_vccnz .LBB7_2648
; %bb.2647:
	global_load_dword v3, v[24:25], off
	s_waitcnt vmcnt(0)
	v_cvt_f64_i32_e32 v[10:11], v3
.LBB7_2648:
	s_mov_b64 s[0:1], 0
.LBB7_2649:
	s_andn2_b64 vcc, exec, s[0:1]
	s_cbranch_vccnz .LBB7_2651
; %bb.2650:
	global_load_sshort v3, v[24:25], off
	s_waitcnt vmcnt(0)
	v_cvt_f64_i32_e32 v[10:11], v3
.LBB7_2651:
	s_mov_b64 s[0:1], 0
.LBB7_2652:
	s_andn2_b64 vcc, exec, s[0:1]
	s_cbranch_vccnz .LBB7_2658
; %bb.2653:
	v_cmp_gt_i16_e64 s[0:1], s28, 0
	s_and_b64 vcc, exec, s[0:1]
	s_cbranch_vccz .LBB7_2655
; %bb.2654:
	global_load_sbyte v3, v[24:25], off
	s_mov_b64 s[0:1], 0
	s_waitcnt vmcnt(0)
	v_cvt_f64_i32_e32 v[10:11], v3
	s_branch .LBB7_2656
.LBB7_2655:
	s_mov_b64 s[0:1], -1
                                        ; implicit-def: $vgpr10_vgpr11
.LBB7_2656:
	s_andn2_b64 vcc, exec, s[0:1]
	s_cbranch_vccnz .LBB7_2658
; %bb.2657:
	global_load_ubyte v3, v[24:25], off
	s_waitcnt vmcnt(0)
	v_cvt_f64_u32_e32 v[10:11], v3
.LBB7_2658:
	s_mov_b64 s[6:7], -1
.LBB7_2659:
	s_andn2_b64 vcc, exec, s[6:7]
	s_cbranch_vccnz .LBB7_3113
; %bb.2660:
	s_waitcnt vmcnt(0)
	v_div_scale_f64 v[24:25], s[0:1], v[12:13], v[12:13], v[0:1]
	v_rcp_f64_e32 v[26:27], v[24:25]
	s_mov_b32 s0, 0
	s_mov_b32 s1, 0x100000
	v_mov_b32_e32 v3, 0x100000
	v_fma_f64 v[28:29], -v[24:25], v[26:27], 1.0
	v_fmac_f64_e32 v[26:27], v[26:27], v[28:29]
	v_fma_f64 v[28:29], -v[24:25], v[26:27], 1.0
	v_fmac_f64_e32 v[26:27], v[26:27], v[28:29]
	v_div_scale_f64 v[28:29], vcc, v[0:1], v[12:13], v[0:1]
	v_mul_f64 v[30:31], v[28:29], v[26:27]
	v_fma_f64 v[24:25], -v[24:25], v[30:31], v[28:29]
	s_lshr_b32 s18, s26, 8
	s_nop 0
	v_div_fmas_f64 v[24:25], v[24:25], v[26:27], v[30:31]
	v_div_fixup_f64 v[0:1], v[24:25], v[12:13], v[0:1]
	v_cmp_ngt_f64_e32 vcc, s[0:1], v[0:1]
	s_mov_b32 s0, -2
	v_cndmask_b32_e32 v1, v3, v1, vcc
	v_cndmask_b32_e32 v0, 0, v0, vcc
	s_mov_b32 s1, 0x3fefffff
	v_mov_b32_e32 v3, 0x3fefffff
	v_cmp_nlt_f64_e32 vcc, s[0:1], v[0:1]
	v_cndmask_b32_e32 v1, v3, v1, vcc
	v_cndmask_b32_e32 v0, -2, v0, vcc
	v_mov_b32_e32 v3, s9
	v_add_co_u32_e32 v12, vcc, s8, v2
	v_mov_b32_e32 v2, 11
	v_addc_co_u32_e32 v13, vcc, 0, v3, vcc
	v_cmp_lt_i16_sdwa s[0:1], s18, v2 src0_sel:BYTE_0 src1_sel:DWORD
	s_and_b64 vcc, exec, s[0:1]
	s_cbranch_vccnz .LBB7_2667
; %bb.2661:
	v_mov_b32_e32 v2, 25
	v_cmp_gt_i16_sdwa s[0:1], s18, v2 src0_sel:BYTE_0 src1_sel:DWORD
	s_mov_b64 s[10:11], -1
	s_mov_b64 s[2:3], 0
	s_and_b64 vcc, exec, s[0:1]
	s_mov_b64 s[6:7], 0
	s_mov_b64 s[0:1], 0
	s_cbranch_vccz .LBB7_2699
; %bb.2662:
	v_mov_b32_e32 v2, 28
	v_cmp_gt_i16_sdwa s[0:1], s18, v2 src0_sel:BYTE_0 src1_sel:DWORD
	s_and_b64 vcc, exec, s[0:1]
	s_cbranch_vccz .LBB7_2668
; %bb.2663:
	v_mov_b32_e32 v2, 43
	v_cmp_gt_i16_sdwa s[0:1], s18, v2 src0_sel:BYTE_0 src1_sel:DWORD
	s_and_b64 vcc, exec, s[0:1]
	;; [unrolled: 5-line block ×3, first 2 shown]
	s_cbranch_vccz .LBB7_2671
; %bb.2665:
	v_mov_b32_e32 v2, 46
	v_cmp_eq_u16_sdwa s[6:7], s18, v2 src0_sel:BYTE_0 src1_sel:DWORD
	s_mov_b64 s[0:1], -1
	s_mov_b64 s[10:11], 0
	s_and_b64 vcc, exec, s[6:7]
	s_mov_b64 s[6:7], 0
	s_cbranch_vccz .LBB7_2672
; %bb.2666:
	v_cvt_f32_f64_e32 v2, v[0:1]
	v_bfe_u32 v3, v2, 16, 1
	s_movk_i32 s0, 0x7fff
	v_add3_u32 v3, v2, v3, s0
	v_lshrrev_b32_e32 v3, 16, v3
	v_mov_b32_e32 v5, 0x7fc0
	v_cmp_o_f32_e32 vcc, v2, v2
	v_cndmask_b32_e32 v2, v5, v3, vcc
	global_store_dword v[12:13], v2, off
	s_mov_b64 s[0:1], 0
	s_mov_b64 s[6:7], -1
	s_branch .LBB7_2672
.LBB7_2667:
	s_mov_b64 s[0:1], -1
	s_mov_b64 s[6:7], 0
	s_branch .LBB7_2743
.LBB7_2668:
	s_mov_b64 s[0:1], 0
	s_branch .LBB7_2682
.LBB7_2669:
	s_mov_b64 s[0:1], 0
	s_branch .LBB7_2678
.LBB7_2670:
	s_trap 2
	s_or_b64 s[4:5], s[4:5], exec
                                        ; implicit-def: $vgpr10_vgpr11
	s_cbranch_execz .LBB7_2608
	s_branch .LBB7_2609
.LBB7_2671:
	s_mov_b64 s[0:1], 0
.LBB7_2672:
	s_and_b64 vcc, exec, s[10:11]
	s_cbranch_vccz .LBB7_2677
; %bb.2673:
	v_mov_b32_e32 v2, 44
	v_cmp_eq_u16_sdwa s[10:11], s18, v2 src0_sel:BYTE_0 src1_sel:DWORD
	s_mov_b64 s[0:1], -1
	s_and_b64 vcc, exec, s[10:11]
	s_cbranch_vccz .LBB7_2677
; %bb.2674:
	v_cvt_f32_f64_e32 v2, v[0:1]
	v_bfe_u32 v3, v2, 23, 8
	s_movk_i32 s0, 0xff
	v_cmp_ne_u32_e32 vcc, s0, v3
	v_mov_b32_e32 v5, 0xff
	s_and_saveexec_b64 s[6:7], vcc
; %bb.2675:
	s_mov_b32 s0, 0x3fffff
	v_lshrrev_b32_e32 v5, 23, v2
	v_and_b32_e32 v7, 0x400000, v2
	v_and_or_b32 v2, v2, s0, v3
	v_cmp_ne_u32_e32 vcc, 0, v7
	v_cmp_ne_u32_e64 s[0:1], 0, v2
	s_and_b64 s[0:1], vcc, s[0:1]
	v_cndmask_b32_e64 v2, 0, 1, s[0:1]
	v_add_u32_e32 v5, v5, v2
; %bb.2676:
	s_or_b64 exec, exec, s[6:7]
	s_mov_b64 s[0:1], 0
	s_mov_b64 s[6:7], -1
	global_store_byte v[12:13], v5, off
.LBB7_2677:
	s_mov_b64 s[10:11], 0
.LBB7_2678:
	s_and_b64 vcc, exec, s[10:11]
	s_cbranch_vccz .LBB7_2681
; %bb.2679:
	v_mov_b32_e32 v2, 29
	v_cmp_eq_u16_sdwa s[10:11], s18, v2 src0_sel:BYTE_0 src1_sel:DWORD
	s_mov_b64 s[0:1], -1
	s_and_b64 vcc, exec, s[10:11]
	s_cbranch_vccz .LBB7_2681
; %bb.2680:
	v_trunc_f64_e32 v[2:3], v[0:1]
	s_movk_i32 s0, 0xffe0
	v_ldexp_f64 v[24:25], v[2:3], s0
	v_floor_f64_e32 v[24:25], v[24:25]
	v_fmac_f64_e32 v[2:3], 0xc1f00000, v[24:25]
	v_cvt_u32_f64_e32 v27, v[24:25]
	v_cvt_u32_f64_e32 v26, v[2:3]
	global_store_dwordx2 v[12:13], v[26:27], off
	s_mov_b64 s[0:1], 0
	s_mov_b64 s[6:7], -1
.LBB7_2681:
	s_mov_b64 s[10:11], 0
.LBB7_2682:
	s_and_b64 vcc, exec, s[10:11]
	s_cbranch_vccz .LBB7_2698
; %bb.2683:
	v_mov_b32_e32 v2, 27
	v_cmp_lt_i16_sdwa s[10:11], s18, v2 src0_sel:BYTE_0 src1_sel:DWORD
	s_mov_b64 s[6:7], -1
	s_and_b64 vcc, exec, s[10:11]
	s_cbranch_vccnz .LBB7_2689
; %bb.2684:
	v_cmp_gt_i16_sdwa s[10:11], s18, v2 src0_sel:BYTE_0 src1_sel:DWORD
	s_and_b64 vcc, exec, s[10:11]
	v_cvt_u32_f64_e32 v2, v[0:1]
	s_cbranch_vccz .LBB7_2686
; %bb.2685:
	s_mov_b64 s[6:7], 0
	global_store_dword v[12:13], v2, off
.LBB7_2686:
	s_andn2_b64 vcc, exec, s[6:7]
	s_cbranch_vccnz .LBB7_2688
; %bb.2687:
	global_store_short v[12:13], v2, off
.LBB7_2688:
	s_mov_b64 s[6:7], 0
.LBB7_2689:
	s_andn2_b64 vcc, exec, s[6:7]
	s_cbranch_vccnz .LBB7_2697
; %bb.2690:
	v_cvt_f32_f64_e32 v2, v[0:1]
	v_and_b32_e32 v3, 0x7fffffff, v2
	s_mov_b32 s6, 0x43800000
	v_cmp_gt_u32_e32 vcc, s6, v3
	v_mov_b32_e32 v5, 0x80
	s_and_saveexec_b64 s[6:7], vcc
	s_cbranch_execz .LBB7_2696
; %bb.2691:
	s_mov_b32 s10, 0x3bffffff
	v_cmp_lt_u32_e32 vcc, s10, v3
	s_mov_b64 s[10:11], 0
                                        ; implicit-def: $vgpr3
	s_and_saveexec_b64 s[16:17], vcc
	s_xor_b64 s[16:17], exec, s[16:17]
	s_cbranch_execz .LBB7_2792
; %bb.2692:
	v_bfe_u32 v3, v2, 20, 1
	s_mov_b32 s19, 0x487ffff
	v_add3_u32 v3, v2, v3, s19
	s_mov_b64 s[10:11], exec
	v_lshrrev_b32_e32 v3, 20, v3
	s_or_saveexec_b64 s[16:17], s[16:17]
                                        ; implicit-def: $sgpr19
	s_xor_b64 exec, exec, s[16:17]
	s_cbranch_execnz .LBB7_2793
.LBB7_2693:
	s_or_b64 exec, exec, s[16:17]
	v_mov_b32_e32 v5, s19
	s_and_saveexec_b64 s[16:17], s[10:11]
.LBB7_2694:
	v_lshrrev_b32_e32 v2, 24, v2
	s_movk_i32 s10, 0x80
	v_and_or_b32 v5, v2, s10, v3
.LBB7_2695:
	s_or_b64 exec, exec, s[16:17]
.LBB7_2696:
	s_or_b64 exec, exec, s[6:7]
	global_store_byte v[12:13], v5, off
.LBB7_2697:
	s_mov_b64 s[6:7], -1
.LBB7_2698:
	s_mov_b64 s[10:11], 0
.LBB7_2699:
	s_and_b64 vcc, exec, s[10:11]
	s_cbranch_vccz .LBB7_2739
; %bb.2700:
	v_mov_b32_e32 v2, 22
	v_cmp_gt_i16_sdwa s[10:11], s18, v2 src0_sel:BYTE_0 src1_sel:DWORD
	s_mov_b64 s[2:3], -1
	s_and_b64 vcc, exec, s[10:11]
	s_cbranch_vccz .LBB7_2732
; %bb.2701:
	v_mov_b32_e32 v2, 24
	v_cmp_lt_i16_sdwa s[6:7], s18, v2 src0_sel:BYTE_0 src1_sel:DWORD
	s_and_b64 vcc, exec, s[6:7]
	s_cbranch_vccnz .LBB7_2721
; %bb.2702:
	v_cmp_gt_i16_sdwa s[6:7], s18, v2 src0_sel:BYTE_0 src1_sel:DWORD
	s_and_b64 vcc, exec, s[6:7]
	s_cbranch_vccz .LBB7_2710
; %bb.2703:
	v_cvt_f32_f64_e32 v2, v[0:1]
	v_and_b32_e32 v3, 0x7fffffff, v2
	s_mov_b32 s2, 0x47800000
	v_cmp_gt_u32_e32 vcc, s2, v3
	v_mov_b32_e32 v5, 0x80
	s_and_saveexec_b64 s[2:3], vcc
	s_cbranch_execz .LBB7_2709
; %bb.2704:
	s_mov_b32 s6, 0x37ffffff
	v_cmp_lt_u32_e32 vcc, s6, v3
	s_mov_b64 s[6:7], 0
                                        ; implicit-def: $vgpr3
	s_and_saveexec_b64 s[10:11], vcc
	s_xor_b64 s[10:11], exec, s[10:11]
	s_cbranch_execz .LBB7_2796
; %bb.2705:
	v_bfe_u32 v3, v2, 21, 1
	s_mov_b32 s16, 0x88fffff
	v_add3_u32 v3, v2, v3, s16
	s_mov_b64 s[6:7], exec
	v_lshrrev_b32_e32 v3, 21, v3
	s_or_saveexec_b64 s[10:11], s[10:11]
                                        ; implicit-def: $sgpr16
	s_xor_b64 exec, exec, s[10:11]
	s_cbranch_execnz .LBB7_2797
.LBB7_2706:
	s_or_b64 exec, exec, s[10:11]
	v_mov_b32_e32 v5, s16
	s_and_saveexec_b64 s[10:11], s[6:7]
.LBB7_2707:
	v_lshrrev_b32_e32 v2, 24, v2
	s_movk_i32 s6, 0x80
	v_and_or_b32 v5, v2, s6, v3
.LBB7_2708:
	s_or_b64 exec, exec, s[10:11]
.LBB7_2709:
	s_or_b64 exec, exec, s[2:3]
	s_mov_b64 s[2:3], 0
	global_store_byte v[12:13], v5, off
.LBB7_2710:
	s_and_b64 vcc, exec, s[2:3]
	s_cbranch_vccz .LBB7_2720
; %bb.2711:
	v_cvt_f32_f64_e32 v2, v[0:1]
	v_and_b32_e32 v5, 0x7fffffff, v2
	s_mov_b32 s2, 0x43f00000
	v_cmp_gt_u32_e32 vcc, s2, v5
                                        ; implicit-def: $vgpr3
	s_and_saveexec_b64 s[2:3], vcc
	s_xor_b64 s[2:3], exec, s[2:3]
	s_cbranch_execz .LBB7_2717
; %bb.2712:
	s_mov_b32 s6, 0x3c7fffff
	v_cmp_lt_u32_e32 vcc, s6, v5
                                        ; implicit-def: $vgpr3
	s_and_saveexec_b64 s[6:7], vcc
	s_xor_b64 s[6:7], exec, s[6:7]
; %bb.2713:
	v_bfe_u32 v3, v2, 20, 1
	s_mov_b32 s10, 0x407ffff
	v_add3_u32 v3, v2, v3, s10
	v_lshrrev_b32_e32 v5, 20, v3
	v_and_b32_e32 v3, 0xff00000, v3
	s_mov_b32 s10, 0x7f00000
	v_mov_b32_e32 v7, 0x7e
	v_cmp_ne_u32_e32 vcc, s10, v3
	v_cndmask_b32_e32 v3, v7, v5, vcc
; %bb.2714:
	s_andn2_saveexec_b64 s[6:7], s[6:7]
; %bb.2715:
	s_mov_b32 s10, 0x46800000
	v_add_f32_e64 v3, |v2|, s10
; %bb.2716:
	s_or_b64 exec, exec, s[6:7]
                                        ; implicit-def: $vgpr5
.LBB7_2717:
	s_andn2_saveexec_b64 s[2:3], s[2:3]
; %bb.2718:
	s_mov_b32 s6, 0x7f800000
	v_mov_b32_e32 v3, 0x7e
	v_mov_b32_e32 v7, 0x7f
	v_cmp_lt_u32_e32 vcc, s6, v5
	v_cndmask_b32_e32 v3, v3, v7, vcc
; %bb.2719:
	s_or_b64 exec, exec, s[2:3]
	v_lshrrev_b32_e32 v2, 24, v2
	s_movk_i32 s2, 0x80
	v_and_or_b32 v2, v2, s2, v3
	global_store_byte v[12:13], v2, off
.LBB7_2720:
	s_mov_b64 s[2:3], 0
.LBB7_2721:
	s_andn2_b64 vcc, exec, s[2:3]
	s_cbranch_vccnz .LBB7_2731
; %bb.2722:
	v_cvt_f32_f64_e32 v2, v[0:1]
	v_and_b32_e32 v5, 0x7fffffff, v2
	s_mov_b32 s2, 0x47800000
	v_cmp_gt_u32_e32 vcc, s2, v5
                                        ; implicit-def: $vgpr3
	s_and_saveexec_b64 s[2:3], vcc
	s_xor_b64 s[2:3], exec, s[2:3]
	s_cbranch_execz .LBB7_2728
; %bb.2723:
	s_mov_b32 s6, 0x387fffff
	v_cmp_lt_u32_e32 vcc, s6, v5
                                        ; implicit-def: $vgpr3
	s_and_saveexec_b64 s[6:7], vcc
	s_xor_b64 s[6:7], exec, s[6:7]
; %bb.2724:
	v_bfe_u32 v3, v2, 21, 1
	s_mov_b32 s10, 0x80fffff
	v_add3_u32 v3, v2, v3, s10
	v_lshrrev_b32_e32 v3, 21, v3
; %bb.2725:
	s_andn2_saveexec_b64 s[6:7], s[6:7]
; %bb.2726:
	s_mov_b32 s10, 0x43000000
	v_add_f32_e64 v3, |v2|, s10
; %bb.2727:
	s_or_b64 exec, exec, s[6:7]
                                        ; implicit-def: $vgpr5
.LBB7_2728:
	s_andn2_saveexec_b64 s[2:3], s[2:3]
; %bb.2729:
	s_mov_b32 s6, 0x7f800000
	v_mov_b32_e32 v3, 0x7c
	v_mov_b32_e32 v7, 0x7f
	v_cmp_lt_u32_e32 vcc, s6, v5
	v_cndmask_b32_e32 v3, v3, v7, vcc
; %bb.2730:
	s_or_b64 exec, exec, s[2:3]
	v_lshrrev_b32_e32 v2, 24, v2
	s_movk_i32 s2, 0x80
	v_and_or_b32 v2, v2, s2, v3
	global_store_byte v[12:13], v2, off
.LBB7_2731:
	s_mov_b64 s[2:3], 0
	s_mov_b64 s[6:7], -1
.LBB7_2732:
	s_andn2_b64 vcc, exec, s[2:3]
	s_mov_b64 s[2:3], 0
	s_cbranch_vccnz .LBB7_2739
; %bb.2733:
	v_mov_b32_e32 v2, 14
	v_cmp_gt_i16_sdwa s[2:3], s18, v2 src0_sel:BYTE_0 src1_sel:DWORD
	s_mov_b64 s[10:11], -1
	s_and_b64 vcc, exec, s[2:3]
	s_cbranch_vccz .LBB7_2737
; %bb.2734:
	v_mov_b32_e32 v2, 15
	v_cmp_eq_u16_sdwa s[2:3], s18, v2 src0_sel:BYTE_0 src1_sel:DWORD
	s_mov_b64 s[0:1], -1
	s_and_b64 vcc, exec, s[2:3]
	s_cbranch_vccz .LBB7_2736
; %bb.2735:
	v_cvt_f32_f64_e32 v2, v[0:1]
	v_bfe_u32 v3, v2, 16, 1
	s_movk_i32 s0, 0x7fff
	v_add3_u32 v3, v2, v3, s0
	v_lshrrev_b32_e32 v3, 16, v3
	v_mov_b32_e32 v5, 0x7fc0
	v_cmp_o_f32_e32 vcc, v2, v2
	v_cndmask_b32_e32 v2, v5, v3, vcc
	global_store_short v[12:13], v2, off
	s_mov_b64 s[0:1], 0
	s_mov_b64 s[6:7], -1
.LBB7_2736:
	s_mov_b64 s[10:11], 0
.LBB7_2737:
	s_mov_b64 s[2:3], 0
	s_and_b64 vcc, exec, s[10:11]
	s_cbranch_vccz .LBB7_2739
; %bb.2738:
	v_mov_b32_e32 v2, 11
	v_cmp_ne_u16_sdwa s[0:1], s18, v2 src0_sel:BYTE_0 src1_sel:DWORD
	s_mov_b64 s[2:3], -1
.LBB7_2739:
	s_and_b64 vcc, exec, s[0:1]
	s_cbranch_vccnz .LBB7_2795
; %bb.2740:
	s_andn2_b64 vcc, exec, s[2:3]
	s_cbranch_vccnz .LBB7_2742
.LBB7_2741:
	v_mov_b32_e32 v2, 1
	s_mov_b64 s[6:7], -1
	global_store_byte v[12:13], v2, off
.LBB7_2742:
	s_mov_b64 s[0:1], 0
.LBB7_2743:
	s_and_b64 vcc, exec, s[0:1]
	s_cbranch_vccz .LBB7_2782
; %bb.2744:
	v_mov_b32_e32 v2, 5
	v_cmp_lt_i16_sdwa s[2:3], s18, v2 src0_sel:BYTE_0 src1_sel:DWORD
	s_mov_b64 s[0:1], -1
	s_and_b64 vcc, exec, s[2:3]
	s_cbranch_vccnz .LBB7_2765
; %bb.2745:
	v_mov_b32_e32 v2, 8
	v_cmp_lt_i16_sdwa s[2:3], s18, v2 src0_sel:BYTE_0 src1_sel:DWORD
	s_and_b64 vcc, exec, s[2:3]
	s_cbranch_vccnz .LBB7_2755
; %bb.2746:
	v_mov_b32_e32 v2, 9
	v_cmp_lt_i16_sdwa s[2:3], s18, v2 src0_sel:BYTE_0 src1_sel:DWORD
	s_and_b64 vcc, exec, s[2:3]
	s_cbranch_vccnz .LBB7_2752
; %bb.2747:
	v_cmp_gt_i16_sdwa s[2:3], s18, v2 src0_sel:BYTE_0 src1_sel:DWORD
	s_and_b64 vcc, exec, s[2:3]
	s_cbranch_vccz .LBB7_2749
; %bb.2748:
	v_mov_b32_e32 v2, 0
	v_mov_b32_e32 v3, v2
	global_store_dwordx4 v[12:13], v[0:3], off
	s_mov_b64 s[0:1], 0
.LBB7_2749:
	s_andn2_b64 vcc, exec, s[0:1]
	s_cbranch_vccnz .LBB7_2751
; %bb.2750:
	v_cvt_f32_f64_e32 v2, v[0:1]
	v_mov_b32_e32 v3, 0
	global_store_dwordx2 v[12:13], v[2:3], off
.LBB7_2751:
	s_mov_b64 s[0:1], 0
.LBB7_2752:
	s_andn2_b64 vcc, exec, s[0:1]
	s_cbranch_vccnz .LBB7_2754
; %bb.2753:
	v_cvt_f32_f64_e32 v2, v[0:1]
	v_cvt_f16_f32_e32 v2, v2
	global_store_dword v[12:13], v2, off
.LBB7_2754:
	s_mov_b64 s[0:1], 0
.LBB7_2755:
	s_andn2_b64 vcc, exec, s[0:1]
	s_cbranch_vccnz .LBB7_2764
; %bb.2756:
	v_mov_b32_e32 v2, 6
	v_cmp_lt_i16_sdwa s[2:3], s18, v2 src0_sel:BYTE_0 src1_sel:DWORD
	s_mov_b64 s[0:1], -1
	s_and_b64 vcc, exec, s[2:3]
	s_cbranch_vccnz .LBB7_2762
; %bb.2757:
	v_cmp_gt_i16_sdwa s[2:3], s18, v2 src0_sel:BYTE_0 src1_sel:DWORD
	s_and_b64 vcc, exec, s[2:3]
	s_cbranch_vccz .LBB7_2759
; %bb.2758:
	global_store_dwordx2 v[12:13], v[0:1], off
	s_mov_b64 s[0:1], 0
.LBB7_2759:
	s_andn2_b64 vcc, exec, s[0:1]
	s_cbranch_vccnz .LBB7_2761
; %bb.2760:
	v_cvt_f32_f64_e32 v2, v[0:1]
	global_store_dword v[12:13], v2, off
.LBB7_2761:
	s_mov_b64 s[0:1], 0
.LBB7_2762:
	s_andn2_b64 vcc, exec, s[0:1]
	s_cbranch_vccnz .LBB7_2764
; %bb.2763:
	v_cvt_f32_f64_e32 v2, v[0:1]
	v_cvt_f16_f32_e32 v2, v2
	global_store_short v[12:13], v2, off
.LBB7_2764:
	s_mov_b64 s[0:1], 0
.LBB7_2765:
	s_andn2_b64 vcc, exec, s[0:1]
	s_cbranch_vccnz .LBB7_2781
; %bb.2766:
	v_mov_b32_e32 v2, 2
	v_cmp_lt_i16_sdwa s[2:3], s18, v2 src0_sel:BYTE_0 src1_sel:DWORD
	s_mov_b64 s[0:1], -1
	s_and_b64 vcc, exec, s[2:3]
	s_cbranch_vccnz .LBB7_2776
; %bb.2767:
	v_mov_b32_e32 v2, 3
	v_cmp_lt_i16_sdwa s[2:3], s18, v2 src0_sel:BYTE_0 src1_sel:DWORD
	s_and_b64 vcc, exec, s[2:3]
	s_cbranch_vccnz .LBB7_2773
; %bb.2768:
	v_cmp_gt_i16_sdwa s[2:3], s18, v2 src0_sel:BYTE_0 src1_sel:DWORD
	s_and_b64 vcc, exec, s[2:3]
	s_cbranch_vccz .LBB7_2770
; %bb.2769:
	v_trunc_f64_e32 v[2:3], v[0:1]
	s_movk_i32 s0, 0xffe0
	v_ldexp_f64 v[24:25], v[2:3], s0
	v_floor_f64_e32 v[24:25], v[24:25]
	v_fmac_f64_e32 v[2:3], 0xc1f00000, v[24:25]
	v_cvt_i32_f64_e32 v27, v[24:25]
	v_cvt_u32_f64_e32 v26, v[2:3]
	global_store_dwordx2 v[12:13], v[26:27], off
	s_mov_b64 s[0:1], 0
.LBB7_2770:
	s_andn2_b64 vcc, exec, s[0:1]
	s_cbranch_vccnz .LBB7_2772
; %bb.2771:
	v_cvt_i32_f64_e32 v2, v[0:1]
	global_store_dword v[12:13], v2, off
.LBB7_2772:
	s_mov_b64 s[0:1], 0
.LBB7_2773:
	s_andn2_b64 vcc, exec, s[0:1]
	s_cbranch_vccnz .LBB7_2775
; %bb.2774:
	v_cvt_i32_f64_e32 v2, v[0:1]
	global_store_short v[12:13], v2, off
.LBB7_2775:
	s_mov_b64 s[0:1], 0
.LBB7_2776:
	s_andn2_b64 vcc, exec, s[0:1]
	s_cbranch_vccnz .LBB7_2781
; %bb.2777:
	v_mov_b32_e32 v2, 0
	v_cmp_gt_i16_sdwa s[2:3], s18, v2 src0_sel:BYTE_0 src1_sel:DWORD
	s_mov_b64 s[0:1], -1
	s_and_b64 vcc, exec, s[2:3]
	s_cbranch_vccz .LBB7_2779
; %bb.2778:
	v_cvt_i32_f64_e32 v2, v[0:1]
	global_store_byte v[12:13], v2, off
	s_mov_b64 s[0:1], 0
.LBB7_2779:
	s_andn2_b64 vcc, exec, s[0:1]
	s_cbranch_vccnz .LBB7_2781
; %bb.2780:
	v_trunc_f64_e32 v[0:1], v[0:1]
	s_movk_i32 s0, 0xffe0
	v_ldexp_f64 v[2:3], v[0:1], s0
	v_floor_f64_e32 v[2:3], v[2:3]
	v_fmac_f64_e32 v[0:1], 0xc1f00000, v[2:3]
	v_cvt_u32_f64_e32 v0, v[0:1]
	global_store_byte v[12:13], v0, off
.LBB7_2781:
	s_mov_b64 s[6:7], -1
.LBB7_2782:
	s_andn2_b64 vcc, exec, s[6:7]
	s_cbranch_vccnz .LBB7_3113
; %bb.2783:
	v_div_scale_f64 v[0:1], s[0:1], v[18:19], v[18:19], v[14:15]
	v_rcp_f64_e32 v[2:3], v[0:1]
	v_div_scale_f64 v[12:13], vcc, v[14:15], v[18:19], v[14:15]
	s_mov_b32 s0, 0
	v_fma_f64 v[24:25], -v[0:1], v[2:3], 1.0
	v_fmac_f64_e32 v[2:3], v[2:3], v[24:25]
	v_fma_f64 v[24:25], -v[0:1], v[2:3], 1.0
	v_fmac_f64_e32 v[2:3], v[2:3], v[24:25]
	v_mul_f64 v[24:25], v[12:13], v[2:3]
	v_fma_f64 v[0:1], -v[0:1], v[24:25], v[12:13]
	v_div_fmas_f64 v[0:1], v[0:1], v[2:3], v[24:25]
	v_div_fixup_f64 v[0:1], v[0:1], v[18:19], v[14:15]
	s_mov_b32 s1, 0x100000
	v_mov_b32_e32 v2, 0x100000
	v_cmp_ngt_f64_e32 vcc, s[0:1], v[0:1]
	s_mov_b32 s0, -2
	v_cndmask_b32_e32 v1, v2, v1, vcc
	v_cndmask_b32_e32 v0, 0, v0, vcc
	s_mov_b32 s1, 0x3fefffff
	v_mov_b32_e32 v2, 0x3fefffff
	v_cmp_nlt_f64_e32 vcc, s[0:1], v[0:1]
	v_cndmask_b32_e32 v1, v2, v1, vcc
	v_cndmask_b32_e32 v0, -2, v0, vcc
	v_mov_b32_e32 v2, s9
	v_add_co_u32_e32 v8, vcc, s8, v8
	v_addc_co_u32_e32 v9, vcc, 0, v2, vcc
	v_mov_b32_e32 v2, 11
	v_cmp_lt_i16_sdwa s[0:1], s18, v2 src0_sel:BYTE_0 src1_sel:DWORD
	s_and_b64 vcc, exec, s[0:1]
	s_cbranch_vccnz .LBB7_2790
; %bb.2784:
	v_mov_b32_e32 v2, 25
	v_cmp_gt_i16_sdwa s[0:1], s18, v2 src0_sel:BYTE_0 src1_sel:DWORD
	s_mov_b64 s[10:11], -1
	s_mov_b64 s[2:3], 0
	s_and_b64 vcc, exec, s[0:1]
	s_mov_b64 s[6:7], 0
	s_mov_b64 s[0:1], 0
	s_cbranch_vccz .LBB7_2826
; %bb.2785:
	v_mov_b32_e32 v2, 28
	v_cmp_gt_i16_sdwa s[0:1], s18, v2 src0_sel:BYTE_0 src1_sel:DWORD
	s_and_b64 vcc, exec, s[0:1]
	s_cbranch_vccz .LBB7_2791
; %bb.2786:
	v_mov_b32_e32 v2, 43
	v_cmp_gt_i16_sdwa s[0:1], s18, v2 src0_sel:BYTE_0 src1_sel:DWORD
	s_and_b64 vcc, exec, s[0:1]
	;; [unrolled: 5-line block ×3, first 2 shown]
	s_cbranch_vccz .LBB7_2798
; %bb.2788:
	v_mov_b32_e32 v2, 46
	v_cmp_eq_u16_sdwa s[6:7], s18, v2 src0_sel:BYTE_0 src1_sel:DWORD
	s_mov_b64 s[0:1], -1
	s_mov_b64 s[10:11], 0
	s_and_b64 vcc, exec, s[6:7]
	s_mov_b64 s[6:7], 0
	s_cbranch_vccz .LBB7_2799
; %bb.2789:
	v_cvt_f32_f64_e32 v2, v[0:1]
	v_bfe_u32 v3, v2, 16, 1
	s_movk_i32 s0, 0x7fff
	v_add3_u32 v3, v2, v3, s0
	v_lshrrev_b32_e32 v3, 16, v3
	v_mov_b32_e32 v5, 0x7fc0
	v_cmp_o_f32_e32 vcc, v2, v2
	v_cndmask_b32_e32 v2, v5, v3, vcc
	global_store_dword v[8:9], v2, off
	s_mov_b64 s[0:1], 0
	s_mov_b64 s[6:7], -1
	s_branch .LBB7_2799
.LBB7_2790:
	s_mov_b64 s[0:1], -1
	s_mov_b64 s[6:7], 0
	s_branch .LBB7_2870
.LBB7_2791:
	s_mov_b64 s[0:1], 0
	s_branch .LBB7_2809
.LBB7_2792:
	s_or_saveexec_b64 s[16:17], s[16:17]
                                        ; implicit-def: $sgpr19
	s_xor_b64 exec, exec, s[16:17]
	s_cbranch_execz .LBB7_2693
.LBB7_2793:
	s_mov_b32 s19, 0x46000000
	v_add_f32_e64 v3, |v2|, s19
	v_and_b32_e32 v3, 0xff, v3
	v_cmp_ne_u32_e32 vcc, 0, v3
	s_andn2_b64 s[10:11], s[10:11], exec
	s_and_b64 s[20:21], vcc, exec
	s_mov_b32 s19, 0
	s_or_b64 s[10:11], s[10:11], s[20:21]
	s_or_b64 exec, exec, s[16:17]
	v_mov_b32_e32 v5, s19
	s_and_saveexec_b64 s[16:17], s[10:11]
	s_cbranch_execnz .LBB7_2694
	s_branch .LBB7_2695
.LBB7_2794:
	s_mov_b64 s[0:1], 0
	s_branch .LBB7_2805
.LBB7_2795:
	s_trap 2
	s_or_b64 s[4:5], s[4:5], exec
	s_cbranch_execz .LBB7_2741
	s_branch .LBB7_2742
.LBB7_2796:
	s_or_saveexec_b64 s[10:11], s[10:11]
                                        ; implicit-def: $sgpr16
	s_xor_b64 exec, exec, s[10:11]
	s_cbranch_execz .LBB7_2706
.LBB7_2797:
	s_mov_b32 s16, 0x42800000
	v_add_f32_e64 v3, |v2|, s16
	v_and_b32_e32 v3, 0xff, v3
	v_cmp_ne_u32_e32 vcc, 0, v3
	s_andn2_b64 s[6:7], s[6:7], exec
	s_and_b64 s[20:21], vcc, exec
	s_mov_b32 s16, 0
	s_or_b64 s[6:7], s[6:7], s[20:21]
	s_or_b64 exec, exec, s[10:11]
	v_mov_b32_e32 v5, s16
	s_and_saveexec_b64 s[10:11], s[6:7]
	s_cbranch_execnz .LBB7_2707
	s_branch .LBB7_2708
.LBB7_2798:
	s_mov_b64 s[0:1], 0
.LBB7_2799:
	s_and_b64 vcc, exec, s[10:11]
	s_cbranch_vccz .LBB7_2804
; %bb.2800:
	v_mov_b32_e32 v2, 44
	v_cmp_eq_u16_sdwa s[10:11], s18, v2 src0_sel:BYTE_0 src1_sel:DWORD
	s_mov_b64 s[0:1], -1
	s_and_b64 vcc, exec, s[10:11]
	s_cbranch_vccz .LBB7_2804
; %bb.2801:
	v_cvt_f32_f64_e32 v2, v[0:1]
	v_bfe_u32 v3, v2, 23, 8
	s_movk_i32 s0, 0xff
	v_cmp_ne_u32_e32 vcc, s0, v3
	v_mov_b32_e32 v5, 0xff
	s_and_saveexec_b64 s[6:7], vcc
; %bb.2802:
	s_mov_b32 s0, 0x3fffff
	v_lshrrev_b32_e32 v5, 23, v2
	v_and_b32_e32 v7, 0x400000, v2
	v_and_or_b32 v2, v2, s0, v3
	v_cmp_ne_u32_e32 vcc, 0, v7
	v_cmp_ne_u32_e64 s[0:1], 0, v2
	s_and_b64 s[0:1], vcc, s[0:1]
	v_cndmask_b32_e64 v2, 0, 1, s[0:1]
	v_add_u32_e32 v5, v5, v2
; %bb.2803:
	s_or_b64 exec, exec, s[6:7]
	s_mov_b64 s[0:1], 0
	s_mov_b64 s[6:7], -1
	global_store_byte v[8:9], v5, off
.LBB7_2804:
	s_mov_b64 s[10:11], 0
.LBB7_2805:
	s_and_b64 vcc, exec, s[10:11]
	s_cbranch_vccz .LBB7_2808
; %bb.2806:
	v_mov_b32_e32 v2, 29
	v_cmp_eq_u16_sdwa s[10:11], s18, v2 src0_sel:BYTE_0 src1_sel:DWORD
	s_mov_b64 s[0:1], -1
	s_and_b64 vcc, exec, s[10:11]
	s_cbranch_vccz .LBB7_2808
; %bb.2807:
	v_trunc_f64_e32 v[2:3], v[0:1]
	s_movk_i32 s0, 0xffe0
	v_ldexp_f64 v[12:13], v[2:3], s0
	v_floor_f64_e32 v[12:13], v[12:13]
	v_fmac_f64_e32 v[2:3], 0xc1f00000, v[12:13]
	v_cvt_u32_f64_e32 v15, v[12:13]
	v_cvt_u32_f64_e32 v14, v[2:3]
	global_store_dwordx2 v[8:9], v[14:15], off
	s_mov_b64 s[0:1], 0
	s_mov_b64 s[6:7], -1
.LBB7_2808:
	s_mov_b64 s[10:11], 0
.LBB7_2809:
	s_and_b64 vcc, exec, s[10:11]
	s_cbranch_vccz .LBB7_2825
; %bb.2810:
	v_mov_b32_e32 v2, 27
	v_cmp_lt_i16_sdwa s[10:11], s18, v2 src0_sel:BYTE_0 src1_sel:DWORD
	s_mov_b64 s[6:7], -1
	s_and_b64 vcc, exec, s[10:11]
	s_cbranch_vccnz .LBB7_2816
; %bb.2811:
	v_cmp_gt_i16_sdwa s[10:11], s18, v2 src0_sel:BYTE_0 src1_sel:DWORD
	s_and_b64 vcc, exec, s[10:11]
	s_cbranch_vccz .LBB7_2813
; %bb.2812:
	v_cvt_u32_f64_e32 v2, v[0:1]
	s_mov_b64 s[6:7], 0
	global_store_dword v[8:9], v2, off
.LBB7_2813:
	s_andn2_b64 vcc, exec, s[6:7]
	s_cbranch_vccnz .LBB7_2815
; %bb.2814:
	v_cvt_u32_f64_e32 v2, v[0:1]
	global_store_short v[8:9], v2, off
.LBB7_2815:
	s_mov_b64 s[6:7], 0
.LBB7_2816:
	s_andn2_b64 vcc, exec, s[6:7]
	s_cbranch_vccnz .LBB7_2824
; %bb.2817:
	v_cvt_f32_f64_e32 v2, v[0:1]
	v_and_b32_e32 v3, 0x7fffffff, v2
	s_mov_b32 s6, 0x43800000
	v_cmp_gt_u32_e32 vcc, s6, v3
	v_mov_b32_e32 v5, 0x80
	s_and_saveexec_b64 s[6:7], vcc
	s_cbranch_execz .LBB7_2823
; %bb.2818:
	s_mov_b32 s10, 0x3bffffff
	v_cmp_lt_u32_e32 vcc, s10, v3
	s_mov_b64 s[10:11], 0
                                        ; implicit-def: $vgpr3
	s_and_saveexec_b64 s[16:17], vcc
	s_xor_b64 s[16:17], exec, s[16:17]
	s_cbranch_execz .LBB7_2919
; %bb.2819:
	v_bfe_u32 v3, v2, 20, 1
	s_mov_b32 s19, 0x487ffff
	v_add3_u32 v3, v2, v3, s19
	s_mov_b64 s[10:11], exec
	v_lshrrev_b32_e32 v3, 20, v3
	s_or_saveexec_b64 s[16:17], s[16:17]
                                        ; implicit-def: $sgpr19
	s_xor_b64 exec, exec, s[16:17]
	s_cbranch_execnz .LBB7_2920
.LBB7_2820:
	s_or_b64 exec, exec, s[16:17]
	v_mov_b32_e32 v5, s19
	s_and_saveexec_b64 s[16:17], s[10:11]
.LBB7_2821:
	v_lshrrev_b32_e32 v2, 24, v2
	s_movk_i32 s10, 0x80
	v_and_or_b32 v5, v2, s10, v3
.LBB7_2822:
	s_or_b64 exec, exec, s[16:17]
.LBB7_2823:
	s_or_b64 exec, exec, s[6:7]
	global_store_byte v[8:9], v5, off
.LBB7_2824:
	s_mov_b64 s[6:7], -1
.LBB7_2825:
	s_mov_b64 s[10:11], 0
.LBB7_2826:
	s_and_b64 vcc, exec, s[10:11]
	s_cbranch_vccz .LBB7_2866
; %bb.2827:
	v_mov_b32_e32 v2, 22
	v_cmp_gt_i16_sdwa s[10:11], s18, v2 src0_sel:BYTE_0 src1_sel:DWORD
	s_mov_b64 s[2:3], -1
	s_and_b64 vcc, exec, s[10:11]
	s_cbranch_vccz .LBB7_2859
; %bb.2828:
	v_mov_b32_e32 v2, 24
	v_cmp_lt_i16_sdwa s[6:7], s18, v2 src0_sel:BYTE_0 src1_sel:DWORD
	s_and_b64 vcc, exec, s[6:7]
	s_cbranch_vccnz .LBB7_2848
; %bb.2829:
	v_cmp_gt_i16_sdwa s[6:7], s18, v2 src0_sel:BYTE_0 src1_sel:DWORD
	s_and_b64 vcc, exec, s[6:7]
	s_cbranch_vccz .LBB7_2837
; %bb.2830:
	v_cvt_f32_f64_e32 v2, v[0:1]
	v_and_b32_e32 v3, 0x7fffffff, v2
	s_mov_b32 s2, 0x47800000
	v_cmp_gt_u32_e32 vcc, s2, v3
	v_mov_b32_e32 v5, 0x80
	s_and_saveexec_b64 s[2:3], vcc
	s_cbranch_execz .LBB7_2836
; %bb.2831:
	s_mov_b32 s6, 0x37ffffff
	v_cmp_lt_u32_e32 vcc, s6, v3
	s_mov_b64 s[6:7], 0
                                        ; implicit-def: $vgpr3
	s_and_saveexec_b64 s[10:11], vcc
	s_xor_b64 s[10:11], exec, s[10:11]
	s_cbranch_execz .LBB7_2923
; %bb.2832:
	v_bfe_u32 v3, v2, 21, 1
	s_mov_b32 s16, 0x88fffff
	v_add3_u32 v3, v2, v3, s16
	s_mov_b64 s[6:7], exec
	v_lshrrev_b32_e32 v3, 21, v3
	s_or_saveexec_b64 s[10:11], s[10:11]
                                        ; implicit-def: $sgpr16
	s_xor_b64 exec, exec, s[10:11]
	s_cbranch_execnz .LBB7_2924
.LBB7_2833:
	s_or_b64 exec, exec, s[10:11]
	v_mov_b32_e32 v5, s16
	s_and_saveexec_b64 s[10:11], s[6:7]
.LBB7_2834:
	v_lshrrev_b32_e32 v2, 24, v2
	s_movk_i32 s6, 0x80
	v_and_or_b32 v5, v2, s6, v3
.LBB7_2835:
	s_or_b64 exec, exec, s[10:11]
.LBB7_2836:
	s_or_b64 exec, exec, s[2:3]
	s_mov_b64 s[2:3], 0
	global_store_byte v[8:9], v5, off
.LBB7_2837:
	s_and_b64 vcc, exec, s[2:3]
	s_cbranch_vccz .LBB7_2847
; %bb.2838:
	v_cvt_f32_f64_e32 v2, v[0:1]
	v_and_b32_e32 v5, 0x7fffffff, v2
	s_mov_b32 s2, 0x43f00000
	v_cmp_gt_u32_e32 vcc, s2, v5
                                        ; implicit-def: $vgpr3
	s_and_saveexec_b64 s[2:3], vcc
	s_xor_b64 s[2:3], exec, s[2:3]
	s_cbranch_execz .LBB7_2844
; %bb.2839:
	s_mov_b32 s6, 0x3c7fffff
	v_cmp_lt_u32_e32 vcc, s6, v5
                                        ; implicit-def: $vgpr3
	s_and_saveexec_b64 s[6:7], vcc
	s_xor_b64 s[6:7], exec, s[6:7]
; %bb.2840:
	v_bfe_u32 v3, v2, 20, 1
	s_mov_b32 s10, 0x407ffff
	v_add3_u32 v3, v2, v3, s10
	v_lshrrev_b32_e32 v5, 20, v3
	v_and_b32_e32 v3, 0xff00000, v3
	s_mov_b32 s10, 0x7f00000
	v_mov_b32_e32 v7, 0x7e
	v_cmp_ne_u32_e32 vcc, s10, v3
	v_cndmask_b32_e32 v3, v7, v5, vcc
; %bb.2841:
	s_andn2_saveexec_b64 s[6:7], s[6:7]
; %bb.2842:
	s_mov_b32 s10, 0x46800000
	v_add_f32_e64 v3, |v2|, s10
; %bb.2843:
	s_or_b64 exec, exec, s[6:7]
                                        ; implicit-def: $vgpr5
.LBB7_2844:
	s_andn2_saveexec_b64 s[2:3], s[2:3]
; %bb.2845:
	s_mov_b32 s6, 0x7f800000
	v_mov_b32_e32 v3, 0x7e
	v_mov_b32_e32 v7, 0x7f
	v_cmp_lt_u32_e32 vcc, s6, v5
	v_cndmask_b32_e32 v3, v3, v7, vcc
; %bb.2846:
	s_or_b64 exec, exec, s[2:3]
	v_lshrrev_b32_e32 v2, 24, v2
	s_movk_i32 s2, 0x80
	v_and_or_b32 v2, v2, s2, v3
	global_store_byte v[8:9], v2, off
.LBB7_2847:
	s_mov_b64 s[2:3], 0
.LBB7_2848:
	s_andn2_b64 vcc, exec, s[2:3]
	s_cbranch_vccnz .LBB7_2858
; %bb.2849:
	v_cvt_f32_f64_e32 v2, v[0:1]
	v_and_b32_e32 v5, 0x7fffffff, v2
	s_mov_b32 s2, 0x47800000
	v_cmp_gt_u32_e32 vcc, s2, v5
                                        ; implicit-def: $vgpr3
	s_and_saveexec_b64 s[2:3], vcc
	s_xor_b64 s[2:3], exec, s[2:3]
	s_cbranch_execz .LBB7_2855
; %bb.2850:
	s_mov_b32 s6, 0x387fffff
	v_cmp_lt_u32_e32 vcc, s6, v5
                                        ; implicit-def: $vgpr3
	s_and_saveexec_b64 s[6:7], vcc
	s_xor_b64 s[6:7], exec, s[6:7]
; %bb.2851:
	v_bfe_u32 v3, v2, 21, 1
	s_mov_b32 s10, 0x80fffff
	v_add3_u32 v3, v2, v3, s10
	v_lshrrev_b32_e32 v3, 21, v3
; %bb.2852:
	s_andn2_saveexec_b64 s[6:7], s[6:7]
; %bb.2853:
	s_mov_b32 s10, 0x43000000
	v_add_f32_e64 v3, |v2|, s10
; %bb.2854:
	s_or_b64 exec, exec, s[6:7]
                                        ; implicit-def: $vgpr5
.LBB7_2855:
	s_andn2_saveexec_b64 s[2:3], s[2:3]
; %bb.2856:
	s_mov_b32 s6, 0x7f800000
	v_mov_b32_e32 v3, 0x7c
	v_mov_b32_e32 v7, 0x7f
	v_cmp_lt_u32_e32 vcc, s6, v5
	v_cndmask_b32_e32 v3, v3, v7, vcc
; %bb.2857:
	s_or_b64 exec, exec, s[2:3]
	v_lshrrev_b32_e32 v2, 24, v2
	s_movk_i32 s2, 0x80
	v_and_or_b32 v2, v2, s2, v3
	global_store_byte v[8:9], v2, off
.LBB7_2858:
	s_mov_b64 s[2:3], 0
	s_mov_b64 s[6:7], -1
.LBB7_2859:
	s_andn2_b64 vcc, exec, s[2:3]
	s_mov_b64 s[2:3], 0
	s_cbranch_vccnz .LBB7_2866
; %bb.2860:
	v_mov_b32_e32 v2, 14
	v_cmp_gt_i16_sdwa s[2:3], s18, v2 src0_sel:BYTE_0 src1_sel:DWORD
	s_mov_b64 s[10:11], -1
	s_and_b64 vcc, exec, s[2:3]
	s_cbranch_vccz .LBB7_2864
; %bb.2861:
	v_mov_b32_e32 v2, 15
	v_cmp_eq_u16_sdwa s[2:3], s18, v2 src0_sel:BYTE_0 src1_sel:DWORD
	s_mov_b64 s[0:1], -1
	s_and_b64 vcc, exec, s[2:3]
	s_cbranch_vccz .LBB7_2863
; %bb.2862:
	v_cvt_f32_f64_e32 v2, v[0:1]
	v_bfe_u32 v3, v2, 16, 1
	s_movk_i32 s0, 0x7fff
	v_add3_u32 v3, v2, v3, s0
	v_lshrrev_b32_e32 v3, 16, v3
	v_mov_b32_e32 v5, 0x7fc0
	v_cmp_o_f32_e32 vcc, v2, v2
	v_cndmask_b32_e32 v2, v5, v3, vcc
	global_store_short v[8:9], v2, off
	s_mov_b64 s[0:1], 0
	s_mov_b64 s[6:7], -1
.LBB7_2863:
	s_mov_b64 s[10:11], 0
.LBB7_2864:
	s_mov_b64 s[2:3], 0
	s_and_b64 vcc, exec, s[10:11]
	s_cbranch_vccz .LBB7_2866
; %bb.2865:
	v_mov_b32_e32 v2, 11
	v_cmp_ne_u16_sdwa s[0:1], s18, v2 src0_sel:BYTE_0 src1_sel:DWORD
	s_mov_b64 s[2:3], -1
.LBB7_2866:
	s_and_b64 vcc, exec, s[0:1]
	s_cbranch_vccnz .LBB7_2922
; %bb.2867:
	s_andn2_b64 vcc, exec, s[2:3]
	s_cbranch_vccnz .LBB7_2869
.LBB7_2868:
	v_mov_b32_e32 v2, 1
	s_mov_b64 s[6:7], -1
	global_store_byte v[8:9], v2, off
.LBB7_2869:
	s_mov_b64 s[0:1], 0
.LBB7_2870:
	s_and_b64 vcc, exec, s[0:1]
	s_cbranch_vccz .LBB7_2909
; %bb.2871:
	v_mov_b32_e32 v2, 5
	v_cmp_lt_i16_sdwa s[2:3], s18, v2 src0_sel:BYTE_0 src1_sel:DWORD
	s_mov_b64 s[0:1], -1
	s_and_b64 vcc, exec, s[2:3]
	s_cbranch_vccnz .LBB7_2892
; %bb.2872:
	v_mov_b32_e32 v2, 8
	v_cmp_lt_i16_sdwa s[2:3], s18, v2 src0_sel:BYTE_0 src1_sel:DWORD
	s_and_b64 vcc, exec, s[2:3]
	s_cbranch_vccnz .LBB7_2882
; %bb.2873:
	v_mov_b32_e32 v2, 9
	v_cmp_lt_i16_sdwa s[2:3], s18, v2 src0_sel:BYTE_0 src1_sel:DWORD
	s_and_b64 vcc, exec, s[2:3]
	s_cbranch_vccnz .LBB7_2879
; %bb.2874:
	v_cmp_gt_i16_sdwa s[2:3], s18, v2 src0_sel:BYTE_0 src1_sel:DWORD
	s_and_b64 vcc, exec, s[2:3]
	s_cbranch_vccz .LBB7_2876
; %bb.2875:
	v_mov_b32_e32 v2, 0
	v_mov_b32_e32 v3, v2
	global_store_dwordx4 v[8:9], v[0:3], off
	s_mov_b64 s[0:1], 0
.LBB7_2876:
	s_andn2_b64 vcc, exec, s[0:1]
	s_cbranch_vccnz .LBB7_2878
; %bb.2877:
	v_cvt_f32_f64_e32 v2, v[0:1]
	v_mov_b32_e32 v3, 0
	global_store_dwordx2 v[8:9], v[2:3], off
.LBB7_2878:
	s_mov_b64 s[0:1], 0
.LBB7_2879:
	s_andn2_b64 vcc, exec, s[0:1]
	s_cbranch_vccnz .LBB7_2881
; %bb.2880:
	v_cvt_f32_f64_e32 v2, v[0:1]
	v_cvt_f16_f32_e32 v2, v2
	global_store_dword v[8:9], v2, off
.LBB7_2881:
	s_mov_b64 s[0:1], 0
.LBB7_2882:
	s_andn2_b64 vcc, exec, s[0:1]
	s_cbranch_vccnz .LBB7_2891
; %bb.2883:
	v_mov_b32_e32 v2, 6
	v_cmp_lt_i16_sdwa s[2:3], s18, v2 src0_sel:BYTE_0 src1_sel:DWORD
	s_mov_b64 s[0:1], -1
	s_and_b64 vcc, exec, s[2:3]
	s_cbranch_vccnz .LBB7_2889
; %bb.2884:
	v_cmp_gt_i16_sdwa s[2:3], s18, v2 src0_sel:BYTE_0 src1_sel:DWORD
	s_and_b64 vcc, exec, s[2:3]
	s_cbranch_vccz .LBB7_2886
; %bb.2885:
	global_store_dwordx2 v[8:9], v[0:1], off
	s_mov_b64 s[0:1], 0
.LBB7_2886:
	s_andn2_b64 vcc, exec, s[0:1]
	s_cbranch_vccnz .LBB7_2888
; %bb.2887:
	v_cvt_f32_f64_e32 v2, v[0:1]
	global_store_dword v[8:9], v2, off
.LBB7_2888:
	s_mov_b64 s[0:1], 0
.LBB7_2889:
	s_andn2_b64 vcc, exec, s[0:1]
	s_cbranch_vccnz .LBB7_2891
; %bb.2890:
	v_cvt_f32_f64_e32 v2, v[0:1]
	v_cvt_f16_f32_e32 v2, v2
	global_store_short v[8:9], v2, off
.LBB7_2891:
	s_mov_b64 s[0:1], 0
.LBB7_2892:
	s_andn2_b64 vcc, exec, s[0:1]
	s_cbranch_vccnz .LBB7_2908
; %bb.2893:
	v_mov_b32_e32 v2, 2
	v_cmp_lt_i16_sdwa s[2:3], s18, v2 src0_sel:BYTE_0 src1_sel:DWORD
	s_mov_b64 s[0:1], -1
	s_and_b64 vcc, exec, s[2:3]
	s_cbranch_vccnz .LBB7_2903
; %bb.2894:
	v_mov_b32_e32 v2, 3
	v_cmp_lt_i16_sdwa s[2:3], s18, v2 src0_sel:BYTE_0 src1_sel:DWORD
	s_and_b64 vcc, exec, s[2:3]
	s_cbranch_vccnz .LBB7_2900
; %bb.2895:
	v_cmp_gt_i16_sdwa s[2:3], s18, v2 src0_sel:BYTE_0 src1_sel:DWORD
	s_and_b64 vcc, exec, s[2:3]
	s_cbranch_vccz .LBB7_2897
; %bb.2896:
	v_trunc_f64_e32 v[2:3], v[0:1]
	s_movk_i32 s0, 0xffe0
	v_ldexp_f64 v[12:13], v[2:3], s0
	v_floor_f64_e32 v[12:13], v[12:13]
	v_fmac_f64_e32 v[2:3], 0xc1f00000, v[12:13]
	v_cvt_i32_f64_e32 v15, v[12:13]
	v_cvt_u32_f64_e32 v14, v[2:3]
	global_store_dwordx2 v[8:9], v[14:15], off
	s_mov_b64 s[0:1], 0
.LBB7_2897:
	s_andn2_b64 vcc, exec, s[0:1]
	s_cbranch_vccnz .LBB7_2899
; %bb.2898:
	v_cvt_i32_f64_e32 v2, v[0:1]
	global_store_dword v[8:9], v2, off
.LBB7_2899:
	s_mov_b64 s[0:1], 0
.LBB7_2900:
	s_andn2_b64 vcc, exec, s[0:1]
	s_cbranch_vccnz .LBB7_2902
; %bb.2901:
	v_cvt_i32_f64_e32 v2, v[0:1]
	global_store_short v[8:9], v2, off
.LBB7_2902:
	s_mov_b64 s[0:1], 0
.LBB7_2903:
	s_andn2_b64 vcc, exec, s[0:1]
	s_cbranch_vccnz .LBB7_2908
; %bb.2904:
	v_mov_b32_e32 v2, 0
	v_cmp_gt_i16_sdwa s[2:3], s18, v2 src0_sel:BYTE_0 src1_sel:DWORD
	s_mov_b64 s[0:1], -1
	s_and_b64 vcc, exec, s[2:3]
	s_cbranch_vccz .LBB7_2906
; %bb.2905:
	v_cvt_i32_f64_e32 v2, v[0:1]
	global_store_byte v[8:9], v2, off
	s_mov_b64 s[0:1], 0
.LBB7_2906:
	s_andn2_b64 vcc, exec, s[0:1]
	s_cbranch_vccnz .LBB7_2908
; %bb.2907:
	v_trunc_f64_e32 v[0:1], v[0:1]
	s_movk_i32 s0, 0xffe0
	v_ldexp_f64 v[2:3], v[0:1], s0
	v_floor_f64_e32 v[2:3], v[2:3]
	v_fmac_f64_e32 v[0:1], 0xc1f00000, v[2:3]
	v_cvt_u32_f64_e32 v0, v[0:1]
	global_store_byte v[8:9], v0, off
.LBB7_2908:
	s_mov_b64 s[6:7], -1
.LBB7_2909:
	s_andn2_b64 vcc, exec, s[6:7]
	s_cbranch_vccnz .LBB7_3113
; %bb.2910:
	v_div_scale_f64 v[0:1], s[0:1], v[22:23], v[22:23], v[20:21]
	v_rcp_f64_e32 v[2:3], v[0:1]
	v_div_scale_f64 v[8:9], vcc, v[20:21], v[22:23], v[20:21]
	s_mov_b32 s0, 0
	v_fma_f64 v[12:13], -v[0:1], v[2:3], 1.0
	v_fmac_f64_e32 v[2:3], v[2:3], v[12:13]
	v_fma_f64 v[12:13], -v[0:1], v[2:3], 1.0
	v_fmac_f64_e32 v[2:3], v[2:3], v[12:13]
	v_mul_f64 v[12:13], v[8:9], v[2:3]
	v_fma_f64 v[0:1], -v[0:1], v[12:13], v[8:9]
	v_div_fmas_f64 v[0:1], v[0:1], v[2:3], v[12:13]
	v_div_fixup_f64 v[0:1], v[0:1], v[22:23], v[20:21]
	s_mov_b32 s1, 0x100000
	v_mov_b32_e32 v2, 0x100000
	v_cmp_ngt_f64_e32 vcc, s[0:1], v[0:1]
	s_mov_b32 s0, -2
	v_cndmask_b32_e32 v1, v2, v1, vcc
	v_cndmask_b32_e32 v0, 0, v0, vcc
	s_mov_b32 s1, 0x3fefffff
	v_mov_b32_e32 v2, 0x3fefffff
	v_cmp_nlt_f64_e32 vcc, s[0:1], v[0:1]
	v_cndmask_b32_e32 v1, v2, v1, vcc
	v_cndmask_b32_e32 v0, -2, v0, vcc
	v_mov_b32_e32 v2, s9
	v_add_co_u32_e32 v6, vcc, s8, v6
	v_addc_co_u32_e32 v7, vcc, 0, v2, vcc
	v_mov_b32_e32 v2, 11
	v_cmp_lt_i16_sdwa s[0:1], s18, v2 src0_sel:BYTE_0 src1_sel:DWORD
	s_and_b64 vcc, exec, s[0:1]
	s_cbranch_vccnz .LBB7_2917
; %bb.2911:
	v_mov_b32_e32 v2, 25
	v_cmp_gt_i16_sdwa s[0:1], s18, v2 src0_sel:BYTE_0 src1_sel:DWORD
	s_mov_b64 s[10:11], -1
	s_mov_b64 s[2:3], 0
	s_and_b64 vcc, exec, s[0:1]
	s_mov_b64 s[6:7], 0
	s_mov_b64 s[0:1], 0
	s_cbranch_vccz .LBB7_2953
; %bb.2912:
	v_mov_b32_e32 v2, 28
	v_cmp_gt_i16_sdwa s[0:1], s18, v2 src0_sel:BYTE_0 src1_sel:DWORD
	s_and_b64 vcc, exec, s[0:1]
	s_cbranch_vccz .LBB7_2918
; %bb.2913:
	v_mov_b32_e32 v2, 43
	v_cmp_gt_i16_sdwa s[0:1], s18, v2 src0_sel:BYTE_0 src1_sel:DWORD
	s_and_b64 vcc, exec, s[0:1]
	;; [unrolled: 5-line block ×3, first 2 shown]
	s_cbranch_vccz .LBB7_2925
; %bb.2915:
	v_mov_b32_e32 v2, 46
	v_cmp_eq_u16_sdwa s[6:7], s18, v2 src0_sel:BYTE_0 src1_sel:DWORD
	s_mov_b64 s[0:1], -1
	s_mov_b64 s[10:11], 0
	s_and_b64 vcc, exec, s[6:7]
	s_mov_b64 s[6:7], 0
	s_cbranch_vccz .LBB7_2926
; %bb.2916:
	v_cvt_f32_f64_e32 v2, v[0:1]
	v_bfe_u32 v3, v2, 16, 1
	s_movk_i32 s0, 0x7fff
	v_add3_u32 v3, v2, v3, s0
	v_lshrrev_b32_e32 v3, 16, v3
	v_mov_b32_e32 v5, 0x7fc0
	v_cmp_o_f32_e32 vcc, v2, v2
	v_cndmask_b32_e32 v2, v5, v3, vcc
	global_store_dword v[6:7], v2, off
	s_mov_b64 s[0:1], 0
	s_mov_b64 s[6:7], -1
	s_branch .LBB7_2926
.LBB7_2917:
	s_mov_b64 s[0:1], -1
	s_mov_b64 s[6:7], 0
	s_branch .LBB7_2997
.LBB7_2918:
	s_mov_b64 s[0:1], 0
	s_branch .LBB7_2936
.LBB7_2919:
	s_or_saveexec_b64 s[16:17], s[16:17]
                                        ; implicit-def: $sgpr19
	s_xor_b64 exec, exec, s[16:17]
	s_cbranch_execz .LBB7_2820
.LBB7_2920:
	s_mov_b32 s19, 0x46000000
	v_add_f32_e64 v3, |v2|, s19
	v_and_b32_e32 v3, 0xff, v3
	v_cmp_ne_u32_e32 vcc, 0, v3
	s_andn2_b64 s[10:11], s[10:11], exec
	s_and_b64 s[20:21], vcc, exec
	s_mov_b32 s19, 0
	s_or_b64 s[10:11], s[10:11], s[20:21]
	s_or_b64 exec, exec, s[16:17]
	v_mov_b32_e32 v5, s19
	s_and_saveexec_b64 s[16:17], s[10:11]
	s_cbranch_execnz .LBB7_2821
	s_branch .LBB7_2822
.LBB7_2921:
	s_mov_b64 s[0:1], 0
	s_branch .LBB7_2932
.LBB7_2922:
	s_trap 2
	s_or_b64 s[4:5], s[4:5], exec
	s_cbranch_execz .LBB7_2868
	s_branch .LBB7_2869
.LBB7_2923:
	s_or_saveexec_b64 s[10:11], s[10:11]
                                        ; implicit-def: $sgpr16
	s_xor_b64 exec, exec, s[10:11]
	s_cbranch_execz .LBB7_2833
.LBB7_2924:
	s_mov_b32 s16, 0x42800000
	v_add_f32_e64 v3, |v2|, s16
	v_and_b32_e32 v3, 0xff, v3
	v_cmp_ne_u32_e32 vcc, 0, v3
	s_andn2_b64 s[6:7], s[6:7], exec
	s_and_b64 s[20:21], vcc, exec
	s_mov_b32 s16, 0
	s_or_b64 s[6:7], s[6:7], s[20:21]
	s_or_b64 exec, exec, s[10:11]
	v_mov_b32_e32 v5, s16
	s_and_saveexec_b64 s[10:11], s[6:7]
	s_cbranch_execnz .LBB7_2834
	s_branch .LBB7_2835
.LBB7_2925:
	s_mov_b64 s[0:1], 0
.LBB7_2926:
	s_and_b64 vcc, exec, s[10:11]
	s_cbranch_vccz .LBB7_2931
; %bb.2927:
	v_mov_b32_e32 v2, 44
	v_cmp_eq_u16_sdwa s[10:11], s18, v2 src0_sel:BYTE_0 src1_sel:DWORD
	s_mov_b64 s[0:1], -1
	s_and_b64 vcc, exec, s[10:11]
	s_cbranch_vccz .LBB7_2931
; %bb.2928:
	v_cvt_f32_f64_e32 v2, v[0:1]
	v_bfe_u32 v3, v2, 23, 8
	s_movk_i32 s0, 0xff
	v_cmp_ne_u32_e32 vcc, s0, v3
	v_mov_b32_e32 v5, 0xff
	s_and_saveexec_b64 s[6:7], vcc
; %bb.2929:
	s_mov_b32 s0, 0x3fffff
	v_lshrrev_b32_e32 v5, 23, v2
	v_and_b32_e32 v8, 0x400000, v2
	v_and_or_b32 v2, v2, s0, v3
	v_cmp_ne_u32_e32 vcc, 0, v8
	v_cmp_ne_u32_e64 s[0:1], 0, v2
	s_and_b64 s[0:1], vcc, s[0:1]
	v_cndmask_b32_e64 v2, 0, 1, s[0:1]
	v_add_u32_e32 v5, v5, v2
; %bb.2930:
	s_or_b64 exec, exec, s[6:7]
	s_mov_b64 s[0:1], 0
	s_mov_b64 s[6:7], -1
	global_store_byte v[6:7], v5, off
.LBB7_2931:
	s_mov_b64 s[10:11], 0
.LBB7_2932:
	s_and_b64 vcc, exec, s[10:11]
	s_cbranch_vccz .LBB7_2935
; %bb.2933:
	v_mov_b32_e32 v2, 29
	v_cmp_eq_u16_sdwa s[10:11], s18, v2 src0_sel:BYTE_0 src1_sel:DWORD
	s_mov_b64 s[0:1], -1
	s_and_b64 vcc, exec, s[10:11]
	s_cbranch_vccz .LBB7_2935
; %bb.2934:
	v_trunc_f64_e32 v[2:3], v[0:1]
	s_movk_i32 s0, 0xffe0
	v_ldexp_f64 v[8:9], v[2:3], s0
	v_floor_f64_e32 v[8:9], v[8:9]
	v_fmac_f64_e32 v[2:3], 0xc1f00000, v[8:9]
	v_cvt_u32_f64_e32 v13, v[8:9]
	v_cvt_u32_f64_e32 v12, v[2:3]
	global_store_dwordx2 v[6:7], v[12:13], off
	s_mov_b64 s[0:1], 0
	s_mov_b64 s[6:7], -1
.LBB7_2935:
	s_mov_b64 s[10:11], 0
.LBB7_2936:
	s_and_b64 vcc, exec, s[10:11]
	s_cbranch_vccz .LBB7_2952
; %bb.2937:
	v_mov_b32_e32 v2, 27
	v_cmp_lt_i16_sdwa s[10:11], s18, v2 src0_sel:BYTE_0 src1_sel:DWORD
	s_mov_b64 s[6:7], -1
	s_and_b64 vcc, exec, s[10:11]
	s_cbranch_vccnz .LBB7_2943
; %bb.2938:
	v_cmp_gt_i16_sdwa s[10:11], s18, v2 src0_sel:BYTE_0 src1_sel:DWORD
	s_and_b64 vcc, exec, s[10:11]
	s_cbranch_vccz .LBB7_2940
; %bb.2939:
	v_cvt_u32_f64_e32 v2, v[0:1]
	s_mov_b64 s[6:7], 0
	global_store_dword v[6:7], v2, off
.LBB7_2940:
	s_andn2_b64 vcc, exec, s[6:7]
	s_cbranch_vccnz .LBB7_2942
; %bb.2941:
	v_cvt_u32_f64_e32 v2, v[0:1]
	global_store_short v[6:7], v2, off
.LBB7_2942:
	s_mov_b64 s[6:7], 0
.LBB7_2943:
	s_andn2_b64 vcc, exec, s[6:7]
	s_cbranch_vccnz .LBB7_2951
; %bb.2944:
	v_cvt_f32_f64_e32 v2, v[0:1]
	v_and_b32_e32 v3, 0x7fffffff, v2
	s_mov_b32 s6, 0x43800000
	v_cmp_gt_u32_e32 vcc, s6, v3
	v_mov_b32_e32 v5, 0x80
	s_and_saveexec_b64 s[6:7], vcc
	s_cbranch_execz .LBB7_2950
; %bb.2945:
	s_mov_b32 s10, 0x3bffffff
	v_cmp_lt_u32_e32 vcc, s10, v3
	s_mov_b64 s[10:11], 0
                                        ; implicit-def: $vgpr3
	s_and_saveexec_b64 s[16:17], vcc
	s_xor_b64 s[16:17], exec, s[16:17]
	s_cbranch_execz .LBB7_3159
; %bb.2946:
	v_bfe_u32 v3, v2, 20, 1
	s_mov_b32 s19, 0x487ffff
	v_add3_u32 v3, v2, v3, s19
	s_mov_b64 s[10:11], exec
	v_lshrrev_b32_e32 v3, 20, v3
	s_or_saveexec_b64 s[16:17], s[16:17]
                                        ; implicit-def: $sgpr19
	s_xor_b64 exec, exec, s[16:17]
	s_cbranch_execnz .LBB7_3160
.LBB7_2947:
	s_or_b64 exec, exec, s[16:17]
	v_mov_b32_e32 v5, s19
	s_and_saveexec_b64 s[16:17], s[10:11]
.LBB7_2948:
	v_lshrrev_b32_e32 v2, 24, v2
	s_movk_i32 s10, 0x80
	v_and_or_b32 v5, v2, s10, v3
.LBB7_2949:
	s_or_b64 exec, exec, s[16:17]
.LBB7_2950:
	s_or_b64 exec, exec, s[6:7]
	global_store_byte v[6:7], v5, off
.LBB7_2951:
	s_mov_b64 s[6:7], -1
.LBB7_2952:
	s_mov_b64 s[10:11], 0
.LBB7_2953:
	s_and_b64 vcc, exec, s[10:11]
	s_cbranch_vccz .LBB7_2993
; %bb.2954:
	v_mov_b32_e32 v2, 22
	v_cmp_gt_i16_sdwa s[10:11], s18, v2 src0_sel:BYTE_0 src1_sel:DWORD
	s_mov_b64 s[2:3], -1
	s_and_b64 vcc, exec, s[10:11]
	s_cbranch_vccz .LBB7_2986
; %bb.2955:
	v_mov_b32_e32 v2, 24
	v_cmp_lt_i16_sdwa s[6:7], s18, v2 src0_sel:BYTE_0 src1_sel:DWORD
	s_and_b64 vcc, exec, s[6:7]
	s_cbranch_vccnz .LBB7_2975
; %bb.2956:
	v_cmp_gt_i16_sdwa s[6:7], s18, v2 src0_sel:BYTE_0 src1_sel:DWORD
	s_and_b64 vcc, exec, s[6:7]
	s_cbranch_vccz .LBB7_2964
; %bb.2957:
	v_cvt_f32_f64_e32 v2, v[0:1]
	v_and_b32_e32 v3, 0x7fffffff, v2
	s_mov_b32 s2, 0x47800000
	v_cmp_gt_u32_e32 vcc, s2, v3
	v_mov_b32_e32 v5, 0x80
	s_and_saveexec_b64 s[2:3], vcc
	s_cbranch_execz .LBB7_2963
; %bb.2958:
	s_mov_b32 s6, 0x37ffffff
	v_cmp_lt_u32_e32 vcc, s6, v3
	s_mov_b64 s[6:7], 0
                                        ; implicit-def: $vgpr3
	s_and_saveexec_b64 s[10:11], vcc
	s_xor_b64 s[10:11], exec, s[10:11]
	s_cbranch_execz .LBB7_3162
; %bb.2959:
	v_bfe_u32 v3, v2, 21, 1
	s_mov_b32 s16, 0x88fffff
	v_add3_u32 v3, v2, v3, s16
	s_mov_b64 s[6:7], exec
	v_lshrrev_b32_e32 v3, 21, v3
	s_or_saveexec_b64 s[10:11], s[10:11]
                                        ; implicit-def: $sgpr16
	s_xor_b64 exec, exec, s[10:11]
	s_cbranch_execnz .LBB7_3163
.LBB7_2960:
	s_or_b64 exec, exec, s[10:11]
	v_mov_b32_e32 v5, s16
	s_and_saveexec_b64 s[10:11], s[6:7]
.LBB7_2961:
	v_lshrrev_b32_e32 v2, 24, v2
	s_movk_i32 s6, 0x80
	v_and_or_b32 v5, v2, s6, v3
.LBB7_2962:
	s_or_b64 exec, exec, s[10:11]
.LBB7_2963:
	s_or_b64 exec, exec, s[2:3]
	s_mov_b64 s[2:3], 0
	global_store_byte v[6:7], v5, off
.LBB7_2964:
	s_and_b64 vcc, exec, s[2:3]
	s_cbranch_vccz .LBB7_2974
; %bb.2965:
	v_cvt_f32_f64_e32 v2, v[0:1]
	v_and_b32_e32 v5, 0x7fffffff, v2
	s_mov_b32 s2, 0x43f00000
	v_cmp_gt_u32_e32 vcc, s2, v5
                                        ; implicit-def: $vgpr3
	s_and_saveexec_b64 s[2:3], vcc
	s_xor_b64 s[2:3], exec, s[2:3]
	s_cbranch_execz .LBB7_2971
; %bb.2966:
	s_mov_b32 s6, 0x3c7fffff
	v_cmp_lt_u32_e32 vcc, s6, v5
                                        ; implicit-def: $vgpr3
	s_and_saveexec_b64 s[6:7], vcc
	s_xor_b64 s[6:7], exec, s[6:7]
; %bb.2967:
	v_bfe_u32 v3, v2, 20, 1
	s_mov_b32 s10, 0x407ffff
	v_add3_u32 v3, v2, v3, s10
	v_lshrrev_b32_e32 v5, 20, v3
	v_and_b32_e32 v3, 0xff00000, v3
	s_mov_b32 s10, 0x7f00000
	v_mov_b32_e32 v8, 0x7e
	v_cmp_ne_u32_e32 vcc, s10, v3
	v_cndmask_b32_e32 v3, v8, v5, vcc
; %bb.2968:
	s_andn2_saveexec_b64 s[6:7], s[6:7]
; %bb.2969:
	s_mov_b32 s10, 0x46800000
	v_add_f32_e64 v3, |v2|, s10
; %bb.2970:
	s_or_b64 exec, exec, s[6:7]
                                        ; implicit-def: $vgpr5
.LBB7_2971:
	s_andn2_saveexec_b64 s[2:3], s[2:3]
; %bb.2972:
	s_mov_b32 s6, 0x7f800000
	v_mov_b32_e32 v3, 0x7e
	v_mov_b32_e32 v8, 0x7f
	v_cmp_lt_u32_e32 vcc, s6, v5
	v_cndmask_b32_e32 v3, v3, v8, vcc
; %bb.2973:
	s_or_b64 exec, exec, s[2:3]
	v_lshrrev_b32_e32 v2, 24, v2
	s_movk_i32 s2, 0x80
	v_and_or_b32 v2, v2, s2, v3
	global_store_byte v[6:7], v2, off
.LBB7_2974:
	s_mov_b64 s[2:3], 0
.LBB7_2975:
	s_andn2_b64 vcc, exec, s[2:3]
	s_cbranch_vccnz .LBB7_2985
; %bb.2976:
	v_cvt_f32_f64_e32 v2, v[0:1]
	v_and_b32_e32 v5, 0x7fffffff, v2
	s_mov_b32 s2, 0x47800000
	v_cmp_gt_u32_e32 vcc, s2, v5
                                        ; implicit-def: $vgpr3
	s_and_saveexec_b64 s[2:3], vcc
	s_xor_b64 s[2:3], exec, s[2:3]
	s_cbranch_execz .LBB7_2982
; %bb.2977:
	s_mov_b32 s6, 0x387fffff
	v_cmp_lt_u32_e32 vcc, s6, v5
                                        ; implicit-def: $vgpr3
	s_and_saveexec_b64 s[6:7], vcc
	s_xor_b64 s[6:7], exec, s[6:7]
; %bb.2978:
	v_bfe_u32 v3, v2, 21, 1
	s_mov_b32 s10, 0x80fffff
	v_add3_u32 v3, v2, v3, s10
	v_lshrrev_b32_e32 v3, 21, v3
; %bb.2979:
	s_andn2_saveexec_b64 s[6:7], s[6:7]
; %bb.2980:
	s_mov_b32 s10, 0x43000000
	v_add_f32_e64 v3, |v2|, s10
; %bb.2981:
	s_or_b64 exec, exec, s[6:7]
                                        ; implicit-def: $vgpr5
.LBB7_2982:
	s_andn2_saveexec_b64 s[2:3], s[2:3]
; %bb.2983:
	s_mov_b32 s6, 0x7f800000
	v_mov_b32_e32 v3, 0x7c
	v_mov_b32_e32 v8, 0x7f
	v_cmp_lt_u32_e32 vcc, s6, v5
	v_cndmask_b32_e32 v3, v3, v8, vcc
; %bb.2984:
	s_or_b64 exec, exec, s[2:3]
	v_lshrrev_b32_e32 v2, 24, v2
	s_movk_i32 s2, 0x80
	v_and_or_b32 v2, v2, s2, v3
	global_store_byte v[6:7], v2, off
.LBB7_2985:
	s_mov_b64 s[2:3], 0
	s_mov_b64 s[6:7], -1
.LBB7_2986:
	s_andn2_b64 vcc, exec, s[2:3]
	s_mov_b64 s[2:3], 0
	s_cbranch_vccnz .LBB7_2993
; %bb.2987:
	v_mov_b32_e32 v2, 14
	v_cmp_gt_i16_sdwa s[2:3], s18, v2 src0_sel:BYTE_0 src1_sel:DWORD
	s_mov_b64 s[10:11], -1
	s_and_b64 vcc, exec, s[2:3]
	s_cbranch_vccz .LBB7_2991
; %bb.2988:
	v_mov_b32_e32 v2, 15
	v_cmp_eq_u16_sdwa s[2:3], s18, v2 src0_sel:BYTE_0 src1_sel:DWORD
	s_mov_b64 s[0:1], -1
	s_and_b64 vcc, exec, s[2:3]
	s_cbranch_vccz .LBB7_2990
; %bb.2989:
	v_cvt_f32_f64_e32 v2, v[0:1]
	v_bfe_u32 v3, v2, 16, 1
	s_movk_i32 s0, 0x7fff
	v_add3_u32 v3, v2, v3, s0
	v_lshrrev_b32_e32 v3, 16, v3
	v_mov_b32_e32 v5, 0x7fc0
	v_cmp_o_f32_e32 vcc, v2, v2
	v_cndmask_b32_e32 v2, v5, v3, vcc
	global_store_short v[6:7], v2, off
	s_mov_b64 s[0:1], 0
	s_mov_b64 s[6:7], -1
.LBB7_2990:
	s_mov_b64 s[10:11], 0
.LBB7_2991:
	s_mov_b64 s[2:3], 0
	s_and_b64 vcc, exec, s[10:11]
	s_cbranch_vccz .LBB7_2993
; %bb.2992:
	v_mov_b32_e32 v2, 11
	v_cmp_ne_u16_sdwa s[0:1], s18, v2 src0_sel:BYTE_0 src1_sel:DWORD
	s_mov_b64 s[2:3], -1
.LBB7_2993:
	s_and_b64 vcc, exec, s[0:1]
	s_cbranch_vccnz .LBB7_3161
; %bb.2994:
	s_andn2_b64 vcc, exec, s[2:3]
	s_cbranch_vccnz .LBB7_2996
.LBB7_2995:
	v_mov_b32_e32 v2, 1
	s_mov_b64 s[6:7], -1
	global_store_byte v[6:7], v2, off
.LBB7_2996:
	s_mov_b64 s[0:1], 0
.LBB7_2997:
	s_and_b64 vcc, exec, s[0:1]
	s_cbranch_vccz .LBB7_3036
; %bb.2998:
	v_mov_b32_e32 v2, 5
	v_cmp_lt_i16_sdwa s[2:3], s18, v2 src0_sel:BYTE_0 src1_sel:DWORD
	s_mov_b64 s[0:1], -1
	s_and_b64 vcc, exec, s[2:3]
	s_cbranch_vccnz .LBB7_3019
; %bb.2999:
	v_mov_b32_e32 v2, 8
	v_cmp_lt_i16_sdwa s[2:3], s18, v2 src0_sel:BYTE_0 src1_sel:DWORD
	s_and_b64 vcc, exec, s[2:3]
	s_cbranch_vccnz .LBB7_3009
; %bb.3000:
	v_mov_b32_e32 v2, 9
	v_cmp_lt_i16_sdwa s[2:3], s18, v2 src0_sel:BYTE_0 src1_sel:DWORD
	s_and_b64 vcc, exec, s[2:3]
	s_cbranch_vccnz .LBB7_3006
; %bb.3001:
	v_cmp_gt_i16_sdwa s[2:3], s18, v2 src0_sel:BYTE_0 src1_sel:DWORD
	s_and_b64 vcc, exec, s[2:3]
	s_cbranch_vccz .LBB7_3003
; %bb.3002:
	v_mov_b32_e32 v2, 0
	v_mov_b32_e32 v3, v2
	global_store_dwordx4 v[6:7], v[0:3], off
	s_mov_b64 s[0:1], 0
.LBB7_3003:
	s_andn2_b64 vcc, exec, s[0:1]
	s_cbranch_vccnz .LBB7_3005
; %bb.3004:
	v_cvt_f32_f64_e32 v2, v[0:1]
	v_mov_b32_e32 v3, 0
	global_store_dwordx2 v[6:7], v[2:3], off
.LBB7_3005:
	s_mov_b64 s[0:1], 0
.LBB7_3006:
	s_andn2_b64 vcc, exec, s[0:1]
	s_cbranch_vccnz .LBB7_3008
; %bb.3007:
	v_cvt_f32_f64_e32 v2, v[0:1]
	v_cvt_f16_f32_e32 v2, v2
	global_store_dword v[6:7], v2, off
.LBB7_3008:
	s_mov_b64 s[0:1], 0
.LBB7_3009:
	s_andn2_b64 vcc, exec, s[0:1]
	s_cbranch_vccnz .LBB7_3018
; %bb.3010:
	v_mov_b32_e32 v2, 6
	v_cmp_lt_i16_sdwa s[2:3], s18, v2 src0_sel:BYTE_0 src1_sel:DWORD
	s_mov_b64 s[0:1], -1
	s_and_b64 vcc, exec, s[2:3]
	s_cbranch_vccnz .LBB7_3016
; %bb.3011:
	v_cmp_gt_i16_sdwa s[2:3], s18, v2 src0_sel:BYTE_0 src1_sel:DWORD
	s_and_b64 vcc, exec, s[2:3]
	s_cbranch_vccz .LBB7_3013
; %bb.3012:
	global_store_dwordx2 v[6:7], v[0:1], off
	s_mov_b64 s[0:1], 0
.LBB7_3013:
	s_andn2_b64 vcc, exec, s[0:1]
	s_cbranch_vccnz .LBB7_3015
; %bb.3014:
	v_cvt_f32_f64_e32 v2, v[0:1]
	global_store_dword v[6:7], v2, off
.LBB7_3015:
	s_mov_b64 s[0:1], 0
.LBB7_3016:
	s_andn2_b64 vcc, exec, s[0:1]
	s_cbranch_vccnz .LBB7_3018
; %bb.3017:
	v_cvt_f32_f64_e32 v2, v[0:1]
	v_cvt_f16_f32_e32 v2, v2
	global_store_short v[6:7], v2, off
.LBB7_3018:
	s_mov_b64 s[0:1], 0
.LBB7_3019:
	s_andn2_b64 vcc, exec, s[0:1]
	s_cbranch_vccnz .LBB7_3035
; %bb.3020:
	v_mov_b32_e32 v2, 2
	v_cmp_lt_i16_sdwa s[2:3], s18, v2 src0_sel:BYTE_0 src1_sel:DWORD
	s_mov_b64 s[0:1], -1
	s_and_b64 vcc, exec, s[2:3]
	s_cbranch_vccnz .LBB7_3030
; %bb.3021:
	v_mov_b32_e32 v2, 3
	v_cmp_lt_i16_sdwa s[2:3], s18, v2 src0_sel:BYTE_0 src1_sel:DWORD
	s_and_b64 vcc, exec, s[2:3]
	s_cbranch_vccnz .LBB7_3027
; %bb.3022:
	v_cmp_gt_i16_sdwa s[2:3], s18, v2 src0_sel:BYTE_0 src1_sel:DWORD
	s_and_b64 vcc, exec, s[2:3]
	s_cbranch_vccz .LBB7_3024
; %bb.3023:
	v_trunc_f64_e32 v[2:3], v[0:1]
	s_movk_i32 s0, 0xffe0
	v_ldexp_f64 v[8:9], v[2:3], s0
	v_floor_f64_e32 v[8:9], v[8:9]
	v_fmac_f64_e32 v[2:3], 0xc1f00000, v[8:9]
	v_cvt_i32_f64_e32 v13, v[8:9]
	v_cvt_u32_f64_e32 v12, v[2:3]
	global_store_dwordx2 v[6:7], v[12:13], off
	s_mov_b64 s[0:1], 0
.LBB7_3024:
	s_andn2_b64 vcc, exec, s[0:1]
	s_cbranch_vccnz .LBB7_3026
; %bb.3025:
	v_cvt_i32_f64_e32 v2, v[0:1]
	global_store_dword v[6:7], v2, off
.LBB7_3026:
	s_mov_b64 s[0:1], 0
.LBB7_3027:
	s_andn2_b64 vcc, exec, s[0:1]
	s_cbranch_vccnz .LBB7_3029
; %bb.3028:
	v_cvt_i32_f64_e32 v2, v[0:1]
	global_store_short v[6:7], v2, off
.LBB7_3029:
	s_mov_b64 s[0:1], 0
.LBB7_3030:
	s_andn2_b64 vcc, exec, s[0:1]
	s_cbranch_vccnz .LBB7_3035
; %bb.3031:
	v_mov_b32_e32 v2, 0
	v_cmp_gt_i16_sdwa s[2:3], s18, v2 src0_sel:BYTE_0 src1_sel:DWORD
	s_mov_b64 s[0:1], -1
	s_and_b64 vcc, exec, s[2:3]
	s_cbranch_vccz .LBB7_3033
; %bb.3032:
	v_cvt_i32_f64_e32 v2, v[0:1]
	global_store_byte v[6:7], v2, off
	s_mov_b64 s[0:1], 0
.LBB7_3033:
	s_andn2_b64 vcc, exec, s[0:1]
	s_cbranch_vccnz .LBB7_3035
; %bb.3034:
	v_trunc_f64_e32 v[0:1], v[0:1]
	s_movk_i32 s0, 0xffe0
	v_ldexp_f64 v[2:3], v[0:1], s0
	v_floor_f64_e32 v[2:3], v[2:3]
	v_fmac_f64_e32 v[0:1], 0xc1f00000, v[2:3]
	v_cvt_u32_f64_e32 v0, v[0:1]
	global_store_byte v[6:7], v0, off
.LBB7_3035:
	s_mov_b64 s[6:7], -1
.LBB7_3036:
	s_andn2_b64 vcc, exec, s[6:7]
	s_cbranch_vccnz .LBB7_3113
; %bb.3037:
	v_div_scale_f64 v[0:1], s[0:1], v[10:11], v[10:11], v[16:17]
	v_rcp_f64_e32 v[2:3], v[0:1]
	v_div_scale_f64 v[6:7], vcc, v[16:17], v[10:11], v[16:17]
	s_mov_b32 s0, 0
	v_fma_f64 v[8:9], -v[0:1], v[2:3], 1.0
	v_fmac_f64_e32 v[2:3], v[2:3], v[8:9]
	v_fma_f64 v[8:9], -v[0:1], v[2:3], 1.0
	v_fmac_f64_e32 v[2:3], v[2:3], v[8:9]
	v_mul_f64 v[8:9], v[6:7], v[2:3]
	v_fma_f64 v[0:1], -v[0:1], v[8:9], v[6:7]
	v_div_fmas_f64 v[0:1], v[0:1], v[2:3], v[8:9]
	v_div_fixup_f64 v[0:1], v[0:1], v[10:11], v[16:17]
	s_mov_b32 s1, 0x100000
	v_mov_b32_e32 v2, 0x100000
	v_cmp_ngt_f64_e32 vcc, s[0:1], v[0:1]
	s_mov_b32 s0, -2
	v_cndmask_b32_e32 v1, v2, v1, vcc
	v_cndmask_b32_e32 v0, 0, v0, vcc
	s_mov_b32 s1, 0x3fefffff
	v_mov_b32_e32 v2, 0x3fefffff
	v_cmp_nlt_f64_e32 vcc, s[0:1], v[0:1]
	v_cndmask_b32_e32 v1, v2, v1, vcc
	v_mov_b32_e32 v2, 0xff
	v_cndmask_b32_e32 v0, -2, v0, vcc
	v_and_b32_e32 v6, s18, v2
	v_mov_b32_e32 v2, s9
	v_add_co_u32_e32 v4, vcc, s8, v4
	v_addc_co_u32_e32 v5, vcc, 0, v2, vcc
	v_cmp_gt_i16_e32 vcc, 11, v6
	s_cbranch_vccnz .LBB7_3158
; %bb.3038:
	v_cmp_lt_i16_e32 vcc, 25, v6
	s_mov_b64 s[6:7], -1
	s_mov_b64 s[2:3], 0
	s_mov_b64 s[0:1], 0
	s_cbranch_vccz .LBB7_3071
; %bb.3039:
	v_cmp_lt_i16_e32 vcc, 28, v6
	s_cbranch_vccz .LBB7_3055
; %bb.3040:
	v_cmp_lt_i16_e32 vcc, 43, v6
	;; [unrolled: 3-line block ×3, first 2 shown]
	s_cbranch_vccz .LBB7_3045
; %bb.3042:
	v_cmp_eq_u16_e32 vcc, 46, v6
	s_mov_b64 s[0:1], -1
	s_cbranch_vccz .LBB7_3044
; %bb.3043:
	v_cvt_f32_f64_e32 v2, v[0:1]
	v_bfe_u32 v3, v2, 16, 1
	s_movk_i32 s0, 0x7fff
	v_add3_u32 v3, v2, v3, s0
	v_lshrrev_b32_e32 v3, 16, v3
	v_mov_b32_e32 v7, 0x7fc0
	v_cmp_o_f32_e32 vcc, v2, v2
	v_cndmask_b32_e32 v2, v7, v3, vcc
	global_store_dword v[4:5], v2, off
	s_mov_b64 s[0:1], 0
.LBB7_3044:
	s_mov_b64 s[6:7], 0
.LBB7_3045:
	s_and_b64 vcc, exec, s[6:7]
	s_cbranch_vccz .LBB7_3050
; %bb.3046:
	v_cmp_eq_u16_e32 vcc, 44, v6
	s_mov_b64 s[0:1], -1
	s_cbranch_vccz .LBB7_3050
; %bb.3047:
	v_cvt_f32_f64_e32 v2, v[0:1]
	v_bfe_u32 v3, v2, 23, 8
	s_movk_i32 s0, 0xff
	v_cmp_ne_u32_e32 vcc, s0, v3
	v_mov_b32_e32 v7, 0xff
	s_and_saveexec_b64 s[6:7], vcc
; %bb.3048:
	s_mov_b32 s0, 0x3fffff
	v_lshrrev_b32_e32 v7, 23, v2
	v_and_b32_e32 v8, 0x400000, v2
	v_and_or_b32 v2, v2, s0, v3
	v_cmp_ne_u32_e32 vcc, 0, v8
	v_cmp_ne_u32_e64 s[0:1], 0, v2
	s_and_b64 s[0:1], vcc, s[0:1]
	v_cndmask_b32_e64 v2, 0, 1, s[0:1]
	v_add_u32_e32 v7, v7, v2
; %bb.3049:
	s_or_b64 exec, exec, s[6:7]
	s_mov_b64 s[0:1], 0
	global_store_byte v[4:5], v7, off
.LBB7_3050:
	s_mov_b64 s[6:7], 0
.LBB7_3051:
	s_and_b64 vcc, exec, s[6:7]
	s_cbranch_vccz .LBB7_3054
; %bb.3052:
	v_cmp_eq_u16_e32 vcc, 29, v6
	s_mov_b64 s[0:1], -1
	s_cbranch_vccz .LBB7_3054
; %bb.3053:
	v_trunc_f64_e32 v[2:3], v[0:1]
	s_movk_i32 s0, 0xffe0
	v_ldexp_f64 v[8:9], v[2:3], s0
	v_floor_f64_e32 v[8:9], v[8:9]
	v_fmac_f64_e32 v[2:3], 0xc1f00000, v[8:9]
	v_cvt_u32_f64_e32 v11, v[8:9]
	v_cvt_u32_f64_e32 v10, v[2:3]
	global_store_dwordx2 v[4:5], v[10:11], off
	s_mov_b64 s[0:1], 0
.LBB7_3054:
	s_mov_b64 s[6:7], 0
.LBB7_3055:
	s_and_b64 vcc, exec, s[6:7]
	s_cbranch_vccz .LBB7_3070
; %bb.3056:
	v_cmp_gt_i16_e32 vcc, 27, v6
	s_mov_b64 s[6:7], -1
	s_cbranch_vccnz .LBB7_3062
; %bb.3057:
	v_cmp_lt_i16_e32 vcc, 27, v6
	v_cvt_u32_f64_e32 v2, v[0:1]
	s_cbranch_vccz .LBB7_3059
; %bb.3058:
	global_store_dword v[4:5], v2, off
	s_mov_b64 s[6:7], 0
.LBB7_3059:
	s_andn2_b64 vcc, exec, s[6:7]
	s_cbranch_vccnz .LBB7_3061
; %bb.3060:
	global_store_short v[4:5], v2, off
.LBB7_3061:
	s_mov_b64 s[6:7], 0
.LBB7_3062:
	s_andn2_b64 vcc, exec, s[6:7]
	s_cbranch_vccnz .LBB7_3070
; %bb.3063:
	v_cvt_f32_f64_e32 v2, v[0:1]
	v_and_b32_e32 v3, 0x7fffffff, v2
	s_mov_b32 s6, 0x43800000
	v_cmp_gt_u32_e32 vcc, s6, v3
	v_mov_b32_e32 v7, 0x80
	s_and_saveexec_b64 s[6:7], vcc
	s_cbranch_execz .LBB7_3069
; %bb.3064:
	s_mov_b32 s8, 0x3bffffff
	v_cmp_lt_u32_e32 vcc, s8, v3
	s_mov_b64 s[8:9], 0
                                        ; implicit-def: $vgpr3
	s_and_saveexec_b64 s[10:11], vcc
	s_xor_b64 s[10:11], exec, s[10:11]
	s_cbranch_execz .LBB7_3164
; %bb.3065:
	v_bfe_u32 v3, v2, 20, 1
	s_mov_b32 s16, 0x487ffff
	v_add3_u32 v3, v2, v3, s16
	s_mov_b64 s[8:9], exec
	v_lshrrev_b32_e32 v3, 20, v3
	s_or_saveexec_b64 s[10:11], s[10:11]
                                        ; implicit-def: $sgpr16
	s_xor_b64 exec, exec, s[10:11]
	s_cbranch_execnz .LBB7_3165
.LBB7_3066:
	s_or_b64 exec, exec, s[10:11]
	v_mov_b32_e32 v7, s16
	s_and_saveexec_b64 s[10:11], s[8:9]
.LBB7_3067:
	v_lshrrev_b32_e32 v2, 24, v2
	s_movk_i32 s8, 0x80
	v_and_or_b32 v7, v2, s8, v3
.LBB7_3068:
	s_or_b64 exec, exec, s[10:11]
.LBB7_3069:
	s_or_b64 exec, exec, s[6:7]
	global_store_byte v[4:5], v7, off
.LBB7_3070:
	s_mov_b64 s[6:7], 0
.LBB7_3071:
	s_and_b64 vcc, exec, s[6:7]
	s_cbranch_vccz .LBB7_3111
; %bb.3072:
	v_cmp_lt_i16_e32 vcc, 22, v6
	s_mov_b64 s[2:3], -1
	s_cbranch_vccz .LBB7_3104
; %bb.3073:
	v_cmp_gt_i16_e32 vcc, 24, v6
	s_cbranch_vccnz .LBB7_3093
; %bb.3074:
	v_cmp_lt_i16_e32 vcc, 24, v6
	s_cbranch_vccz .LBB7_3082
; %bb.3075:
	v_cvt_f32_f64_e32 v2, v[0:1]
	v_and_b32_e32 v3, 0x7fffffff, v2
	s_mov_b32 s2, 0x47800000
	v_cmp_gt_u32_e32 vcc, s2, v3
	v_mov_b32_e32 v7, 0x80
	s_and_saveexec_b64 s[2:3], vcc
	s_cbranch_execz .LBB7_3081
; %bb.3076:
	s_mov_b32 s6, 0x37ffffff
	v_cmp_lt_u32_e32 vcc, s6, v3
	s_mov_b64 s[6:7], 0
                                        ; implicit-def: $vgpr3
	s_and_saveexec_b64 s[8:9], vcc
	s_xor_b64 s[8:9], exec, s[8:9]
	s_cbranch_execz .LBB7_3167
; %bb.3077:
	v_bfe_u32 v3, v2, 21, 1
	s_mov_b32 s10, 0x88fffff
	v_add3_u32 v3, v2, v3, s10
	s_mov_b64 s[6:7], exec
	v_lshrrev_b32_e32 v3, 21, v3
	s_or_saveexec_b64 s[8:9], s[8:9]
                                        ; implicit-def: $sgpr10
	s_xor_b64 exec, exec, s[8:9]
	s_cbranch_execnz .LBB7_3168
.LBB7_3078:
	s_or_b64 exec, exec, s[8:9]
	v_mov_b32_e32 v7, s10
	s_and_saveexec_b64 s[8:9], s[6:7]
.LBB7_3079:
	v_lshrrev_b32_e32 v2, 24, v2
	s_movk_i32 s6, 0x80
	v_and_or_b32 v7, v2, s6, v3
.LBB7_3080:
	s_or_b64 exec, exec, s[8:9]
.LBB7_3081:
	s_or_b64 exec, exec, s[2:3]
	s_mov_b64 s[2:3], 0
	global_store_byte v[4:5], v7, off
.LBB7_3082:
	s_and_b64 vcc, exec, s[2:3]
	s_cbranch_vccz .LBB7_3092
; %bb.3083:
	v_cvt_f32_f64_e32 v2, v[0:1]
	v_and_b32_e32 v7, 0x7fffffff, v2
	s_mov_b32 s2, 0x43f00000
	v_cmp_gt_u32_e32 vcc, s2, v7
                                        ; implicit-def: $vgpr3
	s_and_saveexec_b64 s[2:3], vcc
	s_xor_b64 s[2:3], exec, s[2:3]
	s_cbranch_execz .LBB7_3089
; %bb.3084:
	s_mov_b32 s6, 0x3c7fffff
	v_cmp_lt_u32_e32 vcc, s6, v7
                                        ; implicit-def: $vgpr3
	s_and_saveexec_b64 s[6:7], vcc
	s_xor_b64 s[6:7], exec, s[6:7]
; %bb.3085:
	v_bfe_u32 v3, v2, 20, 1
	s_mov_b32 s8, 0x407ffff
	v_add3_u32 v3, v2, v3, s8
	v_lshrrev_b32_e32 v7, 20, v3
	v_and_b32_e32 v3, 0xff00000, v3
	s_mov_b32 s8, 0x7f00000
	v_mov_b32_e32 v8, 0x7e
	v_cmp_ne_u32_e32 vcc, s8, v3
	v_cndmask_b32_e32 v3, v8, v7, vcc
; %bb.3086:
	s_andn2_saveexec_b64 s[6:7], s[6:7]
; %bb.3087:
	s_mov_b32 s8, 0x46800000
	v_add_f32_e64 v3, |v2|, s8
; %bb.3088:
	s_or_b64 exec, exec, s[6:7]
                                        ; implicit-def: $vgpr7
.LBB7_3089:
	s_andn2_saveexec_b64 s[2:3], s[2:3]
; %bb.3090:
	s_mov_b32 s6, 0x7f800000
	v_mov_b32_e32 v3, 0x7e
	v_mov_b32_e32 v8, 0x7f
	v_cmp_lt_u32_e32 vcc, s6, v7
	v_cndmask_b32_e32 v3, v3, v8, vcc
; %bb.3091:
	s_or_b64 exec, exec, s[2:3]
	v_lshrrev_b32_e32 v2, 24, v2
	s_movk_i32 s2, 0x80
	v_and_or_b32 v2, v2, s2, v3
	global_store_byte v[4:5], v2, off
.LBB7_3092:
	s_mov_b64 s[2:3], 0
.LBB7_3093:
	s_andn2_b64 vcc, exec, s[2:3]
	s_cbranch_vccnz .LBB7_3103
; %bb.3094:
	v_cvt_f32_f64_e32 v2, v[0:1]
	v_and_b32_e32 v7, 0x7fffffff, v2
	s_mov_b32 s2, 0x47800000
	v_cmp_gt_u32_e32 vcc, s2, v7
                                        ; implicit-def: $vgpr3
	s_and_saveexec_b64 s[2:3], vcc
	s_xor_b64 s[2:3], exec, s[2:3]
	s_cbranch_execz .LBB7_3100
; %bb.3095:
	s_mov_b32 s6, 0x387fffff
	v_cmp_lt_u32_e32 vcc, s6, v7
                                        ; implicit-def: $vgpr3
	s_and_saveexec_b64 s[6:7], vcc
	s_xor_b64 s[6:7], exec, s[6:7]
; %bb.3096:
	v_bfe_u32 v3, v2, 21, 1
	s_mov_b32 s8, 0x80fffff
	v_add3_u32 v3, v2, v3, s8
	v_lshrrev_b32_e32 v3, 21, v3
; %bb.3097:
	s_andn2_saveexec_b64 s[6:7], s[6:7]
; %bb.3098:
	s_mov_b32 s8, 0x43000000
	v_add_f32_e64 v3, |v2|, s8
; %bb.3099:
	s_or_b64 exec, exec, s[6:7]
                                        ; implicit-def: $vgpr7
.LBB7_3100:
	s_andn2_saveexec_b64 s[2:3], s[2:3]
; %bb.3101:
	s_mov_b32 s6, 0x7f800000
	v_mov_b32_e32 v3, 0x7c
	v_mov_b32_e32 v8, 0x7f
	v_cmp_lt_u32_e32 vcc, s6, v7
	v_cndmask_b32_e32 v3, v3, v8, vcc
; %bb.3102:
	s_or_b64 exec, exec, s[2:3]
	v_lshrrev_b32_e32 v2, 24, v2
	s_movk_i32 s2, 0x80
	v_and_or_b32 v2, v2, s2, v3
	global_store_byte v[4:5], v2, off
.LBB7_3103:
	s_mov_b64 s[2:3], 0
.LBB7_3104:
	s_andn2_b64 vcc, exec, s[2:3]
	s_mov_b64 s[2:3], 0
	s_cbranch_vccnz .LBB7_3111
; %bb.3105:
	v_cmp_lt_i16_e32 vcc, 14, v6
	s_mov_b64 s[6:7], -1
	s_cbranch_vccz .LBB7_3109
; %bb.3106:
	v_cmp_eq_u16_e32 vcc, 15, v6
	s_mov_b64 s[0:1], -1
	s_cbranch_vccz .LBB7_3108
; %bb.3107:
	v_cvt_f32_f64_e32 v2, v[0:1]
	v_bfe_u32 v3, v2, 16, 1
	s_movk_i32 s0, 0x7fff
	v_add3_u32 v3, v2, v3, s0
	v_lshrrev_b32_e32 v3, 16, v3
	v_mov_b32_e32 v7, 0x7fc0
	v_cmp_o_f32_e32 vcc, v2, v2
	v_cndmask_b32_e32 v2, v7, v3, vcc
	global_store_short v[4:5], v2, off
	s_mov_b64 s[0:1], 0
.LBB7_3108:
	s_mov_b64 s[6:7], 0
.LBB7_3109:
	s_and_b64 vcc, exec, s[6:7]
	s_cbranch_vccz .LBB7_3111
; %bb.3110:
	v_cmp_ne_u16_e64 s[0:1], 11, v6
	s_mov_b64 s[2:3], -1
.LBB7_3111:
	s_and_b64 vcc, exec, s[0:1]
	s_cbranch_vccnz .LBB7_3166
.LBB7_3112:
	s_mov_b64 s[0:1], 0
	s_branch .LBB7_3114
.LBB7_3113:
	s_mov_b64 s[0:1], 0
	s_mov_b64 s[2:3], 0
                                        ; implicit-def: $vgpr4_vgpr5
                                        ; implicit-def: $vgpr6
                                        ; implicit-def: $vgpr0_vgpr1
.LBB7_3114:
	s_and_b64 s[6:7], s[2:3], exec
	s_andn2_b64 s[2:3], s[12:13], exec
	s_and_b64 s[4:5], s[4:5], exec
	s_and_b64 s[0:1], s[0:1], exec
	s_or_b64 s[12:13], s[2:3], s[4:5]
.LBB7_3115:
	s_or_b64 exec, exec, s[14:15]
	s_and_saveexec_b64 s[2:3], s[12:13]
	s_cbranch_execz .LBB7_3118
; %bb.3116:
	; divergent unreachable
	s_or_b64 exec, exec, s[2:3]
	s_and_saveexec_b64 s[2:3], s[6:7]
	s_xor_b64 s[2:3], exec, s[2:3]
	s_cbranch_execnz .LBB7_3119
.LBB7_3117:
	s_or_b64 exec, exec, s[2:3]
	s_and_saveexec_b64 s[2:3], s[0:1]
	s_cbranch_execnz .LBB7_3120
	s_branch .LBB7_3157
.LBB7_3118:
	s_or_b64 exec, exec, s[2:3]
	s_and_saveexec_b64 s[2:3], s[6:7]
	s_xor_b64 s[2:3], exec, s[2:3]
	s_cbranch_execz .LBB7_3117
.LBB7_3119:
	v_mov_b32_e32 v2, 1
	s_waitcnt vmcnt(0)
	global_store_byte v[4:5], v2, off
	s_or_b64 exec, exec, s[2:3]
	s_and_saveexec_b64 s[2:3], s[0:1]
	s_cbranch_execz .LBB7_3157
.LBB7_3120:
	s_waitcnt vmcnt(0)
	v_cmp_gt_i16_e32 vcc, 5, v6
	s_mov_b64 s[0:1], -1
	s_cbranch_vccnz .LBB7_3141
; %bb.3121:
	v_cmp_gt_i16_e32 vcc, 8, v6
	s_cbranch_vccnz .LBB7_3131
; %bb.3122:
	v_cmp_gt_i16_e32 vcc, 9, v6
	s_cbranch_vccnz .LBB7_3128
; %bb.3123:
	v_cmp_lt_i16_e32 vcc, 9, v6
	s_cbranch_vccz .LBB7_3125
; %bb.3124:
	v_mov_b32_e32 v2, 0
	v_mov_b32_e32 v3, v2
	global_store_dwordx4 v[4:5], v[0:3], off
	s_mov_b64 s[0:1], 0
.LBB7_3125:
	s_andn2_b64 vcc, exec, s[0:1]
	s_cbranch_vccnz .LBB7_3127
; %bb.3126:
	v_cvt_f32_f64_e32 v2, v[0:1]
	v_mov_b32_e32 v3, 0
	global_store_dwordx2 v[4:5], v[2:3], off
.LBB7_3127:
	s_mov_b64 s[0:1], 0
.LBB7_3128:
	s_andn2_b64 vcc, exec, s[0:1]
	s_cbranch_vccnz .LBB7_3130
; %bb.3129:
	v_cvt_f32_f64_e32 v2, v[0:1]
	v_cvt_f16_f32_e32 v2, v2
	global_store_dword v[4:5], v2, off
.LBB7_3130:
	s_mov_b64 s[0:1], 0
.LBB7_3131:
	s_andn2_b64 vcc, exec, s[0:1]
	s_cbranch_vccnz .LBB7_3140
; %bb.3132:
	v_cmp_gt_i16_e32 vcc, 6, v6
	s_mov_b64 s[0:1], -1
	s_cbranch_vccnz .LBB7_3138
; %bb.3133:
	v_cmp_lt_i16_e32 vcc, 6, v6
	s_cbranch_vccz .LBB7_3135
; %bb.3134:
	global_store_dwordx2 v[4:5], v[0:1], off
	s_mov_b64 s[0:1], 0
.LBB7_3135:
	s_andn2_b64 vcc, exec, s[0:1]
	s_cbranch_vccnz .LBB7_3137
; %bb.3136:
	v_cvt_f32_f64_e32 v2, v[0:1]
	global_store_dword v[4:5], v2, off
.LBB7_3137:
	s_mov_b64 s[0:1], 0
.LBB7_3138:
	s_andn2_b64 vcc, exec, s[0:1]
	s_cbranch_vccnz .LBB7_3140
; %bb.3139:
	v_cvt_f32_f64_e32 v2, v[0:1]
	v_cvt_f16_f32_e32 v2, v2
	global_store_short v[4:5], v2, off
.LBB7_3140:
	s_mov_b64 s[0:1], 0
.LBB7_3141:
	s_andn2_b64 vcc, exec, s[0:1]
	s_cbranch_vccnz .LBB7_3157
; %bb.3142:
	v_cmp_gt_i16_e32 vcc, 2, v6
	s_mov_b64 s[0:1], -1
	s_cbranch_vccnz .LBB7_3152
; %bb.3143:
	v_cmp_gt_i16_e32 vcc, 3, v6
	s_cbranch_vccnz .LBB7_3149
; %bb.3144:
	v_cmp_lt_i16_e32 vcc, 3, v6
	s_cbranch_vccz .LBB7_3146
; %bb.3145:
	v_trunc_f64_e32 v[2:3], v[0:1]
	s_movk_i32 s0, 0xffe0
	v_ldexp_f64 v[8:9], v[2:3], s0
	v_floor_f64_e32 v[8:9], v[8:9]
	v_fmac_f64_e32 v[2:3], 0xc1f00000, v[8:9]
	v_cvt_i32_f64_e32 v11, v[8:9]
	v_cvt_u32_f64_e32 v10, v[2:3]
	global_store_dwordx2 v[4:5], v[10:11], off
	s_mov_b64 s[0:1], 0
.LBB7_3146:
	s_andn2_b64 vcc, exec, s[0:1]
	s_cbranch_vccnz .LBB7_3148
; %bb.3147:
	v_cvt_i32_f64_e32 v2, v[0:1]
	global_store_dword v[4:5], v2, off
.LBB7_3148:
	s_mov_b64 s[0:1], 0
.LBB7_3149:
	s_andn2_b64 vcc, exec, s[0:1]
	s_cbranch_vccnz .LBB7_3151
; %bb.3150:
	v_cvt_i32_f64_e32 v2, v[0:1]
	global_store_short v[4:5], v2, off
.LBB7_3151:
	s_mov_b64 s[0:1], 0
.LBB7_3152:
	s_andn2_b64 vcc, exec, s[0:1]
	s_cbranch_vccnz .LBB7_3157
; %bb.3153:
	v_cmp_lt_i16_e32 vcc, 0, v6
	s_mov_b64 s[0:1], -1
	s_cbranch_vccz .LBB7_3155
; %bb.3154:
	v_cvt_i32_f64_e32 v2, v[0:1]
	global_store_byte v[4:5], v2, off
	s_mov_b64 s[0:1], 0
.LBB7_3155:
	s_andn2_b64 vcc, exec, s[0:1]
	s_cbranch_vccnz .LBB7_3157
; %bb.3156:
	v_trunc_f64_e32 v[0:1], v[0:1]
	s_movk_i32 s0, 0xffe0
	v_ldexp_f64 v[2:3], v[0:1], s0
	v_floor_f64_e32 v[2:3], v[2:3]
	v_fmac_f64_e32 v[0:1], 0xc1f00000, v[2:3]
	v_cvt_u32_f64_e32 v0, v[0:1]
	global_store_byte v[4:5], v0, off
	s_endpgm
.LBB7_3157:
	s_endpgm
.LBB7_3158:
	s_mov_b64 s[2:3], 0
	s_mov_b64 s[0:1], -1
	s_branch .LBB7_3114
.LBB7_3159:
	s_or_saveexec_b64 s[16:17], s[16:17]
                                        ; implicit-def: $sgpr19
	s_xor_b64 exec, exec, s[16:17]
	s_cbranch_execz .LBB7_2947
.LBB7_3160:
	s_mov_b32 s19, 0x46000000
	v_add_f32_e64 v3, |v2|, s19
	v_and_b32_e32 v3, 0xff, v3
	v_cmp_ne_u32_e32 vcc, 0, v3
	s_andn2_b64 s[10:11], s[10:11], exec
	s_and_b64 s[20:21], vcc, exec
	s_mov_b32 s19, 0
	s_or_b64 s[10:11], s[10:11], s[20:21]
	s_or_b64 exec, exec, s[16:17]
	v_mov_b32_e32 v5, s19
	s_and_saveexec_b64 s[16:17], s[10:11]
	s_cbranch_execnz .LBB7_2948
	s_branch .LBB7_2949
.LBB7_3161:
	s_trap 2
	s_or_b64 s[4:5], s[4:5], exec
	s_cbranch_execz .LBB7_2995
	s_branch .LBB7_2996
.LBB7_3162:
	s_or_saveexec_b64 s[10:11], s[10:11]
                                        ; implicit-def: $sgpr16
	s_xor_b64 exec, exec, s[10:11]
	s_cbranch_execz .LBB7_2960
.LBB7_3163:
	s_mov_b32 s16, 0x42800000
	v_add_f32_e64 v3, |v2|, s16
	v_and_b32_e32 v3, 0xff, v3
	v_cmp_ne_u32_e32 vcc, 0, v3
	s_andn2_b64 s[6:7], s[6:7], exec
	s_and_b64 s[20:21], vcc, exec
	s_mov_b32 s16, 0
	s_or_b64 s[6:7], s[6:7], s[20:21]
	s_or_b64 exec, exec, s[10:11]
	v_mov_b32_e32 v5, s16
	s_and_saveexec_b64 s[10:11], s[6:7]
	s_cbranch_execnz .LBB7_2961
	s_branch .LBB7_2962
.LBB7_3164:
	s_or_saveexec_b64 s[10:11], s[10:11]
                                        ; implicit-def: $sgpr16
	s_xor_b64 exec, exec, s[10:11]
	s_cbranch_execz .LBB7_3066
.LBB7_3165:
	s_mov_b32 s16, 0x46000000
	v_add_f32_e64 v3, |v2|, s16
	v_and_b32_e32 v3, 0xff, v3
	v_cmp_ne_u32_e32 vcc, 0, v3
	s_andn2_b64 s[8:9], s[8:9], exec
	s_and_b64 s[18:19], vcc, exec
	s_mov_b32 s16, 0
	s_or_b64 s[8:9], s[8:9], s[18:19]
	s_or_b64 exec, exec, s[10:11]
	v_mov_b32_e32 v7, s16
	s_and_saveexec_b64 s[10:11], s[8:9]
	s_cbranch_execnz .LBB7_3067
	s_branch .LBB7_3068
.LBB7_3166:
	s_mov_b64 s[2:3], 0
	s_or_b64 s[4:5], s[4:5], exec
	s_trap 2
	s_branch .LBB7_3112
.LBB7_3167:
	s_or_saveexec_b64 s[8:9], s[8:9]
                                        ; implicit-def: $sgpr10
	s_xor_b64 exec, exec, s[8:9]
	s_cbranch_execz .LBB7_3078
.LBB7_3168:
	s_mov_b32 s10, 0x42800000
	v_add_f32_e64 v3, |v2|, s10
	v_and_b32_e32 v3, 0xff, v3
	v_cmp_ne_u32_e32 vcc, 0, v3
	s_andn2_b64 s[6:7], s[6:7], exec
	s_and_b64 s[16:17], vcc, exec
	s_mov_b32 s10, 0
	s_or_b64 s[6:7], s[6:7], s[16:17]
	s_or_b64 exec, exec, s[8:9]
	v_mov_b32_e32 v7, s10
	s_and_saveexec_b64 s[8:9], s[6:7]
	s_cbranch_execnz .LBB7_3079
	s_branch .LBB7_3080
	.section	.rodata,"a",@progbits
	.p2align	6, 0x0
	.amdhsa_kernel _ZN2at6native32elementwise_kernel_manual_unrollILi128ELi4EZNS0_15gpu_kernel_implIZZZNS0_23launch_dirichlet_kernelERNS_18TensorIteratorBaseEENKUlvE_clEvENKUlvE_clEvEUlddE_EEvS4_RKT_EUlibE0_EEviT1_
		.amdhsa_group_segment_fixed_size 0
		.amdhsa_private_segment_fixed_size 0
		.amdhsa_kernarg_size 432
		.amdhsa_user_sgpr_count 6
		.amdhsa_user_sgpr_private_segment_buffer 1
		.amdhsa_user_sgpr_dispatch_ptr 0
		.amdhsa_user_sgpr_queue_ptr 0
		.amdhsa_user_sgpr_kernarg_segment_ptr 1
		.amdhsa_user_sgpr_dispatch_id 0
		.amdhsa_user_sgpr_flat_scratch_init 0
		.amdhsa_user_sgpr_kernarg_preload_length 0
		.amdhsa_user_sgpr_kernarg_preload_offset 0
		.amdhsa_user_sgpr_private_segment_size 0
		.amdhsa_uses_dynamic_stack 0
		.amdhsa_system_sgpr_private_segment_wavefront_offset 0
		.amdhsa_system_sgpr_workgroup_id_x 1
		.amdhsa_system_sgpr_workgroup_id_y 0
		.amdhsa_system_sgpr_workgroup_id_z 0
		.amdhsa_system_sgpr_workgroup_info 0
		.amdhsa_system_vgpr_workitem_id 0
		.amdhsa_next_free_vgpr 32
		.amdhsa_next_free_sgpr 78
		.amdhsa_accum_offset 32
		.amdhsa_reserve_vcc 1
		.amdhsa_reserve_flat_scratch 0
		.amdhsa_float_round_mode_32 0
		.amdhsa_float_round_mode_16_64 0
		.amdhsa_float_denorm_mode_32 3
		.amdhsa_float_denorm_mode_16_64 3
		.amdhsa_dx10_clamp 1
		.amdhsa_ieee_mode 1
		.amdhsa_fp16_overflow 0
		.amdhsa_tg_split 0
		.amdhsa_exception_fp_ieee_invalid_op 0
		.amdhsa_exception_fp_denorm_src 0
		.amdhsa_exception_fp_ieee_div_zero 0
		.amdhsa_exception_fp_ieee_overflow 0
		.amdhsa_exception_fp_ieee_underflow 0
		.amdhsa_exception_fp_ieee_inexact 0
		.amdhsa_exception_int_div_zero 0
	.end_amdhsa_kernel
	.section	.text._ZN2at6native32elementwise_kernel_manual_unrollILi128ELi4EZNS0_15gpu_kernel_implIZZZNS0_23launch_dirichlet_kernelERNS_18TensorIteratorBaseEENKUlvE_clEvENKUlvE_clEvEUlddE_EEvS4_RKT_EUlibE0_EEviT1_,"axG",@progbits,_ZN2at6native32elementwise_kernel_manual_unrollILi128ELi4EZNS0_15gpu_kernel_implIZZZNS0_23launch_dirichlet_kernelERNS_18TensorIteratorBaseEENKUlvE_clEvENKUlvE_clEvEUlddE_EEvS4_RKT_EUlibE0_EEviT1_,comdat
.Lfunc_end7:
	.size	_ZN2at6native32elementwise_kernel_manual_unrollILi128ELi4EZNS0_15gpu_kernel_implIZZZNS0_23launch_dirichlet_kernelERNS_18TensorIteratorBaseEENKUlvE_clEvENKUlvE_clEvEUlddE_EEvS4_RKT_EUlibE0_EEviT1_, .Lfunc_end7-_ZN2at6native32elementwise_kernel_manual_unrollILi128ELi4EZNS0_15gpu_kernel_implIZZZNS0_23launch_dirichlet_kernelERNS_18TensorIteratorBaseEENKUlvE_clEvENKUlvE_clEvEUlddE_EEvS4_RKT_EUlibE0_EEviT1_
                                        ; -- End function
	.section	.AMDGPU.csdata,"",@progbits
; Kernel info:
; codeLenInByte = 58792
; NumSgprs: 82
; NumVgprs: 32
; NumAgprs: 0
; TotalNumVgprs: 32
; ScratchSize: 0
; MemoryBound: 1
; FloatMode: 240
; IeeeMode: 1
; LDSByteSize: 0 bytes/workgroup (compile time only)
; SGPRBlocks: 10
; VGPRBlocks: 3
; NumSGPRsForWavesPerEU: 82
; NumVGPRsForWavesPerEU: 32
; AccumOffset: 32
; Occupancy: 8
; WaveLimiterHint : 1
; COMPUTE_PGM_RSRC2:SCRATCH_EN: 0
; COMPUTE_PGM_RSRC2:USER_SGPR: 6
; COMPUTE_PGM_RSRC2:TRAP_HANDLER: 0
; COMPUTE_PGM_RSRC2:TGID_X_EN: 1
; COMPUTE_PGM_RSRC2:TGID_Y_EN: 0
; COMPUTE_PGM_RSRC2:TGID_Z_EN: 0
; COMPUTE_PGM_RSRC2:TIDIG_COMP_CNT: 0
; COMPUTE_PGM_RSRC3_GFX90A:ACCUM_OFFSET: 7
; COMPUTE_PGM_RSRC3_GFX90A:TG_SPLIT: 0
	.section	.text._ZN2at6native29vectorized_elementwise_kernelILi16EZZZNS0_23launch_dirichlet_kernelERNS_18TensorIteratorBaseEENKUlvE_clEvENKUlvE0_clEvEUlffE_St5arrayIPcLm3EEEEviT0_T1_,"axG",@progbits,_ZN2at6native29vectorized_elementwise_kernelILi16EZZZNS0_23launch_dirichlet_kernelERNS_18TensorIteratorBaseEENKUlvE_clEvENKUlvE0_clEvEUlffE_St5arrayIPcLm3EEEEviT0_T1_,comdat
	.globl	_ZN2at6native29vectorized_elementwise_kernelILi16EZZZNS0_23launch_dirichlet_kernelERNS_18TensorIteratorBaseEENKUlvE_clEvENKUlvE0_clEvEUlffE_St5arrayIPcLm3EEEEviT0_T1_ ; -- Begin function _ZN2at6native29vectorized_elementwise_kernelILi16EZZZNS0_23launch_dirichlet_kernelERNS_18TensorIteratorBaseEENKUlvE_clEvENKUlvE0_clEvEUlffE_St5arrayIPcLm3EEEEviT0_T1_
	.p2align	8
	.type	_ZN2at6native29vectorized_elementwise_kernelILi16EZZZNS0_23launch_dirichlet_kernelERNS_18TensorIteratorBaseEENKUlvE_clEvENKUlvE0_clEvEUlffE_St5arrayIPcLm3EEEEviT0_T1_,@function
_ZN2at6native29vectorized_elementwise_kernelILi16EZZZNS0_23launch_dirichlet_kernelERNS_18TensorIteratorBaseEENKUlvE_clEvENKUlvE0_clEvEUlffE_St5arrayIPcLm3EEEEviT0_T1_: ; @_ZN2at6native29vectorized_elementwise_kernelILi16EZZZNS0_23launch_dirichlet_kernelERNS_18TensorIteratorBaseEENKUlvE_clEvENKUlvE0_clEvEUlffE_St5arrayIPcLm3EEEEviT0_T1_
; %bb.0:
	s_load_dword s0, s[4:5], 0x0
	s_load_dwordx4 s[8:11], s[4:5], 0x8
	s_load_dwordx2 s[12:13], s[4:5], 0x18
	s_lshl_b32 s6, s6, 10
	s_waitcnt lgkmcnt(0)
	s_sub_i32 s14, s0, s6
	s_cmpk_gt_i32 s14, 0x3ff
	s_mov_b64 s[0:1], -1
	s_cbranch_scc0 .LBB8_2
; %bb.1:
	s_ashr_i32 s7, s6, 31
	s_lshl_b64 s[0:1], s[6:7], 2
	s_add_u32 s2, s10, s0
	s_addc_u32 s3, s11, s1
	v_lshlrev_b32_e32 v1, 4, v0
	s_add_u32 s4, s12, s0
	s_addc_u32 s5, s13, s1
	global_load_dwordx4 v[2:5], v1, s[2:3]
	global_load_dwordx4 v[6:9], v1, s[4:5]
	s_add_u32 s16, s8, s0
	s_addc_u32 s17, s9, s1
	s_mov_b32 s7, 0x800000
	v_mov_b32_e32 v10, 0x800000
	s_mov_b32 s15, 0x3f7ffffe
	v_mov_b32_e32 v11, 0x3f7ffffe
	s_waitcnt vmcnt(0)
	v_div_scale_f32 v12, s[0:1], v7, v7, v3
	v_rcp_f32_e32 v20, v12
	v_div_scale_f32 v14, s[0:1], v6, v6, v2
	v_rcp_f32_e32 v21, v14
	;; [unrolled: 2-line block ×3, first 2 shown]
	v_fma_f32 v24, -v12, v20, 1.0
	v_div_scale_f32 v13, vcc, v3, v7, v3
	v_fmac_f32_e32 v20, v24, v20
	v_div_scale_f32 v18, s[4:5], v8, v8, v4
	v_fma_f32 v25, -v14, v21, 1.0
	v_mul_f32_e32 v24, v13, v20
	v_div_scale_f32 v15, s[0:1], v2, v6, v2
	v_rcp_f32_e32 v23, v18
	v_fmac_f32_e32 v21, v25, v21
	v_fma_f32 v28, -v12, v24, v13
	v_fma_f32 v26, -v16, v22, 1.0
	v_mul_f32_e32 v25, v15, v21
	v_fmac_f32_e32 v24, v28, v20
	v_div_scale_f32 v17, s[2:3], v5, v9, v5
	v_fmac_f32_e32 v22, v26, v22
	v_fma_f32 v29, -v14, v25, v15
	v_fma_f32 v12, -v12, v24, v13
	v_mul_f32_e32 v26, v17, v22
	v_fmac_f32_e32 v25, v29, v21
	v_div_fmas_f32 v12, v12, v20, v24
	v_fma_f32 v27, -v18, v23, 1.0
	v_fma_f32 v30, -v16, v26, v17
	v_fma_f32 v13, -v14, v25, v15
	v_div_fixup_f32 v3, v12, v7, v3
	s_mov_b64 vcc, s[0:1]
	v_div_scale_f32 v19, s[4:5], v4, v8, v4
	v_fmac_f32_e32 v23, v27, v23
	v_fmac_f32_e32 v26, v30, v22
	v_div_fmas_f32 v7, v13, v21, v25
	v_cmp_ngt_f32_e32 vcc, s7, v3
	v_mul_f32_e32 v27, v19, v23
	v_fma_f32 v14, -v16, v26, v17
	v_div_fixup_f32 v2, v7, v6, v2
	v_cndmask_b32_e32 v3, v10, v3, vcc
	s_mov_b64 vcc, s[2:3]
	v_fma_f32 v31, -v18, v27, v19
	v_div_fmas_f32 v6, v14, v22, v26
	v_cmp_ngt_f32_e32 vcc, s7, v2
	v_fmac_f32_e32 v27, v31, v23
	v_cndmask_b32_e32 v2, v10, v2, vcc
	v_cmp_nlt_f32_e32 vcc, s15, v3
	v_fma_f32 v15, -v18, v27, v19
	v_cndmask_b32_e32 v3, v11, v3, vcc
	s_mov_b64 vcc, s[4:5]
	v_div_fixup_f32 v5, v6, v9, v5
	v_div_fmas_f32 v6, v15, v23, v27
	v_cmp_nlt_f32_e32 vcc, s15, v2
	v_cndmask_b32_e32 v2, v11, v2, vcc
	v_div_fixup_f32 v4, v6, v8, v4
	v_cmp_ngt_f32_e32 vcc, s7, v5
	v_cndmask_b32_e32 v5, v10, v5, vcc
	v_cmp_ngt_f32_e32 vcc, s7, v4
	v_cndmask_b32_e32 v4, v10, v4, vcc
	v_cmp_nlt_f32_e32 vcc, s15, v5
	v_cndmask_b32_e32 v5, v11, v5, vcc
	v_cmp_nlt_f32_e32 vcc, s15, v4
	v_cndmask_b32_e32 v4, v11, v4, vcc
	global_store_dwordx4 v1, v[2:5], s[16:17]
	s_mov_b64 s[0:1], 0
.LBB8_2:
	s_andn2_b64 vcc, exec, s[0:1]
	s_cbranch_vccnz .LBB8_23
; %bb.3:
	v_cmp_gt_i32_e64 s[0:1], s14, v0
	v_mov_b32_e32 v1, 0
	v_or_b32_e32 v6, s6, v0
	v_mov_b32_e32 v8, 0
	v_mov_b32_e32 v9, 0
	;; [unrolled: 1-line block ×3, first 2 shown]
	s_and_saveexec_b64 s[2:3], s[0:1]
	s_cbranch_execz .LBB8_5
; %bb.4:
	v_mov_b32_e32 v7, 0
	v_lshlrev_b64 v[2:3], 2, v[6:7]
	v_mov_b32_e32 v5, s13
	v_add_co_u32_e32 v4, vcc, s12, v2
	v_addc_co_u32_e32 v5, vcc, v5, v3, vcc
	v_mov_b32_e32 v7, s11
	v_add_co_u32_e32 v2, vcc, s10, v2
	v_addc_co_u32_e32 v3, vcc, v7, v3, vcc
	global_load_dword v8, v[2:3], off
	global_load_dword v9, v[4:5], off
	v_or_b32_e32 v2, 0x100, v0
.LBB8_5:
	s_or_b64 exec, exec, s[2:3]
	v_cmp_gt_i32_e32 vcc, s14, v2
	v_mov_b32_e32 v11, 0
	s_and_saveexec_b64 s[2:3], vcc
	s_cbranch_execz .LBB8_7
; %bb.6:
	v_add_u32_e32 v4, s6, v2
	v_mov_b32_e32 v5, 0
	v_lshlrev_b64 v[4:5], 2, v[4:5]
	v_mov_b32_e32 v1, s13
	v_add_co_u32_e32 v12, vcc, s12, v4
	v_addc_co_u32_e32 v13, vcc, v1, v5, vcc
	v_mov_b32_e32 v1, s11
	v_add_co_u32_e32 v4, vcc, s10, v4
	v_addc_co_u32_e32 v5, vcc, v1, v5, vcc
	global_load_dword v1, v[4:5], off
	global_load_dword v11, v[12:13], off
	v_add_u32_e32 v2, 0x100, v2
.LBB8_7:
	s_or_b64 exec, exec, s[2:3]
	v_cmp_gt_i32_e32 vcc, s14, v2
	v_mov_b32_e32 v7, 0
	v_mov_b32_e32 v10, 0
	;; [unrolled: 1-line block ×3, first 2 shown]
	s_and_saveexec_b64 s[2:3], vcc
	s_cbranch_execz .LBB8_9
; %bb.8:
	v_add_u32_e32 v4, s6, v2
	v_mov_b32_e32 v5, 0
	v_lshlrev_b64 v[4:5], 2, v[4:5]
	v_mov_b32_e32 v3, s13
	v_add_co_u32_e32 v14, vcc, s12, v4
	v_addc_co_u32_e32 v15, vcc, v3, v5, vcc
	v_mov_b32_e32 v3, s11
	v_add_co_u32_e32 v4, vcc, s10, v4
	v_addc_co_u32_e32 v5, vcc, v3, v5, vcc
	global_load_dword v10, v[4:5], off
	global_load_dword v13, v[14:15], off
	v_add_u32_e32 v2, 0x100, v2
.LBB8_9:
	s_or_b64 exec, exec, s[2:3]
	v_cmp_gt_i32_e32 vcc, s14, v2
	v_mov_b32_e32 v12, 0
	s_and_saveexec_b64 s[2:3], vcc
	s_cbranch_execz .LBB8_11
; %bb.10:
	v_add_u32_e32 v2, s6, v2
	v_mov_b32_e32 v3, 0
	v_lshlrev_b64 v[2:3], 2, v[2:3]
	v_mov_b32_e32 v5, s13
	v_add_co_u32_e32 v4, vcc, s12, v2
	v_addc_co_u32_e32 v5, vcc, v5, v3, vcc
	v_mov_b32_e32 v7, s11
	v_add_co_u32_e32 v2, vcc, s10, v2
	v_addc_co_u32_e32 v3, vcc, v7, v3, vcc
	global_load_dword v7, v[2:3], off
	global_load_dword v12, v[4:5], off
.LBB8_11:
	s_or_b64 exec, exec, s[2:3]
                                        ; implicit-def: $vgpr2_vgpr3_vgpr4_vgpr5
	s_and_saveexec_b64 s[2:3], s[0:1]
	s_cbranch_execz .LBB8_13
; %bb.12:
	s_waitcnt vmcnt(0)
	v_div_scale_f32 v2, s[4:5], v9, v9, v8
	v_rcp_f32_e32 v3, v2
	v_div_scale_f32 v4, vcc, v8, v9, v8
	s_mov_b32 s4, 0x800000
	v_fma_f32 v5, -v2, v3, 1.0
	v_fmac_f32_e32 v3, v5, v3
	v_mul_f32_e32 v5, v4, v3
	v_fma_f32 v14, -v2, v5, v4
	v_fmac_f32_e32 v5, v14, v3
	v_fma_f32 v2, -v2, v5, v4
	v_div_fmas_f32 v2, v2, v3, v5
	v_div_fixup_f32 v2, v2, v9, v8
	v_mov_b32_e32 v3, 0x800000
	v_cmp_ngt_f32_e32 vcc, s4, v2
	v_cndmask_b32_e32 v2, v3, v2, vcc
	s_mov_b32 s4, 0x3f7ffffe
	v_mov_b32_e32 v3, 0x3f7ffffe
	v_cmp_nlt_f32_e32 vcc, s4, v2
	v_cndmask_b32_e32 v2, v3, v2, vcc
.LBB8_13:
	s_or_b64 exec, exec, s[2:3]
	s_waitcnt vmcnt(1)
	v_or_b32_e32 v8, 0x100, v0
	v_cmp_gt_i32_e32 vcc, s14, v8
	s_and_saveexec_b64 s[2:3], vcc
	s_cbranch_execz .LBB8_15
; %bb.14:
	s_waitcnt vmcnt(0)
	v_div_scale_f32 v3, s[4:5], v11, v11, v1
	v_rcp_f32_e32 v9, v3
	v_div_scale_f32 v14, vcc, v1, v11, v1
	s_mov_b32 s4, 0x800000
	v_fma_f32 v15, -v3, v9, 1.0
	v_fmac_f32_e32 v9, v15, v9
	v_mul_f32_e32 v15, v14, v9
	v_fma_f32 v16, -v3, v15, v14
	v_fmac_f32_e32 v15, v16, v9
	v_fma_f32 v3, -v3, v15, v14
	v_div_fmas_f32 v3, v3, v9, v15
	v_div_fixup_f32 v1, v3, v11, v1
	v_mov_b32_e32 v3, 0x800000
	v_cmp_ngt_f32_e32 vcc, s4, v1
	v_cndmask_b32_e32 v1, v3, v1, vcc
	s_mov_b32 s4, 0x3f7ffffe
	v_mov_b32_e32 v3, 0x3f7ffffe
	v_cmp_nlt_f32_e32 vcc, s4, v1
	v_cndmask_b32_e32 v3, v3, v1, vcc
.LBB8_15:
	s_or_b64 exec, exec, s[2:3]
	v_or_b32_e32 v1, 0x200, v0
	v_cmp_gt_i32_e32 vcc, s14, v1
	s_and_saveexec_b64 s[2:3], vcc
	s_cbranch_execz .LBB8_17
; %bb.16:
	s_waitcnt vmcnt(0)
	v_div_scale_f32 v1, s[4:5], v13, v13, v10
	v_rcp_f32_e32 v4, v1
	v_div_scale_f32 v9, vcc, v10, v13, v10
	s_mov_b32 s4, 0x800000
	v_fma_f32 v11, -v1, v4, 1.0
	v_fmac_f32_e32 v4, v11, v4
	v_mul_f32_e32 v11, v9, v4
	v_fma_f32 v14, -v1, v11, v9
	v_fmac_f32_e32 v11, v14, v4
	v_fma_f32 v1, -v1, v11, v9
	v_div_fmas_f32 v1, v1, v4, v11
	v_div_fixup_f32 v1, v1, v13, v10
	v_mov_b32_e32 v4, 0x800000
	v_cmp_ngt_f32_e32 vcc, s4, v1
	v_cndmask_b32_e32 v1, v4, v1, vcc
	s_mov_b32 s4, 0x3f7ffffe
	v_mov_b32_e32 v4, 0x3f7ffffe
	v_cmp_nlt_f32_e32 vcc, s4, v1
	v_cndmask_b32_e32 v4, v4, v1, vcc
.LBB8_17:
	s_or_b64 exec, exec, s[2:3]
	v_or_b32_e32 v1, 0x300, v0
	v_cmp_gt_i32_e32 vcc, s14, v1
	s_and_saveexec_b64 s[2:3], vcc
	s_cbranch_execnz .LBB8_24
; %bb.18:
	s_or_b64 exec, exec, s[2:3]
	s_and_saveexec_b64 s[2:3], s[0:1]
	s_xor_b64 s[0:1], exec, s[2:3]
	s_cbranch_execnz .LBB8_25
.LBB8_19:
	s_or_b64 exec, exec, s[0:1]
	v_cmp_gt_i32_e32 vcc, s14, v0
	s_and_saveexec_b64 s[0:1], vcc
	s_cbranch_execnz .LBB8_26
.LBB8_20:
	s_or_b64 exec, exec, s[0:1]
	v_cmp_gt_i32_e32 vcc, s14, v0
	s_and_saveexec_b64 s[0:1], vcc
	s_cbranch_execnz .LBB8_27
.LBB8_21:
	s_or_b64 exec, exec, s[0:1]
	v_cmp_gt_i32_e32 vcc, s14, v0
	s_and_saveexec_b64 s[0:1], vcc
	s_cbranch_execz .LBB8_23
.LBB8_22:
	v_add_u32_e32 v0, s6, v0
	v_mov_b32_e32 v1, 0
	v_lshlrev_b64 v[0:1], 2, v[0:1]
	v_mov_b32_e32 v2, s9
	v_add_co_u32_e32 v0, vcc, s8, v0
	v_addc_co_u32_e32 v1, vcc, v2, v1, vcc
	global_store_dword v[0:1], v5, off
.LBB8_23:
	s_endpgm
.LBB8_24:
	s_waitcnt vmcnt(0)
	v_div_scale_f32 v1, s[4:5], v12, v12, v7
	v_rcp_f32_e32 v5, v1
	v_div_scale_f32 v9, vcc, v7, v12, v7
	s_mov_b32 s4, 0x800000
	v_fma_f32 v10, -v1, v5, 1.0
	v_fmac_f32_e32 v5, v10, v5
	v_mul_f32_e32 v10, v9, v5
	v_fma_f32 v11, -v1, v10, v9
	v_fmac_f32_e32 v10, v11, v5
	v_fma_f32 v1, -v1, v10, v9
	v_div_fmas_f32 v1, v1, v5, v10
	v_div_fixup_f32 v1, v1, v12, v7
	v_mov_b32_e32 v5, 0x800000
	v_cmp_ngt_f32_e32 vcc, s4, v1
	v_cndmask_b32_e32 v1, v5, v1, vcc
	s_mov_b32 s4, 0x3f7ffffe
	v_mov_b32_e32 v5, 0x3f7ffffe
	v_cmp_nlt_f32_e32 vcc, s4, v1
	v_cndmask_b32_e32 v5, v5, v1, vcc
	s_or_b64 exec, exec, s[2:3]
	s_and_saveexec_b64 s[2:3], s[0:1]
	s_xor_b64 s[0:1], exec, s[2:3]
	s_cbranch_execz .LBB8_19
.LBB8_25:
	v_mov_b32_e32 v7, 0
	v_lshlrev_b64 v[0:1], 2, v[6:7]
	v_mov_b32_e32 v6, s9
	v_add_co_u32_e32 v0, vcc, s8, v0
	v_addc_co_u32_e32 v1, vcc, v6, v1, vcc
	global_store_dword v[0:1], v2, off
	v_mov_b32_e32 v0, v8
	s_or_b64 exec, exec, s[0:1]
	v_cmp_gt_i32_e32 vcc, s14, v0
	s_and_saveexec_b64 s[0:1], vcc
	s_cbranch_execz .LBB8_20
.LBB8_26:
	v_add_u32_e32 v6, s6, v0
	v_mov_b32_e32 v7, 0
	v_lshlrev_b64 v[6:7], 2, v[6:7]
	v_mov_b32_e32 v1, s9
	v_add_co_u32_e32 v6, vcc, s8, v6
	v_addc_co_u32_e32 v7, vcc, v1, v7, vcc
	v_add_u32_e32 v0, 0x100, v0
	global_store_dword v[6:7], v3, off
	s_or_b64 exec, exec, s[0:1]
	v_cmp_gt_i32_e32 vcc, s14, v0
	s_and_saveexec_b64 s[0:1], vcc
	s_cbranch_execz .LBB8_21
.LBB8_27:
	v_add_u32_e32 v2, s6, v0
	v_mov_b32_e32 v3, 0
	v_lshlrev_b64 v[2:3], 2, v[2:3]
	v_mov_b32_e32 v1, s9
	v_add_co_u32_e32 v2, vcc, s8, v2
	v_addc_co_u32_e32 v3, vcc, v1, v3, vcc
	v_add_u32_e32 v0, 0x100, v0
	global_store_dword v[2:3], v4, off
	s_or_b64 exec, exec, s[0:1]
	v_cmp_gt_i32_e32 vcc, s14, v0
	s_and_saveexec_b64 s[0:1], vcc
	s_cbranch_execnz .LBB8_22
	s_branch .LBB8_23
	.section	.rodata,"a",@progbits
	.p2align	6, 0x0
	.amdhsa_kernel _ZN2at6native29vectorized_elementwise_kernelILi16EZZZNS0_23launch_dirichlet_kernelERNS_18TensorIteratorBaseEENKUlvE_clEvENKUlvE0_clEvEUlffE_St5arrayIPcLm3EEEEviT0_T1_
		.amdhsa_group_segment_fixed_size 0
		.amdhsa_private_segment_fixed_size 0
		.amdhsa_kernarg_size 32
		.amdhsa_user_sgpr_count 6
		.amdhsa_user_sgpr_private_segment_buffer 1
		.amdhsa_user_sgpr_dispatch_ptr 0
		.amdhsa_user_sgpr_queue_ptr 0
		.amdhsa_user_sgpr_kernarg_segment_ptr 1
		.amdhsa_user_sgpr_dispatch_id 0
		.amdhsa_user_sgpr_flat_scratch_init 0
		.amdhsa_user_sgpr_kernarg_preload_length 0
		.amdhsa_user_sgpr_kernarg_preload_offset 0
		.amdhsa_user_sgpr_private_segment_size 0
		.amdhsa_uses_dynamic_stack 0
		.amdhsa_system_sgpr_private_segment_wavefront_offset 0
		.amdhsa_system_sgpr_workgroup_id_x 1
		.amdhsa_system_sgpr_workgroup_id_y 0
		.amdhsa_system_sgpr_workgroup_id_z 0
		.amdhsa_system_sgpr_workgroup_info 0
		.amdhsa_system_vgpr_workitem_id 0
		.amdhsa_next_free_vgpr 32
		.amdhsa_next_free_sgpr 18
		.amdhsa_accum_offset 32
		.amdhsa_reserve_vcc 1
		.amdhsa_reserve_flat_scratch 0
		.amdhsa_float_round_mode_32 0
		.amdhsa_float_round_mode_16_64 0
		.amdhsa_float_denorm_mode_32 3
		.amdhsa_float_denorm_mode_16_64 3
		.amdhsa_dx10_clamp 1
		.amdhsa_ieee_mode 1
		.amdhsa_fp16_overflow 0
		.amdhsa_tg_split 0
		.amdhsa_exception_fp_ieee_invalid_op 0
		.amdhsa_exception_fp_denorm_src 0
		.amdhsa_exception_fp_ieee_div_zero 0
		.amdhsa_exception_fp_ieee_overflow 0
		.amdhsa_exception_fp_ieee_underflow 0
		.amdhsa_exception_fp_ieee_inexact 0
		.amdhsa_exception_int_div_zero 0
	.end_amdhsa_kernel
	.section	.text._ZN2at6native29vectorized_elementwise_kernelILi16EZZZNS0_23launch_dirichlet_kernelERNS_18TensorIteratorBaseEENKUlvE_clEvENKUlvE0_clEvEUlffE_St5arrayIPcLm3EEEEviT0_T1_,"axG",@progbits,_ZN2at6native29vectorized_elementwise_kernelILi16EZZZNS0_23launch_dirichlet_kernelERNS_18TensorIteratorBaseEENKUlvE_clEvENKUlvE0_clEvEUlffE_St5arrayIPcLm3EEEEviT0_T1_,comdat
.Lfunc_end8:
	.size	_ZN2at6native29vectorized_elementwise_kernelILi16EZZZNS0_23launch_dirichlet_kernelERNS_18TensorIteratorBaseEENKUlvE_clEvENKUlvE0_clEvEUlffE_St5arrayIPcLm3EEEEviT0_T1_, .Lfunc_end8-_ZN2at6native29vectorized_elementwise_kernelILi16EZZZNS0_23launch_dirichlet_kernelERNS_18TensorIteratorBaseEENKUlvE_clEvENKUlvE0_clEvEUlffE_St5arrayIPcLm3EEEEviT0_T1_
                                        ; -- End function
	.section	.AMDGPU.csdata,"",@progbits
; Kernel info:
; codeLenInByte = 1748
; NumSgprs: 22
; NumVgprs: 32
; NumAgprs: 0
; TotalNumVgprs: 32
; ScratchSize: 0
; MemoryBound: 0
; FloatMode: 240
; IeeeMode: 1
; LDSByteSize: 0 bytes/workgroup (compile time only)
; SGPRBlocks: 2
; VGPRBlocks: 3
; NumSGPRsForWavesPerEU: 22
; NumVGPRsForWavesPerEU: 32
; AccumOffset: 32
; Occupancy: 8
; WaveLimiterHint : 0
; COMPUTE_PGM_RSRC2:SCRATCH_EN: 0
; COMPUTE_PGM_RSRC2:USER_SGPR: 6
; COMPUTE_PGM_RSRC2:TRAP_HANDLER: 0
; COMPUTE_PGM_RSRC2:TGID_X_EN: 1
; COMPUTE_PGM_RSRC2:TGID_Y_EN: 0
; COMPUTE_PGM_RSRC2:TGID_Z_EN: 0
; COMPUTE_PGM_RSRC2:TIDIG_COMP_CNT: 0
; COMPUTE_PGM_RSRC3_GFX90A:ACCUM_OFFSET: 7
; COMPUTE_PGM_RSRC3_GFX90A:TG_SPLIT: 0
	.section	.text._ZN2at6native29vectorized_elementwise_kernelILi8EZZZNS0_23launch_dirichlet_kernelERNS_18TensorIteratorBaseEENKUlvE_clEvENKUlvE0_clEvEUlffE_St5arrayIPcLm3EEEEviT0_T1_,"axG",@progbits,_ZN2at6native29vectorized_elementwise_kernelILi8EZZZNS0_23launch_dirichlet_kernelERNS_18TensorIteratorBaseEENKUlvE_clEvENKUlvE0_clEvEUlffE_St5arrayIPcLm3EEEEviT0_T1_,comdat
	.globl	_ZN2at6native29vectorized_elementwise_kernelILi8EZZZNS0_23launch_dirichlet_kernelERNS_18TensorIteratorBaseEENKUlvE_clEvENKUlvE0_clEvEUlffE_St5arrayIPcLm3EEEEviT0_T1_ ; -- Begin function _ZN2at6native29vectorized_elementwise_kernelILi8EZZZNS0_23launch_dirichlet_kernelERNS_18TensorIteratorBaseEENKUlvE_clEvENKUlvE0_clEvEUlffE_St5arrayIPcLm3EEEEviT0_T1_
	.p2align	8
	.type	_ZN2at6native29vectorized_elementwise_kernelILi8EZZZNS0_23launch_dirichlet_kernelERNS_18TensorIteratorBaseEENKUlvE_clEvENKUlvE0_clEvEUlffE_St5arrayIPcLm3EEEEviT0_T1_,@function
_ZN2at6native29vectorized_elementwise_kernelILi8EZZZNS0_23launch_dirichlet_kernelERNS_18TensorIteratorBaseEENKUlvE_clEvENKUlvE0_clEvEUlffE_St5arrayIPcLm3EEEEviT0_T1_: ; @_ZN2at6native29vectorized_elementwise_kernelILi8EZZZNS0_23launch_dirichlet_kernelERNS_18TensorIteratorBaseEENKUlvE_clEvENKUlvE0_clEvEUlffE_St5arrayIPcLm3EEEEviT0_T1_
; %bb.0:
	s_load_dword s0, s[4:5], 0x0
	s_load_dwordx4 s[8:11], s[4:5], 0x8
	s_load_dwordx2 s[12:13], s[4:5], 0x18
	s_lshl_b32 s6, s6, 10
	s_waitcnt lgkmcnt(0)
	s_sub_i32 s14, s0, s6
	s_cmpk_gt_i32 s14, 0x3ff
	s_mov_b64 s[0:1], -1
	s_cbranch_scc0 .LBB9_2
; %bb.1:
	s_ashr_i32 s7, s6, 31
	s_lshl_b64 s[0:1], s[6:7], 2
	s_add_u32 s2, s10, s0
	s_addc_u32 s3, s11, s1
	v_lshlrev_b32_e32 v1, 4, v0
	s_add_u32 s4, s12, s0
	s_addc_u32 s5, s13, s1
	global_load_dwordx4 v[2:5], v1, s[2:3]
	global_load_dwordx4 v[6:9], v1, s[4:5]
	s_add_u32 s16, s8, s0
	s_addc_u32 s17, s9, s1
	s_mov_b32 s7, 0x800000
	v_mov_b32_e32 v10, 0x800000
	s_mov_b32 s15, 0x3f7ffffe
	v_mov_b32_e32 v11, 0x3f7ffffe
	s_waitcnt vmcnt(0)
	v_div_scale_f32 v12, s[0:1], v7, v7, v3
	v_rcp_f32_e32 v20, v12
	v_div_scale_f32 v14, s[0:1], v6, v6, v2
	v_rcp_f32_e32 v21, v14
	;; [unrolled: 2-line block ×3, first 2 shown]
	v_fma_f32 v24, -v12, v20, 1.0
	v_div_scale_f32 v13, vcc, v3, v7, v3
	v_fmac_f32_e32 v20, v24, v20
	v_div_scale_f32 v18, s[4:5], v8, v8, v4
	v_fma_f32 v25, -v14, v21, 1.0
	v_mul_f32_e32 v24, v13, v20
	v_div_scale_f32 v15, s[0:1], v2, v6, v2
	v_rcp_f32_e32 v23, v18
	v_fmac_f32_e32 v21, v25, v21
	v_fma_f32 v28, -v12, v24, v13
	v_fma_f32 v26, -v16, v22, 1.0
	v_mul_f32_e32 v25, v15, v21
	v_fmac_f32_e32 v24, v28, v20
	v_div_scale_f32 v17, s[2:3], v5, v9, v5
	v_fmac_f32_e32 v22, v26, v22
	v_fma_f32 v29, -v14, v25, v15
	v_fma_f32 v12, -v12, v24, v13
	v_mul_f32_e32 v26, v17, v22
	v_fmac_f32_e32 v25, v29, v21
	v_div_fmas_f32 v12, v12, v20, v24
	v_fma_f32 v27, -v18, v23, 1.0
	v_fma_f32 v30, -v16, v26, v17
	v_fma_f32 v13, -v14, v25, v15
	v_div_fixup_f32 v3, v12, v7, v3
	s_mov_b64 vcc, s[0:1]
	v_div_scale_f32 v19, s[4:5], v4, v8, v4
	v_fmac_f32_e32 v23, v27, v23
	v_fmac_f32_e32 v26, v30, v22
	v_div_fmas_f32 v7, v13, v21, v25
	v_cmp_ngt_f32_e32 vcc, s7, v3
	v_mul_f32_e32 v27, v19, v23
	v_fma_f32 v14, -v16, v26, v17
	v_div_fixup_f32 v2, v7, v6, v2
	v_cndmask_b32_e32 v3, v10, v3, vcc
	s_mov_b64 vcc, s[2:3]
	v_fma_f32 v31, -v18, v27, v19
	v_div_fmas_f32 v6, v14, v22, v26
	v_cmp_ngt_f32_e32 vcc, s7, v2
	v_fmac_f32_e32 v27, v31, v23
	v_cndmask_b32_e32 v2, v10, v2, vcc
	v_cmp_nlt_f32_e32 vcc, s15, v3
	v_fma_f32 v15, -v18, v27, v19
	v_cndmask_b32_e32 v3, v11, v3, vcc
	s_mov_b64 vcc, s[4:5]
	v_div_fixup_f32 v5, v6, v9, v5
	v_div_fmas_f32 v6, v15, v23, v27
	v_cmp_nlt_f32_e32 vcc, s15, v2
	v_cndmask_b32_e32 v2, v11, v2, vcc
	v_div_fixup_f32 v4, v6, v8, v4
	v_cmp_ngt_f32_e32 vcc, s7, v5
	v_cndmask_b32_e32 v5, v10, v5, vcc
	v_cmp_ngt_f32_e32 vcc, s7, v4
	v_cndmask_b32_e32 v4, v10, v4, vcc
	v_cmp_nlt_f32_e32 vcc, s15, v5
	v_cndmask_b32_e32 v5, v11, v5, vcc
	v_cmp_nlt_f32_e32 vcc, s15, v4
	v_cndmask_b32_e32 v4, v11, v4, vcc
	global_store_dwordx4 v1, v[2:5], s[16:17]
	s_mov_b64 s[0:1], 0
.LBB9_2:
	s_andn2_b64 vcc, exec, s[0:1]
	s_cbranch_vccnz .LBB9_23
; %bb.3:
	v_cmp_gt_i32_e64 s[0:1], s14, v0
	v_mov_b32_e32 v1, 0
	v_or_b32_e32 v6, s6, v0
	v_mov_b32_e32 v8, 0
	v_mov_b32_e32 v9, 0
	;; [unrolled: 1-line block ×3, first 2 shown]
	s_and_saveexec_b64 s[2:3], s[0:1]
	s_cbranch_execz .LBB9_5
; %bb.4:
	v_mov_b32_e32 v7, 0
	v_lshlrev_b64 v[2:3], 2, v[6:7]
	v_mov_b32_e32 v5, s13
	v_add_co_u32_e32 v4, vcc, s12, v2
	v_addc_co_u32_e32 v5, vcc, v5, v3, vcc
	v_mov_b32_e32 v7, s11
	v_add_co_u32_e32 v2, vcc, s10, v2
	v_addc_co_u32_e32 v3, vcc, v7, v3, vcc
	global_load_dword v8, v[2:3], off
	global_load_dword v9, v[4:5], off
	v_or_b32_e32 v2, 0x100, v0
.LBB9_5:
	s_or_b64 exec, exec, s[2:3]
	v_cmp_gt_i32_e32 vcc, s14, v2
	v_mov_b32_e32 v11, 0
	s_and_saveexec_b64 s[2:3], vcc
	s_cbranch_execz .LBB9_7
; %bb.6:
	v_add_u32_e32 v4, s6, v2
	v_mov_b32_e32 v5, 0
	v_lshlrev_b64 v[4:5], 2, v[4:5]
	v_mov_b32_e32 v1, s13
	v_add_co_u32_e32 v12, vcc, s12, v4
	v_addc_co_u32_e32 v13, vcc, v1, v5, vcc
	v_mov_b32_e32 v1, s11
	v_add_co_u32_e32 v4, vcc, s10, v4
	v_addc_co_u32_e32 v5, vcc, v1, v5, vcc
	global_load_dword v1, v[4:5], off
	global_load_dword v11, v[12:13], off
	v_add_u32_e32 v2, 0x100, v2
.LBB9_7:
	s_or_b64 exec, exec, s[2:3]
	v_cmp_gt_i32_e32 vcc, s14, v2
	v_mov_b32_e32 v7, 0
	v_mov_b32_e32 v10, 0
	;; [unrolled: 1-line block ×3, first 2 shown]
	s_and_saveexec_b64 s[2:3], vcc
	s_cbranch_execz .LBB9_9
; %bb.8:
	v_add_u32_e32 v4, s6, v2
	v_mov_b32_e32 v5, 0
	v_lshlrev_b64 v[4:5], 2, v[4:5]
	v_mov_b32_e32 v3, s13
	v_add_co_u32_e32 v14, vcc, s12, v4
	v_addc_co_u32_e32 v15, vcc, v3, v5, vcc
	v_mov_b32_e32 v3, s11
	v_add_co_u32_e32 v4, vcc, s10, v4
	v_addc_co_u32_e32 v5, vcc, v3, v5, vcc
	global_load_dword v10, v[4:5], off
	global_load_dword v13, v[14:15], off
	v_add_u32_e32 v2, 0x100, v2
.LBB9_9:
	s_or_b64 exec, exec, s[2:3]
	v_cmp_gt_i32_e32 vcc, s14, v2
	v_mov_b32_e32 v12, 0
	s_and_saveexec_b64 s[2:3], vcc
	s_cbranch_execz .LBB9_11
; %bb.10:
	v_add_u32_e32 v2, s6, v2
	v_mov_b32_e32 v3, 0
	v_lshlrev_b64 v[2:3], 2, v[2:3]
	v_mov_b32_e32 v5, s13
	v_add_co_u32_e32 v4, vcc, s12, v2
	v_addc_co_u32_e32 v5, vcc, v5, v3, vcc
	v_mov_b32_e32 v7, s11
	v_add_co_u32_e32 v2, vcc, s10, v2
	v_addc_co_u32_e32 v3, vcc, v7, v3, vcc
	global_load_dword v7, v[2:3], off
	global_load_dword v12, v[4:5], off
.LBB9_11:
	s_or_b64 exec, exec, s[2:3]
                                        ; implicit-def: $vgpr2_vgpr3_vgpr4_vgpr5
	s_and_saveexec_b64 s[2:3], s[0:1]
	s_cbranch_execz .LBB9_13
; %bb.12:
	s_waitcnt vmcnt(0)
	v_div_scale_f32 v2, s[4:5], v9, v9, v8
	v_rcp_f32_e32 v3, v2
	v_div_scale_f32 v4, vcc, v8, v9, v8
	s_mov_b32 s4, 0x800000
	v_fma_f32 v5, -v2, v3, 1.0
	v_fmac_f32_e32 v3, v5, v3
	v_mul_f32_e32 v5, v4, v3
	v_fma_f32 v14, -v2, v5, v4
	v_fmac_f32_e32 v5, v14, v3
	v_fma_f32 v2, -v2, v5, v4
	v_div_fmas_f32 v2, v2, v3, v5
	v_div_fixup_f32 v2, v2, v9, v8
	v_mov_b32_e32 v3, 0x800000
	v_cmp_ngt_f32_e32 vcc, s4, v2
	v_cndmask_b32_e32 v2, v3, v2, vcc
	s_mov_b32 s4, 0x3f7ffffe
	v_mov_b32_e32 v3, 0x3f7ffffe
	v_cmp_nlt_f32_e32 vcc, s4, v2
	v_cndmask_b32_e32 v2, v3, v2, vcc
.LBB9_13:
	s_or_b64 exec, exec, s[2:3]
	s_waitcnt vmcnt(1)
	v_or_b32_e32 v8, 0x100, v0
	v_cmp_gt_i32_e32 vcc, s14, v8
	s_and_saveexec_b64 s[2:3], vcc
	s_cbranch_execz .LBB9_15
; %bb.14:
	s_waitcnt vmcnt(0)
	v_div_scale_f32 v3, s[4:5], v11, v11, v1
	v_rcp_f32_e32 v9, v3
	v_div_scale_f32 v14, vcc, v1, v11, v1
	s_mov_b32 s4, 0x800000
	v_fma_f32 v15, -v3, v9, 1.0
	v_fmac_f32_e32 v9, v15, v9
	v_mul_f32_e32 v15, v14, v9
	v_fma_f32 v16, -v3, v15, v14
	v_fmac_f32_e32 v15, v16, v9
	v_fma_f32 v3, -v3, v15, v14
	v_div_fmas_f32 v3, v3, v9, v15
	v_div_fixup_f32 v1, v3, v11, v1
	v_mov_b32_e32 v3, 0x800000
	v_cmp_ngt_f32_e32 vcc, s4, v1
	v_cndmask_b32_e32 v1, v3, v1, vcc
	s_mov_b32 s4, 0x3f7ffffe
	v_mov_b32_e32 v3, 0x3f7ffffe
	v_cmp_nlt_f32_e32 vcc, s4, v1
	v_cndmask_b32_e32 v3, v3, v1, vcc
.LBB9_15:
	s_or_b64 exec, exec, s[2:3]
	v_or_b32_e32 v1, 0x200, v0
	v_cmp_gt_i32_e32 vcc, s14, v1
	s_and_saveexec_b64 s[2:3], vcc
	s_cbranch_execz .LBB9_17
; %bb.16:
	s_waitcnt vmcnt(0)
	v_div_scale_f32 v1, s[4:5], v13, v13, v10
	v_rcp_f32_e32 v4, v1
	v_div_scale_f32 v9, vcc, v10, v13, v10
	s_mov_b32 s4, 0x800000
	v_fma_f32 v11, -v1, v4, 1.0
	v_fmac_f32_e32 v4, v11, v4
	v_mul_f32_e32 v11, v9, v4
	v_fma_f32 v14, -v1, v11, v9
	v_fmac_f32_e32 v11, v14, v4
	v_fma_f32 v1, -v1, v11, v9
	v_div_fmas_f32 v1, v1, v4, v11
	v_div_fixup_f32 v1, v1, v13, v10
	v_mov_b32_e32 v4, 0x800000
	v_cmp_ngt_f32_e32 vcc, s4, v1
	v_cndmask_b32_e32 v1, v4, v1, vcc
	s_mov_b32 s4, 0x3f7ffffe
	v_mov_b32_e32 v4, 0x3f7ffffe
	v_cmp_nlt_f32_e32 vcc, s4, v1
	v_cndmask_b32_e32 v4, v4, v1, vcc
.LBB9_17:
	s_or_b64 exec, exec, s[2:3]
	v_or_b32_e32 v1, 0x300, v0
	v_cmp_gt_i32_e32 vcc, s14, v1
	s_and_saveexec_b64 s[2:3], vcc
	s_cbranch_execnz .LBB9_24
; %bb.18:
	s_or_b64 exec, exec, s[2:3]
	s_and_saveexec_b64 s[2:3], s[0:1]
	s_xor_b64 s[0:1], exec, s[2:3]
	s_cbranch_execnz .LBB9_25
.LBB9_19:
	s_or_b64 exec, exec, s[0:1]
	v_cmp_gt_i32_e32 vcc, s14, v0
	s_and_saveexec_b64 s[0:1], vcc
	s_cbranch_execnz .LBB9_26
.LBB9_20:
	s_or_b64 exec, exec, s[0:1]
	v_cmp_gt_i32_e32 vcc, s14, v0
	s_and_saveexec_b64 s[0:1], vcc
	s_cbranch_execnz .LBB9_27
.LBB9_21:
	s_or_b64 exec, exec, s[0:1]
	v_cmp_gt_i32_e32 vcc, s14, v0
	s_and_saveexec_b64 s[0:1], vcc
	s_cbranch_execz .LBB9_23
.LBB9_22:
	v_add_u32_e32 v0, s6, v0
	v_mov_b32_e32 v1, 0
	v_lshlrev_b64 v[0:1], 2, v[0:1]
	v_mov_b32_e32 v2, s9
	v_add_co_u32_e32 v0, vcc, s8, v0
	v_addc_co_u32_e32 v1, vcc, v2, v1, vcc
	global_store_dword v[0:1], v5, off
.LBB9_23:
	s_endpgm
.LBB9_24:
	s_waitcnt vmcnt(0)
	v_div_scale_f32 v1, s[4:5], v12, v12, v7
	v_rcp_f32_e32 v5, v1
	v_div_scale_f32 v9, vcc, v7, v12, v7
	s_mov_b32 s4, 0x800000
	v_fma_f32 v10, -v1, v5, 1.0
	v_fmac_f32_e32 v5, v10, v5
	v_mul_f32_e32 v10, v9, v5
	v_fma_f32 v11, -v1, v10, v9
	v_fmac_f32_e32 v10, v11, v5
	v_fma_f32 v1, -v1, v10, v9
	v_div_fmas_f32 v1, v1, v5, v10
	v_div_fixup_f32 v1, v1, v12, v7
	v_mov_b32_e32 v5, 0x800000
	v_cmp_ngt_f32_e32 vcc, s4, v1
	v_cndmask_b32_e32 v1, v5, v1, vcc
	s_mov_b32 s4, 0x3f7ffffe
	v_mov_b32_e32 v5, 0x3f7ffffe
	v_cmp_nlt_f32_e32 vcc, s4, v1
	v_cndmask_b32_e32 v5, v5, v1, vcc
	s_or_b64 exec, exec, s[2:3]
	s_and_saveexec_b64 s[2:3], s[0:1]
	s_xor_b64 s[0:1], exec, s[2:3]
	s_cbranch_execz .LBB9_19
.LBB9_25:
	v_mov_b32_e32 v7, 0
	v_lshlrev_b64 v[0:1], 2, v[6:7]
	v_mov_b32_e32 v6, s9
	v_add_co_u32_e32 v0, vcc, s8, v0
	v_addc_co_u32_e32 v1, vcc, v6, v1, vcc
	global_store_dword v[0:1], v2, off
	v_mov_b32_e32 v0, v8
	s_or_b64 exec, exec, s[0:1]
	v_cmp_gt_i32_e32 vcc, s14, v0
	s_and_saveexec_b64 s[0:1], vcc
	s_cbranch_execz .LBB9_20
.LBB9_26:
	v_add_u32_e32 v6, s6, v0
	v_mov_b32_e32 v7, 0
	v_lshlrev_b64 v[6:7], 2, v[6:7]
	v_mov_b32_e32 v1, s9
	v_add_co_u32_e32 v6, vcc, s8, v6
	v_addc_co_u32_e32 v7, vcc, v1, v7, vcc
	v_add_u32_e32 v0, 0x100, v0
	global_store_dword v[6:7], v3, off
	s_or_b64 exec, exec, s[0:1]
	v_cmp_gt_i32_e32 vcc, s14, v0
	s_and_saveexec_b64 s[0:1], vcc
	s_cbranch_execz .LBB9_21
.LBB9_27:
	v_add_u32_e32 v2, s6, v0
	v_mov_b32_e32 v3, 0
	v_lshlrev_b64 v[2:3], 2, v[2:3]
	v_mov_b32_e32 v1, s9
	v_add_co_u32_e32 v2, vcc, s8, v2
	v_addc_co_u32_e32 v3, vcc, v1, v3, vcc
	v_add_u32_e32 v0, 0x100, v0
	global_store_dword v[2:3], v4, off
	s_or_b64 exec, exec, s[0:1]
	v_cmp_gt_i32_e32 vcc, s14, v0
	s_and_saveexec_b64 s[0:1], vcc
	s_cbranch_execnz .LBB9_22
	s_branch .LBB9_23
	.section	.rodata,"a",@progbits
	.p2align	6, 0x0
	.amdhsa_kernel _ZN2at6native29vectorized_elementwise_kernelILi8EZZZNS0_23launch_dirichlet_kernelERNS_18TensorIteratorBaseEENKUlvE_clEvENKUlvE0_clEvEUlffE_St5arrayIPcLm3EEEEviT0_T1_
		.amdhsa_group_segment_fixed_size 0
		.amdhsa_private_segment_fixed_size 0
		.amdhsa_kernarg_size 32
		.amdhsa_user_sgpr_count 6
		.amdhsa_user_sgpr_private_segment_buffer 1
		.amdhsa_user_sgpr_dispatch_ptr 0
		.amdhsa_user_sgpr_queue_ptr 0
		.amdhsa_user_sgpr_kernarg_segment_ptr 1
		.amdhsa_user_sgpr_dispatch_id 0
		.amdhsa_user_sgpr_flat_scratch_init 0
		.amdhsa_user_sgpr_kernarg_preload_length 0
		.amdhsa_user_sgpr_kernarg_preload_offset 0
		.amdhsa_user_sgpr_private_segment_size 0
		.amdhsa_uses_dynamic_stack 0
		.amdhsa_system_sgpr_private_segment_wavefront_offset 0
		.amdhsa_system_sgpr_workgroup_id_x 1
		.amdhsa_system_sgpr_workgroup_id_y 0
		.amdhsa_system_sgpr_workgroup_id_z 0
		.amdhsa_system_sgpr_workgroup_info 0
		.amdhsa_system_vgpr_workitem_id 0
		.amdhsa_next_free_vgpr 32
		.amdhsa_next_free_sgpr 18
		.amdhsa_accum_offset 32
		.amdhsa_reserve_vcc 1
		.amdhsa_reserve_flat_scratch 0
		.amdhsa_float_round_mode_32 0
		.amdhsa_float_round_mode_16_64 0
		.amdhsa_float_denorm_mode_32 3
		.amdhsa_float_denorm_mode_16_64 3
		.amdhsa_dx10_clamp 1
		.amdhsa_ieee_mode 1
		.amdhsa_fp16_overflow 0
		.amdhsa_tg_split 0
		.amdhsa_exception_fp_ieee_invalid_op 0
		.amdhsa_exception_fp_denorm_src 0
		.amdhsa_exception_fp_ieee_div_zero 0
		.amdhsa_exception_fp_ieee_overflow 0
		.amdhsa_exception_fp_ieee_underflow 0
		.amdhsa_exception_fp_ieee_inexact 0
		.amdhsa_exception_int_div_zero 0
	.end_amdhsa_kernel
	.section	.text._ZN2at6native29vectorized_elementwise_kernelILi8EZZZNS0_23launch_dirichlet_kernelERNS_18TensorIteratorBaseEENKUlvE_clEvENKUlvE0_clEvEUlffE_St5arrayIPcLm3EEEEviT0_T1_,"axG",@progbits,_ZN2at6native29vectorized_elementwise_kernelILi8EZZZNS0_23launch_dirichlet_kernelERNS_18TensorIteratorBaseEENKUlvE_clEvENKUlvE0_clEvEUlffE_St5arrayIPcLm3EEEEviT0_T1_,comdat
.Lfunc_end9:
	.size	_ZN2at6native29vectorized_elementwise_kernelILi8EZZZNS0_23launch_dirichlet_kernelERNS_18TensorIteratorBaseEENKUlvE_clEvENKUlvE0_clEvEUlffE_St5arrayIPcLm3EEEEviT0_T1_, .Lfunc_end9-_ZN2at6native29vectorized_elementwise_kernelILi8EZZZNS0_23launch_dirichlet_kernelERNS_18TensorIteratorBaseEENKUlvE_clEvENKUlvE0_clEvEUlffE_St5arrayIPcLm3EEEEviT0_T1_
                                        ; -- End function
	.section	.AMDGPU.csdata,"",@progbits
; Kernel info:
; codeLenInByte = 1748
; NumSgprs: 22
; NumVgprs: 32
; NumAgprs: 0
; TotalNumVgprs: 32
; ScratchSize: 0
; MemoryBound: 0
; FloatMode: 240
; IeeeMode: 1
; LDSByteSize: 0 bytes/workgroup (compile time only)
; SGPRBlocks: 2
; VGPRBlocks: 3
; NumSGPRsForWavesPerEU: 22
; NumVGPRsForWavesPerEU: 32
; AccumOffset: 32
; Occupancy: 8
; WaveLimiterHint : 0
; COMPUTE_PGM_RSRC2:SCRATCH_EN: 0
; COMPUTE_PGM_RSRC2:USER_SGPR: 6
; COMPUTE_PGM_RSRC2:TRAP_HANDLER: 0
; COMPUTE_PGM_RSRC2:TGID_X_EN: 1
; COMPUTE_PGM_RSRC2:TGID_Y_EN: 0
; COMPUTE_PGM_RSRC2:TGID_Z_EN: 0
; COMPUTE_PGM_RSRC2:TIDIG_COMP_CNT: 0
; COMPUTE_PGM_RSRC3_GFX90A:ACCUM_OFFSET: 7
; COMPUTE_PGM_RSRC3_GFX90A:TG_SPLIT: 0
	.section	.text._ZN2at6native29vectorized_elementwise_kernelILi4EZZZNS0_23launch_dirichlet_kernelERNS_18TensorIteratorBaseEENKUlvE_clEvENKUlvE0_clEvEUlffE_St5arrayIPcLm3EEEEviT0_T1_,"axG",@progbits,_ZN2at6native29vectorized_elementwise_kernelILi4EZZZNS0_23launch_dirichlet_kernelERNS_18TensorIteratorBaseEENKUlvE_clEvENKUlvE0_clEvEUlffE_St5arrayIPcLm3EEEEviT0_T1_,comdat
	.globl	_ZN2at6native29vectorized_elementwise_kernelILi4EZZZNS0_23launch_dirichlet_kernelERNS_18TensorIteratorBaseEENKUlvE_clEvENKUlvE0_clEvEUlffE_St5arrayIPcLm3EEEEviT0_T1_ ; -- Begin function _ZN2at6native29vectorized_elementwise_kernelILi4EZZZNS0_23launch_dirichlet_kernelERNS_18TensorIteratorBaseEENKUlvE_clEvENKUlvE0_clEvEUlffE_St5arrayIPcLm3EEEEviT0_T1_
	.p2align	8
	.type	_ZN2at6native29vectorized_elementwise_kernelILi4EZZZNS0_23launch_dirichlet_kernelERNS_18TensorIteratorBaseEENKUlvE_clEvENKUlvE0_clEvEUlffE_St5arrayIPcLm3EEEEviT0_T1_,@function
_ZN2at6native29vectorized_elementwise_kernelILi4EZZZNS0_23launch_dirichlet_kernelERNS_18TensorIteratorBaseEENKUlvE_clEvENKUlvE0_clEvEUlffE_St5arrayIPcLm3EEEEviT0_T1_: ; @_ZN2at6native29vectorized_elementwise_kernelILi4EZZZNS0_23launch_dirichlet_kernelERNS_18TensorIteratorBaseEENKUlvE_clEvENKUlvE0_clEvEUlffE_St5arrayIPcLm3EEEEviT0_T1_
; %bb.0:
	s_load_dword s0, s[4:5], 0x0
	s_load_dwordx4 s[8:11], s[4:5], 0x8
	s_load_dwordx2 s[12:13], s[4:5], 0x18
	s_lshl_b32 s6, s6, 10
	s_waitcnt lgkmcnt(0)
	s_sub_i32 s14, s0, s6
	s_cmpk_gt_i32 s14, 0x3ff
	s_mov_b64 s[0:1], -1
	s_cbranch_scc0 .LBB10_2
; %bb.1:
	s_ashr_i32 s7, s6, 31
	s_lshl_b64 s[0:1], s[6:7], 2
	s_add_u32 s2, s10, s0
	s_addc_u32 s3, s11, s1
	v_lshlrev_b32_e32 v1, 4, v0
	s_add_u32 s4, s12, s0
	s_addc_u32 s5, s13, s1
	global_load_dwordx4 v[2:5], v1, s[2:3]
	global_load_dwordx4 v[6:9], v1, s[4:5]
	s_add_u32 s16, s8, s0
	s_addc_u32 s17, s9, s1
	s_mov_b32 s7, 0x800000
	v_mov_b32_e32 v10, 0x800000
	s_mov_b32 s15, 0x3f7ffffe
	v_mov_b32_e32 v11, 0x3f7ffffe
	s_waitcnt vmcnt(0)
	v_div_scale_f32 v12, s[0:1], v7, v7, v3
	v_rcp_f32_e32 v20, v12
	v_div_scale_f32 v14, s[0:1], v6, v6, v2
	v_rcp_f32_e32 v21, v14
	;; [unrolled: 2-line block ×3, first 2 shown]
	v_fma_f32 v24, -v12, v20, 1.0
	v_div_scale_f32 v13, vcc, v3, v7, v3
	v_fmac_f32_e32 v20, v24, v20
	v_div_scale_f32 v18, s[4:5], v8, v8, v4
	v_fma_f32 v25, -v14, v21, 1.0
	v_mul_f32_e32 v24, v13, v20
	v_div_scale_f32 v15, s[0:1], v2, v6, v2
	v_rcp_f32_e32 v23, v18
	v_fmac_f32_e32 v21, v25, v21
	v_fma_f32 v28, -v12, v24, v13
	v_fma_f32 v26, -v16, v22, 1.0
	v_mul_f32_e32 v25, v15, v21
	v_fmac_f32_e32 v24, v28, v20
	v_div_scale_f32 v17, s[2:3], v5, v9, v5
	v_fmac_f32_e32 v22, v26, v22
	v_fma_f32 v29, -v14, v25, v15
	v_fma_f32 v12, -v12, v24, v13
	v_mul_f32_e32 v26, v17, v22
	v_fmac_f32_e32 v25, v29, v21
	v_div_fmas_f32 v12, v12, v20, v24
	v_fma_f32 v27, -v18, v23, 1.0
	v_fma_f32 v30, -v16, v26, v17
	v_fma_f32 v13, -v14, v25, v15
	v_div_fixup_f32 v3, v12, v7, v3
	s_mov_b64 vcc, s[0:1]
	v_div_scale_f32 v19, s[4:5], v4, v8, v4
	v_fmac_f32_e32 v23, v27, v23
	v_fmac_f32_e32 v26, v30, v22
	v_div_fmas_f32 v7, v13, v21, v25
	v_cmp_ngt_f32_e32 vcc, s7, v3
	v_mul_f32_e32 v27, v19, v23
	v_fma_f32 v14, -v16, v26, v17
	v_div_fixup_f32 v2, v7, v6, v2
	v_cndmask_b32_e32 v3, v10, v3, vcc
	s_mov_b64 vcc, s[2:3]
	v_fma_f32 v31, -v18, v27, v19
	v_div_fmas_f32 v6, v14, v22, v26
	v_cmp_ngt_f32_e32 vcc, s7, v2
	v_fmac_f32_e32 v27, v31, v23
	v_cndmask_b32_e32 v2, v10, v2, vcc
	v_cmp_nlt_f32_e32 vcc, s15, v3
	v_fma_f32 v15, -v18, v27, v19
	v_cndmask_b32_e32 v3, v11, v3, vcc
	s_mov_b64 vcc, s[4:5]
	v_div_fixup_f32 v5, v6, v9, v5
	v_div_fmas_f32 v6, v15, v23, v27
	v_cmp_nlt_f32_e32 vcc, s15, v2
	v_cndmask_b32_e32 v2, v11, v2, vcc
	v_div_fixup_f32 v4, v6, v8, v4
	v_cmp_ngt_f32_e32 vcc, s7, v5
	v_cndmask_b32_e32 v5, v10, v5, vcc
	v_cmp_ngt_f32_e32 vcc, s7, v4
	v_cndmask_b32_e32 v4, v10, v4, vcc
	v_cmp_nlt_f32_e32 vcc, s15, v5
	v_cndmask_b32_e32 v5, v11, v5, vcc
	v_cmp_nlt_f32_e32 vcc, s15, v4
	v_cndmask_b32_e32 v4, v11, v4, vcc
	global_store_dwordx4 v1, v[2:5], s[16:17]
	s_mov_b64 s[0:1], 0
.LBB10_2:
	s_andn2_b64 vcc, exec, s[0:1]
	s_cbranch_vccnz .LBB10_23
; %bb.3:
	v_cmp_gt_i32_e64 s[0:1], s14, v0
	v_mov_b32_e32 v1, 0
	v_or_b32_e32 v6, s6, v0
	v_mov_b32_e32 v8, 0
	v_mov_b32_e32 v9, 0
	v_mov_b32_e32 v2, v0
	s_and_saveexec_b64 s[2:3], s[0:1]
	s_cbranch_execz .LBB10_5
; %bb.4:
	v_mov_b32_e32 v7, 0
	v_lshlrev_b64 v[2:3], 2, v[6:7]
	v_mov_b32_e32 v5, s13
	v_add_co_u32_e32 v4, vcc, s12, v2
	v_addc_co_u32_e32 v5, vcc, v5, v3, vcc
	v_mov_b32_e32 v7, s11
	v_add_co_u32_e32 v2, vcc, s10, v2
	v_addc_co_u32_e32 v3, vcc, v7, v3, vcc
	global_load_dword v8, v[2:3], off
	global_load_dword v9, v[4:5], off
	v_or_b32_e32 v2, 0x100, v0
.LBB10_5:
	s_or_b64 exec, exec, s[2:3]
	v_cmp_gt_i32_e32 vcc, s14, v2
	v_mov_b32_e32 v11, 0
	s_and_saveexec_b64 s[2:3], vcc
	s_cbranch_execz .LBB10_7
; %bb.6:
	v_add_u32_e32 v4, s6, v2
	v_mov_b32_e32 v5, 0
	v_lshlrev_b64 v[4:5], 2, v[4:5]
	v_mov_b32_e32 v1, s13
	v_add_co_u32_e32 v12, vcc, s12, v4
	v_addc_co_u32_e32 v13, vcc, v1, v5, vcc
	v_mov_b32_e32 v1, s11
	v_add_co_u32_e32 v4, vcc, s10, v4
	v_addc_co_u32_e32 v5, vcc, v1, v5, vcc
	global_load_dword v1, v[4:5], off
	global_load_dword v11, v[12:13], off
	v_add_u32_e32 v2, 0x100, v2
.LBB10_7:
	s_or_b64 exec, exec, s[2:3]
	v_cmp_gt_i32_e32 vcc, s14, v2
	v_mov_b32_e32 v7, 0
	v_mov_b32_e32 v10, 0
	v_mov_b32_e32 v13, 0
	s_and_saveexec_b64 s[2:3], vcc
	s_cbranch_execz .LBB10_9
; %bb.8:
	v_add_u32_e32 v4, s6, v2
	v_mov_b32_e32 v5, 0
	v_lshlrev_b64 v[4:5], 2, v[4:5]
	v_mov_b32_e32 v3, s13
	v_add_co_u32_e32 v14, vcc, s12, v4
	v_addc_co_u32_e32 v15, vcc, v3, v5, vcc
	v_mov_b32_e32 v3, s11
	v_add_co_u32_e32 v4, vcc, s10, v4
	v_addc_co_u32_e32 v5, vcc, v3, v5, vcc
	global_load_dword v10, v[4:5], off
	global_load_dword v13, v[14:15], off
	v_add_u32_e32 v2, 0x100, v2
.LBB10_9:
	s_or_b64 exec, exec, s[2:3]
	v_cmp_gt_i32_e32 vcc, s14, v2
	v_mov_b32_e32 v12, 0
	s_and_saveexec_b64 s[2:3], vcc
	s_cbranch_execz .LBB10_11
; %bb.10:
	v_add_u32_e32 v2, s6, v2
	v_mov_b32_e32 v3, 0
	v_lshlrev_b64 v[2:3], 2, v[2:3]
	v_mov_b32_e32 v5, s13
	v_add_co_u32_e32 v4, vcc, s12, v2
	v_addc_co_u32_e32 v5, vcc, v5, v3, vcc
	v_mov_b32_e32 v7, s11
	v_add_co_u32_e32 v2, vcc, s10, v2
	v_addc_co_u32_e32 v3, vcc, v7, v3, vcc
	global_load_dword v7, v[2:3], off
	global_load_dword v12, v[4:5], off
.LBB10_11:
	s_or_b64 exec, exec, s[2:3]
                                        ; implicit-def: $vgpr2_vgpr3_vgpr4_vgpr5
	s_and_saveexec_b64 s[2:3], s[0:1]
	s_cbranch_execz .LBB10_13
; %bb.12:
	s_waitcnt vmcnt(0)
	v_div_scale_f32 v2, s[4:5], v9, v9, v8
	v_rcp_f32_e32 v3, v2
	v_div_scale_f32 v4, vcc, v8, v9, v8
	s_mov_b32 s4, 0x800000
	v_fma_f32 v5, -v2, v3, 1.0
	v_fmac_f32_e32 v3, v5, v3
	v_mul_f32_e32 v5, v4, v3
	v_fma_f32 v14, -v2, v5, v4
	v_fmac_f32_e32 v5, v14, v3
	v_fma_f32 v2, -v2, v5, v4
	v_div_fmas_f32 v2, v2, v3, v5
	v_div_fixup_f32 v2, v2, v9, v8
	v_mov_b32_e32 v3, 0x800000
	v_cmp_ngt_f32_e32 vcc, s4, v2
	v_cndmask_b32_e32 v2, v3, v2, vcc
	s_mov_b32 s4, 0x3f7ffffe
	v_mov_b32_e32 v3, 0x3f7ffffe
	v_cmp_nlt_f32_e32 vcc, s4, v2
	v_cndmask_b32_e32 v2, v3, v2, vcc
.LBB10_13:
	s_or_b64 exec, exec, s[2:3]
	s_waitcnt vmcnt(1)
	v_or_b32_e32 v8, 0x100, v0
	v_cmp_gt_i32_e32 vcc, s14, v8
	s_and_saveexec_b64 s[2:3], vcc
	s_cbranch_execz .LBB10_15
; %bb.14:
	s_waitcnt vmcnt(0)
	v_div_scale_f32 v3, s[4:5], v11, v11, v1
	v_rcp_f32_e32 v9, v3
	v_div_scale_f32 v14, vcc, v1, v11, v1
	s_mov_b32 s4, 0x800000
	v_fma_f32 v15, -v3, v9, 1.0
	v_fmac_f32_e32 v9, v15, v9
	v_mul_f32_e32 v15, v14, v9
	v_fma_f32 v16, -v3, v15, v14
	v_fmac_f32_e32 v15, v16, v9
	v_fma_f32 v3, -v3, v15, v14
	v_div_fmas_f32 v3, v3, v9, v15
	v_div_fixup_f32 v1, v3, v11, v1
	v_mov_b32_e32 v3, 0x800000
	v_cmp_ngt_f32_e32 vcc, s4, v1
	v_cndmask_b32_e32 v1, v3, v1, vcc
	s_mov_b32 s4, 0x3f7ffffe
	v_mov_b32_e32 v3, 0x3f7ffffe
	v_cmp_nlt_f32_e32 vcc, s4, v1
	v_cndmask_b32_e32 v3, v3, v1, vcc
.LBB10_15:
	s_or_b64 exec, exec, s[2:3]
	v_or_b32_e32 v1, 0x200, v0
	v_cmp_gt_i32_e32 vcc, s14, v1
	s_and_saveexec_b64 s[2:3], vcc
	s_cbranch_execz .LBB10_17
; %bb.16:
	s_waitcnt vmcnt(0)
	v_div_scale_f32 v1, s[4:5], v13, v13, v10
	v_rcp_f32_e32 v4, v1
	v_div_scale_f32 v9, vcc, v10, v13, v10
	s_mov_b32 s4, 0x800000
	v_fma_f32 v11, -v1, v4, 1.0
	v_fmac_f32_e32 v4, v11, v4
	v_mul_f32_e32 v11, v9, v4
	v_fma_f32 v14, -v1, v11, v9
	v_fmac_f32_e32 v11, v14, v4
	v_fma_f32 v1, -v1, v11, v9
	v_div_fmas_f32 v1, v1, v4, v11
	v_div_fixup_f32 v1, v1, v13, v10
	v_mov_b32_e32 v4, 0x800000
	v_cmp_ngt_f32_e32 vcc, s4, v1
	v_cndmask_b32_e32 v1, v4, v1, vcc
	s_mov_b32 s4, 0x3f7ffffe
	v_mov_b32_e32 v4, 0x3f7ffffe
	v_cmp_nlt_f32_e32 vcc, s4, v1
	v_cndmask_b32_e32 v4, v4, v1, vcc
.LBB10_17:
	s_or_b64 exec, exec, s[2:3]
	v_or_b32_e32 v1, 0x300, v0
	v_cmp_gt_i32_e32 vcc, s14, v1
	s_and_saveexec_b64 s[2:3], vcc
	s_cbranch_execnz .LBB10_24
; %bb.18:
	s_or_b64 exec, exec, s[2:3]
	s_and_saveexec_b64 s[2:3], s[0:1]
	s_xor_b64 s[0:1], exec, s[2:3]
	s_cbranch_execnz .LBB10_25
.LBB10_19:
	s_or_b64 exec, exec, s[0:1]
	v_cmp_gt_i32_e32 vcc, s14, v0
	s_and_saveexec_b64 s[0:1], vcc
	s_cbranch_execnz .LBB10_26
.LBB10_20:
	s_or_b64 exec, exec, s[0:1]
	v_cmp_gt_i32_e32 vcc, s14, v0
	s_and_saveexec_b64 s[0:1], vcc
	s_cbranch_execnz .LBB10_27
.LBB10_21:
	s_or_b64 exec, exec, s[0:1]
	v_cmp_gt_i32_e32 vcc, s14, v0
	s_and_saveexec_b64 s[0:1], vcc
	s_cbranch_execz .LBB10_23
.LBB10_22:
	v_add_u32_e32 v0, s6, v0
	v_mov_b32_e32 v1, 0
	v_lshlrev_b64 v[0:1], 2, v[0:1]
	v_mov_b32_e32 v2, s9
	v_add_co_u32_e32 v0, vcc, s8, v0
	v_addc_co_u32_e32 v1, vcc, v2, v1, vcc
	global_store_dword v[0:1], v5, off
.LBB10_23:
	s_endpgm
.LBB10_24:
	s_waitcnt vmcnt(0)
	v_div_scale_f32 v1, s[4:5], v12, v12, v7
	v_rcp_f32_e32 v5, v1
	v_div_scale_f32 v9, vcc, v7, v12, v7
	s_mov_b32 s4, 0x800000
	v_fma_f32 v10, -v1, v5, 1.0
	v_fmac_f32_e32 v5, v10, v5
	v_mul_f32_e32 v10, v9, v5
	v_fma_f32 v11, -v1, v10, v9
	v_fmac_f32_e32 v10, v11, v5
	v_fma_f32 v1, -v1, v10, v9
	v_div_fmas_f32 v1, v1, v5, v10
	v_div_fixup_f32 v1, v1, v12, v7
	v_mov_b32_e32 v5, 0x800000
	v_cmp_ngt_f32_e32 vcc, s4, v1
	v_cndmask_b32_e32 v1, v5, v1, vcc
	s_mov_b32 s4, 0x3f7ffffe
	v_mov_b32_e32 v5, 0x3f7ffffe
	v_cmp_nlt_f32_e32 vcc, s4, v1
	v_cndmask_b32_e32 v5, v5, v1, vcc
	s_or_b64 exec, exec, s[2:3]
	s_and_saveexec_b64 s[2:3], s[0:1]
	s_xor_b64 s[0:1], exec, s[2:3]
	s_cbranch_execz .LBB10_19
.LBB10_25:
	v_mov_b32_e32 v7, 0
	v_lshlrev_b64 v[0:1], 2, v[6:7]
	v_mov_b32_e32 v6, s9
	v_add_co_u32_e32 v0, vcc, s8, v0
	v_addc_co_u32_e32 v1, vcc, v6, v1, vcc
	global_store_dword v[0:1], v2, off
	v_mov_b32_e32 v0, v8
	s_or_b64 exec, exec, s[0:1]
	v_cmp_gt_i32_e32 vcc, s14, v0
	s_and_saveexec_b64 s[0:1], vcc
	s_cbranch_execz .LBB10_20
.LBB10_26:
	v_add_u32_e32 v6, s6, v0
	v_mov_b32_e32 v7, 0
	v_lshlrev_b64 v[6:7], 2, v[6:7]
	v_mov_b32_e32 v1, s9
	v_add_co_u32_e32 v6, vcc, s8, v6
	v_addc_co_u32_e32 v7, vcc, v1, v7, vcc
	v_add_u32_e32 v0, 0x100, v0
	global_store_dword v[6:7], v3, off
	s_or_b64 exec, exec, s[0:1]
	v_cmp_gt_i32_e32 vcc, s14, v0
	s_and_saveexec_b64 s[0:1], vcc
	s_cbranch_execz .LBB10_21
.LBB10_27:
	v_add_u32_e32 v2, s6, v0
	v_mov_b32_e32 v3, 0
	v_lshlrev_b64 v[2:3], 2, v[2:3]
	v_mov_b32_e32 v1, s9
	v_add_co_u32_e32 v2, vcc, s8, v2
	v_addc_co_u32_e32 v3, vcc, v1, v3, vcc
	v_add_u32_e32 v0, 0x100, v0
	global_store_dword v[2:3], v4, off
	s_or_b64 exec, exec, s[0:1]
	v_cmp_gt_i32_e32 vcc, s14, v0
	s_and_saveexec_b64 s[0:1], vcc
	s_cbranch_execnz .LBB10_22
	s_branch .LBB10_23
	.section	.rodata,"a",@progbits
	.p2align	6, 0x0
	.amdhsa_kernel _ZN2at6native29vectorized_elementwise_kernelILi4EZZZNS0_23launch_dirichlet_kernelERNS_18TensorIteratorBaseEENKUlvE_clEvENKUlvE0_clEvEUlffE_St5arrayIPcLm3EEEEviT0_T1_
		.amdhsa_group_segment_fixed_size 0
		.amdhsa_private_segment_fixed_size 0
		.amdhsa_kernarg_size 32
		.amdhsa_user_sgpr_count 6
		.amdhsa_user_sgpr_private_segment_buffer 1
		.amdhsa_user_sgpr_dispatch_ptr 0
		.amdhsa_user_sgpr_queue_ptr 0
		.amdhsa_user_sgpr_kernarg_segment_ptr 1
		.amdhsa_user_sgpr_dispatch_id 0
		.amdhsa_user_sgpr_flat_scratch_init 0
		.amdhsa_user_sgpr_kernarg_preload_length 0
		.amdhsa_user_sgpr_kernarg_preload_offset 0
		.amdhsa_user_sgpr_private_segment_size 0
		.amdhsa_uses_dynamic_stack 0
		.amdhsa_system_sgpr_private_segment_wavefront_offset 0
		.amdhsa_system_sgpr_workgroup_id_x 1
		.amdhsa_system_sgpr_workgroup_id_y 0
		.amdhsa_system_sgpr_workgroup_id_z 0
		.amdhsa_system_sgpr_workgroup_info 0
		.amdhsa_system_vgpr_workitem_id 0
		.amdhsa_next_free_vgpr 32
		.amdhsa_next_free_sgpr 18
		.amdhsa_accum_offset 32
		.amdhsa_reserve_vcc 1
		.amdhsa_reserve_flat_scratch 0
		.amdhsa_float_round_mode_32 0
		.amdhsa_float_round_mode_16_64 0
		.amdhsa_float_denorm_mode_32 3
		.amdhsa_float_denorm_mode_16_64 3
		.amdhsa_dx10_clamp 1
		.amdhsa_ieee_mode 1
		.amdhsa_fp16_overflow 0
		.amdhsa_tg_split 0
		.amdhsa_exception_fp_ieee_invalid_op 0
		.amdhsa_exception_fp_denorm_src 0
		.amdhsa_exception_fp_ieee_div_zero 0
		.amdhsa_exception_fp_ieee_overflow 0
		.amdhsa_exception_fp_ieee_underflow 0
		.amdhsa_exception_fp_ieee_inexact 0
		.amdhsa_exception_int_div_zero 0
	.end_amdhsa_kernel
	.section	.text._ZN2at6native29vectorized_elementwise_kernelILi4EZZZNS0_23launch_dirichlet_kernelERNS_18TensorIteratorBaseEENKUlvE_clEvENKUlvE0_clEvEUlffE_St5arrayIPcLm3EEEEviT0_T1_,"axG",@progbits,_ZN2at6native29vectorized_elementwise_kernelILi4EZZZNS0_23launch_dirichlet_kernelERNS_18TensorIteratorBaseEENKUlvE_clEvENKUlvE0_clEvEUlffE_St5arrayIPcLm3EEEEviT0_T1_,comdat
.Lfunc_end10:
	.size	_ZN2at6native29vectorized_elementwise_kernelILi4EZZZNS0_23launch_dirichlet_kernelERNS_18TensorIteratorBaseEENKUlvE_clEvENKUlvE0_clEvEUlffE_St5arrayIPcLm3EEEEviT0_T1_, .Lfunc_end10-_ZN2at6native29vectorized_elementwise_kernelILi4EZZZNS0_23launch_dirichlet_kernelERNS_18TensorIteratorBaseEENKUlvE_clEvENKUlvE0_clEvEUlffE_St5arrayIPcLm3EEEEviT0_T1_
                                        ; -- End function
	.section	.AMDGPU.csdata,"",@progbits
; Kernel info:
; codeLenInByte = 1748
; NumSgprs: 22
; NumVgprs: 32
; NumAgprs: 0
; TotalNumVgprs: 32
; ScratchSize: 0
; MemoryBound: 0
; FloatMode: 240
; IeeeMode: 1
; LDSByteSize: 0 bytes/workgroup (compile time only)
; SGPRBlocks: 2
; VGPRBlocks: 3
; NumSGPRsForWavesPerEU: 22
; NumVGPRsForWavesPerEU: 32
; AccumOffset: 32
; Occupancy: 8
; WaveLimiterHint : 0
; COMPUTE_PGM_RSRC2:SCRATCH_EN: 0
; COMPUTE_PGM_RSRC2:USER_SGPR: 6
; COMPUTE_PGM_RSRC2:TRAP_HANDLER: 0
; COMPUTE_PGM_RSRC2:TGID_X_EN: 1
; COMPUTE_PGM_RSRC2:TGID_Y_EN: 0
; COMPUTE_PGM_RSRC2:TGID_Z_EN: 0
; COMPUTE_PGM_RSRC2:TIDIG_COMP_CNT: 0
; COMPUTE_PGM_RSRC3_GFX90A:ACCUM_OFFSET: 7
; COMPUTE_PGM_RSRC3_GFX90A:TG_SPLIT: 0
	.section	.text._ZN2at6native29vectorized_elementwise_kernelILi2EZZZNS0_23launch_dirichlet_kernelERNS_18TensorIteratorBaseEENKUlvE_clEvENKUlvE0_clEvEUlffE_St5arrayIPcLm3EEEEviT0_T1_,"axG",@progbits,_ZN2at6native29vectorized_elementwise_kernelILi2EZZZNS0_23launch_dirichlet_kernelERNS_18TensorIteratorBaseEENKUlvE_clEvENKUlvE0_clEvEUlffE_St5arrayIPcLm3EEEEviT0_T1_,comdat
	.globl	_ZN2at6native29vectorized_elementwise_kernelILi2EZZZNS0_23launch_dirichlet_kernelERNS_18TensorIteratorBaseEENKUlvE_clEvENKUlvE0_clEvEUlffE_St5arrayIPcLm3EEEEviT0_T1_ ; -- Begin function _ZN2at6native29vectorized_elementwise_kernelILi2EZZZNS0_23launch_dirichlet_kernelERNS_18TensorIteratorBaseEENKUlvE_clEvENKUlvE0_clEvEUlffE_St5arrayIPcLm3EEEEviT0_T1_
	.p2align	8
	.type	_ZN2at6native29vectorized_elementwise_kernelILi2EZZZNS0_23launch_dirichlet_kernelERNS_18TensorIteratorBaseEENKUlvE_clEvENKUlvE0_clEvEUlffE_St5arrayIPcLm3EEEEviT0_T1_,@function
_ZN2at6native29vectorized_elementwise_kernelILi2EZZZNS0_23launch_dirichlet_kernelERNS_18TensorIteratorBaseEENKUlvE_clEvENKUlvE0_clEvEUlffE_St5arrayIPcLm3EEEEviT0_T1_: ; @_ZN2at6native29vectorized_elementwise_kernelILi2EZZZNS0_23launch_dirichlet_kernelERNS_18TensorIteratorBaseEENKUlvE_clEvENKUlvE0_clEvEUlffE_St5arrayIPcLm3EEEEviT0_T1_
; %bb.0:
	s_load_dword s0, s[4:5], 0x0
	s_load_dwordx4 s[8:11], s[4:5], 0x8
	s_load_dwordx2 s[12:13], s[4:5], 0x18
	s_lshl_b32 s6, s6, 10
	s_waitcnt lgkmcnt(0)
	s_sub_i32 s14, s0, s6
	s_cmpk_gt_i32 s14, 0x3ff
	s_mov_b64 s[0:1], -1
	s_cbranch_scc0 .LBB11_2
; %bb.1:
	s_ashr_i32 s7, s6, 31
	s_lshl_b64 s[0:1], s[6:7], 2
	s_add_u32 s2, s10, s0
	s_addc_u32 s3, s11, s1
	v_lshlrev_b32_e32 v1, 3, v0
	s_add_u32 s4, s12, s0
	s_addc_u32 s5, s13, s1
	global_load_dwordx2 v[2:3], v1, s[2:3]
	global_load_dwordx2 v[4:5], v1, s[4:5]
	global_load_dwordx2 v[6:7], v1, s[4:5] offset:2048
	global_load_dwordx2 v[8:9], v1, s[2:3] offset:2048
	s_add_u32 s16, s8, s0
	s_addc_u32 s17, s9, s1
	s_mov_b32 s7, 0x800000
	v_mov_b32_e32 v10, 0x800000
	s_mov_b32 s15, 0x3f7ffffe
	v_mov_b32_e32 v11, 0x3f7ffffe
	s_waitcnt vmcnt(2)
	v_div_scale_f32 v12, s[0:1], v5, v5, v3
	v_rcp_f32_e32 v20, v12
	v_div_scale_f32 v14, s[0:1], v4, v4, v2
	v_rcp_f32_e32 v21, v14
	s_waitcnt vmcnt(0)
	v_div_scale_f32 v16, s[2:3], v7, v7, v9
	v_rcp_f32_e32 v22, v16
	v_fma_f32 v24, -v12, v20, 1.0
	v_div_scale_f32 v13, vcc, v3, v5, v3
	v_fmac_f32_e32 v20, v24, v20
	v_div_scale_f32 v18, s[4:5], v6, v6, v8
	v_fma_f32 v25, -v14, v21, 1.0
	v_mul_f32_e32 v24, v13, v20
	v_div_scale_f32 v15, s[0:1], v2, v4, v2
	v_rcp_f32_e32 v23, v18
	v_fmac_f32_e32 v21, v25, v21
	v_fma_f32 v28, -v12, v24, v13
	v_fma_f32 v26, -v16, v22, 1.0
	v_mul_f32_e32 v25, v15, v21
	v_fmac_f32_e32 v24, v28, v20
	v_div_scale_f32 v17, s[2:3], v9, v7, v9
	v_fmac_f32_e32 v22, v26, v22
	v_fma_f32 v29, -v14, v25, v15
	v_fma_f32 v12, -v12, v24, v13
	v_mul_f32_e32 v26, v17, v22
	v_fmac_f32_e32 v25, v29, v21
	v_div_fmas_f32 v12, v12, v20, v24
	v_fma_f32 v27, -v18, v23, 1.0
	v_fma_f32 v30, -v16, v26, v17
	v_fma_f32 v13, -v14, v25, v15
	v_div_fixup_f32 v3, v12, v5, v3
	s_mov_b64 vcc, s[0:1]
	v_div_scale_f32 v19, s[4:5], v8, v6, v8
	v_fmac_f32_e32 v23, v27, v23
	v_fmac_f32_e32 v26, v30, v22
	v_div_fmas_f32 v5, v13, v21, v25
	v_cmp_ngt_f32_e32 vcc, s7, v3
	v_mul_f32_e32 v27, v19, v23
	v_fma_f32 v14, -v16, v26, v17
	v_div_fixup_f32 v2, v5, v4, v2
	v_cndmask_b32_e32 v3, v10, v3, vcc
	s_mov_b64 vcc, s[2:3]
	v_fma_f32 v31, -v18, v27, v19
	v_div_fmas_f32 v4, v14, v22, v26
	v_cmp_ngt_f32_e32 vcc, s7, v2
	v_fmac_f32_e32 v27, v31, v23
	v_cndmask_b32_e32 v2, v10, v2, vcc
	v_cmp_nlt_f32_e32 vcc, s15, v3
	v_fma_f32 v15, -v18, v27, v19
	v_cndmask_b32_e32 v3, v11, v3, vcc
	s_mov_b64 vcc, s[4:5]
	v_div_fixup_f32 v4, v4, v7, v9
	v_div_fmas_f32 v5, v15, v23, v27
	v_cmp_nlt_f32_e32 vcc, s15, v2
	v_cndmask_b32_e32 v2, v11, v2, vcc
	v_div_fixup_f32 v5, v5, v6, v8
	v_cmp_ngt_f32_e32 vcc, s7, v4
	v_cndmask_b32_e32 v4, v10, v4, vcc
	v_cmp_ngt_f32_e32 vcc, s7, v5
	v_cndmask_b32_e32 v6, v10, v5, vcc
	v_cmp_nlt_f32_e32 vcc, s15, v4
	v_cndmask_b32_e32 v5, v11, v4, vcc
	v_cmp_nlt_f32_e32 vcc, s15, v6
	v_cndmask_b32_e32 v4, v11, v6, vcc
	global_store_dwordx2 v1, v[2:3], s[16:17]
	global_store_dwordx2 v1, v[4:5], s[16:17] offset:2048
	s_mov_b64 s[0:1], 0
.LBB11_2:
	s_andn2_b64 vcc, exec, s[0:1]
	s_cbranch_vccnz .LBB11_23
; %bb.3:
	v_cmp_gt_i32_e64 s[0:1], s14, v0
	v_mov_b32_e32 v1, 0
	v_or_b32_e32 v6, s6, v0
	v_mov_b32_e32 v8, 0
	v_mov_b32_e32 v9, 0
	;; [unrolled: 1-line block ×3, first 2 shown]
	s_and_saveexec_b64 s[2:3], s[0:1]
	s_cbranch_execz .LBB11_5
; %bb.4:
	v_mov_b32_e32 v7, 0
	v_lshlrev_b64 v[2:3], 2, v[6:7]
	v_mov_b32_e32 v5, s13
	v_add_co_u32_e32 v4, vcc, s12, v2
	v_addc_co_u32_e32 v5, vcc, v5, v3, vcc
	v_mov_b32_e32 v7, s11
	v_add_co_u32_e32 v2, vcc, s10, v2
	v_addc_co_u32_e32 v3, vcc, v7, v3, vcc
	global_load_dword v8, v[2:3], off
	global_load_dword v9, v[4:5], off
	v_or_b32_e32 v2, 0x100, v0
.LBB11_5:
	s_or_b64 exec, exec, s[2:3]
	v_cmp_gt_i32_e32 vcc, s14, v2
	v_mov_b32_e32 v11, 0
	s_and_saveexec_b64 s[2:3], vcc
	s_cbranch_execz .LBB11_7
; %bb.6:
	v_add_u32_e32 v4, s6, v2
	v_mov_b32_e32 v5, 0
	v_lshlrev_b64 v[4:5], 2, v[4:5]
	v_mov_b32_e32 v1, s13
	v_add_co_u32_e32 v12, vcc, s12, v4
	v_addc_co_u32_e32 v13, vcc, v1, v5, vcc
	v_mov_b32_e32 v1, s11
	v_add_co_u32_e32 v4, vcc, s10, v4
	v_addc_co_u32_e32 v5, vcc, v1, v5, vcc
	global_load_dword v1, v[4:5], off
	global_load_dword v11, v[12:13], off
	v_add_u32_e32 v2, 0x100, v2
.LBB11_7:
	s_or_b64 exec, exec, s[2:3]
	v_cmp_gt_i32_e32 vcc, s14, v2
	v_mov_b32_e32 v7, 0
	v_mov_b32_e32 v10, 0
	v_mov_b32_e32 v13, 0
	s_and_saveexec_b64 s[2:3], vcc
	s_cbranch_execz .LBB11_9
; %bb.8:
	v_add_u32_e32 v4, s6, v2
	v_mov_b32_e32 v5, 0
	v_lshlrev_b64 v[4:5], 2, v[4:5]
	v_mov_b32_e32 v3, s13
	v_add_co_u32_e32 v14, vcc, s12, v4
	v_addc_co_u32_e32 v15, vcc, v3, v5, vcc
	v_mov_b32_e32 v3, s11
	v_add_co_u32_e32 v4, vcc, s10, v4
	v_addc_co_u32_e32 v5, vcc, v3, v5, vcc
	global_load_dword v10, v[4:5], off
	global_load_dword v13, v[14:15], off
	v_add_u32_e32 v2, 0x100, v2
.LBB11_9:
	s_or_b64 exec, exec, s[2:3]
	v_cmp_gt_i32_e32 vcc, s14, v2
	v_mov_b32_e32 v12, 0
	s_and_saveexec_b64 s[2:3], vcc
	s_cbranch_execz .LBB11_11
; %bb.10:
	v_add_u32_e32 v2, s6, v2
	v_mov_b32_e32 v3, 0
	v_lshlrev_b64 v[2:3], 2, v[2:3]
	v_mov_b32_e32 v5, s13
	v_add_co_u32_e32 v4, vcc, s12, v2
	v_addc_co_u32_e32 v5, vcc, v5, v3, vcc
	v_mov_b32_e32 v7, s11
	v_add_co_u32_e32 v2, vcc, s10, v2
	v_addc_co_u32_e32 v3, vcc, v7, v3, vcc
	global_load_dword v7, v[2:3], off
	global_load_dword v12, v[4:5], off
.LBB11_11:
	s_or_b64 exec, exec, s[2:3]
                                        ; implicit-def: $vgpr2_vgpr3_vgpr4_vgpr5
	s_and_saveexec_b64 s[2:3], s[0:1]
	s_cbranch_execz .LBB11_13
; %bb.12:
	s_waitcnt vmcnt(0)
	v_div_scale_f32 v2, s[4:5], v9, v9, v8
	v_rcp_f32_e32 v3, v2
	v_div_scale_f32 v4, vcc, v8, v9, v8
	s_mov_b32 s4, 0x800000
	v_fma_f32 v5, -v2, v3, 1.0
	v_fmac_f32_e32 v3, v5, v3
	v_mul_f32_e32 v5, v4, v3
	v_fma_f32 v14, -v2, v5, v4
	v_fmac_f32_e32 v5, v14, v3
	v_fma_f32 v2, -v2, v5, v4
	v_div_fmas_f32 v2, v2, v3, v5
	v_div_fixup_f32 v2, v2, v9, v8
	v_mov_b32_e32 v3, 0x800000
	v_cmp_ngt_f32_e32 vcc, s4, v2
	v_cndmask_b32_e32 v2, v3, v2, vcc
	s_mov_b32 s4, 0x3f7ffffe
	v_mov_b32_e32 v3, 0x3f7ffffe
	v_cmp_nlt_f32_e32 vcc, s4, v2
	v_cndmask_b32_e32 v2, v3, v2, vcc
.LBB11_13:
	s_or_b64 exec, exec, s[2:3]
	s_waitcnt vmcnt(1)
	v_or_b32_e32 v8, 0x100, v0
	v_cmp_gt_i32_e32 vcc, s14, v8
	s_and_saveexec_b64 s[2:3], vcc
	s_cbranch_execz .LBB11_15
; %bb.14:
	s_waitcnt vmcnt(0)
	v_div_scale_f32 v3, s[4:5], v11, v11, v1
	v_rcp_f32_e32 v9, v3
	v_div_scale_f32 v14, vcc, v1, v11, v1
	s_mov_b32 s4, 0x800000
	v_fma_f32 v15, -v3, v9, 1.0
	v_fmac_f32_e32 v9, v15, v9
	v_mul_f32_e32 v15, v14, v9
	v_fma_f32 v16, -v3, v15, v14
	v_fmac_f32_e32 v15, v16, v9
	v_fma_f32 v3, -v3, v15, v14
	v_div_fmas_f32 v3, v3, v9, v15
	v_div_fixup_f32 v1, v3, v11, v1
	v_mov_b32_e32 v3, 0x800000
	v_cmp_ngt_f32_e32 vcc, s4, v1
	v_cndmask_b32_e32 v1, v3, v1, vcc
	s_mov_b32 s4, 0x3f7ffffe
	v_mov_b32_e32 v3, 0x3f7ffffe
	v_cmp_nlt_f32_e32 vcc, s4, v1
	v_cndmask_b32_e32 v3, v3, v1, vcc
.LBB11_15:
	s_or_b64 exec, exec, s[2:3]
	v_or_b32_e32 v1, 0x200, v0
	v_cmp_gt_i32_e32 vcc, s14, v1
	s_and_saveexec_b64 s[2:3], vcc
	s_cbranch_execz .LBB11_17
; %bb.16:
	s_waitcnt vmcnt(0)
	v_div_scale_f32 v1, s[4:5], v13, v13, v10
	v_rcp_f32_e32 v4, v1
	v_div_scale_f32 v9, vcc, v10, v13, v10
	s_mov_b32 s4, 0x800000
	v_fma_f32 v11, -v1, v4, 1.0
	v_fmac_f32_e32 v4, v11, v4
	v_mul_f32_e32 v11, v9, v4
	v_fma_f32 v14, -v1, v11, v9
	v_fmac_f32_e32 v11, v14, v4
	v_fma_f32 v1, -v1, v11, v9
	v_div_fmas_f32 v1, v1, v4, v11
	v_div_fixup_f32 v1, v1, v13, v10
	v_mov_b32_e32 v4, 0x800000
	v_cmp_ngt_f32_e32 vcc, s4, v1
	v_cndmask_b32_e32 v1, v4, v1, vcc
	s_mov_b32 s4, 0x3f7ffffe
	v_mov_b32_e32 v4, 0x3f7ffffe
	v_cmp_nlt_f32_e32 vcc, s4, v1
	v_cndmask_b32_e32 v4, v4, v1, vcc
.LBB11_17:
	s_or_b64 exec, exec, s[2:3]
	v_or_b32_e32 v1, 0x300, v0
	v_cmp_gt_i32_e32 vcc, s14, v1
	s_and_saveexec_b64 s[2:3], vcc
	s_cbranch_execnz .LBB11_24
; %bb.18:
	s_or_b64 exec, exec, s[2:3]
	s_and_saveexec_b64 s[2:3], s[0:1]
	s_xor_b64 s[0:1], exec, s[2:3]
	s_cbranch_execnz .LBB11_25
.LBB11_19:
	s_or_b64 exec, exec, s[0:1]
	v_cmp_gt_i32_e32 vcc, s14, v0
	s_and_saveexec_b64 s[0:1], vcc
	s_cbranch_execnz .LBB11_26
.LBB11_20:
	s_or_b64 exec, exec, s[0:1]
	v_cmp_gt_i32_e32 vcc, s14, v0
	s_and_saveexec_b64 s[0:1], vcc
	s_cbranch_execnz .LBB11_27
.LBB11_21:
	s_or_b64 exec, exec, s[0:1]
	v_cmp_gt_i32_e32 vcc, s14, v0
	s_and_saveexec_b64 s[0:1], vcc
	s_cbranch_execz .LBB11_23
.LBB11_22:
	v_add_u32_e32 v0, s6, v0
	v_mov_b32_e32 v1, 0
	v_lshlrev_b64 v[0:1], 2, v[0:1]
	v_mov_b32_e32 v2, s9
	v_add_co_u32_e32 v0, vcc, s8, v0
	v_addc_co_u32_e32 v1, vcc, v2, v1, vcc
	global_store_dword v[0:1], v5, off
.LBB11_23:
	s_endpgm
.LBB11_24:
	s_waitcnt vmcnt(0)
	v_div_scale_f32 v1, s[4:5], v12, v12, v7
	v_rcp_f32_e32 v5, v1
	v_div_scale_f32 v9, vcc, v7, v12, v7
	s_mov_b32 s4, 0x800000
	v_fma_f32 v10, -v1, v5, 1.0
	v_fmac_f32_e32 v5, v10, v5
	v_mul_f32_e32 v10, v9, v5
	v_fma_f32 v11, -v1, v10, v9
	v_fmac_f32_e32 v10, v11, v5
	v_fma_f32 v1, -v1, v10, v9
	v_div_fmas_f32 v1, v1, v5, v10
	v_div_fixup_f32 v1, v1, v12, v7
	v_mov_b32_e32 v5, 0x800000
	v_cmp_ngt_f32_e32 vcc, s4, v1
	v_cndmask_b32_e32 v1, v5, v1, vcc
	s_mov_b32 s4, 0x3f7ffffe
	v_mov_b32_e32 v5, 0x3f7ffffe
	v_cmp_nlt_f32_e32 vcc, s4, v1
	v_cndmask_b32_e32 v5, v5, v1, vcc
	s_or_b64 exec, exec, s[2:3]
	s_and_saveexec_b64 s[2:3], s[0:1]
	s_xor_b64 s[0:1], exec, s[2:3]
	s_cbranch_execz .LBB11_19
.LBB11_25:
	v_mov_b32_e32 v7, 0
	v_lshlrev_b64 v[0:1], 2, v[6:7]
	v_mov_b32_e32 v6, s9
	v_add_co_u32_e32 v0, vcc, s8, v0
	v_addc_co_u32_e32 v1, vcc, v6, v1, vcc
	global_store_dword v[0:1], v2, off
	v_mov_b32_e32 v0, v8
	s_or_b64 exec, exec, s[0:1]
	v_cmp_gt_i32_e32 vcc, s14, v0
	s_and_saveexec_b64 s[0:1], vcc
	s_cbranch_execz .LBB11_20
.LBB11_26:
	v_add_u32_e32 v6, s6, v0
	v_mov_b32_e32 v7, 0
	v_lshlrev_b64 v[6:7], 2, v[6:7]
	v_mov_b32_e32 v1, s9
	v_add_co_u32_e32 v6, vcc, s8, v6
	v_addc_co_u32_e32 v7, vcc, v1, v7, vcc
	v_add_u32_e32 v0, 0x100, v0
	global_store_dword v[6:7], v3, off
	s_or_b64 exec, exec, s[0:1]
	v_cmp_gt_i32_e32 vcc, s14, v0
	s_and_saveexec_b64 s[0:1], vcc
	s_cbranch_execz .LBB11_21
.LBB11_27:
	v_add_u32_e32 v2, s6, v0
	v_mov_b32_e32 v3, 0
	v_lshlrev_b64 v[2:3], 2, v[2:3]
	v_mov_b32_e32 v1, s9
	v_add_co_u32_e32 v2, vcc, s8, v2
	v_addc_co_u32_e32 v3, vcc, v1, v3, vcc
	v_add_u32_e32 v0, 0x100, v0
	global_store_dword v[2:3], v4, off
	s_or_b64 exec, exec, s[0:1]
	v_cmp_gt_i32_e32 vcc, s14, v0
	s_and_saveexec_b64 s[0:1], vcc
	s_cbranch_execnz .LBB11_22
	s_branch .LBB11_23
	.section	.rodata,"a",@progbits
	.p2align	6, 0x0
	.amdhsa_kernel _ZN2at6native29vectorized_elementwise_kernelILi2EZZZNS0_23launch_dirichlet_kernelERNS_18TensorIteratorBaseEENKUlvE_clEvENKUlvE0_clEvEUlffE_St5arrayIPcLm3EEEEviT0_T1_
		.amdhsa_group_segment_fixed_size 0
		.amdhsa_private_segment_fixed_size 0
		.amdhsa_kernarg_size 32
		.amdhsa_user_sgpr_count 6
		.amdhsa_user_sgpr_private_segment_buffer 1
		.amdhsa_user_sgpr_dispatch_ptr 0
		.amdhsa_user_sgpr_queue_ptr 0
		.amdhsa_user_sgpr_kernarg_segment_ptr 1
		.amdhsa_user_sgpr_dispatch_id 0
		.amdhsa_user_sgpr_flat_scratch_init 0
		.amdhsa_user_sgpr_kernarg_preload_length 0
		.amdhsa_user_sgpr_kernarg_preload_offset 0
		.amdhsa_user_sgpr_private_segment_size 0
		.amdhsa_uses_dynamic_stack 0
		.amdhsa_system_sgpr_private_segment_wavefront_offset 0
		.amdhsa_system_sgpr_workgroup_id_x 1
		.amdhsa_system_sgpr_workgroup_id_y 0
		.amdhsa_system_sgpr_workgroup_id_z 0
		.amdhsa_system_sgpr_workgroup_info 0
		.amdhsa_system_vgpr_workitem_id 0
		.amdhsa_next_free_vgpr 32
		.amdhsa_next_free_sgpr 18
		.amdhsa_accum_offset 32
		.amdhsa_reserve_vcc 1
		.amdhsa_reserve_flat_scratch 0
		.amdhsa_float_round_mode_32 0
		.amdhsa_float_round_mode_16_64 0
		.amdhsa_float_denorm_mode_32 3
		.amdhsa_float_denorm_mode_16_64 3
		.amdhsa_dx10_clamp 1
		.amdhsa_ieee_mode 1
		.amdhsa_fp16_overflow 0
		.amdhsa_tg_split 0
		.amdhsa_exception_fp_ieee_invalid_op 0
		.amdhsa_exception_fp_denorm_src 0
		.amdhsa_exception_fp_ieee_div_zero 0
		.amdhsa_exception_fp_ieee_overflow 0
		.amdhsa_exception_fp_ieee_underflow 0
		.amdhsa_exception_fp_ieee_inexact 0
		.amdhsa_exception_int_div_zero 0
	.end_amdhsa_kernel
	.section	.text._ZN2at6native29vectorized_elementwise_kernelILi2EZZZNS0_23launch_dirichlet_kernelERNS_18TensorIteratorBaseEENKUlvE_clEvENKUlvE0_clEvEUlffE_St5arrayIPcLm3EEEEviT0_T1_,"axG",@progbits,_ZN2at6native29vectorized_elementwise_kernelILi2EZZZNS0_23launch_dirichlet_kernelERNS_18TensorIteratorBaseEENKUlvE_clEvENKUlvE0_clEvEUlffE_St5arrayIPcLm3EEEEviT0_T1_,comdat
.Lfunc_end11:
	.size	_ZN2at6native29vectorized_elementwise_kernelILi2EZZZNS0_23launch_dirichlet_kernelERNS_18TensorIteratorBaseEENKUlvE_clEvENKUlvE0_clEvEUlffE_St5arrayIPcLm3EEEEviT0_T1_, .Lfunc_end11-_ZN2at6native29vectorized_elementwise_kernelILi2EZZZNS0_23launch_dirichlet_kernelERNS_18TensorIteratorBaseEENKUlvE_clEvENKUlvE0_clEvEUlffE_St5arrayIPcLm3EEEEviT0_T1_
                                        ; -- End function
	.section	.AMDGPU.csdata,"",@progbits
; Kernel info:
; codeLenInByte = 1776
; NumSgprs: 22
; NumVgprs: 32
; NumAgprs: 0
; TotalNumVgprs: 32
; ScratchSize: 0
; MemoryBound: 0
; FloatMode: 240
; IeeeMode: 1
; LDSByteSize: 0 bytes/workgroup (compile time only)
; SGPRBlocks: 2
; VGPRBlocks: 3
; NumSGPRsForWavesPerEU: 22
; NumVGPRsForWavesPerEU: 32
; AccumOffset: 32
; Occupancy: 8
; WaveLimiterHint : 1
; COMPUTE_PGM_RSRC2:SCRATCH_EN: 0
; COMPUTE_PGM_RSRC2:USER_SGPR: 6
; COMPUTE_PGM_RSRC2:TRAP_HANDLER: 0
; COMPUTE_PGM_RSRC2:TGID_X_EN: 1
; COMPUTE_PGM_RSRC2:TGID_Y_EN: 0
; COMPUTE_PGM_RSRC2:TGID_Z_EN: 0
; COMPUTE_PGM_RSRC2:TIDIG_COMP_CNT: 0
; COMPUTE_PGM_RSRC3_GFX90A:ACCUM_OFFSET: 7
; COMPUTE_PGM_RSRC3_GFX90A:TG_SPLIT: 0
	.section	.text._ZN2at6native27unrolled_elementwise_kernelIZZZNS0_23launch_dirichlet_kernelERNS_18TensorIteratorBaseEENKUlvE_clEvENKUlvE0_clEvEUlffE_St5arrayIPcLm3EELi4E23TrivialOffsetCalculatorILi2EjESA_ILi1EjENS0_6memory15LoadWithoutCastENSD_16StoreWithoutCastEEEviT_T0_T2_T3_T4_T5_,"axG",@progbits,_ZN2at6native27unrolled_elementwise_kernelIZZZNS0_23launch_dirichlet_kernelERNS_18TensorIteratorBaseEENKUlvE_clEvENKUlvE0_clEvEUlffE_St5arrayIPcLm3EELi4E23TrivialOffsetCalculatorILi2EjESA_ILi1EjENS0_6memory15LoadWithoutCastENSD_16StoreWithoutCastEEEviT_T0_T2_T3_T4_T5_,comdat
	.globl	_ZN2at6native27unrolled_elementwise_kernelIZZZNS0_23launch_dirichlet_kernelERNS_18TensorIteratorBaseEENKUlvE_clEvENKUlvE0_clEvEUlffE_St5arrayIPcLm3EELi4E23TrivialOffsetCalculatorILi2EjESA_ILi1EjENS0_6memory15LoadWithoutCastENSD_16StoreWithoutCastEEEviT_T0_T2_T3_T4_T5_ ; -- Begin function _ZN2at6native27unrolled_elementwise_kernelIZZZNS0_23launch_dirichlet_kernelERNS_18TensorIteratorBaseEENKUlvE_clEvENKUlvE0_clEvEUlffE_St5arrayIPcLm3EELi4E23TrivialOffsetCalculatorILi2EjESA_ILi1EjENS0_6memory15LoadWithoutCastENSD_16StoreWithoutCastEEEviT_T0_T2_T3_T4_T5_
	.p2align	8
	.type	_ZN2at6native27unrolled_elementwise_kernelIZZZNS0_23launch_dirichlet_kernelERNS_18TensorIteratorBaseEENKUlvE_clEvENKUlvE0_clEvEUlffE_St5arrayIPcLm3EELi4E23TrivialOffsetCalculatorILi2EjESA_ILi1EjENS0_6memory15LoadWithoutCastENSD_16StoreWithoutCastEEEviT_T0_T2_T3_T4_T5_,@function
_ZN2at6native27unrolled_elementwise_kernelIZZZNS0_23launch_dirichlet_kernelERNS_18TensorIteratorBaseEENKUlvE_clEvENKUlvE0_clEvEUlffE_St5arrayIPcLm3EELi4E23TrivialOffsetCalculatorILi2EjESA_ILi1EjENS0_6memory15LoadWithoutCastENSD_16StoreWithoutCastEEEviT_T0_T2_T3_T4_T5_: ; @_ZN2at6native27unrolled_elementwise_kernelIZZZNS0_23launch_dirichlet_kernelERNS_18TensorIteratorBaseEENKUlvE_clEvENKUlvE0_clEvEUlffE_St5arrayIPcLm3EELi4E23TrivialOffsetCalculatorILi2EjESA_ILi1EjENS0_6memory15LoadWithoutCastENSD_16StoreWithoutCastEEEviT_T0_T2_T3_T4_T5_
; %bb.0:
	s_load_dword s0, s[4:5], 0x0
	s_load_dwordx4 s[8:11], s[4:5], 0x8
	s_load_dwordx2 s[2:3], s[4:5], 0x18
	s_lshl_b32 s6, s6, 10
	v_mov_b32_e32 v1, 0
	s_waitcnt lgkmcnt(0)
	s_sub_i32 s7, s0, s6
	v_cmp_gt_i32_e64 s[0:1], s7, v0
	v_or_b32_e32 v6, s6, v0
	v_mov_b32_e32 v8, 0
	v_mov_b32_e32 v10, 0
	;; [unrolled: 1-line block ×3, first 2 shown]
	s_and_saveexec_b64 s[4:5], s[0:1]
	s_cbranch_execz .LBB12_2
; %bb.1:
	v_mov_b32_e32 v7, 0
	v_lshlrev_b64 v[2:3], 2, v[6:7]
	v_mov_b32_e32 v5, s11
	v_add_co_u32_e32 v4, vcc, s10, v2
	v_addc_co_u32_e32 v5, vcc, v5, v3, vcc
	v_mov_b32_e32 v7, s3
	v_add_co_u32_e32 v2, vcc, s2, v2
	v_addc_co_u32_e32 v3, vcc, v7, v3, vcc
	global_load_dword v8, v[4:5], off
	global_load_dword v10, v[2:3], off
	v_or_b32_e32 v2, 0x100, v0
.LBB12_2:
	s_or_b64 exec, exec, s[4:5]
	v_cmp_gt_i32_e32 vcc, s7, v2
	v_mov_b32_e32 v11, 0
	s_and_saveexec_b64 s[4:5], vcc
	s_cbranch_execz .LBB12_4
; %bb.3:
	v_add_u32_e32 v4, s6, v2
	v_mov_b32_e32 v5, 0
	v_lshlrev_b64 v[4:5], 2, v[4:5]
	v_mov_b32_e32 v1, s11
	v_add_co_u32_e32 v12, vcc, s10, v4
	v_addc_co_u32_e32 v13, vcc, v1, v5, vcc
	v_mov_b32_e32 v1, s3
	v_add_co_u32_e32 v4, vcc, s2, v4
	v_addc_co_u32_e32 v5, vcc, v1, v5, vcc
	global_load_dword v1, v[12:13], off
	global_load_dword v11, v[4:5], off
	v_add_u32_e32 v2, 0x100, v2
.LBB12_4:
	s_or_b64 exec, exec, s[4:5]
	v_cmp_gt_i32_e32 vcc, s7, v2
	v_mov_b32_e32 v7, 0
	v_mov_b32_e32 v9, 0
	;; [unrolled: 1-line block ×3, first 2 shown]
	s_and_saveexec_b64 s[4:5], vcc
	s_cbranch_execz .LBB12_6
; %bb.5:
	v_add_u32_e32 v4, s6, v2
	v_mov_b32_e32 v5, 0
	v_lshlrev_b64 v[4:5], 2, v[4:5]
	v_mov_b32_e32 v3, s11
	v_add_co_u32_e32 v14, vcc, s10, v4
	v_addc_co_u32_e32 v15, vcc, v3, v5, vcc
	v_mov_b32_e32 v3, s3
	v_add_co_u32_e32 v4, vcc, s2, v4
	v_addc_co_u32_e32 v5, vcc, v3, v5, vcc
	global_load_dword v9, v[14:15], off
	global_load_dword v13, v[4:5], off
	v_add_u32_e32 v2, 0x100, v2
.LBB12_6:
	s_or_b64 exec, exec, s[4:5]
	v_cmp_gt_i32_e32 vcc, s7, v2
	v_mov_b32_e32 v12, 0
	s_and_saveexec_b64 s[4:5], vcc
	s_cbranch_execz .LBB12_8
; %bb.7:
	v_add_u32_e32 v2, s6, v2
	v_mov_b32_e32 v3, 0
	v_lshlrev_b64 v[2:3], 2, v[2:3]
	v_mov_b32_e32 v5, s11
	v_add_co_u32_e32 v4, vcc, s10, v2
	v_addc_co_u32_e32 v5, vcc, v5, v3, vcc
	v_mov_b32_e32 v7, s3
	v_add_co_u32_e32 v2, vcc, s2, v2
	v_addc_co_u32_e32 v3, vcc, v7, v3, vcc
	global_load_dword v7, v[4:5], off
	global_load_dword v12, v[2:3], off
.LBB12_8:
	s_or_b64 exec, exec, s[4:5]
                                        ; implicit-def: $vgpr2_vgpr3_vgpr4_vgpr5
	s_and_saveexec_b64 s[2:3], s[0:1]
	s_cbranch_execz .LBB12_10
; %bb.9:
	s_waitcnt vmcnt(0)
	v_div_scale_f32 v2, s[4:5], v10, v10, v8
	v_rcp_f32_e32 v3, v2
	v_div_scale_f32 v4, vcc, v8, v10, v8
	s_mov_b32 s4, 0x800000
	v_fma_f32 v5, -v2, v3, 1.0
	v_fmac_f32_e32 v3, v5, v3
	v_mul_f32_e32 v5, v4, v3
	v_fma_f32 v14, -v2, v5, v4
	v_fmac_f32_e32 v5, v14, v3
	v_fma_f32 v2, -v2, v5, v4
	v_div_fmas_f32 v2, v2, v3, v5
	v_div_fixup_f32 v2, v2, v10, v8
	v_mov_b32_e32 v3, 0x800000
	v_cmp_ngt_f32_e32 vcc, s4, v2
	v_cndmask_b32_e32 v2, v3, v2, vcc
	s_mov_b32 s4, 0x3f7ffffe
	v_mov_b32_e32 v3, 0x3f7ffffe
	v_cmp_nlt_f32_e32 vcc, s4, v2
	v_cndmask_b32_e32 v2, v3, v2, vcc
.LBB12_10:
	s_or_b64 exec, exec, s[2:3]
	s_waitcnt vmcnt(1)
	v_or_b32_e32 v8, 0x100, v0
	v_cmp_gt_i32_e32 vcc, s7, v8
	s_and_saveexec_b64 s[2:3], vcc
	s_cbranch_execz .LBB12_12
; %bb.11:
	s_waitcnt vmcnt(0)
	v_div_scale_f32 v3, s[4:5], v11, v11, v1
	v_rcp_f32_e32 v10, v3
	v_div_scale_f32 v14, vcc, v1, v11, v1
	s_mov_b32 s4, 0x800000
	v_fma_f32 v15, -v3, v10, 1.0
	v_fmac_f32_e32 v10, v15, v10
	v_mul_f32_e32 v15, v14, v10
	v_fma_f32 v16, -v3, v15, v14
	v_fmac_f32_e32 v15, v16, v10
	v_fma_f32 v3, -v3, v15, v14
	v_div_fmas_f32 v3, v3, v10, v15
	v_div_fixup_f32 v1, v3, v11, v1
	v_mov_b32_e32 v3, 0x800000
	v_cmp_ngt_f32_e32 vcc, s4, v1
	v_cndmask_b32_e32 v1, v3, v1, vcc
	s_mov_b32 s4, 0x3f7ffffe
	v_mov_b32_e32 v3, 0x3f7ffffe
	v_cmp_nlt_f32_e32 vcc, s4, v1
	v_cndmask_b32_e32 v3, v3, v1, vcc
.LBB12_12:
	s_or_b64 exec, exec, s[2:3]
	v_or_b32_e32 v1, 0x200, v0
	v_cmp_gt_i32_e32 vcc, s7, v1
	s_and_saveexec_b64 s[2:3], vcc
	s_cbranch_execz .LBB12_14
; %bb.13:
	s_waitcnt vmcnt(0)
	v_div_scale_f32 v1, s[4:5], v13, v13, v9
	v_rcp_f32_e32 v4, v1
	v_div_scale_f32 v10, vcc, v9, v13, v9
	s_mov_b32 s4, 0x800000
	v_fma_f32 v11, -v1, v4, 1.0
	v_fmac_f32_e32 v4, v11, v4
	v_mul_f32_e32 v11, v10, v4
	v_fma_f32 v14, -v1, v11, v10
	v_fmac_f32_e32 v11, v14, v4
	v_fma_f32 v1, -v1, v11, v10
	v_div_fmas_f32 v1, v1, v4, v11
	v_div_fixup_f32 v1, v1, v13, v9
	v_mov_b32_e32 v4, 0x800000
	v_cmp_ngt_f32_e32 vcc, s4, v1
	v_cndmask_b32_e32 v1, v4, v1, vcc
	s_mov_b32 s4, 0x3f7ffffe
	v_mov_b32_e32 v4, 0x3f7ffffe
	v_cmp_nlt_f32_e32 vcc, s4, v1
	v_cndmask_b32_e32 v4, v4, v1, vcc
.LBB12_14:
	s_or_b64 exec, exec, s[2:3]
	v_or_b32_e32 v1, 0x300, v0
	v_cmp_gt_i32_e32 vcc, s7, v1
	s_and_saveexec_b64 s[2:3], vcc
	s_cbranch_execnz .LBB12_20
; %bb.15:
	s_or_b64 exec, exec, s[2:3]
	s_and_saveexec_b64 s[2:3], s[0:1]
	s_xor_b64 s[0:1], exec, s[2:3]
	s_cbranch_execnz .LBB12_21
.LBB12_16:
	s_or_b64 exec, exec, s[0:1]
	v_cmp_gt_i32_e32 vcc, s7, v0
	s_and_saveexec_b64 s[0:1], vcc
	s_cbranch_execnz .LBB12_22
.LBB12_17:
	s_or_b64 exec, exec, s[0:1]
	v_cmp_gt_i32_e32 vcc, s7, v0
	s_and_saveexec_b64 s[0:1], vcc
	s_cbranch_execnz .LBB12_23
.LBB12_18:
	s_or_b64 exec, exec, s[0:1]
	v_cmp_gt_i32_e32 vcc, s7, v0
	s_and_saveexec_b64 s[0:1], vcc
	s_cbranch_execnz .LBB12_24
.LBB12_19:
	s_endpgm
.LBB12_20:
	s_waitcnt vmcnt(0)
	v_div_scale_f32 v1, s[4:5], v12, v12, v7
	v_rcp_f32_e32 v5, v1
	v_div_scale_f32 v9, vcc, v7, v12, v7
	s_mov_b32 s4, 0x800000
	v_fma_f32 v10, -v1, v5, 1.0
	v_fmac_f32_e32 v5, v10, v5
	v_mul_f32_e32 v10, v9, v5
	v_fma_f32 v11, -v1, v10, v9
	v_fmac_f32_e32 v10, v11, v5
	v_fma_f32 v1, -v1, v10, v9
	v_div_fmas_f32 v1, v1, v5, v10
	v_div_fixup_f32 v1, v1, v12, v7
	v_mov_b32_e32 v5, 0x800000
	v_cmp_ngt_f32_e32 vcc, s4, v1
	v_cndmask_b32_e32 v1, v5, v1, vcc
	s_mov_b32 s4, 0x3f7ffffe
	v_mov_b32_e32 v5, 0x3f7ffffe
	v_cmp_nlt_f32_e32 vcc, s4, v1
	v_cndmask_b32_e32 v5, v5, v1, vcc
	s_or_b64 exec, exec, s[2:3]
	s_and_saveexec_b64 s[2:3], s[0:1]
	s_xor_b64 s[0:1], exec, s[2:3]
	s_cbranch_execz .LBB12_16
.LBB12_21:
	v_mov_b32_e32 v7, 0
	v_lshlrev_b64 v[0:1], 2, v[6:7]
	v_mov_b32_e32 v6, s9
	v_add_co_u32_e32 v0, vcc, s8, v0
	v_addc_co_u32_e32 v1, vcc, v6, v1, vcc
	global_store_dword v[0:1], v2, off
	v_mov_b32_e32 v0, v8
	s_or_b64 exec, exec, s[0:1]
	v_cmp_gt_i32_e32 vcc, s7, v0
	s_and_saveexec_b64 s[0:1], vcc
	s_cbranch_execz .LBB12_17
.LBB12_22:
	v_add_u32_e32 v2, 0x100, v0
	v_add_u32_e32 v0, s6, v0
	v_mov_b32_e32 v1, 0
	v_lshlrev_b64 v[0:1], 2, v[0:1]
	v_mov_b32_e32 v6, s9
	v_add_co_u32_e32 v0, vcc, s8, v0
	v_addc_co_u32_e32 v1, vcc, v6, v1, vcc
	global_store_dword v[0:1], v3, off
	v_mov_b32_e32 v0, v2
	s_or_b64 exec, exec, s[0:1]
	v_cmp_gt_i32_e32 vcc, s7, v0
	s_and_saveexec_b64 s[0:1], vcc
	s_cbranch_execz .LBB12_18
.LBB12_23:
	v_add_u32_e32 v2, 0x100, v0
	v_add_u32_e32 v0, s6, v0
	v_mov_b32_e32 v1, 0
	v_lshlrev_b64 v[0:1], 2, v[0:1]
	v_mov_b32_e32 v3, s9
	v_add_co_u32_e32 v0, vcc, s8, v0
	v_addc_co_u32_e32 v1, vcc, v3, v1, vcc
	global_store_dword v[0:1], v4, off
	v_mov_b32_e32 v0, v2
	s_or_b64 exec, exec, s[0:1]
	v_cmp_gt_i32_e32 vcc, s7, v0
	s_and_saveexec_b64 s[0:1], vcc
	s_cbranch_execz .LBB12_19
.LBB12_24:
	v_add_u32_e32 v0, s6, v0
	v_mov_b32_e32 v1, 0
	v_lshlrev_b64 v[0:1], 2, v[0:1]
	v_mov_b32_e32 v2, s9
	v_add_co_u32_e32 v0, vcc, s8, v0
	v_addc_co_u32_e32 v1, vcc, v2, v1, vcc
	global_store_dword v[0:1], v5, off
	s_endpgm
	.section	.rodata,"a",@progbits
	.p2align	6, 0x0
	.amdhsa_kernel _ZN2at6native27unrolled_elementwise_kernelIZZZNS0_23launch_dirichlet_kernelERNS_18TensorIteratorBaseEENKUlvE_clEvENKUlvE0_clEvEUlffE_St5arrayIPcLm3EELi4E23TrivialOffsetCalculatorILi2EjESA_ILi1EjENS0_6memory15LoadWithoutCastENSD_16StoreWithoutCastEEEviT_T0_T2_T3_T4_T5_
		.amdhsa_group_segment_fixed_size 0
		.amdhsa_private_segment_fixed_size 0
		.amdhsa_kernarg_size 36
		.amdhsa_user_sgpr_count 6
		.amdhsa_user_sgpr_private_segment_buffer 1
		.amdhsa_user_sgpr_dispatch_ptr 0
		.amdhsa_user_sgpr_queue_ptr 0
		.amdhsa_user_sgpr_kernarg_segment_ptr 1
		.amdhsa_user_sgpr_dispatch_id 0
		.amdhsa_user_sgpr_flat_scratch_init 0
		.amdhsa_user_sgpr_kernarg_preload_length 0
		.amdhsa_user_sgpr_kernarg_preload_offset 0
		.amdhsa_user_sgpr_private_segment_size 0
		.amdhsa_uses_dynamic_stack 0
		.amdhsa_system_sgpr_private_segment_wavefront_offset 0
		.amdhsa_system_sgpr_workgroup_id_x 1
		.amdhsa_system_sgpr_workgroup_id_y 0
		.amdhsa_system_sgpr_workgroup_id_z 0
		.amdhsa_system_sgpr_workgroup_info 0
		.amdhsa_system_vgpr_workitem_id 0
		.amdhsa_next_free_vgpr 17
		.amdhsa_next_free_sgpr 12
		.amdhsa_accum_offset 20
		.amdhsa_reserve_vcc 1
		.amdhsa_reserve_flat_scratch 0
		.amdhsa_float_round_mode_32 0
		.amdhsa_float_round_mode_16_64 0
		.amdhsa_float_denorm_mode_32 3
		.amdhsa_float_denorm_mode_16_64 3
		.amdhsa_dx10_clamp 1
		.amdhsa_ieee_mode 1
		.amdhsa_fp16_overflow 0
		.amdhsa_tg_split 0
		.amdhsa_exception_fp_ieee_invalid_op 0
		.amdhsa_exception_fp_denorm_src 0
		.amdhsa_exception_fp_ieee_div_zero 0
		.amdhsa_exception_fp_ieee_overflow 0
		.amdhsa_exception_fp_ieee_underflow 0
		.amdhsa_exception_fp_ieee_inexact 0
		.amdhsa_exception_int_div_zero 0
	.end_amdhsa_kernel
	.section	.text._ZN2at6native27unrolled_elementwise_kernelIZZZNS0_23launch_dirichlet_kernelERNS_18TensorIteratorBaseEENKUlvE_clEvENKUlvE0_clEvEUlffE_St5arrayIPcLm3EELi4E23TrivialOffsetCalculatorILi2EjESA_ILi1EjENS0_6memory15LoadWithoutCastENSD_16StoreWithoutCastEEEviT_T0_T2_T3_T4_T5_,"axG",@progbits,_ZN2at6native27unrolled_elementwise_kernelIZZZNS0_23launch_dirichlet_kernelERNS_18TensorIteratorBaseEENKUlvE_clEvENKUlvE0_clEvEUlffE_St5arrayIPcLm3EELi4E23TrivialOffsetCalculatorILi2EjESA_ILi1EjENS0_6memory15LoadWithoutCastENSD_16StoreWithoutCastEEEviT_T0_T2_T3_T4_T5_,comdat
.Lfunc_end12:
	.size	_ZN2at6native27unrolled_elementwise_kernelIZZZNS0_23launch_dirichlet_kernelERNS_18TensorIteratorBaseEENKUlvE_clEvENKUlvE0_clEvEUlffE_St5arrayIPcLm3EELi4E23TrivialOffsetCalculatorILi2EjESA_ILi1EjENS0_6memory15LoadWithoutCastENSD_16StoreWithoutCastEEEviT_T0_T2_T3_T4_T5_, .Lfunc_end12-_ZN2at6native27unrolled_elementwise_kernelIZZZNS0_23launch_dirichlet_kernelERNS_18TensorIteratorBaseEENKUlvE_clEvENKUlvE0_clEvEUlffE_St5arrayIPcLm3EELi4E23TrivialOffsetCalculatorILi2EjESA_ILi1EjENS0_6memory15LoadWithoutCastENSD_16StoreWithoutCastEEEviT_T0_T2_T3_T4_T5_
                                        ; -- End function
	.section	.AMDGPU.csdata,"",@progbits
; Kernel info:
; codeLenInByte = 1272
; NumSgprs: 16
; NumVgprs: 17
; NumAgprs: 0
; TotalNumVgprs: 17
; ScratchSize: 0
; MemoryBound: 0
; FloatMode: 240
; IeeeMode: 1
; LDSByteSize: 0 bytes/workgroup (compile time only)
; SGPRBlocks: 1
; VGPRBlocks: 2
; NumSGPRsForWavesPerEU: 16
; NumVGPRsForWavesPerEU: 17
; AccumOffset: 20
; Occupancy: 8
; WaveLimiterHint : 0
; COMPUTE_PGM_RSRC2:SCRATCH_EN: 0
; COMPUTE_PGM_RSRC2:USER_SGPR: 6
; COMPUTE_PGM_RSRC2:TRAP_HANDLER: 0
; COMPUTE_PGM_RSRC2:TGID_X_EN: 1
; COMPUTE_PGM_RSRC2:TGID_Y_EN: 0
; COMPUTE_PGM_RSRC2:TGID_Z_EN: 0
; COMPUTE_PGM_RSRC2:TIDIG_COMP_CNT: 0
; COMPUTE_PGM_RSRC3_GFX90A:ACCUM_OFFSET: 4
; COMPUTE_PGM_RSRC3_GFX90A:TG_SPLIT: 0
	.section	.text._ZN2at6native32elementwise_kernel_manual_unrollILi128ELi4EZNS0_22gpu_kernel_impl_nocastIZZZNS0_23launch_dirichlet_kernelERNS_18TensorIteratorBaseEENKUlvE_clEvENKUlvE0_clEvEUlffE_EEvS4_RKT_EUlibE_EEviT1_,"axG",@progbits,_ZN2at6native32elementwise_kernel_manual_unrollILi128ELi4EZNS0_22gpu_kernel_impl_nocastIZZZNS0_23launch_dirichlet_kernelERNS_18TensorIteratorBaseEENKUlvE_clEvENKUlvE0_clEvEUlffE_EEvS4_RKT_EUlibE_EEviT1_,comdat
	.globl	_ZN2at6native32elementwise_kernel_manual_unrollILi128ELi4EZNS0_22gpu_kernel_impl_nocastIZZZNS0_23launch_dirichlet_kernelERNS_18TensorIteratorBaseEENKUlvE_clEvENKUlvE0_clEvEUlffE_EEvS4_RKT_EUlibE_EEviT1_ ; -- Begin function _ZN2at6native32elementwise_kernel_manual_unrollILi128ELi4EZNS0_22gpu_kernel_impl_nocastIZZZNS0_23launch_dirichlet_kernelERNS_18TensorIteratorBaseEENKUlvE_clEvENKUlvE0_clEvEUlffE_EEvS4_RKT_EUlibE_EEviT1_
	.p2align	8
	.type	_ZN2at6native32elementwise_kernel_manual_unrollILi128ELi4EZNS0_22gpu_kernel_impl_nocastIZZZNS0_23launch_dirichlet_kernelERNS_18TensorIteratorBaseEENKUlvE_clEvENKUlvE0_clEvEUlffE_EEvS4_RKT_EUlibE_EEviT1_,@function
_ZN2at6native32elementwise_kernel_manual_unrollILi128ELi4EZNS0_22gpu_kernel_impl_nocastIZZZNS0_23launch_dirichlet_kernelERNS_18TensorIteratorBaseEENKUlvE_clEvENKUlvE0_clEvEUlffE_EEvS4_RKT_EUlibE_EEviT1_: ; @_ZN2at6native32elementwise_kernel_manual_unrollILi128ELi4EZNS0_22gpu_kernel_impl_nocastIZZZNS0_23launch_dirichlet_kernelERNS_18TensorIteratorBaseEENKUlvE_clEvENKUlvE0_clEvEUlffE_EEvS4_RKT_EUlibE_EEviT1_
; %bb.0:
	s_load_dword s36, s[4:5], 0x0
	s_load_dword s33, s[4:5], 0x8
	s_or_b32 s4, s4, 8
	v_lshl_or_b32 v12, s6, 9, v0
	v_or_b32_e32 v24, 0x180, v12
	s_waitcnt lgkmcnt(0)
	v_cmp_le_i32_e32 vcc, s36, v24
	s_add_i32 s34, s33, -1
	s_cmp_gt_u32 s34, 1
	s_cselect_b64 s[6:7], -1, 0
	s_and_saveexec_b64 s[0:1], vcc
	s_xor_b64 s[16:17], exec, s[0:1]
	s_cbranch_execz .LBB13_50
; %bb.1:
	s_load_dwordx4 s[12:15], s[4:5], 0x4
	s_load_dwordx2 s[22:23], s[4:5], 0x14
	s_load_dwordx4 s[8:11], s[4:5], 0xc4
	s_load_dwordx2 s[20:21], s[4:5], 0xd4
	s_load_dwordx2 s[18:19], s[4:5], 0x198
	s_load_dwordx4 s[0:3], s[4:5], 0x188
	s_cmp_lg_u32 s33, 0
	s_cselect_b64 s[26:27], -1, 0
	s_min_u32 s35, s34, 15
	s_cmp_gt_u32 s33, 1
	s_cselect_b64 s[24:25], -1, 0
	v_cmp_gt_i32_e32 vcc, s36, v12
	s_and_saveexec_b64 s[28:29], vcc
	s_cbranch_execnz .LBB13_5
; %bb.2:
	s_or_b64 exec, exec, s[28:29]
	v_cmp_gt_i32_e32 vcc, s36, v12
	s_and_saveexec_b64 s[28:29], vcc
	s_cbranch_execnz .LBB13_16
.LBB13_3:
	s_or_b64 exec, exec, s[28:29]
	v_cmp_gt_i32_e32 vcc, s36, v12
	s_and_saveexec_b64 s[28:29], vcc
	s_cbranch_execnz .LBB13_27
.LBB13_4:
	s_or_b64 exec, exec, s[28:29]
	v_cmp_gt_i32_e32 vcc, s36, v12
	s_and_saveexec_b64 s[28:29], vcc
	s_cbranch_execnz .LBB13_38
	s_branch .LBB13_49
.LBB13_5:
	s_andn2_b64 vcc, exec, s[6:7]
	s_cbranch_vccnz .LBB13_12
; %bb.6:
	s_andn2_b64 vcc, exec, s[26:27]
	v_mov_b32_e32 v2, 0
	v_mov_b32_e32 v4, 0
	;; [unrolled: 1-line block ×3, first 2 shown]
	s_cbranch_vccnz .LBB13_11
; %bb.7:
	s_add_i32 s30, s35, 1
	s_and_b32 s37, s30, 30
	s_add_u32 s30, s4, 0xffffffec
	s_addc_u32 s31, s5, -1
	v_mov_b32_e32 v0, 0
	v_mov_b32_e32 v1, v12
	;; [unrolled: 1-line block ×4, first 2 shown]
.LBB13_8:                               ; =>This Inner Loop Header: Depth=1
	s_mov_b64 s[38:39], s[30:31]
	s_load_dwordx4 s[40:43], s[38:39], 0x18
	s_load_dwordx2 s[48:49], s[38:39], 0x28
	s_load_dwordx2 s[50:51], s[38:39], 0xe8
	s_load_dwordx4 s[44:47], s[38:39], 0xd8
	s_add_u32 s30, s38, 24
	s_waitcnt lgkmcnt(0)
	v_mul_hi_u32 v3, s41, v1
	v_add_u32_e32 v3, v1, v3
	v_lshrrev_b32_e32 v3, s42, v3
	v_mul_lo_u32 v5, v3, s40
	v_mul_hi_u32 v6, s48, v3
	v_sub_u32_e32 v1, v1, v5
	v_add_u32_e32 v5, v3, v6
	v_mul_lo_u32 v6, v1, s44
	v_mul_lo_u32 v7, v1, s45
	;; [unrolled: 1-line block ×3, first 2 shown]
	v_lshrrev_b32_e32 v1, s49, v5
	v_mul_lo_u32 v5, v1, s43
	v_sub_u32_e32 v3, v3, v5
	s_addc_u32 s31, s39, 0
	s_add_i32 s37, s37, -2
	v_mul_lo_u32 v5, v3, s47
	v_mul_lo_u32 v9, v3, s50
	;; [unrolled: 1-line block ×3, first 2 shown]
	s_cmp_lg_u32 s37, 0
	v_add3_u32 v0, v6, v0, v5
	v_add3_u32 v2, v8, v2, v3
	;; [unrolled: 1-line block ×3, first 2 shown]
	s_cbranch_scc1 .LBB13_8
; %bb.9:
	s_bitcmp1_b32 s35, 0
	s_cselect_b64 s[38:39], -1, 0
	s_and_b64 vcc, exec, s[38:39]
	s_cbranch_vccnz .LBB13_11
; %bb.10:
	s_load_dwordx2 s[38:39], s[30:31], 0x18
	s_load_dword s37, s[30:31], 0x20
	s_load_dword s42, s[30:31], 0xe0
	s_load_dwordx2 s[40:41], s[30:31], 0xd8
	s_waitcnt lgkmcnt(0)
	v_mul_hi_u32 v3, s39, v1
	v_add_u32_e32 v3, v1, v3
	v_lshrrev_b32_e32 v3, s37, v3
	v_mul_lo_u32 v3, v3, s38
	v_sub_u32_e32 v3, v1, v3
	v_mad_u64_u32 v[0:1], s[30:31], v3, s40, v[0:1]
	v_mad_u64_u32 v[4:5], s[30:31], v3, s41, v[4:5]
	;; [unrolled: 1-line block ×3, first 2 shown]
.LBB13_11:
	s_cbranch_execz .LBB13_13
	s_branch .LBB13_15
.LBB13_12:
                                        ; implicit-def: $vgpr2
                                        ; implicit-def: $vgpr4
                                        ; implicit-def: $vgpr0
.LBB13_13:
	s_waitcnt lgkmcnt(0)
	v_mul_hi_u32 v0, s13, v12
	v_add_u32_e32 v0, v12, v0
	v_lshrrev_b32_e32 v1, s14, v0
	v_mul_lo_u32 v0, v1, s12
	v_sub_u32_e32 v3, v12, v0
	v_mul_lo_u32 v0, v3, s8
	v_mul_lo_u32 v2, v3, s10
	s_andn2_b64 vcc, exec, s[24:25]
	v_mul_lo_u32 v4, v3, s9
	s_cbranch_vccnz .LBB13_15
; %bb.14:
	v_mul_hi_u32 v3, s22, v1
	v_add_u32_e32 v3, v1, v3
	v_lshrrev_b32_e32 v3, s23, v3
	v_mul_lo_u32 v3, v3, s15
	v_sub_u32_e32 v3, v1, v3
	v_mad_u64_u32 v[0:1], s[30:31], v3, s11, v[0:1]
	v_mad_u64_u32 v[4:5], s[30:31], v3, s20, v[4:5]
	;; [unrolled: 1-line block ×3, first 2 shown]
.LBB13_15:
	s_waitcnt lgkmcnt(0)
	global_load_dword v1, v4, s[2:3]
	global_load_dword v3, v2, s[18:19]
	s_mov_b32 s37, 0x800000
	v_mov_b32_e32 v2, 0x800000
	s_mov_b32 s38, 0x3f7ffffe
	v_mov_b32_e32 v6, 0x3f7ffffe
	v_add_u32_e32 v12, 0x80, v12
	s_waitcnt vmcnt(0)
	v_div_scale_f32 v4, s[30:31], v3, v3, v1
	v_rcp_f32_e32 v5, v4
	v_div_scale_f32 v7, vcc, v1, v3, v1
	v_fma_f32 v8, -v4, v5, 1.0
	v_fmac_f32_e32 v5, v8, v5
	v_mul_f32_e32 v8, v7, v5
	v_fma_f32 v9, -v4, v8, v7
	v_fmac_f32_e32 v8, v9, v5
	v_fma_f32 v4, -v4, v8, v7
	v_div_fmas_f32 v4, v4, v5, v8
	v_div_fixup_f32 v1, v4, v3, v1
	v_cmp_ngt_f32_e32 vcc, s37, v1
	v_cndmask_b32_e32 v1, v2, v1, vcc
	v_cmp_nlt_f32_e32 vcc, s38, v1
	v_cndmask_b32_e32 v1, v6, v1, vcc
	global_store_dword v0, v1, s[0:1]
	s_or_b64 exec, exec, s[28:29]
	v_cmp_gt_i32_e32 vcc, s36, v12
	s_and_saveexec_b64 s[28:29], vcc
	s_cbranch_execz .LBB13_3
.LBB13_16:
	s_andn2_b64 vcc, exec, s[6:7]
	s_cbranch_vccnz .LBB13_23
; %bb.17:
	s_andn2_b64 vcc, exec, s[26:27]
	v_mov_b32_e32 v2, 0
	v_mov_b32_e32 v4, 0
	v_mov_b32_e32 v0, 0
	s_cbranch_vccnz .LBB13_22
; %bb.18:
	s_add_i32 s30, s35, 1
	s_and_b32 s37, s30, 30
	s_add_u32 s30, s4, 0xffffffec
	s_addc_u32 s31, s5, -1
	v_mov_b32_e32 v0, 0
	v_mov_b32_e32 v1, v12
	;; [unrolled: 1-line block ×4, first 2 shown]
.LBB13_19:                              ; =>This Inner Loop Header: Depth=1
	s_mov_b64 s[38:39], s[30:31]
	s_load_dwordx4 s[40:43], s[38:39], 0x18
	s_load_dwordx2 s[48:49], s[38:39], 0x28
	s_load_dwordx2 s[50:51], s[38:39], 0xe8
	s_load_dwordx4 s[44:47], s[38:39], 0xd8
	s_add_u32 s30, s38, 24
	s_waitcnt lgkmcnt(0)
	v_mul_hi_u32 v3, s41, v1
	v_add_u32_e32 v3, v1, v3
	v_lshrrev_b32_e32 v3, s42, v3
	v_mul_lo_u32 v5, v3, s40
	v_mul_hi_u32 v6, s48, v3
	v_sub_u32_e32 v1, v1, v5
	v_add_u32_e32 v5, v3, v6
	v_mul_lo_u32 v6, v1, s44
	v_mul_lo_u32 v7, v1, s45
	;; [unrolled: 1-line block ×3, first 2 shown]
	v_lshrrev_b32_e32 v1, s49, v5
	v_mul_lo_u32 v5, v1, s43
	v_sub_u32_e32 v3, v3, v5
	s_addc_u32 s31, s39, 0
	s_add_i32 s37, s37, -2
	v_mul_lo_u32 v5, v3, s47
	v_mul_lo_u32 v9, v3, s50
	;; [unrolled: 1-line block ×3, first 2 shown]
	s_cmp_eq_u32 s37, 0
	v_add3_u32 v0, v6, v0, v5
	v_add3_u32 v2, v8, v2, v3
	;; [unrolled: 1-line block ×3, first 2 shown]
	s_cbranch_scc0 .LBB13_19
; %bb.20:
	s_bitcmp1_b32 s35, 0
	s_cselect_b64 s[38:39], -1, 0
	s_and_b64 vcc, exec, s[38:39]
	s_cbranch_vccnz .LBB13_22
; %bb.21:
	s_load_dwordx2 s[38:39], s[30:31], 0x18
	s_load_dword s37, s[30:31], 0x20
	s_load_dword s42, s[30:31], 0xe0
	s_load_dwordx2 s[40:41], s[30:31], 0xd8
	s_waitcnt lgkmcnt(0)
	v_mul_hi_u32 v3, s39, v1
	v_add_u32_e32 v3, v1, v3
	v_lshrrev_b32_e32 v3, s37, v3
	v_mul_lo_u32 v3, v3, s38
	v_sub_u32_e32 v3, v1, v3
	v_mad_u64_u32 v[0:1], s[30:31], v3, s40, v[0:1]
	v_mad_u64_u32 v[4:5], s[30:31], v3, s41, v[4:5]
	;; [unrolled: 1-line block ×3, first 2 shown]
.LBB13_22:
	s_cbranch_execz .LBB13_24
	s_branch .LBB13_26
.LBB13_23:
                                        ; implicit-def: $vgpr2
                                        ; implicit-def: $vgpr4
                                        ; implicit-def: $vgpr0
.LBB13_24:
	s_waitcnt lgkmcnt(0)
	v_mul_hi_u32 v0, s13, v12
	v_add_u32_e32 v0, v12, v0
	v_lshrrev_b32_e32 v1, s14, v0
	v_mul_lo_u32 v0, v1, s12
	v_sub_u32_e32 v3, v12, v0
	v_mul_lo_u32 v0, v3, s8
	v_mul_lo_u32 v2, v3, s10
	s_andn2_b64 vcc, exec, s[24:25]
	v_mul_lo_u32 v4, v3, s9
	s_cbranch_vccnz .LBB13_26
; %bb.25:
	v_mul_hi_u32 v3, s22, v1
	v_add_u32_e32 v3, v1, v3
	v_lshrrev_b32_e32 v3, s23, v3
	v_mul_lo_u32 v3, v3, s15
	v_sub_u32_e32 v3, v1, v3
	v_mad_u64_u32 v[0:1], s[30:31], v3, s11, v[0:1]
	v_mad_u64_u32 v[4:5], s[30:31], v3, s20, v[4:5]
	;; [unrolled: 1-line block ×3, first 2 shown]
.LBB13_26:
	s_waitcnt lgkmcnt(0)
	global_load_dword v1, v4, s[2:3]
	global_load_dword v3, v2, s[18:19]
	s_mov_b32 s37, 0x800000
	v_mov_b32_e32 v2, 0x800000
	s_mov_b32 s38, 0x3f7ffffe
	v_mov_b32_e32 v6, 0x3f7ffffe
	v_add_u32_e32 v12, 0x80, v12
	s_waitcnt vmcnt(0)
	v_div_scale_f32 v4, s[30:31], v3, v3, v1
	v_rcp_f32_e32 v5, v4
	v_div_scale_f32 v7, vcc, v1, v3, v1
	v_fma_f32 v8, -v4, v5, 1.0
	v_fmac_f32_e32 v5, v8, v5
	v_mul_f32_e32 v8, v7, v5
	v_fma_f32 v9, -v4, v8, v7
	v_fmac_f32_e32 v8, v9, v5
	v_fma_f32 v4, -v4, v8, v7
	v_div_fmas_f32 v4, v4, v5, v8
	v_div_fixup_f32 v1, v4, v3, v1
	v_cmp_ngt_f32_e32 vcc, s37, v1
	v_cndmask_b32_e32 v1, v2, v1, vcc
	v_cmp_nlt_f32_e32 vcc, s38, v1
	v_cndmask_b32_e32 v1, v6, v1, vcc
	global_store_dword v0, v1, s[0:1]
	s_or_b64 exec, exec, s[28:29]
	v_cmp_gt_i32_e32 vcc, s36, v12
	s_and_saveexec_b64 s[28:29], vcc
	s_cbranch_execz .LBB13_4
.LBB13_27:
	s_andn2_b64 vcc, exec, s[6:7]
	s_cbranch_vccnz .LBB13_34
; %bb.28:
	s_andn2_b64 vcc, exec, s[26:27]
	v_mov_b32_e32 v2, 0
	v_mov_b32_e32 v4, 0
	;; [unrolled: 1-line block ×3, first 2 shown]
	s_cbranch_vccnz .LBB13_33
; %bb.29:
	s_add_i32 s30, s35, 1
	s_and_b32 s37, s30, 30
	s_add_u32 s30, s4, 0xffffffec
	s_addc_u32 s31, s5, -1
	v_mov_b32_e32 v0, 0
	v_mov_b32_e32 v1, v12
	;; [unrolled: 1-line block ×4, first 2 shown]
.LBB13_30:                              ; =>This Inner Loop Header: Depth=1
	s_mov_b64 s[38:39], s[30:31]
	s_load_dwordx4 s[40:43], s[38:39], 0x18
	s_load_dwordx2 s[48:49], s[38:39], 0x28
	s_load_dwordx2 s[50:51], s[38:39], 0xe8
	s_load_dwordx4 s[44:47], s[38:39], 0xd8
	s_add_u32 s30, s38, 24
	s_waitcnt lgkmcnt(0)
	v_mul_hi_u32 v3, s41, v1
	v_add_u32_e32 v3, v1, v3
	v_lshrrev_b32_e32 v3, s42, v3
	v_mul_lo_u32 v5, v3, s40
	v_mul_hi_u32 v6, s48, v3
	v_sub_u32_e32 v1, v1, v5
	v_add_u32_e32 v5, v3, v6
	v_mul_lo_u32 v6, v1, s44
	v_mul_lo_u32 v7, v1, s45
	v_mul_lo_u32 v8, v1, s46
	v_lshrrev_b32_e32 v1, s49, v5
	v_mul_lo_u32 v5, v1, s43
	v_sub_u32_e32 v3, v3, v5
	s_addc_u32 s31, s39, 0
	s_add_i32 s37, s37, -2
	v_mul_lo_u32 v5, v3, s47
	v_mul_lo_u32 v9, v3, s50
	;; [unrolled: 1-line block ×3, first 2 shown]
	s_cmp_eq_u32 s37, 0
	v_add3_u32 v0, v6, v0, v5
	v_add3_u32 v2, v8, v2, v3
	v_add3_u32 v4, v7, v4, v9
	s_cbranch_scc0 .LBB13_30
; %bb.31:
	s_bitcmp1_b32 s35, 0
	s_cselect_b64 s[38:39], -1, 0
	s_and_b64 vcc, exec, s[38:39]
	s_cbranch_vccnz .LBB13_33
; %bb.32:
	s_load_dwordx2 s[38:39], s[30:31], 0x18
	s_load_dword s37, s[30:31], 0x20
	s_load_dword s42, s[30:31], 0xe0
	s_load_dwordx2 s[40:41], s[30:31], 0xd8
	s_waitcnt lgkmcnt(0)
	v_mul_hi_u32 v3, s39, v1
	v_add_u32_e32 v3, v1, v3
	v_lshrrev_b32_e32 v3, s37, v3
	v_mul_lo_u32 v3, v3, s38
	v_sub_u32_e32 v3, v1, v3
	v_mad_u64_u32 v[0:1], s[30:31], v3, s40, v[0:1]
	v_mad_u64_u32 v[4:5], s[30:31], v3, s41, v[4:5]
	;; [unrolled: 1-line block ×3, first 2 shown]
.LBB13_33:
	s_cbranch_execz .LBB13_35
	s_branch .LBB13_37
.LBB13_34:
                                        ; implicit-def: $vgpr2
                                        ; implicit-def: $vgpr4
                                        ; implicit-def: $vgpr0
.LBB13_35:
	s_waitcnt lgkmcnt(0)
	v_mul_hi_u32 v0, s13, v12
	v_add_u32_e32 v0, v12, v0
	v_lshrrev_b32_e32 v1, s14, v0
	v_mul_lo_u32 v0, v1, s12
	v_sub_u32_e32 v3, v12, v0
	v_mul_lo_u32 v0, v3, s8
	v_mul_lo_u32 v2, v3, s10
	s_andn2_b64 vcc, exec, s[24:25]
	v_mul_lo_u32 v4, v3, s9
	s_cbranch_vccnz .LBB13_37
; %bb.36:
	v_mul_hi_u32 v3, s22, v1
	v_add_u32_e32 v3, v1, v3
	v_lshrrev_b32_e32 v3, s23, v3
	v_mul_lo_u32 v3, v3, s15
	v_sub_u32_e32 v3, v1, v3
	v_mad_u64_u32 v[0:1], s[30:31], v3, s11, v[0:1]
	v_mad_u64_u32 v[4:5], s[30:31], v3, s20, v[4:5]
	v_mad_u64_u32 v[2:3], s[30:31], v3, s21, v[2:3]
.LBB13_37:
	s_waitcnt lgkmcnt(0)
	global_load_dword v1, v4, s[2:3]
	global_load_dword v3, v2, s[18:19]
	s_mov_b32 s37, 0x800000
	v_mov_b32_e32 v2, 0x800000
	s_mov_b32 s38, 0x3f7ffffe
	v_mov_b32_e32 v6, 0x3f7ffffe
	v_add_u32_e32 v12, 0x80, v12
	s_waitcnt vmcnt(0)
	v_div_scale_f32 v4, s[30:31], v3, v3, v1
	v_rcp_f32_e32 v5, v4
	v_div_scale_f32 v7, vcc, v1, v3, v1
	v_fma_f32 v8, -v4, v5, 1.0
	v_fmac_f32_e32 v5, v8, v5
	v_mul_f32_e32 v8, v7, v5
	v_fma_f32 v9, -v4, v8, v7
	v_fmac_f32_e32 v8, v9, v5
	v_fma_f32 v4, -v4, v8, v7
	v_div_fmas_f32 v4, v4, v5, v8
	v_div_fixup_f32 v1, v4, v3, v1
	v_cmp_ngt_f32_e32 vcc, s37, v1
	v_cndmask_b32_e32 v1, v2, v1, vcc
	v_cmp_nlt_f32_e32 vcc, s38, v1
	v_cndmask_b32_e32 v1, v6, v1, vcc
	global_store_dword v0, v1, s[0:1]
	s_or_b64 exec, exec, s[28:29]
	v_cmp_gt_i32_e32 vcc, s36, v12
	s_and_saveexec_b64 s[28:29], vcc
	s_cbranch_execz .LBB13_49
.LBB13_38:
	s_andn2_b64 vcc, exec, s[6:7]
	s_cbranch_vccnz .LBB13_45
; %bb.39:
	s_andn2_b64 vcc, exec, s[26:27]
	v_mov_b32_e32 v2, 0
	v_mov_b32_e32 v4, 0
	;; [unrolled: 1-line block ×3, first 2 shown]
	s_cbranch_vccnz .LBB13_44
; %bb.40:
	s_add_i32 s26, s35, 1
	s_and_b32 s30, s26, 30
	s_add_u32 s26, s4, 0xffffffec
	s_addc_u32 s27, s5, -1
	v_mov_b32_e32 v0, 0
	v_mov_b32_e32 v1, v12
	;; [unrolled: 1-line block ×4, first 2 shown]
.LBB13_41:                              ; =>This Inner Loop Header: Depth=1
	s_mov_b64 s[44:45], s[26:27]
	s_load_dwordx4 s[36:39], s[44:45], 0x18
	s_load_dwordx2 s[46:47], s[44:45], 0x28
	s_load_dwordx2 s[48:49], s[44:45], 0xe8
	s_load_dwordx4 s[40:43], s[44:45], 0xd8
	s_add_u32 s26, s44, 24
	s_waitcnt lgkmcnt(0)
	v_mul_hi_u32 v3, s37, v1
	v_add_u32_e32 v3, v1, v3
	v_lshrrev_b32_e32 v3, s38, v3
	v_mul_lo_u32 v5, v3, s36
	v_mul_hi_u32 v6, s46, v3
	v_sub_u32_e32 v1, v1, v5
	v_add_u32_e32 v5, v3, v6
	v_mul_lo_u32 v6, v1, s40
	v_mul_lo_u32 v7, v1, s41
	;; [unrolled: 1-line block ×3, first 2 shown]
	v_lshrrev_b32_e32 v1, s47, v5
	v_mul_lo_u32 v5, v1, s39
	v_sub_u32_e32 v3, v3, v5
	s_addc_u32 s27, s45, 0
	s_add_i32 s30, s30, -2
	v_mul_lo_u32 v5, v3, s43
	v_mul_lo_u32 v9, v3, s48
	;; [unrolled: 1-line block ×3, first 2 shown]
	s_cmp_eq_u32 s30, 0
	v_add3_u32 v0, v6, v0, v5
	v_add3_u32 v2, v8, v2, v3
	;; [unrolled: 1-line block ×3, first 2 shown]
	s_cbranch_scc0 .LBB13_41
; %bb.42:
	s_bitcmp1_b32 s35, 0
	s_cselect_b64 s[30:31], -1, 0
	s_and_b64 vcc, exec, s[30:31]
	s_cbranch_vccnz .LBB13_44
; %bb.43:
	s_load_dwordx2 s[30:31], s[26:27], 0x18
	s_load_dword s35, s[26:27], 0x20
	s_load_dword s38, s[26:27], 0xe0
	s_load_dwordx2 s[36:37], s[26:27], 0xd8
	s_waitcnt lgkmcnt(0)
	v_mul_hi_u32 v3, s31, v1
	v_add_u32_e32 v3, v1, v3
	v_lshrrev_b32_e32 v3, s35, v3
	v_mul_lo_u32 v3, v3, s30
	v_sub_u32_e32 v3, v1, v3
	v_mad_u64_u32 v[0:1], s[26:27], v3, s36, v[0:1]
	v_mad_u64_u32 v[4:5], s[26:27], v3, s37, v[4:5]
	;; [unrolled: 1-line block ×3, first 2 shown]
.LBB13_44:
	s_cbranch_execz .LBB13_46
	s_branch .LBB13_48
.LBB13_45:
                                        ; implicit-def: $vgpr2
                                        ; implicit-def: $vgpr4
                                        ; implicit-def: $vgpr0
.LBB13_46:
	s_waitcnt lgkmcnt(0)
	v_mul_hi_u32 v0, s13, v12
	v_add_u32_e32 v0, v12, v0
	v_lshrrev_b32_e32 v1, s14, v0
	v_mul_lo_u32 v0, v1, s12
	v_sub_u32_e32 v3, v12, v0
	v_mul_lo_u32 v0, v3, s8
	v_mul_lo_u32 v2, v3, s10
	s_andn2_b64 vcc, exec, s[24:25]
	v_mul_lo_u32 v4, v3, s9
	s_cbranch_vccnz .LBB13_48
; %bb.47:
	v_mul_hi_u32 v3, s22, v1
	v_add_u32_e32 v3, v1, v3
	v_lshrrev_b32_e32 v3, s23, v3
	v_mul_lo_u32 v3, v3, s15
	v_sub_u32_e32 v3, v1, v3
	v_mad_u64_u32 v[0:1], s[8:9], v3, s11, v[0:1]
	v_mad_u64_u32 v[4:5], s[8:9], v3, s20, v[4:5]
	;; [unrolled: 1-line block ×3, first 2 shown]
.LBB13_48:
	s_waitcnt lgkmcnt(0)
	global_load_dword v1, v4, s[2:3]
	global_load_dword v3, v2, s[18:19]
	s_mov_b32 s8, 0x800000
	v_mov_b32_e32 v2, 0x800000
	s_mov_b32 s9, 0x3f7ffffe
	v_mov_b32_e32 v6, 0x3f7ffffe
	s_waitcnt vmcnt(0)
	v_div_scale_f32 v4, s[2:3], v3, v3, v1
	v_rcp_f32_e32 v5, v4
	v_div_scale_f32 v7, vcc, v1, v3, v1
	v_fma_f32 v8, -v4, v5, 1.0
	v_fmac_f32_e32 v5, v8, v5
	v_mul_f32_e32 v8, v7, v5
	v_fma_f32 v9, -v4, v8, v7
	v_fmac_f32_e32 v8, v9, v5
	v_fma_f32 v4, -v4, v8, v7
	v_div_fmas_f32 v4, v4, v5, v8
	v_div_fixup_f32 v1, v4, v3, v1
	v_cmp_ngt_f32_e32 vcc, s8, v1
	v_cndmask_b32_e32 v1, v2, v1, vcc
	v_cmp_nlt_f32_e32 vcc, s9, v1
	v_cndmask_b32_e32 v1, v6, v1, vcc
	global_store_dword v0, v1, s[0:1]
.LBB13_49:
	s_or_b64 exec, exec, s[28:29]
                                        ; implicit-def: $vgpr24
                                        ; implicit-def: $vgpr12
.LBB13_50:
	s_waitcnt lgkmcnt(0)
	s_andn2_saveexec_b64 s[0:1], s[16:17]
	s_cbranch_execz .LBB13_57
; %bb.51:
	v_cndmask_b32_e64 v0, 0, 1, s[6:7]
	v_cmp_ne_u32_e64 s[0:1], 1, v0
	s_andn2_b64 vcc, exec, s[6:7]
	s_cbranch_vccnz .LBB13_58
; %bb.52:
	s_cmp_lg_u32 s33, 0
	v_mov_b32_e32 v2, 0
	v_mov_b32_e32 v4, 0
	;; [unrolled: 1-line block ×3, first 2 shown]
	s_cbranch_scc0 .LBB13_59
; %bb.53:
	s_min_u32 s6, s34, 15
	s_add_i32 s2, s6, 1
	s_and_b32 s7, s2, 30
	s_add_u32 s2, s4, 0xffffffec
	s_addc_u32 s3, s5, -1
	v_mov_b32_e32 v0, 0
	v_mov_b32_e32 v1, v12
	;; [unrolled: 1-line block ×4, first 2 shown]
.LBB13_54:                              ; =>This Inner Loop Header: Depth=1
	s_mov_b64 s[16:17], s[2:3]
	s_load_dwordx4 s[8:11], s[16:17], 0x18
	s_load_dwordx2 s[18:19], s[16:17], 0x28
	s_load_dwordx2 s[20:21], s[16:17], 0xe8
	s_load_dwordx4 s[12:15], s[16:17], 0xd8
	s_add_u32 s2, s16, 24
	s_waitcnt lgkmcnt(0)
	v_mul_hi_u32 v3, s9, v1
	v_add_u32_e32 v3, v1, v3
	v_lshrrev_b32_e32 v3, s10, v3
	v_mul_lo_u32 v5, v3, s8
	v_mul_hi_u32 v6, s18, v3
	v_sub_u32_e32 v1, v1, v5
	v_add_u32_e32 v5, v3, v6
	v_mul_lo_u32 v6, v1, s12
	v_mul_lo_u32 v7, v1, s13
	;; [unrolled: 1-line block ×3, first 2 shown]
	v_lshrrev_b32_e32 v1, s19, v5
	v_mul_lo_u32 v5, v1, s11
	v_sub_u32_e32 v3, v3, v5
	s_addc_u32 s3, s17, 0
	s_add_i32 s7, s7, -2
	v_mul_lo_u32 v5, v3, s15
	v_mul_lo_u32 v9, v3, s20
	v_mul_lo_u32 v3, v3, s21
	s_cmp_lg_u32 s7, 0
	v_add3_u32 v0, v6, v0, v5
	v_add3_u32 v2, v8, v2, v3
	;; [unrolled: 1-line block ×3, first 2 shown]
	s_cbranch_scc1 .LBB13_54
; %bb.55:
	s_bitcmp1_b32 s6, 0
	s_cselect_b64 s[6:7], -1, 0
	s_and_b64 vcc, exec, s[6:7]
	s_cbranch_vccnz .LBB13_59
; %bb.56:
	s_load_dwordx2 s[6:7], s[2:3], 0x18
	s_load_dword s10, s[2:3], 0x20
	s_load_dword s11, s[2:3], 0xe0
	s_load_dwordx2 s[8:9], s[2:3], 0xd8
	s_waitcnt lgkmcnt(0)
	v_mul_hi_u32 v3, s7, v1
	v_add_u32_e32 v3, v1, v3
	v_lshrrev_b32_e32 v3, s10, v3
	v_mul_lo_u32 v3, v3, s6
	v_sub_u32_e32 v3, v1, v3
	v_mad_u64_u32 v[0:1], s[2:3], v3, s8, v[0:1]
	v_mad_u64_u32 v[4:5], s[2:3], v3, s9, v[4:5]
	;; [unrolled: 1-line block ×3, first 2 shown]
	s_cbranch_execz .LBB13_60
	s_branch .LBB13_62
.LBB13_57:
	s_endpgm
.LBB13_58:
                                        ; implicit-def: $vgpr2
                                        ; implicit-def: $vgpr4
                                        ; implicit-def: $vgpr0
	s_branch .LBB13_60
.LBB13_59:
	s_cbranch_execnz .LBB13_62
.LBB13_60:
	s_load_dwordx4 s[8:11], s[4:5], 0x4
	s_load_dwordx4 s[12:15], s[4:5], 0xc4
	s_cmp_lt_u32 s33, 2
	s_waitcnt lgkmcnt(0)
	v_mul_hi_u32 v0, s9, v12
	v_add_u32_e32 v0, v12, v0
	v_lshrrev_b32_e32 v1, s10, v0
	v_mul_lo_u32 v0, v1, s8
	v_sub_u32_e32 v3, v12, v0
	v_mul_lo_u32 v0, v3, s12
	v_mul_lo_u32 v2, v3, s14
	;; [unrolled: 1-line block ×3, first 2 shown]
	s_cbranch_scc1 .LBB13_62
; %bb.61:
	s_load_dwordx4 s[8:11], s[4:5], 0x10
	s_load_dwordx4 s[12:15], s[4:5], 0xd0
	s_waitcnt lgkmcnt(0)
	v_mul_hi_u32 v3, s9, v1
	v_add_u32_e32 v3, v1, v3
	v_lshrrev_b32_e32 v3, s10, v3
	v_mul_lo_u32 v3, v3, s8
	v_sub_u32_e32 v3, v1, v3
	v_mad_u64_u32 v[0:1], s[2:3], v3, s12, v[0:1]
	v_mad_u64_u32 v[4:5], s[2:3], v3, s13, v[4:5]
	;; [unrolled: 1-line block ×3, first 2 shown]
.LBB13_62:
	s_and_b64 vcc, exec, s[0:1]
	v_add_u32_e32 v1, 0x80, v12
	s_cbranch_vccnz .LBB13_68
; %bb.63:
	s_cmp_lg_u32 s33, 0
	v_mov_b32_e32 v8, 0
	v_mov_b32_e32 v10, 0
	;; [unrolled: 1-line block ×3, first 2 shown]
	s_cbranch_scc0 .LBB13_69
; %bb.64:
	s_min_u32 s6, s34, 15
	s_add_i32 s2, s6, 1
	s_and_b32 s7, s2, 30
	s_add_u32 s2, s4, 0xffffffec
	s_addc_u32 s3, s5, -1
	v_mov_b32_e32 v6, 0
	v_mov_b32_e32 v3, v1
	;; [unrolled: 1-line block ×4, first 2 shown]
.LBB13_65:                              ; =>This Inner Loop Header: Depth=1
	s_mov_b64 s[16:17], s[2:3]
	s_load_dwordx4 s[8:11], s[16:17], 0x18
	s_load_dwordx2 s[18:19], s[16:17], 0x28
	s_load_dwordx2 s[20:21], s[16:17], 0xe8
	s_load_dwordx4 s[12:15], s[16:17], 0xd8
	s_add_u32 s2, s16, 24
	s_waitcnt lgkmcnt(0)
	v_mul_hi_u32 v5, s9, v3
	v_add_u32_e32 v5, v3, v5
	v_lshrrev_b32_e32 v5, s10, v5
	v_mul_lo_u32 v7, v5, s8
	v_mul_hi_u32 v9, s18, v5
	v_sub_u32_e32 v3, v3, v7
	v_add_u32_e32 v7, v5, v9
	v_mul_lo_u32 v9, v3, s12
	v_mul_lo_u32 v11, v3, s13
	;; [unrolled: 1-line block ×3, first 2 shown]
	v_lshrrev_b32_e32 v3, s19, v7
	v_mul_lo_u32 v7, v3, s11
	v_sub_u32_e32 v5, v5, v7
	s_addc_u32 s3, s17, 0
	s_add_i32 s7, s7, -2
	v_mul_lo_u32 v7, v5, s15
	v_mul_lo_u32 v14, v5, s20
	;; [unrolled: 1-line block ×3, first 2 shown]
	s_cmp_lg_u32 s7, 0
	v_add3_u32 v6, v9, v6, v7
	v_add3_u32 v8, v13, v8, v5
	;; [unrolled: 1-line block ×3, first 2 shown]
	s_cbranch_scc1 .LBB13_65
; %bb.66:
	s_bitcmp1_b32 s6, 0
	s_cselect_b64 s[6:7], -1, 0
	s_and_b64 vcc, exec, s[6:7]
	s_cbranch_vccnz .LBB13_69
; %bb.67:
	s_load_dwordx2 s[6:7], s[2:3], 0x18
	s_load_dword s10, s[2:3], 0x20
	s_load_dword s11, s[2:3], 0xe0
	s_load_dwordx2 s[8:9], s[2:3], 0xd8
	s_waitcnt lgkmcnt(0)
	v_mul_hi_u32 v5, s7, v3
	v_add_u32_e32 v5, v3, v5
	v_lshrrev_b32_e32 v5, s10, v5
	v_mul_lo_u32 v5, v5, s6
	v_sub_u32_e32 v3, v3, v5
	v_mad_u64_u32 v[6:7], s[2:3], v3, s8, v[6:7]
	v_mad_u64_u32 v[10:11], s[2:3], v3, s9, v[10:11]
	;; [unrolled: 1-line block ×3, first 2 shown]
	s_cbranch_execz .LBB13_70
	s_branch .LBB13_72
.LBB13_68:
                                        ; implicit-def: $vgpr8
                                        ; implicit-def: $vgpr10
                                        ; implicit-def: $vgpr6
	s_branch .LBB13_70
.LBB13_69:
	s_cbranch_execnz .LBB13_72
.LBB13_70:
	s_load_dwordx4 s[8:11], s[4:5], 0x4
	s_load_dwordx4 s[12:15], s[4:5], 0xc4
	s_cmp_lt_u32 s33, 2
	s_waitcnt lgkmcnt(0)
	v_mul_hi_u32 v3, s9, v1
	v_add_u32_e32 v3, v1, v3
	v_lshrrev_b32_e32 v3, s10, v3
	v_mul_lo_u32 v5, v3, s8
	v_sub_u32_e32 v1, v1, v5
	v_mul_lo_u32 v6, v1, s12
	v_mul_lo_u32 v8, v1, s14
	;; [unrolled: 1-line block ×3, first 2 shown]
	s_cbranch_scc1 .LBB13_72
; %bb.71:
	s_load_dwordx4 s[8:11], s[4:5], 0x10
	s_load_dwordx4 s[12:15], s[4:5], 0xd0
	s_waitcnt lgkmcnt(0)
	v_mul_hi_u32 v1, s9, v3
	v_add_u32_e32 v1, v3, v1
	v_lshrrev_b32_e32 v1, s10, v1
	v_mul_lo_u32 v1, v1, s8
	v_sub_u32_e32 v1, v3, v1
	v_mad_u64_u32 v[6:7], s[2:3], v1, s12, v[6:7]
	v_mad_u64_u32 v[10:11], s[2:3], v1, s13, v[10:11]
	;; [unrolled: 1-line block ×3, first 2 shown]
.LBB13_72:
	s_and_b64 vcc, exec, s[0:1]
	v_add_u32_e32 v1, 0x100, v12
	s_cbranch_vccnz .LBB13_78
; %bb.73:
	s_cmp_lg_u32 s33, 0
	v_mov_b32_e32 v16, 0
	v_mov_b32_e32 v14, 0
	;; [unrolled: 1-line block ×3, first 2 shown]
	s_cbranch_scc0 .LBB13_79
; %bb.74:
	s_min_u32 s6, s34, 15
	s_add_i32 s2, s6, 1
	s_and_b32 s7, s2, 30
	s_add_u32 s2, s4, 0xffffffec
	s_addc_u32 s3, s5, -1
	v_mov_b32_e32 v12, 0
	v_mov_b32_e32 v3, v1
	;; [unrolled: 1-line block ×4, first 2 shown]
.LBB13_75:                              ; =>This Inner Loop Header: Depth=1
	s_mov_b64 s[16:17], s[2:3]
	s_load_dwordx4 s[8:11], s[16:17], 0x18
	s_load_dwordx2 s[18:19], s[16:17], 0x28
	s_load_dwordx2 s[20:21], s[16:17], 0xe8
	s_load_dwordx4 s[12:15], s[16:17], 0xd8
	s_add_u32 s2, s16, 24
	s_waitcnt lgkmcnt(0)
	v_mul_hi_u32 v5, s9, v3
	v_add_u32_e32 v5, v3, v5
	v_lshrrev_b32_e32 v5, s10, v5
	v_mul_lo_u32 v7, v5, s8
	v_mul_hi_u32 v9, s18, v5
	v_sub_u32_e32 v3, v3, v7
	v_add_u32_e32 v7, v5, v9
	v_mul_lo_u32 v9, v3, s12
	v_mul_lo_u32 v11, v3, s13
	;; [unrolled: 1-line block ×3, first 2 shown]
	v_lshrrev_b32_e32 v3, s19, v7
	v_mul_lo_u32 v7, v3, s11
	v_sub_u32_e32 v5, v5, v7
	s_addc_u32 s3, s17, 0
	s_add_i32 s7, s7, -2
	v_mul_lo_u32 v7, v5, s15
	v_mul_lo_u32 v15, v5, s20
	;; [unrolled: 1-line block ×3, first 2 shown]
	s_cmp_lg_u32 s7, 0
	v_add3_u32 v12, v9, v12, v7
	v_add3_u32 v16, v13, v16, v5
	;; [unrolled: 1-line block ×3, first 2 shown]
	s_cbranch_scc1 .LBB13_75
; %bb.76:
	s_bitcmp1_b32 s6, 0
	s_cselect_b64 s[6:7], -1, 0
	s_and_b64 vcc, exec, s[6:7]
	s_cbranch_vccnz .LBB13_79
; %bb.77:
	s_load_dwordx2 s[6:7], s[2:3], 0x18
	s_load_dword s10, s[2:3], 0x20
	s_load_dword s11, s[2:3], 0xe0
	s_load_dwordx2 s[8:9], s[2:3], 0xd8
	s_waitcnt lgkmcnt(0)
	v_mul_hi_u32 v5, s7, v3
	v_add_u32_e32 v5, v3, v5
	v_lshrrev_b32_e32 v5, s10, v5
	v_mul_lo_u32 v5, v5, s6
	v_sub_u32_e32 v3, v3, v5
	v_mad_u64_u32 v[12:13], s[2:3], v3, s8, v[12:13]
	v_mad_u64_u32 v[14:15], s[2:3], v3, s9, v[14:15]
	;; [unrolled: 1-line block ×3, first 2 shown]
	s_cbranch_execz .LBB13_80
	s_branch .LBB13_82
.LBB13_78:
                                        ; implicit-def: $vgpr16
                                        ; implicit-def: $vgpr14
                                        ; implicit-def: $vgpr12
	s_branch .LBB13_80
.LBB13_79:
	s_cbranch_execnz .LBB13_82
.LBB13_80:
	s_load_dwordx4 s[8:11], s[4:5], 0x4
	s_load_dwordx4 s[12:15], s[4:5], 0xc4
	s_cmp_lt_u32 s33, 2
	s_waitcnt lgkmcnt(0)
	v_mul_hi_u32 v3, s9, v1
	v_add_u32_e32 v3, v1, v3
	v_lshrrev_b32_e32 v3, s10, v3
	v_mul_lo_u32 v5, v3, s8
	v_sub_u32_e32 v1, v1, v5
	v_mul_lo_u32 v12, v1, s12
	v_mul_lo_u32 v16, v1, s14
	;; [unrolled: 1-line block ×3, first 2 shown]
	s_cbranch_scc1 .LBB13_82
; %bb.81:
	s_load_dwordx4 s[8:11], s[4:5], 0x10
	s_load_dwordx4 s[12:15], s[4:5], 0xd0
	s_waitcnt lgkmcnt(0)
	v_mul_hi_u32 v1, s9, v3
	v_add_u32_e32 v1, v3, v1
	v_lshrrev_b32_e32 v1, s10, v1
	v_mul_lo_u32 v1, v1, s8
	v_sub_u32_e32 v1, v3, v1
	v_mad_u64_u32 v[12:13], s[2:3], v1, s12, v[12:13]
	v_mad_u64_u32 v[14:15], s[2:3], v1, s13, v[14:15]
	;; [unrolled: 1-line block ×3, first 2 shown]
.LBB13_82:
	s_and_b64 vcc, exec, s[0:1]
	s_cbranch_vccnz .LBB13_88
; %bb.83:
	s_cmp_lg_u32 s33, 0
	v_mov_b32_e32 v20, 0
	v_mov_b32_e32 v22, 0
	;; [unrolled: 1-line block ×3, first 2 shown]
	s_cbranch_scc0 .LBB13_89
; %bb.84:
	s_min_u32 s2, s34, 15
	s_add_i32 s0, s2, 1
	s_and_b32 s3, s0, 30
	s_add_u32 s0, s4, 0xffffffec
	s_addc_u32 s1, s5, -1
	v_mov_b32_e32 v18, 0
	v_mov_b32_e32 v1, v24
	;; [unrolled: 1-line block ×4, first 2 shown]
.LBB13_85:                              ; =>This Inner Loop Header: Depth=1
	s_mov_b64 s[6:7], s[0:1]
	s_load_dwordx4 s[8:11], s[6:7], 0x18
	s_load_dwordx2 s[16:17], s[6:7], 0x28
	s_load_dwordx2 s[18:19], s[6:7], 0xe8
	s_load_dwordx4 s[12:15], s[6:7], 0xd8
	s_add_u32 s0, s6, 24
	s_waitcnt lgkmcnt(0)
	v_mul_hi_u32 v3, s9, v1
	v_add_u32_e32 v3, v1, v3
	v_lshrrev_b32_e32 v3, s10, v3
	v_mul_lo_u32 v5, v3, s8
	v_mul_hi_u32 v7, s16, v3
	v_sub_u32_e32 v1, v1, v5
	v_add_u32_e32 v5, v3, v7
	v_mul_lo_u32 v7, v1, s12
	v_mul_lo_u32 v9, v1, s13
	;; [unrolled: 1-line block ×3, first 2 shown]
	v_lshrrev_b32_e32 v1, s17, v5
	v_mul_lo_u32 v5, v1, s11
	v_sub_u32_e32 v3, v3, v5
	s_addc_u32 s1, s7, 0
	s_add_i32 s3, s3, -2
	v_mul_lo_u32 v5, v3, s15
	v_mul_lo_u32 v13, v3, s18
	;; [unrolled: 1-line block ×3, first 2 shown]
	s_cmp_lg_u32 s3, 0
	v_add3_u32 v18, v7, v18, v5
	v_add3_u32 v20, v11, v20, v3
	v_add3_u32 v22, v9, v22, v13
	s_cbranch_scc1 .LBB13_85
; %bb.86:
	s_bitcmp1_b32 s2, 0
	s_cselect_b64 s[2:3], -1, 0
	s_and_b64 vcc, exec, s[2:3]
	s_cbranch_vccnz .LBB13_89
; %bb.87:
	s_load_dwordx2 s[2:3], s[0:1], 0x18
	s_load_dword s8, s[0:1], 0x20
	s_load_dword s9, s[0:1], 0xe0
	s_load_dwordx2 s[6:7], s[0:1], 0xd8
	s_waitcnt lgkmcnt(0)
	v_mul_hi_u32 v3, s3, v1
	v_add_u32_e32 v3, v1, v3
	v_lshrrev_b32_e32 v3, s8, v3
	v_mul_lo_u32 v3, v3, s2
	v_sub_u32_e32 v1, v1, v3
	v_mad_u64_u32 v[18:19], s[0:1], v1, s6, v[18:19]
	v_mad_u64_u32 v[22:23], s[0:1], v1, s7, v[22:23]
	;; [unrolled: 1-line block ×3, first 2 shown]
	s_cbranch_execz .LBB13_90
	s_branch .LBB13_92
.LBB13_88:
                                        ; implicit-def: $vgpr20
                                        ; implicit-def: $vgpr22
                                        ; implicit-def: $vgpr18
	s_branch .LBB13_90
.LBB13_89:
	s_cbranch_execnz .LBB13_92
.LBB13_90:
	s_load_dwordx4 s[0:3], s[4:5], 0x4
	s_load_dwordx4 s[8:11], s[4:5], 0xc4
	s_cmp_lt_u32 s33, 2
	s_waitcnt lgkmcnt(0)
	v_mul_hi_u32 v1, s1, v24
	v_add_u32_e32 v1, v24, v1
	v_lshrrev_b32_e32 v1, s2, v1
	v_mul_lo_u32 v3, v1, s0
	v_sub_u32_e32 v3, v24, v3
	v_mul_lo_u32 v18, v3, s8
	v_mul_lo_u32 v20, v3, s10
	;; [unrolled: 1-line block ×3, first 2 shown]
	s_cbranch_scc1 .LBB13_92
; %bb.91:
	s_load_dwordx4 s[0:3], s[4:5], 0x10
	s_load_dwordx4 s[8:11], s[4:5], 0xd0
	s_waitcnt lgkmcnt(0)
	v_mul_hi_u32 v3, s1, v1
	v_add_u32_e32 v3, v1, v3
	v_lshrrev_b32_e32 v3, s2, v3
	v_mul_lo_u32 v3, v3, s0
	v_sub_u32_e32 v1, v1, v3
	v_mad_u64_u32 v[18:19], s[0:1], v1, s8, v[18:19]
	v_mad_u64_u32 v[22:23], s[0:1], v1, s9, v[22:23]
	;; [unrolled: 1-line block ×3, first 2 shown]
.LBB13_92:
	s_load_dwordx4 s[8:11], s[4:5], 0x188
	s_load_dwordx2 s[0:1], s[4:5], 0x198
	s_mov_b32 s6, 0x800000
	s_mov_b32 s7, 0x3f7ffffe
	s_waitcnt lgkmcnt(0)
	global_load_dword v1, v4, s[10:11]
	global_load_dword v3, v2, s[0:1]
	;; [unrolled: 1-line block ×8, first 2 shown]
	v_mov_b32_e32 v2, 0x800000
	v_mov_b32_e32 v4, 0x3f7ffffe
	s_waitcnt vmcnt(6)
	v_div_scale_f32 v8, s[0:1], v3, v3, v1
	v_rcp_f32_e32 v22, v8
	s_waitcnt vmcnt(4)
	v_div_scale_f32 v14, s[0:1], v7, v7, v5
	v_rcp_f32_e32 v23, v14
	;; [unrolled: 3-line block ×3, first 2 shown]
	v_fma_f32 v26, -v8, v22, 1.0
	v_div_scale_f32 v10, vcc, v1, v3, v1
	v_fmac_f32_e32 v22, v26, v22
	s_waitcnt vmcnt(0)
	v_div_scale_f32 v20, s[4:5], v15, v15, v13
	v_fma_f32 v27, -v14, v23, 1.0
	v_mul_f32_e32 v26, v10, v22
	v_div_scale_f32 v16, s[0:1], v5, v7, v5
	v_rcp_f32_e32 v25, v20
	v_fmac_f32_e32 v23, v27, v23
	v_fma_f32 v30, -v8, v26, v10
	v_fma_f32 v28, -v17, v24, 1.0
	v_mul_f32_e32 v27, v16, v23
	v_fmac_f32_e32 v26, v30, v22
	v_div_scale_f32 v19, s[2:3], v9, v11, v9
	v_fmac_f32_e32 v24, v28, v24
	v_fma_f32 v31, -v14, v27, v16
	v_fma_f32 v8, -v8, v26, v10
	v_mul_f32_e32 v28, v19, v24
	v_fmac_f32_e32 v27, v31, v23
	v_div_fmas_f32 v8, v8, v22, v26
	v_fma_f32 v29, -v20, v25, 1.0
	v_fma_f32 v32, -v17, v28, v19
	v_fma_f32 v10, -v14, v27, v16
	v_div_fixup_f32 v1, v8, v3, v1
	s_mov_b64 vcc, s[0:1]
	v_div_scale_f32 v21, s[4:5], v13, v15, v13
	v_fmac_f32_e32 v25, v29, v25
	v_fmac_f32_e32 v28, v32, v24
	v_div_fmas_f32 v3, v10, v23, v27
	v_cmp_ngt_f32_e32 vcc, s6, v1
	v_mul_f32_e32 v29, v21, v25
	v_fma_f32 v14, -v17, v28, v19
	v_cndmask_b32_e32 v1, v2, v1, vcc
	s_mov_b64 vcc, s[2:3]
	v_fma_f32 v33, -v20, v29, v21
	v_div_fixup_f32 v3, v3, v7, v5
	v_div_fmas_f32 v5, v14, v24, v28
	v_cmp_nlt_f32_e32 vcc, s7, v1
	v_fmac_f32_e32 v29, v33, v25
	v_cndmask_b32_e32 v1, v4, v1, vcc
	v_cmp_ngt_f32_e32 vcc, s6, v3
	v_fma_f32 v16, -v20, v29, v21
	v_cndmask_b32_e32 v3, v2, v3, vcc
	s_mov_b64 vcc, s[4:5]
	v_div_fixup_f32 v5, v5, v11, v9
	v_div_fmas_f32 v7, v16, v25, v29
	v_cmp_nlt_f32_e32 vcc, s7, v3
	v_cndmask_b32_e32 v3, v4, v3, vcc
	v_cmp_ngt_f32_e32 vcc, s6, v5
	v_cndmask_b32_e32 v5, v2, v5, vcc
	v_div_fixup_f32 v7, v7, v15, v13
	v_cmp_nlt_f32_e32 vcc, s7, v5
	global_store_dword v0, v1, s[8:9]
	v_cndmask_b32_e32 v0, v4, v5, vcc
	v_cmp_ngt_f32_e32 vcc, s6, v7
	v_cndmask_b32_e32 v1, v2, v7, vcc
	v_cmp_nlt_f32_e32 vcc, s7, v1
	global_store_dword v6, v3, s[8:9]
	v_cndmask_b32_e32 v1, v4, v1, vcc
	global_store_dword v12, v0, s[8:9]
	global_store_dword v18, v1, s[8:9]
	s_endpgm
	.section	.rodata,"a",@progbits
	.p2align	6, 0x0
	.amdhsa_kernel _ZN2at6native32elementwise_kernel_manual_unrollILi128ELi4EZNS0_22gpu_kernel_impl_nocastIZZZNS0_23launch_dirichlet_kernelERNS_18TensorIteratorBaseEENKUlvE_clEvENKUlvE0_clEvEUlffE_EEvS4_RKT_EUlibE_EEviT1_
		.amdhsa_group_segment_fixed_size 0
		.amdhsa_private_segment_fixed_size 0
		.amdhsa_kernarg_size 432
		.amdhsa_user_sgpr_count 6
		.amdhsa_user_sgpr_private_segment_buffer 1
		.amdhsa_user_sgpr_dispatch_ptr 0
		.amdhsa_user_sgpr_queue_ptr 0
		.amdhsa_user_sgpr_kernarg_segment_ptr 1
		.amdhsa_user_sgpr_dispatch_id 0
		.amdhsa_user_sgpr_flat_scratch_init 0
		.amdhsa_user_sgpr_kernarg_preload_length 0
		.amdhsa_user_sgpr_kernarg_preload_offset 0
		.amdhsa_user_sgpr_private_segment_size 0
		.amdhsa_uses_dynamic_stack 0
		.amdhsa_system_sgpr_private_segment_wavefront_offset 0
		.amdhsa_system_sgpr_workgroup_id_x 1
		.amdhsa_system_sgpr_workgroup_id_y 0
		.amdhsa_system_sgpr_workgroup_id_z 0
		.amdhsa_system_sgpr_workgroup_info 0
		.amdhsa_system_vgpr_workitem_id 0
		.amdhsa_next_free_vgpr 34
		.amdhsa_next_free_sgpr 52
		.amdhsa_accum_offset 36
		.amdhsa_reserve_vcc 1
		.amdhsa_reserve_flat_scratch 0
		.amdhsa_float_round_mode_32 0
		.amdhsa_float_round_mode_16_64 0
		.amdhsa_float_denorm_mode_32 3
		.amdhsa_float_denorm_mode_16_64 3
		.amdhsa_dx10_clamp 1
		.amdhsa_ieee_mode 1
		.amdhsa_fp16_overflow 0
		.amdhsa_tg_split 0
		.amdhsa_exception_fp_ieee_invalid_op 0
		.amdhsa_exception_fp_denorm_src 0
		.amdhsa_exception_fp_ieee_div_zero 0
		.amdhsa_exception_fp_ieee_overflow 0
		.amdhsa_exception_fp_ieee_underflow 0
		.amdhsa_exception_fp_ieee_inexact 0
		.amdhsa_exception_int_div_zero 0
	.end_amdhsa_kernel
	.section	.text._ZN2at6native32elementwise_kernel_manual_unrollILi128ELi4EZNS0_22gpu_kernel_impl_nocastIZZZNS0_23launch_dirichlet_kernelERNS_18TensorIteratorBaseEENKUlvE_clEvENKUlvE0_clEvEUlffE_EEvS4_RKT_EUlibE_EEviT1_,"axG",@progbits,_ZN2at6native32elementwise_kernel_manual_unrollILi128ELi4EZNS0_22gpu_kernel_impl_nocastIZZZNS0_23launch_dirichlet_kernelERNS_18TensorIteratorBaseEENKUlvE_clEvENKUlvE0_clEvEUlffE_EEvS4_RKT_EUlibE_EEviT1_,comdat
.Lfunc_end13:
	.size	_ZN2at6native32elementwise_kernel_manual_unrollILi128ELi4EZNS0_22gpu_kernel_impl_nocastIZZZNS0_23launch_dirichlet_kernelERNS_18TensorIteratorBaseEENKUlvE_clEvENKUlvE0_clEvEUlffE_EEvS4_RKT_EUlibE_EEviT1_, .Lfunc_end13-_ZN2at6native32elementwise_kernel_manual_unrollILi128ELi4EZNS0_22gpu_kernel_impl_nocastIZZZNS0_23launch_dirichlet_kernelERNS_18TensorIteratorBaseEENKUlvE_clEvENKUlvE0_clEvEUlffE_EEvS4_RKT_EUlibE_EEviT1_
                                        ; -- End function
	.section	.AMDGPU.csdata,"",@progbits
; Kernel info:
; codeLenInByte = 5496
; NumSgprs: 56
; NumVgprs: 34
; NumAgprs: 0
; TotalNumVgprs: 34
; ScratchSize: 0
; MemoryBound: 0
; FloatMode: 240
; IeeeMode: 1
; LDSByteSize: 0 bytes/workgroup (compile time only)
; SGPRBlocks: 6
; VGPRBlocks: 4
; NumSGPRsForWavesPerEU: 56
; NumVGPRsForWavesPerEU: 34
; AccumOffset: 36
; Occupancy: 8
; WaveLimiterHint : 1
; COMPUTE_PGM_RSRC2:SCRATCH_EN: 0
; COMPUTE_PGM_RSRC2:USER_SGPR: 6
; COMPUTE_PGM_RSRC2:TRAP_HANDLER: 0
; COMPUTE_PGM_RSRC2:TGID_X_EN: 1
; COMPUTE_PGM_RSRC2:TGID_Y_EN: 0
; COMPUTE_PGM_RSRC2:TGID_Z_EN: 0
; COMPUTE_PGM_RSRC2:TIDIG_COMP_CNT: 0
; COMPUTE_PGM_RSRC3_GFX90A:ACCUM_OFFSET: 8
; COMPUTE_PGM_RSRC3_GFX90A:TG_SPLIT: 0
	.text
	.p2align	2                               ; -- Begin function _ZN2at6native25elementwise_kernel_helperILb1EZZZNS0_23launch_dirichlet_kernelERNS_18TensorIteratorBaseEENKUlvE_clEvENKUlvE0_clEvEUlffE_NS0_6memory8policies11unroll_baseILi512ESt5arrayIPcLm3EE23TrivialOffsetCalculatorILi2EjESD_ILi1EjENS7_12LoadWithCastILi2EEENS7_13StoreWithCastILi1EEELi32ELi1EEEEEvT0_T1_
	.type	_ZN2at6native25elementwise_kernel_helperILb1EZZZNS0_23launch_dirichlet_kernelERNS_18TensorIteratorBaseEENKUlvE_clEvENKUlvE0_clEvEUlffE_NS0_6memory8policies11unroll_baseILi512ESt5arrayIPcLm3EE23TrivialOffsetCalculatorILi2EjESD_ILi1EjENS7_12LoadWithCastILi2EEENS7_13StoreWithCastILi1EEELi32ELi1EEEEEvT0_T1_,@function
_ZN2at6native25elementwise_kernel_helperILb1EZZZNS0_23launch_dirichlet_kernelERNS_18TensorIteratorBaseEENKUlvE_clEvENKUlvE0_clEvEUlffE_NS0_6memory8policies11unroll_baseILi512ESt5arrayIPcLm3EE23TrivialOffsetCalculatorILi2EjESD_ILi1EjENS7_12LoadWithCastILi2EEENS7_13StoreWithCastILi1EEELi32ELi1EEEEEvT0_T1_: ; @_ZN2at6native25elementwise_kernel_helperILb1EZZZNS0_23launch_dirichlet_kernelERNS_18TensorIteratorBaseEENKUlvE_clEvENKUlvE0_clEvEUlffE_NS0_6memory8policies11unroll_baseILi512ESt5arrayIPcLm3EE23TrivialOffsetCalculatorILi2EjESD_ILi1EjENS7_12LoadWithCastILi2EEENS7_13StoreWithCastILi1EEELi32ELi1EEEEEvT0_T1_
; %bb.0:
	s_waitcnt vmcnt(0) expcnt(0) lgkmcnt(0)
	s_or_saveexec_b64 s[4:5], -1
	buffer_store_dword v40, off, s[0:3], s32 offset:256 ; 4-byte Folded Spill
	buffer_store_dword v41, off, s[0:3], s32 offset:260 ; 4-byte Folded Spill
	;; [unrolled: 1-line block ×5, first 2 shown]
	s_mov_b64 exec, s[4:5]
	v_writelane_b32 v40, s34, 0
	v_writelane_b32 v40, s35, 1
	;; [unrolled: 1-line block ×66, first 2 shown]
	s_load_dword s4, s[8:9], 0x10
	s_load_dword s6, s[8:9], 0x0
	s_mov_b32 s5, 0
                                        ; implicit-def: $vgpr44 : SGPR spill to VGPR lane
	v_and_b32_e32 v13, 0x3ff, v31
	v_writelane_b32 v44, s5, 0
	s_waitcnt lgkmcnt(0)
	s_lshr_b32 s4, s4, 16
	s_cmp_lg_u32 s4, 0
	s_cselect_b64 s[4:5], -1, 0
	s_not_b32 s7, s12
	s_cmp_lg_u64 s[4:5], 0
	s_addc_u32 s4, s6, s7
	s_lshl_b32 s4, s4, 14
	v_mov_b32_e32 v16, 0
	v_writelane_b32 v44, s4, 1
	s_mov_b64 s[4:5], 0
	v_lshrrev_b32_e64 v17, 6, s32
	v_mov_b32_e32 v18, 10
	v_mov_b32_e32 v19, 25
	;; [unrolled: 1-line block ×30, first 2 shown]
	buffer_store_dword v16, off, s[0:3], s32 offset:4
	buffer_store_dword v16, off, s[0:3], s32
	buffer_store_dword v16, off, s[0:3], s32 offset:12
	buffer_store_dword v16, off, s[0:3], s32 offset:8
	;; [unrolled: 1-line block ×62, first 2 shown]
                                        ; implicit-def: $sgpr6_sgpr7
                                        ; implicit-def: $sgpr8_sgpr9
                                        ; implicit-def: $sgpr10_sgpr11
                                        ; implicit-def: $sgpr12_sgpr13
	s_branch .LBB14_17
.LBB14_1:                               ;   in Loop: Header=BB14_17 Depth=1
	s_or_b64 exec, exec, vcc
	v_readlane_b32 vcc_lo, v44, 38
	v_readlane_b32 vcc_hi, v44, 39
	s_andn2_b64 vcc, vcc, exec
	s_and_b64 s[60:61], s[68:69], exec
	s_or_b64 vcc, vcc, s[60:61]
	v_writelane_b32 v44, vcc_lo, 38
	v_writelane_b32 v44, vcc_hi, 39
	v_readlane_b32 vcc_lo, v44, 44
	v_readlane_b32 vcc_hi, v44, 45
	s_andn2_b64 vcc, vcc, exec
	s_and_b64 s[60:61], s[66:67], exec
	s_or_b64 s[62:63], vcc, s[60:61]
	v_readlane_b32 vcc_lo, v44, 46
	v_readlane_b32 vcc_hi, v44, 47
	s_orn2_b64 vcc, vcc, exec
	v_writelane_b32 v44, vcc_lo, 36
	v_writelane_b32 v44, vcc_hi, 37
.LBB14_2:                               ;   in Loop: Header=BB14_17 Depth=1
	s_or_b64 exec, exec, s[96:97]
	v_readlane_b32 vcc_lo, v44, 28
	v_readlane_b32 s60, v44, 38
	v_readlane_b32 vcc_hi, v44, 29
	v_readlane_b32 s61, v44, 39
	s_andn2_b64 vcc, vcc, exec
	s_and_b64 s[60:61], s[60:61], exec
	s_or_b64 vcc, vcc, s[60:61]
	v_writelane_b32 v44, vcc_lo, 28
	v_writelane_b32 v44, vcc_hi, 29
	v_readlane_b32 vcc_lo, v44, 30
	v_readlane_b32 vcc_hi, v44, 31
	s_andn2_b64 vcc, vcc, exec
	s_and_b64 s[60:61], s[62:63], exec
	s_or_b64 vcc, vcc, s[60:61]
	v_writelane_b32 v44, vcc_lo, 30
	v_writelane_b32 v44, vcc_hi, 31
	v_readlane_b32 vcc_lo, v44, 36
	v_readlane_b32 vcc_hi, v44, 37
	s_orn2_b64 s[96:97], vcc, exec
.LBB14_3:                               ;   in Loop: Header=BB14_17 Depth=1
	s_or_b64 exec, exec, s[94:95]
	v_readlane_b32 vcc_lo, v44, 22
	v_readlane_b32 s60, v44, 28
	v_readlane_b32 vcc_hi, v44, 23
	v_readlane_b32 s61, v44, 29
	s_andn2_b64 vcc, vcc, exec
	s_and_b64 s[60:61], s[60:61], exec
	s_or_b64 vcc, vcc, s[60:61]
	v_writelane_b32 v44, vcc_lo, 22
	v_writelane_b32 v44, vcc_hi, 23
	v_readlane_b32 vcc_lo, v44, 26
	v_readlane_b32 s60, v44, 30
	v_readlane_b32 vcc_hi, v44, 27
	v_readlane_b32 s61, v44, 31
	s_andn2_b64 vcc, vcc, exec
	s_and_b64 s[60:61], s[60:61], exec
	s_or_b64 s[62:63], vcc, s[60:61]
	s_orn2_b64 s[90:91], s[96:97], exec
.LBB14_4:                               ;   in Loop: Header=BB14_17 Depth=1
	s_or_b64 exec, exec, s[88:89]
	v_readlane_b32 vcc_lo, v44, 18
	v_readlane_b32 s60, v44, 22
	v_readlane_b32 vcc_hi, v44, 19
	v_readlane_b32 s61, v44, 23
	s_andn2_b64 vcc, vcc, exec
	s_and_b64 s[60:61], s[60:61], exec
	s_or_b64 vcc, vcc, s[60:61]
	v_writelane_b32 v44, vcc_lo, 18
	v_writelane_b32 v44, vcc_hi, 19
	v_readlane_b32 vcc_lo, v44, 20
	v_readlane_b32 vcc_hi, v44, 21
	s_andn2_b64 vcc, vcc, exec
	s_and_b64 s[60:61], s[62:63], exec
	s_or_b64 s[62:63], vcc, s[60:61]
	s_orn2_b64 s[84:85], s[90:91], exec
.LBB14_5:                               ;   in Loop: Header=BB14_17 Depth=1
	s_or_b64 exec, exec, s[82:83]
	v_readlane_b32 vcc_lo, v44, 14
	v_readlane_b32 s60, v44, 18
	v_readlane_b32 vcc_hi, v44, 15
	v_readlane_b32 s61, v44, 19
	s_andn2_b64 vcc, vcc, exec
	s_and_b64 s[60:61], s[60:61], exec
	s_or_b64 vcc, vcc, s[60:61]
	v_writelane_b32 v44, vcc_lo, 14
	v_writelane_b32 v44, vcc_hi, 15
	v_readlane_b32 vcc_lo, v44, 16
	v_readlane_b32 vcc_hi, v44, 17
	s_andn2_b64 vcc, vcc, exec
	s_and_b64 s[60:61], s[62:63], exec
	s_or_b64 s[62:63], vcc, s[60:61]
	s_orn2_b64 s[78:79], s[84:85], exec
.LBB14_6:                               ;   in Loop: Header=BB14_17 Depth=1
	v_readlane_b32 vcc_lo, v44, 12
	v_readlane_b32 vcc_hi, v44, 13
	s_or_b64 exec, exec, vcc
	v_readlane_b32 vcc_lo, v44, 8
	v_readlane_b32 s60, v44, 14
	v_readlane_b32 vcc_hi, v44, 9
	v_readlane_b32 s61, v44, 15
	s_andn2_b64 vcc, vcc, exec
	s_and_b64 s[60:61], s[60:61], exec
	s_or_b64 vcc, vcc, s[60:61]
	v_writelane_b32 v44, vcc_lo, 8
	v_writelane_b32 v44, vcc_hi, 9
	v_readlane_b32 vcc_lo, v44, 10
	v_readlane_b32 vcc_hi, v44, 11
	s_andn2_b64 vcc, vcc, exec
	s_and_b64 s[60:61], s[62:63], exec
	s_or_b64 s[62:63], vcc, s[60:61]
	s_orn2_b64 s[72:73], s[78:79], exec
.LBB14_7:                               ;   in Loop: Header=BB14_17 Depth=1
	v_readlane_b32 vcc_lo, v44, 6
	v_readlane_b32 vcc_hi, v44, 7
	s_or_b64 exec, exec, vcc
	v_readlane_b32 vcc_lo, v44, 2
	v_readlane_b32 s60, v44, 8
	v_readlane_b32 vcc_hi, v44, 3
	v_readlane_b32 s61, v44, 9
	s_andn2_b64 vcc, vcc, exec
	s_and_b64 s[60:61], s[60:61], exec
	s_or_b64 vcc, vcc, s[60:61]
	v_writelane_b32 v44, vcc_lo, 2
	v_writelane_b32 v44, vcc_hi, 3
	v_readlane_b32 vcc_lo, v44, 4
	v_readlane_b32 vcc_hi, v44, 5
	s_andn2_b64 vcc, vcc, exec
	s_and_b64 s[60:61], s[62:63], exec
	s_or_b64 s[60:61], vcc, s[60:61]
	s_orn2_b64 s[66:67], s[72:73], exec
.LBB14_8:                               ;   in Loop: Header=BB14_17 Depth=1
	s_or_b64 exec, exec, s[64:65]
	s_andn2_b64 vcc, s[56:57], exec
	v_readlane_b32 s56, v44, 2
	v_readlane_b32 s57, v44, 3
	s_and_b64 s[56:57], s[56:57], exec
	s_or_b64 s[56:57], vcc, s[56:57]
	s_andn2_b64 vcc, s[54:55], exec
	s_and_b64 s[54:55], s[60:61], exec
	s_or_b64 s[54:55], vcc, s[54:55]
	s_orn2_b64 s[60:61], s[66:67], exec
.LBB14_9:                               ;   in Loop: Header=BB14_17 Depth=1
	s_or_b64 exec, exec, s[58:59]
	s_andn2_b64 vcc, s[50:51], exec
	s_and_b64 s[50:51], s[56:57], exec
	s_or_b64 s[50:51], vcc, s[50:51]
	s_andn2_b64 vcc, s[48:49], exec
	s_and_b64 s[48:49], s[54:55], exec
	s_or_b64 s[48:49], vcc, s[48:49]
	s_orn2_b64 s[54:55], s[60:61], exec
.LBB14_10:                              ;   in Loop: Header=BB14_17 Depth=1
	s_or_b64 exec, exec, s[52:53]
	s_andn2_b64 vcc, s[44:45], exec
	s_and_b64 s[44:45], s[50:51], exec
	s_or_b64 s[44:45], vcc, s[44:45]
	s_andn2_b64 vcc, s[42:43], exec
	s_and_b64 s[42:43], s[48:49], exec
	s_or_b64 s[42:43], vcc, s[42:43]
	s_orn2_b64 s[48:49], s[54:55], exec
.LBB14_11:                              ;   in Loop: Header=BB14_17 Depth=1
	s_or_b64 exec, exec, s[46:47]
	s_andn2_b64 vcc, s[38:39], exec
	s_and_b64 s[38:39], s[44:45], exec
	s_or_b64 s[38:39], vcc, s[38:39]
	s_andn2_b64 vcc, s[36:37], exec
	s_and_b64 s[36:37], s[42:43], exec
	s_or_b64 s[36:37], vcc, s[36:37]
	s_orn2_b64 s[42:43], s[48:49], exec
.LBB14_12:                              ;   in Loop: Header=BB14_17 Depth=1
	s_or_b64 exec, exec, s[40:41]
	s_andn2_b64 vcc, s[30:31], exec
	s_and_b64 s[30:31], s[38:39], exec
	s_or_b64 s[30:31], vcc, s[30:31]
	s_andn2_b64 s[28:29], s[28:29], exec
	s_and_b64 vcc, s[36:37], exec
	s_or_b64 s[28:29], s[28:29], vcc
	s_orn2_b64 s[36:37], s[42:43], exec
.LBB14_13:                              ;   in Loop: Header=BB14_17 Depth=1
	s_or_b64 exec, exec, s[34:35]
	s_andn2_b64 s[24:25], s[24:25], exec
	s_and_b64 vcc, s[30:31], exec
	s_andn2_b64 s[22:23], s[22:23], exec
	s_and_b64 s[28:29], s[28:29], exec
	s_or_b64 s[24:25], s[24:25], vcc
	s_or_b64 s[22:23], s[22:23], s[28:29]
	s_orn2_b64 s[28:29], s[36:37], exec
.LBB14_14:                              ;   in Loop: Header=BB14_17 Depth=1
	s_or_b64 exec, exec, s[26:27]
	s_andn2_b64 s[18:19], s[18:19], exec
	s_and_b64 s[24:25], s[24:25], exec
	s_andn2_b64 s[16:17], s[16:17], exec
	s_and_b64 s[22:23], s[22:23], exec
	s_or_b64 s[18:19], s[18:19], s[24:25]
	s_or_b64 s[16:17], s[16:17], s[22:23]
	s_orn2_b64 s[22:23], s[28:29], exec
.LBB14_15:                              ;   in Loop: Header=BB14_17 Depth=1
	s_or_b64 exec, exec, s[20:21]
	s_andn2_b64 s[12:13], s[12:13], exec
	s_and_b64 s[18:19], s[18:19], exec
	s_andn2_b64 s[10:11], s[10:11], exec
	s_and_b64 s[16:17], s[16:17], exec
	s_or_b64 s[12:13], s[12:13], s[18:19]
	s_or_b64 s[10:11], s[10:11], s[16:17]
	s_orn2_b64 s[16:17], s[22:23], exec
.LBB14_16:                              ;   in Loop: Header=BB14_17 Depth=1
	s_or_b64 exec, exec, s[14:15]
	s_and_b64 s[14:15], exec, s[16:17]
	s_or_b64 s[4:5], s[14:15], s[4:5]
	s_andn2_b64 s[8:9], s[8:9], exec
	s_and_b64 s[14:15], s[12:13], exec
	s_or_b64 s[8:9], s[8:9], s[14:15]
	s_andn2_b64 s[6:7], s[6:7], exec
	s_and_b64 s[14:15], s[10:11], exec
	s_or_b64 s[6:7], s[6:7], s[14:15]
	s_andn2_b64 exec, exec, s[4:5]
	s_cbranch_execz .LBB14_3650
.LBB14_17:                              ; =>This Inner Loop Header: Depth=1
	v_cmp_lt_i32_e32 vcc, v55, v6
	s_mov_b64 s[16:17], -1
	s_mov_b64 s[18:19], -1
                                        ; implicit-def: $sgpr20_sgpr21
                                        ; implicit-def: $sgpr22_sgpr23
	s_and_saveexec_b64 s[14:15], vcc
	s_cbranch_execz .LBB14_127
; %bb.18:                               ;   in Loop: Header=BB14_17 Depth=1
	v_readlane_b32 s18, v44, 1
	s_waitcnt vmcnt(0) lgkmcnt(0)
	v_add_u32_e32 v64, s18, v55
	v_mul_lo_u32 v14, v64, v9
	v_add_co_u32_e32 v14, vcc, v2, v14
	v_addc_co_u32_e32 v15, vcc, 0, v3, vcc
	v_cmp_gt_i16_sdwa s[22:23], v7, v18 src0_sel:BYTE_0 src1_sel:DWORD
	s_mov_b64 s[24:25], 0
                                        ; implicit-def: $sgpr18_sgpr19
                                        ; implicit-def: $sgpr20_sgpr21
                                        ; implicit-def: $vgpr66
	s_and_saveexec_b64 s[26:27], s[22:23]
	s_xor_b64 s[22:23], exec, s[26:27]
	s_cbranch_execnz .LBB14_21
; %bb.19:                               ;   in Loop: Header=BB14_17 Depth=1
	s_andn2_saveexec_b64 s[22:23], s[22:23]
	s_cbranch_execnz .LBB14_80
.LBB14_20:                              ;   in Loop: Header=BB14_17 Depth=1
	s_or_b64 exec, exec, s[22:23]
	s_mov_b64 s[26:27], 0
	s_and_saveexec_b64 s[22:23], s[24:25]
	s_cbranch_execnz .LBB14_121
	s_branch .LBB14_126
.LBB14_21:                              ;   in Loop: Header=BB14_17 Depth=1
	v_cmp_gt_i16_sdwa s[18:19], v7, v19 src0_sel:BYTE_0 src1_sel:DWORD
                                        ; implicit-def: $sgpr26_sgpr27
                                        ; implicit-def: $sgpr20_sgpr21
                                        ; implicit-def: $vgpr66
	s_and_saveexec_b64 s[28:29], s[18:19]
	s_xor_b64 s[18:19], exec, s[28:29]
	s_cbranch_execz .LBB14_53
; %bb.22:                               ;   in Loop: Header=BB14_17 Depth=1
	v_cmp_gt_i16_sdwa s[28:29], v7, v20 src0_sel:BYTE_0 src1_sel:DWORD
                                        ; implicit-def: $sgpr26_sgpr27
                                        ; implicit-def: $sgpr20_sgpr21
                                        ; implicit-def: $vgpr66
	s_and_saveexec_b64 vcc, s[28:29]
	s_xor_b64 s[28:29], exec, vcc
	s_cbranch_execz .LBB14_38
; %bb.23:                               ;   in Loop: Header=BB14_17 Depth=1
	v_cmp_gt_i16_sdwa s[20:21], v7, v21 src0_sel:BYTE_0 src1_sel:DWORD
	s_mov_b64 vcc, 0
                                        ; implicit-def: $sgpr24_sgpr25
                                        ; implicit-def: $sgpr26_sgpr27
                                        ; implicit-def: $vgpr66
	s_and_saveexec_b64 s[30:31], s[20:21]
	s_xor_b64 s[20:21], exec, s[30:31]
	s_cbranch_execz .LBB14_33
; %bb.24:                               ;   in Loop: Header=BB14_17 Depth=1
	v_cmp_gt_i16_sdwa s[26:27], v7, v22 src0_sel:BYTE_0 src1_sel:DWORD
	s_mov_b64 s[30:31], 0
                                        ; implicit-def: $sgpr24_sgpr25
                                        ; implicit-def: $sgpr34_sgpr35
                                        ; implicit-def: $vgpr66
	s_and_saveexec_b64 vcc, s[26:27]
	s_xor_b64 s[26:27], exec, vcc
	s_cbranch_execz .LBB14_28
; %bb.25:                               ;   in Loop: Header=BB14_17 Depth=1
	v_cmp_eq_u16_sdwa s[34:35], v7, v23 src0_sel:BYTE_0 src1_sel:DWORD
	s_mov_b64 s[24:25], 0
	s_mov_b64 vcc, 0
                                        ; implicit-def: $vgpr66
	s_and_saveexec_b64 s[30:31], s[34:35]
	s_cbranch_execz .LBB14_27
; %bb.26:                               ;   in Loop: Header=BB14_17 Depth=1
	flat_load_dword v14, v[14:15]
	s_mov_b64 vcc, exec
	s_waitcnt vmcnt(0) lgkmcnt(0)
	v_lshlrev_b32_e32 v66, 16, v14
.LBB14_27:                              ;   in Loop: Header=BB14_17 Depth=1
	s_or_b64 exec, exec, s[30:31]
	s_mov_b64 s[34:35], -1
	s_and_b64 s[30:31], vcc, exec
                                        ; implicit-def: $vgpr14_vgpr15
.LBB14_28:                              ;   in Loop: Header=BB14_17 Depth=1
	s_andn2_saveexec_b64 s[26:27], s[26:27]
	s_cbranch_execz .LBB14_32
; %bb.29:                               ;   in Loop: Header=BB14_17 Depth=1
	v_cmp_eq_u16_sdwa s[38:39], v7, v24 src0_sel:BYTE_0 src1_sel:DWORD
	s_mov_b64 vcc, s[30:31]
                                        ; implicit-def: $vgpr66
	s_and_saveexec_b64 s[36:37], s[38:39]
	s_cbranch_execz .LBB14_31
; %bb.30:                               ;   in Loop: Header=BB14_17 Depth=1
	flat_load_ubyte v14, v[14:15]
	s_movk_i32 vcc_lo, 0xff
	s_waitcnt vmcnt(0) lgkmcnt(0)
	v_lshlrev_b32_e32 v15, 23, v14
	v_cmp_ne_u32_e32 vcc, vcc_lo, v14
	v_cndmask_b32_e32 v15, v25, v15, vcc
	v_cmp_ne_u32_e32 vcc, 0, v14
	v_cndmask_b32_e32 v66, v26, v15, vcc
	s_or_b64 vcc, s[30:31], exec
.LBB14_31:                              ;   in Loop: Header=BB14_17 Depth=1
	s_or_b64 exec, exec, s[36:37]
	s_andn2_b64 s[30:31], s[30:31], exec
	s_and_b64 vcc, vcc, exec
	s_andn2_b64 s[24:25], s[24:25], exec
	s_or_b64 s[34:35], s[34:35], exec
	s_or_b64 s[30:31], s[30:31], vcc
.LBB14_32:                              ;   in Loop: Header=BB14_17 Depth=1
	s_or_b64 exec, exec, s[26:27]
	s_and_b64 s[26:27], s[24:25], exec
	s_and_b64 s[24:25], s[34:35], exec
	s_and_b64 vcc, s[30:31], exec
                                        ; implicit-def: $vgpr14_vgpr15
.LBB14_33:                              ;   in Loop: Header=BB14_17 Depth=1
	s_andn2_saveexec_b64 s[20:21], s[20:21]
	s_cbranch_execz .LBB14_37
; %bb.34:                               ;   in Loop: Header=BB14_17 Depth=1
	v_cmp_eq_u16_sdwa s[36:37], v7, v27 src0_sel:BYTE_0 src1_sel:DWORD
	s_mov_b64 s[34:35], vcc
                                        ; implicit-def: $vgpr66
	s_and_saveexec_b64 s[30:31], s[36:37]
	s_cbranch_execz .LBB14_36
; %bb.35:                               ;   in Loop: Header=BB14_17 Depth=1
	flat_load_dwordx2 v[14:15], v[14:15]
	s_or_b64 s[34:35], vcc, exec
	s_waitcnt vmcnt(0) lgkmcnt(0)
	v_ffbh_u32_e32 v65, v15
	v_min_u32_e32 v65, 32, v65
	v_lshlrev_b64 v[14:15], v65, v[14:15]
	v_min_u32_e32 v14, 1, v14
	v_or_b32_e32 v14, v15, v14
	v_cvt_f32_u32_e32 v14, v14
	v_sub_u32_e32 v15, 32, v65
	v_ldexp_f32 v66, v14, v15
.LBB14_36:                              ;   in Loop: Header=BB14_17 Depth=1
	s_or_b64 exec, exec, s[30:31]
	s_andn2_b64 vcc, vcc, exec
	s_and_b64 s[30:31], s[34:35], exec
	s_andn2_b64 s[26:27], s[26:27], exec
	s_or_b64 s[24:25], s[24:25], exec
	s_or_b64 vcc, vcc, s[30:31]
.LBB14_37:                              ;   in Loop: Header=BB14_17 Depth=1
	s_or_b64 exec, exec, s[20:21]
	s_and_b64 s[20:21], s[26:27], exec
	s_and_b64 s[26:27], s[24:25], exec
	s_and_b64 s[24:25], vcc, exec
                                        ; implicit-def: $vgpr14_vgpr15
.LBB14_38:                              ;   in Loop: Header=BB14_17 Depth=1
	s_andn2_saveexec_b64 s[28:29], s[28:29]
	s_cbranch_execz .LBB14_52
; %bb.39:                               ;   in Loop: Header=BB14_17 Depth=1
	v_cmp_gt_i16_sdwa vcc, v7, v28 src0_sel:BYTE_0 src1_sel:DWORD
                                        ; implicit-def: $vgpr66
	s_and_saveexec_b64 s[30:31], vcc
	s_xor_b64 vcc, exec, s[30:31]
	s_cbranch_execz .LBB14_45
; %bb.40:                               ;   in Loop: Header=BB14_17 Depth=1
	v_cmp_gt_i16_sdwa s[30:31], v7, v29 src0_sel:BYTE_0 src1_sel:DWORD
                                        ; implicit-def: $vgpr66
	s_and_saveexec_b64 s[34:35], s[30:31]
	s_xor_b64 s[30:31], exec, s[34:35]
	s_cbranch_execz .LBB14_42
; %bb.41:                               ;   in Loop: Header=BB14_17 Depth=1
	flat_load_dword v14, v[14:15]
	s_waitcnt vmcnt(0) lgkmcnt(0)
	v_cvt_f32_u32_e32 v66, v14
                                        ; implicit-def: $vgpr14_vgpr15
.LBB14_42:                              ;   in Loop: Header=BB14_17 Depth=1
	s_andn2_saveexec_b64 s[30:31], s[30:31]
	s_cbranch_execz .LBB14_44
; %bb.43:                               ;   in Loop: Header=BB14_17 Depth=1
	flat_load_ushort v14, v[14:15]
	s_waitcnt vmcnt(0) lgkmcnt(0)
	v_cvt_f32_u32_e32 v66, v14
.LBB14_44:                              ;   in Loop: Header=BB14_17 Depth=1
	s_or_b64 exec, exec, s[30:31]
                                        ; implicit-def: $vgpr14_vgpr15
.LBB14_45:                              ;   in Loop: Header=BB14_17 Depth=1
	s_andn2_saveexec_b64 s[30:31], vcc
	s_cbranch_execz .LBB14_51
; %bb.46:                               ;   in Loop: Header=BB14_17 Depth=1
	flat_load_ubyte v14, v[14:15]
	s_movk_i32 vcc_lo, 0x7f
	s_mov_b64 s[34:35], 0
                                        ; implicit-def: $sgpr40
	s_waitcnt vmcnt(0) lgkmcnt(0)
	v_cmp_lt_i16_e32 vcc, vcc_lo, v14
	s_and_saveexec_b64 s[36:37], vcc
	s_xor_b64 s[36:37], exec, s[36:37]
	s_cbranch_execnz .LBB14_765
; %bb.47:                               ;   in Loop: Header=BB14_17 Depth=1
	s_or_saveexec_b64 s[36:37], s[36:37]
	v_mov_b32_e32 v66, s40
	s_xor_b64 exec, exec, s[36:37]
	s_cbranch_execnz .LBB14_768
.LBB14_48:                              ;   in Loop: Header=BB14_17 Depth=1
	s_or_b64 exec, exec, s[36:37]
	s_and_saveexec_b64 s[36:37], s[34:35]
	s_cbranch_execz .LBB14_50
.LBB14_49:                              ;   in Loop: Header=BB14_17 Depth=1
	v_lshlrev_b32_e32 v15, 24, v14
	v_and_b32_e32 v14, 0xffff, v14
	v_and_b32_e32 v65, 7, v14
	v_ffbh_u32_e32 v67, v65
	v_min_u32_e32 v67, 32, v67
	v_subrev_u32_e32 v68, 28, v67
	v_bfe_u32 v66, v14, 3, 4
	v_lshlrev_b32_e32 v14, v68, v14
	v_sub_u32_e32 v67, 29, v67
	v_and_b32_e32 v14, 7, v14
	v_cmp_eq_u32_e32 vcc, 0, v66
	v_cndmask_b32_e32 v66, v66, v67, vcc
	v_cndmask_b32_e32 v14, v65, v14, vcc
	v_lshlrev_b32_e32 v14, 20, v14
	v_and_b32_e32 v15, 0x80000000, v15
	v_lshl_add_u32 v65, v66, 23, v30
	v_or3_b32 v66, v15, v65, v14
.LBB14_50:                              ;   in Loop: Header=BB14_17 Depth=1
	s_or_b64 exec, exec, s[36:37]
.LBB14_51:                              ;   in Loop: Header=BB14_17 Depth=1
	s_or_b64 exec, exec, s[30:31]
	s_andn2_b64 s[20:21], s[20:21], exec
	s_andn2_b64 s[26:27], s[26:27], exec
	s_or_b64 s[24:25], s[24:25], exec
.LBB14_52:                              ;   in Loop: Header=BB14_17 Depth=1
	s_or_b64 exec, exec, s[28:29]
	s_and_b64 s[20:21], s[20:21], exec
	s_and_b64 s[26:27], s[26:27], exec
	;; [unrolled: 1-line block ×3, first 2 shown]
                                        ; implicit-def: $vgpr14_vgpr15
.LBB14_53:                              ;   in Loop: Header=BB14_17 Depth=1
	s_andn2_saveexec_b64 s[18:19], s[18:19]
	s_cbranch_execz .LBB14_79
; %bb.54:                               ;   in Loop: Header=BB14_17 Depth=1
	v_cmp_gt_i16_sdwa s[28:29], v7, v31 src0_sel:BYTE_0 src1_sel:DWORD
	s_mov_b64 s[30:31], s[24:25]
                                        ; implicit-def: $vgpr66
	s_and_saveexec_b64 vcc, s[28:29]
	s_xor_b64 s[28:29], exec, vcc
	s_cbranch_execz .LBB14_68
; %bb.55:                               ;   in Loop: Header=BB14_17 Depth=1
	v_cmp_gt_i16_sdwa vcc, v7, v32 src0_sel:BYTE_0 src1_sel:DWORD
                                        ; implicit-def: $vgpr66
	s_and_saveexec_b64 s[30:31], vcc
	s_xor_b64 s[30:31], exec, s[30:31]
	s_cbranch_execz .LBB14_65
; %bb.56:                               ;   in Loop: Header=BB14_17 Depth=1
	v_cmp_gt_i16_sdwa vcc, v7, v33 src0_sel:BYTE_0 src1_sel:DWORD
                                        ; implicit-def: $vgpr66
	s_and_saveexec_b64 s[34:35], vcc
	s_xor_b64 s[34:35], exec, s[34:35]
	s_cbranch_execz .LBB14_62
; %bb.57:                               ;   in Loop: Header=BB14_17 Depth=1
	flat_load_ubyte v14, v[14:15]
	s_movk_i32 vcc_lo, 0x7f
	s_mov_b64 s[36:37], 0
                                        ; implicit-def: $sgpr42
	s_waitcnt vmcnt(0) lgkmcnt(0)
	v_cmp_lt_i16_e32 vcc, vcc_lo, v14
	s_and_saveexec_b64 s[38:39], vcc
	s_xor_b64 s[38:39], exec, s[38:39]
	s_cbranch_execnz .LBB14_980
; %bb.58:                               ;   in Loop: Header=BB14_17 Depth=1
	s_or_saveexec_b64 s[38:39], s[38:39]
	v_mov_b32_e32 v66, s42
	s_xor_b64 exec, exec, s[38:39]
	s_cbranch_execnz .LBB14_983
.LBB14_59:                              ;   in Loop: Header=BB14_17 Depth=1
	s_or_b64 exec, exec, s[38:39]
	s_and_saveexec_b64 s[38:39], s[36:37]
	s_cbranch_execz .LBB14_61
.LBB14_60:                              ;   in Loop: Header=BB14_17 Depth=1
	v_lshlrev_b32_e32 v15, 24, v14
	v_and_b32_e32 v14, 0xffff, v14
	v_and_b32_e32 v65, 3, v14
	v_ffbh_u32_e32 v67, v65
	v_min_u32_e32 v67, 32, v67
	v_subrev_u32_e32 v68, 29, v67
	v_bfe_u32 v66, v14, 2, 5
	v_lshlrev_b32_e32 v14, v68, v14
	v_sub_u32_e32 v67, 30, v67
	v_and_b32_e32 v14, 3, v14
	v_cmp_eq_u32_e32 vcc, 0, v66
	v_cndmask_b32_e32 v66, v66, v67, vcc
	v_cndmask_b32_e32 v14, v65, v14, vcc
	v_lshlrev_b32_e32 v14, 21, v14
	v_and_b32_e32 v15, 0x80000000, v15
	v_lshl_add_u32 v65, v66, 23, v34
	v_or3_b32 v66, v15, v65, v14
.LBB14_61:                              ;   in Loop: Header=BB14_17 Depth=1
	s_or_b64 exec, exec, s[38:39]
                                        ; implicit-def: $vgpr14_vgpr15
.LBB14_62:                              ;   in Loop: Header=BB14_17 Depth=1
	s_andn2_saveexec_b64 s[34:35], s[34:35]
	s_cbranch_execz .LBB14_64
; %bb.63:                               ;   in Loop: Header=BB14_17 Depth=1
	flat_load_ubyte v14, v[14:15]
	s_mov_b32 vcc_lo, 0x7f800000
	s_waitcnt vmcnt(0) lgkmcnt(0)
	v_lshlrev_b32_e32 v14, 24, v14
	v_and_b32_e32 v15, 0x7f000000, v14
	v_ffbh_u32_e32 v65, v15
	v_min_u32_e32 v65, 32, v65
	v_sub_u32_e64 v65, v65, 4 clamp
	v_lshlrev_b32_e32 v67, v65, v15
	v_lshlrev_b32_e32 v65, 23, v65
	v_lshrrev_b32_e32 v67, 4, v67
	v_add_u32_e32 v66, 0x1000000, v15
	v_sub_u32_e32 v65, v67, v65
	v_ashrrev_i32_e32 v66, 8, v66
	v_add_u32_e32 v65, 0x3c000000, v65
	v_and_or_b32 v65, v66, vcc_lo, v65
	v_cmp_ne_u32_e32 vcc, 0, v15
	v_cndmask_b32_e32 v15, 0, v65, vcc
	s_brev_b32 vcc_lo, 1
	v_and_or_b32 v66, v14, vcc_lo, v15
.LBB14_64:                              ;   in Loop: Header=BB14_17 Depth=1
	s_or_b64 exec, exec, s[34:35]
                                        ; implicit-def: $vgpr14_vgpr15
.LBB14_65:                              ;   in Loop: Header=BB14_17 Depth=1
	s_andn2_saveexec_b64 s[30:31], s[30:31]
	s_cbranch_execz .LBB14_67
; %bb.66:                               ;   in Loop: Header=BB14_17 Depth=1
	flat_load_ubyte v14, v[14:15]
	s_movk_i32 vcc_lo, 0x7f00
	s_waitcnt vmcnt(0) lgkmcnt(0)
	v_lshlrev_b16_e32 v15, 8, v14
	v_lshlrev_b32_e32 v14, 25, v14
	v_lshrrev_b32_e32 v65, 4, v14
	v_and_or_b32 v66, v15, vcc_lo, 0.5
	v_or_b32_e32 v65, 0x70000000, v65
	s_brev_b32 vcc_lo, 16
	v_add_f32_e32 v66, -0.5, v66
	v_mul_f32_e32 v65, 0x7800000, v65
	v_cmp_gt_u32_e32 vcc, vcc_lo, v14
	v_cndmask_b32_e32 v14, v65, v66, vcc
	v_bfe_i32 v15, v15, 0, 16
	s_brev_b32 vcc_lo, 1
	v_and_or_b32 v66, v15, vcc_lo, v14
.LBB14_67:                              ;   in Loop: Header=BB14_17 Depth=1
	s_or_b64 exec, exec, s[30:31]
	s_or_b64 s[30:31], s[24:25], exec
                                        ; implicit-def: $vgpr14_vgpr15
.LBB14_68:                              ;   in Loop: Header=BB14_17 Depth=1
	s_or_saveexec_b64 s[28:29], s[28:29]
                                        ; implicit-def: $vcc
                                        ; implicit-def: $sgpr38_sgpr39
	s_xor_b64 exec, exec, s[28:29]
	s_cbranch_execz .LBB14_78
; %bb.69:                               ;   in Loop: Header=BB14_17 Depth=1
	v_cmp_gt_i16_sdwa vcc, v7, v35 src0_sel:BYTE_0 src1_sel:DWORD
	s_mov_b64 s[36:37], s[30:31]
                                        ; implicit-def: $sgpr38_sgpr39
                                        ; implicit-def: $sgpr34_sgpr35
                                        ; implicit-def: $vgpr66
	s_and_saveexec_b64 s[40:41], vcc
	s_xor_b64 vcc, exec, s[40:41]
	s_cbranch_execz .LBB14_73
; %bb.70:                               ;   in Loop: Header=BB14_17 Depth=1
	v_cmp_eq_u16_sdwa s[38:39], v7, v36 src0_sel:BYTE_0 src1_sel:DWORD
	s_mov_b64 s[36:37], s[30:31]
                                        ; implicit-def: $vgpr66
	s_and_saveexec_b64 s[34:35], s[38:39]
	s_cbranch_execz .LBB14_72
; %bb.71:                               ;   in Loop: Header=BB14_17 Depth=1
	flat_load_ushort v14, v[14:15]
	s_or_b64 s[36:37], s[30:31], exec
	s_waitcnt vmcnt(0) lgkmcnt(0)
	v_lshlrev_b32_e32 v66, 16, v14
.LBB14_72:                              ;   in Loop: Header=BB14_17 Depth=1
	s_or_b64 exec, exec, s[34:35]
	s_andn2_b64 s[40:41], s[30:31], exec
	s_and_b64 s[36:37], s[36:37], exec
	s_mov_b64 s[34:35], -1
	s_mov_b64 s[38:39], 0
	s_or_b64 s[36:37], s[40:41], s[36:37]
                                        ; implicit-def: $vgpr14_vgpr15
.LBB14_73:                              ;   in Loop: Header=BB14_17 Depth=1
	s_andn2_saveexec_b64 s[40:41], vcc
	s_cbranch_execz .LBB14_77
; %bb.74:                               ;   in Loop: Header=BB14_17 Depth=1
	v_cmp_eq_u16_sdwa s[44:45], v7, v37 src0_sel:BYTE_0 src1_sel:DWORD
	s_mov_b64 vcc, s[36:37]
                                        ; implicit-def: $vgpr66
	s_and_saveexec_b64 s[42:43], s[44:45]
	s_cbranch_execz .LBB14_76
; %bb.75:                               ;   in Loop: Header=BB14_17 Depth=1
	flat_load_ubyte v14, v[14:15]
	s_waitcnt vmcnt(0) lgkmcnt(0)
	v_cmp_ne_u16_e32 vcc, 0, v14
	v_cndmask_b32_e64 v66, 0, 1.0, vcc
	s_or_b64 vcc, s[36:37], exec
.LBB14_76:                              ;   in Loop: Header=BB14_17 Depth=1
	s_or_b64 exec, exec, s[42:43]
	s_andn2_b64 s[36:37], s[36:37], exec
	s_and_b64 vcc, vcc, exec
	s_andn2_b64 s[38:39], s[38:39], exec
	s_or_b64 s[34:35], s[34:35], exec
	s_or_b64 s[36:37], s[36:37], vcc
.LBB14_77:                              ;   in Loop: Header=BB14_17 Depth=1
	s_or_b64 exec, exec, s[40:41]
	s_and_b64 vcc, s[34:35], exec
	s_andn2_b64 s[30:31], s[30:31], exec
	s_and_b64 s[34:35], s[36:37], exec
	s_and_b64 s[38:39], s[38:39], exec
	s_or_b64 s[30:31], s[30:31], s[34:35]
.LBB14_78:                              ;   in Loop: Header=BB14_17 Depth=1
	s_or_b64 exec, exec, s[28:29]
	s_andn2_b64 s[20:21], s[20:21], exec
	s_and_b64 s[28:29], s[38:39], exec
	s_or_b64 s[20:21], s[20:21], s[28:29]
	s_andn2_b64 s[26:27], s[26:27], exec
	s_and_b64 s[28:29], vcc, exec
	s_or_b64 s[26:27], s[26:27], s[28:29]
	s_andn2_b64 s[24:25], s[24:25], exec
	s_and_b64 s[28:29], s[30:31], exec
	s_or_b64 s[24:25], s[24:25], s[28:29]
.LBB14_79:                              ;   in Loop: Header=BB14_17 Depth=1
	s_or_b64 exec, exec, s[18:19]
	s_and_b64 s[20:21], s[20:21], exec
	s_and_b64 s[18:19], s[26:27], exec
	;; [unrolled: 1-line block ×3, first 2 shown]
                                        ; implicit-def: $vgpr14_vgpr15
	s_andn2_saveexec_b64 s[22:23], s[22:23]
	s_cbranch_execz .LBB14_20
.LBB14_80:                              ;   in Loop: Header=BB14_17 Depth=1
	v_cmp_gt_i16_sdwa s[26:27], v7, v38 src0_sel:BYTE_0 src1_sel:DWORD
                                        ; implicit-def: $vgpr66
	s_and_saveexec_b64 s[28:29], s[26:27]
	s_xor_b64 s[26:27], exec, s[28:29]
	s_cbranch_execz .LBB14_102
; %bb.81:                               ;   in Loop: Header=BB14_17 Depth=1
	v_cmp_gt_i16_sdwa s[28:29], v7, v39 src0_sel:BYTE_0 src1_sel:DWORD
                                        ; implicit-def: $vgpr66
	s_and_saveexec_b64 vcc, s[28:29]
	s_xor_b64 s[28:29], exec, vcc
	s_cbranch_execz .LBB14_91
; %bb.82:                               ;   in Loop: Header=BB14_17 Depth=1
	v_cmp_gt_i16_sdwa vcc, v7, v48 src0_sel:BYTE_0 src1_sel:DWORD
                                        ; implicit-def: $vgpr66
	s_and_saveexec_b64 s[30:31], vcc
	s_xor_b64 vcc, exec, s[30:31]
	s_cbranch_execz .LBB14_88
; %bb.83:                               ;   in Loop: Header=BB14_17 Depth=1
	v_cmp_gt_i16_sdwa s[30:31], v7, v49 src0_sel:BYTE_0 src1_sel:DWORD
                                        ; implicit-def: $vgpr66
	s_and_saveexec_b64 s[34:35], s[30:31]
	s_xor_b64 s[30:31], exec, s[34:35]
	s_cbranch_execz .LBB14_85
; %bb.84:                               ;   in Loop: Header=BB14_17 Depth=1
	flat_load_dwordx2 v[14:15], v[14:15]
	s_waitcnt vmcnt(0) lgkmcnt(0)
	v_cvt_f32_f64_e32 v66, v[14:15]
                                        ; implicit-def: $vgpr14_vgpr15
.LBB14_85:                              ;   in Loop: Header=BB14_17 Depth=1
	s_andn2_saveexec_b64 s[30:31], s[30:31]
	s_cbranch_execz .LBB14_87
; %bb.86:                               ;   in Loop: Header=BB14_17 Depth=1
	flat_load_dword v66, v[14:15]
.LBB14_87:                              ;   in Loop: Header=BB14_17 Depth=1
	s_or_b64 exec, exec, s[30:31]
                                        ; implicit-def: $vgpr14_vgpr15
.LBB14_88:                              ;   in Loop: Header=BB14_17 Depth=1
	s_andn2_saveexec_b64 vcc, vcc
	s_cbranch_execz .LBB14_90
; %bb.89:                               ;   in Loop: Header=BB14_17 Depth=1
	flat_load_dword v14, v[14:15]
	s_waitcnt vmcnt(0) lgkmcnt(0)
	v_cvt_f32_f16_e32 v66, v14
.LBB14_90:                              ;   in Loop: Header=BB14_17 Depth=1
	s_or_b64 exec, exec, vcc
                                        ; implicit-def: $vgpr14_vgpr15
.LBB14_91:                              ;   in Loop: Header=BB14_17 Depth=1
	s_andn2_saveexec_b64 s[28:29], s[28:29]
	s_cbranch_execz .LBB14_101
; %bb.92:                               ;   in Loop: Header=BB14_17 Depth=1
	v_cmp_gt_i16_sdwa vcc, v7, v50 src0_sel:BYTE_0 src1_sel:DWORD
                                        ; implicit-def: $vgpr66
	s_and_saveexec_b64 s[30:31], vcc
	s_xor_b64 vcc, exec, s[30:31]
	s_cbranch_execz .LBB14_98
; %bb.93:                               ;   in Loop: Header=BB14_17 Depth=1
	v_cmp_gt_i16_sdwa s[30:31], v7, v51 src0_sel:BYTE_0 src1_sel:DWORD
                                        ; implicit-def: $vgpr66
	s_and_saveexec_b64 s[34:35], s[30:31]
	s_xor_b64 s[30:31], exec, s[34:35]
	s_cbranch_execz .LBB14_95
; %bb.94:                               ;   in Loop: Header=BB14_17 Depth=1
	flat_load_dwordx2 v[14:15], v[14:15]
	s_waitcnt vmcnt(0) lgkmcnt(0)
	v_cvt_f32_f64_e32 v66, v[14:15]
                                        ; implicit-def: $vgpr14_vgpr15
.LBB14_95:                              ;   in Loop: Header=BB14_17 Depth=1
	s_andn2_saveexec_b64 s[30:31], s[30:31]
	s_cbranch_execz .LBB14_97
; %bb.96:                               ;   in Loop: Header=BB14_17 Depth=1
	s_waitcnt vmcnt(0) lgkmcnt(0)
	flat_load_dword v66, v[14:15]
.LBB14_97:                              ;   in Loop: Header=BB14_17 Depth=1
	s_or_b64 exec, exec, s[30:31]
                                        ; implicit-def: $vgpr14_vgpr15
.LBB14_98:                              ;   in Loop: Header=BB14_17 Depth=1
	s_andn2_saveexec_b64 vcc, vcc
	s_cbranch_execz .LBB14_100
; %bb.99:                               ;   in Loop: Header=BB14_17 Depth=1
	flat_load_ushort v14, v[14:15]
	s_waitcnt vmcnt(0) lgkmcnt(0)
	v_cvt_f32_f16_e32 v66, v14
.LBB14_100:                             ;   in Loop: Header=BB14_17 Depth=1
	s_or_b64 exec, exec, vcc
.LBB14_101:                             ;   in Loop: Header=BB14_17 Depth=1
	s_or_b64 exec, exec, s[28:29]
                                        ; implicit-def: $vgpr14_vgpr15
.LBB14_102:                             ;   in Loop: Header=BB14_17 Depth=1
	s_andn2_saveexec_b64 s[26:27], s[26:27]
	s_cbranch_execz .LBB14_120
; %bb.103:                              ;   in Loop: Header=BB14_17 Depth=1
	v_cmp_gt_i16_sdwa s[28:29], v7, v52 src0_sel:BYTE_0 src1_sel:DWORD
                                        ; implicit-def: $vgpr66
	s_and_saveexec_b64 vcc, s[28:29]
	s_xor_b64 s[28:29], exec, vcc
	s_cbranch_execz .LBB14_113
; %bb.104:                              ;   in Loop: Header=BB14_17 Depth=1
	v_cmp_gt_i16_sdwa vcc, v7, v53 src0_sel:BYTE_0 src1_sel:DWORD
                                        ; implicit-def: $vgpr66
	s_and_saveexec_b64 s[30:31], vcc
	s_xor_b64 vcc, exec, s[30:31]
	s_cbranch_execz .LBB14_110
; %bb.105:                              ;   in Loop: Header=BB14_17 Depth=1
	v_cmp_gt_i16_sdwa s[30:31], v7, v54 src0_sel:BYTE_0 src1_sel:DWORD
                                        ; implicit-def: $vgpr66
	s_and_saveexec_b64 s[34:35], s[30:31]
	s_xor_b64 s[30:31], exec, s[34:35]
	s_cbranch_execz .LBB14_107
; %bb.106:                              ;   in Loop: Header=BB14_17 Depth=1
	flat_load_dwordx2 v[14:15], v[14:15]
	s_waitcnt vmcnt(0) lgkmcnt(0)
	v_xor_b32_e32 v66, v14, v15
	v_ffbh_i32_e32 v65, v15
	v_ashrrev_i32_e32 v66, 31, v66
	v_add_u32_e32 v65, -1, v65
	v_add_u32_e32 v66, 32, v66
	v_min_u32_e32 v65, v65, v66
	v_lshlrev_b64 v[14:15], v65, v[14:15]
	v_min_u32_e32 v14, 1, v14
	v_or_b32_e32 v14, v15, v14
	v_cvt_f32_i32_e32 v14, v14
	v_sub_u32_e32 v15, 32, v65
	v_ldexp_f32 v66, v14, v15
                                        ; implicit-def: $vgpr14_vgpr15
.LBB14_107:                             ;   in Loop: Header=BB14_17 Depth=1
	s_andn2_saveexec_b64 s[30:31], s[30:31]
	s_cbranch_execz .LBB14_109
; %bb.108:                              ;   in Loop: Header=BB14_17 Depth=1
	flat_load_dword v14, v[14:15]
	s_waitcnt vmcnt(0) lgkmcnt(0)
	v_cvt_f32_i32_e32 v66, v14
.LBB14_109:                             ;   in Loop: Header=BB14_17 Depth=1
	s_or_b64 exec, exec, s[30:31]
                                        ; implicit-def: $vgpr14_vgpr15
.LBB14_110:                             ;   in Loop: Header=BB14_17 Depth=1
	s_andn2_saveexec_b64 vcc, vcc
	s_cbranch_execz .LBB14_112
; %bb.111:                              ;   in Loop: Header=BB14_17 Depth=1
	flat_load_sshort v14, v[14:15]
	s_waitcnt vmcnt(0) lgkmcnt(0)
	v_cvt_f32_i32_e32 v66, v14
.LBB14_112:                             ;   in Loop: Header=BB14_17 Depth=1
	s_or_b64 exec, exec, vcc
                                        ; implicit-def: $vgpr14_vgpr15
.LBB14_113:                             ;   in Loop: Header=BB14_17 Depth=1
	s_andn2_saveexec_b64 s[28:29], s[28:29]
	s_cbranch_execz .LBB14_119
; %bb.114:                              ;   in Loop: Header=BB14_17 Depth=1
	v_cmp_gt_i16_sdwa vcc, v7, v16 src0_sel:BYTE_0 src1_sel:DWORD
                                        ; implicit-def: $vgpr66
	s_and_saveexec_b64 s[30:31], vcc
	s_xor_b64 vcc, exec, s[30:31]
	s_cbranch_execz .LBB14_116
; %bb.115:                              ;   in Loop: Header=BB14_17 Depth=1
	flat_load_sbyte v14, v[14:15]
	s_waitcnt vmcnt(0) lgkmcnt(0)
	v_cvt_f32_i32_e32 v66, v14
                                        ; implicit-def: $vgpr14_vgpr15
.LBB14_116:                             ;   in Loop: Header=BB14_17 Depth=1
	s_andn2_saveexec_b64 vcc, vcc
	s_cbranch_execz .LBB14_118
; %bb.117:                              ;   in Loop: Header=BB14_17 Depth=1
	flat_load_ubyte v14, v[14:15]
	s_waitcnt vmcnt(0) lgkmcnt(0)
	v_cvt_f32_ubyte0_e32 v66, v14
.LBB14_118:                             ;   in Loop: Header=BB14_17 Depth=1
	s_or_b64 exec, exec, vcc
.LBB14_119:                             ;   in Loop: Header=BB14_17 Depth=1
	s_or_b64 exec, exec, s[28:29]
.LBB14_120:                             ;   in Loop: Header=BB14_17 Depth=1
	s_or_b64 exec, exec, s[26:27]
	s_andn2_b64 s[20:21], s[20:21], exec
	s_andn2_b64 s[18:19], s[18:19], exec
	s_or_b64 s[24:25], s[24:25], exec
	s_or_b64 exec, exec, s[22:23]
	s_mov_b64 s[26:27], 0
	s_and_saveexec_b64 s[22:23], s[24:25]
	s_cbranch_execz .LBB14_126
.LBB14_121:                             ;   in Loop: Header=BB14_17 Depth=1
	v_mul_lo_u32 v14, v64, v10
	v_add_co_u32_e32 v14, vcc, v4, v14
	v_readlane_b32 s24, v44, 0
	v_addc_co_u32_e32 v15, vcc, 0, v5, vcc
	v_add_u32_e32 v65, s24, v17
	v_cmp_gt_i16_sdwa s[24:25], v8, v18 src0_sel:BYTE_0 src1_sel:DWORD
	s_mov_b64 vcc, 0
	s_waitcnt vmcnt(0) lgkmcnt(0)
	buffer_store_dword v66, v65, s[0:3], 0 offen offset:4
                                        ; implicit-def: $sgpr26_sgpr27
                                        ; implicit-def: $sgpr28_sgpr29
                                        ; implicit-def: $vgpr64
	s_and_saveexec_b64 s[30:31], s[24:25]
	s_xor_b64 s[24:25], exec, s[30:31]
	s_cbranch_execnz .LBB14_132
; %bb.122:                              ;   in Loop: Header=BB14_17 Depth=1
	s_andn2_saveexec_b64 s[24:25], s[24:25]
	s_cbranch_execnz .LBB14_191
.LBB14_123:                             ;   in Loop: Header=BB14_17 Depth=1
	s_or_b64 exec, exec, s[24:25]
	s_mov_b64 s[24:25], 0
	s_and_saveexec_b64 s[30:31], vcc
	s_cbranch_execz .LBB14_125
.LBB14_124:                             ;   in Loop: Header=BB14_17 Depth=1
	s_mov_b64 s[24:25], exec
	v_add_u32_e32 v55, 0x200, v55
	s_andn2_b64 s[28:29], s[28:29], exec
	s_andn2_b64 s[26:27], s[26:27], exec
	s_waitcnt vmcnt(0) lgkmcnt(0)
	buffer_store_dword v64, v65, s[0:3], 0 offen
.LBB14_125:                             ;   in Loop: Header=BB14_17 Depth=1
	s_or_b64 exec, exec, s[30:31]
	s_andn2_b64 s[20:21], s[20:21], exec
	s_and_b64 s[28:29], s[28:29], exec
	s_andn2_b64 s[18:19], s[18:19], exec
	s_and_b64 s[26:27], s[26:27], exec
	s_or_b64 s[20:21], s[20:21], s[28:29]
	s_or_b64 s[18:19], s[18:19], s[26:27]
	s_and_b64 s[26:27], s[24:25], exec
.LBB14_126:                             ;   in Loop: Header=BB14_17 Depth=1
	s_or_b64 exec, exec, s[22:23]
	s_and_b64 s[22:23], s[20:21], exec
	s_and_b64 s[20:21], s[18:19], exec
	s_orn2_b64 s[18:19], s[26:27], exec
.LBB14_127:                             ;   in Loop: Header=BB14_17 Depth=1
	s_or_b64 exec, exec, s[14:15]
	s_andn2_b64 s[12:13], s[12:13], exec
	s_and_b64 s[14:15], s[22:23], exec
	s_or_b64 s[12:13], s[12:13], s[14:15]
	s_andn2_b64 s[10:11], s[10:11], exec
	s_and_b64 s[14:15], s[20:21], exec
	s_or_b64 s[10:11], s[10:11], s[14:15]
	s_and_saveexec_b64 s[14:15], s[18:19]
	s_cbranch_execz .LBB14_16
; %bb.128:                              ;   in Loop: Header=BB14_17 Depth=1
	v_cmp_lt_i32_e32 vcc, v55, v6
	s_mov_b64 s[22:23], -1
	s_mov_b64 s[24:25], -1
                                        ; implicit-def: $sgpr16_sgpr17
                                        ; implicit-def: $sgpr18_sgpr19
	s_and_saveexec_b64 s[20:21], vcc
	s_cbranch_execz .LBB14_338
; %bb.129:                              ;   in Loop: Header=BB14_17 Depth=1
	v_readlane_b32 s16, v44, 1
	s_waitcnt vmcnt(0) lgkmcnt(0)
	v_add_u32_e32 v64, s16, v55
	v_mul_lo_u32 v14, v64, v9
	v_add_co_u32_e32 v14, vcc, v2, v14
	v_addc_co_u32_e32 v15, vcc, 0, v3, vcc
	v_cmp_gt_i16_sdwa s[24:25], v7, v18 src0_sel:BYTE_0 src1_sel:DWORD
	s_mov_b64 s[26:27], 0
                                        ; implicit-def: $sgpr16_sgpr17
                                        ; implicit-def: $sgpr18_sgpr19
                                        ; implicit-def: $vgpr66
	s_and_saveexec_b64 s[28:29], s[24:25]
	s_xor_b64 s[24:25], exec, s[28:29]
	s_cbranch_execnz .LBB14_232
; %bb.130:                              ;   in Loop: Header=BB14_17 Depth=1
	s_andn2_saveexec_b64 s[24:25], s[24:25]
	s_cbranch_execnz .LBB14_291
.LBB14_131:                             ;   in Loop: Header=BB14_17 Depth=1
	s_or_b64 exec, exec, s[24:25]
	s_mov_b64 s[28:29], 0
	s_and_saveexec_b64 s[24:25], s[26:27]
	s_cbranch_execnz .LBB14_332
	s_branch .LBB14_337
.LBB14_132:                             ;   in Loop: Header=BB14_17 Depth=1
	v_cmp_gt_i16_sdwa s[26:27], v8, v19 src0_sel:BYTE_0 src1_sel:DWORD
	s_mov_b64 s[30:31], 0
                                        ; implicit-def: $sgpr34_sgpr35
                                        ; implicit-def: $sgpr28_sgpr29
                                        ; implicit-def: $vgpr64
	s_and_saveexec_b64 vcc, s[26:27]
	s_xor_b64 s[26:27], exec, vcc
	s_cbranch_execz .LBB14_164
; %bb.133:                              ;   in Loop: Header=BB14_17 Depth=1
	v_cmp_gt_i16_sdwa vcc, v8, v20 src0_sel:BYTE_0 src1_sel:DWORD
                                        ; implicit-def: $sgpr34_sgpr35
                                        ; implicit-def: $sgpr28_sgpr29
                                        ; implicit-def: $vgpr64
	s_and_saveexec_b64 s[36:37], vcc
	s_xor_b64 s[36:37], exec, s[36:37]
	s_cbranch_execz .LBB14_149
; %bb.134:                              ;   in Loop: Header=BB14_17 Depth=1
	v_cmp_gt_i16_sdwa s[28:29], v8, v21 src0_sel:BYTE_0 src1_sel:DWORD
                                        ; implicit-def: $vcc
                                        ; implicit-def: $sgpr34_sgpr35
                                        ; implicit-def: $vgpr64
	s_and_saveexec_b64 s[38:39], s[28:29]
	s_xor_b64 s[28:29], exec, s[38:39]
	s_cbranch_execz .LBB14_144
; %bb.135:                              ;   in Loop: Header=BB14_17 Depth=1
	v_cmp_gt_i16_sdwa vcc, v8, v22 src0_sel:BYTE_0 src1_sel:DWORD
	s_mov_b64 s[38:39], 0
                                        ; implicit-def: $sgpr34_sgpr35
                                        ; implicit-def: $sgpr30_sgpr31
                                        ; implicit-def: $vgpr64
	s_and_saveexec_b64 s[40:41], vcc
	s_xor_b64 vcc, exec, s[40:41]
	s_cbranch_execz .LBB14_139
; %bb.136:                              ;   in Loop: Header=BB14_17 Depth=1
	v_cmp_eq_u16_sdwa s[40:41], v8, v23 src0_sel:BYTE_0 src1_sel:DWORD
	s_mov_b64 s[30:31], 0
                                        ; implicit-def: $vgpr64
	s_and_saveexec_b64 s[34:35], s[40:41]
	s_cbranch_execz .LBB14_138
; %bb.137:                              ;   in Loop: Header=BB14_17 Depth=1
	flat_load_dword v14, v[14:15]
	s_mov_b64 s[38:39], exec
	s_waitcnt vmcnt(0) lgkmcnt(0)
	v_lshlrev_b32_e32 v64, 16, v14
.LBB14_138:                             ;   in Loop: Header=BB14_17 Depth=1
	s_or_b64 exec, exec, s[34:35]
	s_mov_b64 s[34:35], -1
	s_and_b64 s[38:39], s[38:39], exec
                                        ; implicit-def: $vgpr14_vgpr15
.LBB14_139:                             ;   in Loop: Header=BB14_17 Depth=1
	s_andn2_saveexec_b64 s[40:41], vcc
	s_cbranch_execz .LBB14_143
; %bb.140:                              ;   in Loop: Header=BB14_17 Depth=1
	v_cmp_eq_u16_sdwa s[44:45], v8, v24 src0_sel:BYTE_0 src1_sel:DWORD
	s_mov_b64 vcc, s[38:39]
                                        ; implicit-def: $vgpr64
	s_and_saveexec_b64 s[42:43], s[44:45]
	s_cbranch_execz .LBB14_142
; %bb.141:                              ;   in Loop: Header=BB14_17 Depth=1
	flat_load_ubyte v14, v[14:15]
	s_movk_i32 vcc_lo, 0xff
	s_waitcnt vmcnt(0) lgkmcnt(0)
	v_lshlrev_b32_e32 v15, 23, v14
	v_cmp_ne_u32_e32 vcc, vcc_lo, v14
	v_cndmask_b32_e32 v15, v25, v15, vcc
	v_cmp_ne_u32_e32 vcc, 0, v14
	v_cndmask_b32_e32 v64, v26, v15, vcc
	s_or_b64 vcc, s[38:39], exec
.LBB14_142:                             ;   in Loop: Header=BB14_17 Depth=1
	s_or_b64 exec, exec, s[42:43]
	s_andn2_b64 s[38:39], s[38:39], exec
	s_and_b64 vcc, vcc, exec
	s_or_b64 s[34:35], s[34:35], exec
	s_andn2_b64 s[30:31], s[30:31], exec
	s_or_b64 s[38:39], s[38:39], vcc
.LBB14_143:                             ;   in Loop: Header=BB14_17 Depth=1
	s_or_b64 exec, exec, s[40:41]
	s_and_b64 s[34:35], s[34:35], exec
	s_and_b64 vcc, s[30:31], exec
	s_and_b64 s[30:31], s[38:39], exec
                                        ; implicit-def: $vgpr14_vgpr15
.LBB14_144:                             ;   in Loop: Header=BB14_17 Depth=1
	s_andn2_saveexec_b64 s[28:29], s[28:29]
	s_cbranch_execz .LBB14_148
; %bb.145:                              ;   in Loop: Header=BB14_17 Depth=1
	v_cmp_eq_u16_sdwa s[42:43], v8, v27 src0_sel:BYTE_0 src1_sel:DWORD
	s_mov_b64 s[40:41], s[30:31]
                                        ; implicit-def: $vgpr64
	s_and_saveexec_b64 s[38:39], s[42:43]
	s_cbranch_execz .LBB14_147
; %bb.146:                              ;   in Loop: Header=BB14_17 Depth=1
	flat_load_dwordx2 v[14:15], v[14:15]
	s_or_b64 s[40:41], s[30:31], exec
	s_waitcnt vmcnt(0) lgkmcnt(0)
	v_ffbh_u32_e32 v64, v15
	v_min_u32_e32 v64, 32, v64
	v_lshlrev_b64 v[14:15], v64, v[14:15]
	v_min_u32_e32 v14, 1, v14
	v_or_b32_e32 v14, v15, v14
	v_cvt_f32_u32_e32 v14, v14
	v_sub_u32_e32 v15, 32, v64
	v_ldexp_f32 v64, v14, v15
.LBB14_147:                             ;   in Loop: Header=BB14_17 Depth=1
	s_or_b64 exec, exec, s[38:39]
	s_andn2_b64 s[30:31], s[30:31], exec
	s_and_b64 s[38:39], s[40:41], exec
	s_or_b64 s[34:35], s[34:35], exec
	s_andn2_b64 vcc, vcc, exec
	s_or_b64 s[30:31], s[30:31], s[38:39]
.LBB14_148:                             ;   in Loop: Header=BB14_17 Depth=1
	s_or_b64 exec, exec, s[28:29]
	s_and_b64 s[28:29], s[34:35], exec
	s_and_b64 s[34:35], vcc, exec
	s_and_b64 s[30:31], s[30:31], exec
                                        ; implicit-def: $vgpr14_vgpr15
.LBB14_149:                             ;   in Loop: Header=BB14_17 Depth=1
	s_andn2_saveexec_b64 s[36:37], s[36:37]
	s_cbranch_execz .LBB14_163
; %bb.150:                              ;   in Loop: Header=BB14_17 Depth=1
	v_cmp_gt_i16_sdwa vcc, v8, v28 src0_sel:BYTE_0 src1_sel:DWORD
                                        ; implicit-def: $vgpr64
	s_and_saveexec_b64 s[38:39], vcc
	s_xor_b64 vcc, exec, s[38:39]
	s_cbranch_execz .LBB14_156
; %bb.151:                              ;   in Loop: Header=BB14_17 Depth=1
	v_cmp_gt_i16_sdwa s[38:39], v8, v29 src0_sel:BYTE_0 src1_sel:DWORD
                                        ; implicit-def: $vgpr64
	s_and_saveexec_b64 s[40:41], s[38:39]
	s_xor_b64 s[38:39], exec, s[40:41]
	s_cbranch_execz .LBB14_153
; %bb.152:                              ;   in Loop: Header=BB14_17 Depth=1
	flat_load_dword v14, v[14:15]
	s_waitcnt vmcnt(0) lgkmcnt(0)
	v_cvt_f32_u32_e32 v64, v14
                                        ; implicit-def: $vgpr14_vgpr15
.LBB14_153:                             ;   in Loop: Header=BB14_17 Depth=1
	s_andn2_saveexec_b64 s[38:39], s[38:39]
	s_cbranch_execz .LBB14_155
; %bb.154:                              ;   in Loop: Header=BB14_17 Depth=1
	flat_load_ushort v14, v[14:15]
	s_waitcnt vmcnt(0) lgkmcnt(0)
	v_cvt_f32_u32_e32 v64, v14
.LBB14_155:                             ;   in Loop: Header=BB14_17 Depth=1
	s_or_b64 exec, exec, s[38:39]
                                        ; implicit-def: $vgpr14_vgpr15
.LBB14_156:                             ;   in Loop: Header=BB14_17 Depth=1
	s_andn2_saveexec_b64 s[38:39], vcc
	s_cbranch_execz .LBB14_162
; %bb.157:                              ;   in Loop: Header=BB14_17 Depth=1
	flat_load_ubyte v14, v[14:15]
	s_movk_i32 vcc_lo, 0x7f
	s_mov_b64 s[40:41], 0
                                        ; implicit-def: $sgpr46
	s_waitcnt vmcnt(0) lgkmcnt(0)
	v_cmp_lt_i16_e32 vcc, vcc_lo, v14
	s_and_saveexec_b64 s[42:43], vcc
	s_xor_b64 s[42:43], exec, s[42:43]
	s_cbranch_execnz .LBB14_984
; %bb.158:                              ;   in Loop: Header=BB14_17 Depth=1
	s_or_saveexec_b64 s[42:43], s[42:43]
	v_mov_b32_e32 v64, s46
	s_xor_b64 exec, exec, s[42:43]
	s_cbranch_execnz .LBB14_987
.LBB14_159:                             ;   in Loop: Header=BB14_17 Depth=1
	s_or_b64 exec, exec, s[42:43]
	s_and_saveexec_b64 s[42:43], s[40:41]
	s_cbranch_execz .LBB14_161
.LBB14_160:                             ;   in Loop: Header=BB14_17 Depth=1
	v_lshlrev_b32_e32 v15, 24, v14
	v_and_b32_e32 v14, 0xffff, v14
	v_and_b32_e32 v64, 7, v14
	v_ffbh_u32_e32 v67, v64
	v_min_u32_e32 v67, 32, v67
	v_subrev_u32_e32 v68, 28, v67
	v_bfe_u32 v66, v14, 3, 4
	v_lshlrev_b32_e32 v14, v68, v14
	v_sub_u32_e32 v67, 29, v67
	v_and_b32_e32 v14, 7, v14
	v_cmp_eq_u32_e32 vcc, 0, v66
	v_cndmask_b32_e32 v66, v66, v67, vcc
	v_cndmask_b32_e32 v14, v64, v14, vcc
	v_lshlrev_b32_e32 v14, 20, v14
	v_and_b32_e32 v15, 0x80000000, v15
	v_lshl_add_u32 v64, v66, 23, v30
	v_or3_b32 v64, v15, v64, v14
.LBB14_161:                             ;   in Loop: Header=BB14_17 Depth=1
	s_or_b64 exec, exec, s[42:43]
.LBB14_162:                             ;   in Loop: Header=BB14_17 Depth=1
	s_or_b64 exec, exec, s[38:39]
	s_andn2_b64 s[28:29], s[28:29], exec
	s_andn2_b64 s[34:35], s[34:35], exec
	s_or_b64 s[30:31], s[30:31], exec
.LBB14_163:                             ;   in Loop: Header=BB14_17 Depth=1
	s_or_b64 exec, exec, s[36:37]
	s_and_b64 s[28:29], s[28:29], exec
	s_and_b64 s[34:35], s[34:35], exec
	s_and_b64 s[30:31], s[30:31], exec
                                        ; implicit-def: $vgpr14_vgpr15
.LBB14_164:                             ;   in Loop: Header=BB14_17 Depth=1
	s_andn2_saveexec_b64 s[26:27], s[26:27]
	s_cbranch_execz .LBB14_190
; %bb.165:                              ;   in Loop: Header=BB14_17 Depth=1
	v_cmp_gt_i16_sdwa vcc, v8, v31 src0_sel:BYTE_0 src1_sel:DWORD
	s_mov_b64 s[38:39], s[30:31]
                                        ; implicit-def: $vgpr64
	s_and_saveexec_b64 s[36:37], vcc
	s_xor_b64 s[36:37], exec, s[36:37]
	s_cbranch_execz .LBB14_179
; %bb.166:                              ;   in Loop: Header=BB14_17 Depth=1
	v_cmp_gt_i16_sdwa vcc, v8, v32 src0_sel:BYTE_0 src1_sel:DWORD
                                        ; implicit-def: $vgpr64
	s_and_saveexec_b64 s[38:39], vcc
	s_xor_b64 s[38:39], exec, s[38:39]
	s_cbranch_execz .LBB14_176
; %bb.167:                              ;   in Loop: Header=BB14_17 Depth=1
	v_cmp_gt_i16_sdwa vcc, v8, v33 src0_sel:BYTE_0 src1_sel:DWORD
                                        ; implicit-def: $vgpr64
	s_and_saveexec_b64 s[40:41], vcc
	s_xor_b64 s[40:41], exec, s[40:41]
	s_cbranch_execz .LBB14_173
; %bb.168:                              ;   in Loop: Header=BB14_17 Depth=1
	flat_load_ubyte v14, v[14:15]
	s_movk_i32 vcc_lo, 0x7f
	s_mov_b64 s[42:43], 0
                                        ; implicit-def: $sgpr48
	s_waitcnt vmcnt(0) lgkmcnt(0)
	v_cmp_lt_i16_e32 vcc, vcc_lo, v14
	s_and_saveexec_b64 s[44:45], vcc
	s_xor_b64 s[44:45], exec, s[44:45]
	s_cbranch_execnz .LBB14_1203
; %bb.169:                              ;   in Loop: Header=BB14_17 Depth=1
	s_or_saveexec_b64 s[44:45], s[44:45]
	v_mov_b32_e32 v64, s48
	s_xor_b64 exec, exec, s[44:45]
	s_cbranch_execnz .LBB14_1206
.LBB14_170:                             ;   in Loop: Header=BB14_17 Depth=1
	s_or_b64 exec, exec, s[44:45]
	s_and_saveexec_b64 s[44:45], s[42:43]
	s_cbranch_execz .LBB14_172
.LBB14_171:                             ;   in Loop: Header=BB14_17 Depth=1
	v_lshlrev_b32_e32 v15, 24, v14
	v_and_b32_e32 v14, 0xffff, v14
	v_and_b32_e32 v64, 3, v14
	v_ffbh_u32_e32 v67, v64
	v_min_u32_e32 v67, 32, v67
	v_subrev_u32_e32 v68, 29, v67
	v_bfe_u32 v66, v14, 2, 5
	v_lshlrev_b32_e32 v14, v68, v14
	v_sub_u32_e32 v67, 30, v67
	v_and_b32_e32 v14, 3, v14
	v_cmp_eq_u32_e32 vcc, 0, v66
	v_cndmask_b32_e32 v66, v66, v67, vcc
	v_cndmask_b32_e32 v14, v64, v14, vcc
	v_lshlrev_b32_e32 v14, 21, v14
	v_and_b32_e32 v15, 0x80000000, v15
	v_lshl_add_u32 v64, v66, 23, v34
	v_or3_b32 v64, v15, v64, v14
.LBB14_172:                             ;   in Loop: Header=BB14_17 Depth=1
	s_or_b64 exec, exec, s[44:45]
                                        ; implicit-def: $vgpr14_vgpr15
.LBB14_173:                             ;   in Loop: Header=BB14_17 Depth=1
	s_andn2_saveexec_b64 s[40:41], s[40:41]
	s_cbranch_execz .LBB14_175
; %bb.174:                              ;   in Loop: Header=BB14_17 Depth=1
	flat_load_ubyte v14, v[14:15]
	s_mov_b32 vcc_lo, 0x7f800000
	s_waitcnt vmcnt(0) lgkmcnt(0)
	v_lshlrev_b32_e32 v14, 24, v14
	v_and_b32_e32 v15, 0x7f000000, v14
	v_ffbh_u32_e32 v64, v15
	v_min_u32_e32 v64, 32, v64
	v_sub_u32_e64 v64, v64, 4 clamp
	v_lshlrev_b32_e32 v67, v64, v15
	v_lshlrev_b32_e32 v64, 23, v64
	v_lshrrev_b32_e32 v67, 4, v67
	v_add_u32_e32 v66, 0x1000000, v15
	v_sub_u32_e32 v64, v67, v64
	v_ashrrev_i32_e32 v66, 8, v66
	v_add_u32_e32 v64, 0x3c000000, v64
	v_and_or_b32 v64, v66, vcc_lo, v64
	v_cmp_ne_u32_e32 vcc, 0, v15
	v_cndmask_b32_e32 v15, 0, v64, vcc
	s_brev_b32 vcc_lo, 1
	v_and_or_b32 v64, v14, vcc_lo, v15
.LBB14_175:                             ;   in Loop: Header=BB14_17 Depth=1
	s_or_b64 exec, exec, s[40:41]
                                        ; implicit-def: $vgpr14_vgpr15
.LBB14_176:                             ;   in Loop: Header=BB14_17 Depth=1
	s_andn2_saveexec_b64 s[38:39], s[38:39]
	s_cbranch_execz .LBB14_178
; %bb.177:                              ;   in Loop: Header=BB14_17 Depth=1
	flat_load_ubyte v14, v[14:15]
	s_movk_i32 vcc_lo, 0x7f00
	s_waitcnt vmcnt(0) lgkmcnt(0)
	v_lshlrev_b16_e32 v15, 8, v14
	v_lshlrev_b32_e32 v14, 25, v14
	v_lshrrev_b32_e32 v64, 4, v14
	v_and_or_b32 v66, v15, vcc_lo, 0.5
	v_or_b32_e32 v64, 0x70000000, v64
	s_brev_b32 vcc_lo, 16
	v_add_f32_e32 v66, -0.5, v66
	v_mul_f32_e32 v64, 0x7800000, v64
	v_cmp_gt_u32_e32 vcc, vcc_lo, v14
	v_cndmask_b32_e32 v14, v64, v66, vcc
	v_bfe_i32 v15, v15, 0, 16
	s_brev_b32 vcc_lo, 1
	v_and_or_b32 v64, v15, vcc_lo, v14
.LBB14_178:                             ;   in Loop: Header=BB14_17 Depth=1
	s_or_b64 exec, exec, s[38:39]
	s_or_b64 s[38:39], s[30:31], exec
                                        ; implicit-def: $vgpr14_vgpr15
.LBB14_179:                             ;   in Loop: Header=BB14_17 Depth=1
	s_or_saveexec_b64 s[36:37], s[36:37]
                                        ; implicit-def: $vcc
                                        ; implicit-def: $sgpr44_sgpr45
	s_xor_b64 exec, exec, s[36:37]
	s_cbranch_execz .LBB14_189
; %bb.180:                              ;   in Loop: Header=BB14_17 Depth=1
	v_cmp_gt_i16_sdwa vcc, v8, v35 src0_sel:BYTE_0 src1_sel:DWORD
	s_mov_b64 s[42:43], s[38:39]
                                        ; implicit-def: $sgpr44_sgpr45
                                        ; implicit-def: $sgpr40_sgpr41
                                        ; implicit-def: $vgpr64
	s_and_saveexec_b64 s[46:47], vcc
	s_xor_b64 vcc, exec, s[46:47]
	s_cbranch_execz .LBB14_184
; %bb.181:                              ;   in Loop: Header=BB14_17 Depth=1
	v_cmp_eq_u16_sdwa s[44:45], v8, v36 src0_sel:BYTE_0 src1_sel:DWORD
	s_mov_b64 s[42:43], s[38:39]
                                        ; implicit-def: $vgpr64
	s_and_saveexec_b64 s[40:41], s[44:45]
	s_cbranch_execz .LBB14_183
; %bb.182:                              ;   in Loop: Header=BB14_17 Depth=1
	flat_load_ushort v14, v[14:15]
	s_or_b64 s[42:43], s[38:39], exec
	s_waitcnt vmcnt(0) lgkmcnt(0)
	v_lshlrev_b32_e32 v64, 16, v14
.LBB14_183:                             ;   in Loop: Header=BB14_17 Depth=1
	s_or_b64 exec, exec, s[40:41]
	s_andn2_b64 s[46:47], s[38:39], exec
	s_and_b64 s[42:43], s[42:43], exec
	s_mov_b64 s[40:41], 0
	s_mov_b64 s[44:45], -1
	s_or_b64 s[42:43], s[46:47], s[42:43]
                                        ; implicit-def: $vgpr14_vgpr15
.LBB14_184:                             ;   in Loop: Header=BB14_17 Depth=1
	s_andn2_saveexec_b64 s[46:47], vcc
	s_cbranch_execz .LBB14_188
; %bb.185:                              ;   in Loop: Header=BB14_17 Depth=1
	v_cmp_eq_u16_sdwa s[50:51], v8, v37 src0_sel:BYTE_0 src1_sel:DWORD
	s_mov_b64 vcc, s[42:43]
                                        ; implicit-def: $vgpr64
	s_and_saveexec_b64 s[48:49], s[50:51]
	s_cbranch_execz .LBB14_187
; %bb.186:                              ;   in Loop: Header=BB14_17 Depth=1
	flat_load_ubyte v14, v[14:15]
	s_waitcnt vmcnt(0) lgkmcnt(0)
	v_cmp_ne_u16_e32 vcc, 0, v14
	v_cndmask_b32_e64 v64, 0, 1.0, vcc
	s_or_b64 vcc, s[42:43], exec
.LBB14_187:                             ;   in Loop: Header=BB14_17 Depth=1
	s_or_b64 exec, exec, s[48:49]
	s_andn2_b64 s[42:43], s[42:43], exec
	s_and_b64 vcc, vcc, exec
	s_or_b64 s[44:45], s[44:45], exec
	s_andn2_b64 s[40:41], s[40:41], exec
	s_or_b64 s[42:43], s[42:43], vcc
.LBB14_188:                             ;   in Loop: Header=BB14_17 Depth=1
	s_or_b64 exec, exec, s[46:47]
	s_and_b64 vcc, s[40:41], exec
	s_andn2_b64 s[38:39], s[38:39], exec
	s_and_b64 s[40:41], s[42:43], exec
	s_and_b64 s[44:45], s[44:45], exec
	s_or_b64 s[38:39], s[38:39], s[40:41]
.LBB14_189:                             ;   in Loop: Header=BB14_17 Depth=1
	s_or_b64 exec, exec, s[36:37]
	s_andn2_b64 s[34:35], s[34:35], exec
	s_and_b64 vcc, vcc, exec
	s_andn2_b64 s[28:29], s[28:29], exec
	s_and_b64 s[36:37], s[44:45], exec
	s_or_b64 s[34:35], s[34:35], vcc
	s_andn2_b64 vcc, s[30:31], exec
	s_and_b64 s[30:31], s[38:39], exec
	s_or_b64 s[28:29], s[28:29], s[36:37]
	s_or_b64 s[30:31], vcc, s[30:31]
.LBB14_190:                             ;   in Loop: Header=BB14_17 Depth=1
	s_or_b64 exec, exec, s[26:27]
	s_and_b64 s[28:29], s[28:29], exec
	s_and_b64 s[26:27], s[34:35], exec
	s_and_b64 vcc, s[30:31], exec
                                        ; implicit-def: $vgpr14_vgpr15
	s_andn2_saveexec_b64 s[24:25], s[24:25]
	s_cbranch_execz .LBB14_123
.LBB14_191:                             ;   in Loop: Header=BB14_17 Depth=1
	v_cmp_gt_i16_sdwa s[30:31], v8, v38 src0_sel:BYTE_0 src1_sel:DWORD
                                        ; implicit-def: $vgpr64
	s_and_saveexec_b64 s[34:35], s[30:31]
	s_xor_b64 s[30:31], exec, s[34:35]
	s_cbranch_execz .LBB14_213
; %bb.192:                              ;   in Loop: Header=BB14_17 Depth=1
	v_cmp_gt_i16_sdwa s[34:35], v8, v39 src0_sel:BYTE_0 src1_sel:DWORD
                                        ; implicit-def: $vgpr64
	s_and_saveexec_b64 s[36:37], s[34:35]
	s_xor_b64 s[34:35], exec, s[36:37]
	s_cbranch_execz .LBB14_202
; %bb.193:                              ;   in Loop: Header=BB14_17 Depth=1
	;; [unrolled: 6-line block ×4, first 2 shown]
	flat_load_dwordx2 v[14:15], v[14:15]
	s_waitcnt vmcnt(0) lgkmcnt(0)
	v_cvt_f32_f64_e32 v64, v[14:15]
                                        ; implicit-def: $vgpr14_vgpr15
.LBB14_196:                             ;   in Loop: Header=BB14_17 Depth=1
	s_andn2_saveexec_b64 s[38:39], s[38:39]
	s_cbranch_execz .LBB14_198
; %bb.197:                              ;   in Loop: Header=BB14_17 Depth=1
	flat_load_dword v64, v[14:15]
.LBB14_198:                             ;   in Loop: Header=BB14_17 Depth=1
	s_or_b64 exec, exec, s[38:39]
                                        ; implicit-def: $vgpr14_vgpr15
.LBB14_199:                             ;   in Loop: Header=BB14_17 Depth=1
	s_andn2_saveexec_b64 s[36:37], s[36:37]
	s_cbranch_execz .LBB14_201
; %bb.200:                              ;   in Loop: Header=BB14_17 Depth=1
	flat_load_dword v14, v[14:15]
	s_waitcnt vmcnt(0) lgkmcnt(0)
	v_cvt_f32_f16_e32 v64, v14
.LBB14_201:                             ;   in Loop: Header=BB14_17 Depth=1
	s_or_b64 exec, exec, s[36:37]
                                        ; implicit-def: $vgpr14_vgpr15
.LBB14_202:                             ;   in Loop: Header=BB14_17 Depth=1
	s_andn2_saveexec_b64 s[34:35], s[34:35]
	s_cbranch_execz .LBB14_212
; %bb.203:                              ;   in Loop: Header=BB14_17 Depth=1
	v_cmp_gt_i16_sdwa s[36:37], v8, v50 src0_sel:BYTE_0 src1_sel:DWORD
                                        ; implicit-def: $vgpr64
	s_and_saveexec_b64 s[38:39], s[36:37]
	s_xor_b64 s[36:37], exec, s[38:39]
	s_cbranch_execz .LBB14_209
; %bb.204:                              ;   in Loop: Header=BB14_17 Depth=1
	v_cmp_gt_i16_sdwa s[38:39], v8, v51 src0_sel:BYTE_0 src1_sel:DWORD
                                        ; implicit-def: $vgpr64
	s_and_saveexec_b64 s[40:41], s[38:39]
	s_xor_b64 s[38:39], exec, s[40:41]
	s_cbranch_execz .LBB14_206
; %bb.205:                              ;   in Loop: Header=BB14_17 Depth=1
	flat_load_dwordx2 v[14:15], v[14:15]
	s_waitcnt vmcnt(0) lgkmcnt(0)
	v_cvt_f32_f64_e32 v64, v[14:15]
                                        ; implicit-def: $vgpr14_vgpr15
.LBB14_206:                             ;   in Loop: Header=BB14_17 Depth=1
	s_andn2_saveexec_b64 s[38:39], s[38:39]
	s_cbranch_execz .LBB14_208
; %bb.207:                              ;   in Loop: Header=BB14_17 Depth=1
	s_waitcnt vmcnt(0) lgkmcnt(0)
	flat_load_dword v64, v[14:15]
.LBB14_208:                             ;   in Loop: Header=BB14_17 Depth=1
	s_or_b64 exec, exec, s[38:39]
                                        ; implicit-def: $vgpr14_vgpr15
.LBB14_209:                             ;   in Loop: Header=BB14_17 Depth=1
	s_andn2_saveexec_b64 s[36:37], s[36:37]
	s_cbranch_execz .LBB14_211
; %bb.210:                              ;   in Loop: Header=BB14_17 Depth=1
	flat_load_ushort v14, v[14:15]
	s_waitcnt vmcnt(0) lgkmcnt(0)
	v_cvt_f32_f16_e32 v64, v14
.LBB14_211:                             ;   in Loop: Header=BB14_17 Depth=1
	s_or_b64 exec, exec, s[36:37]
.LBB14_212:                             ;   in Loop: Header=BB14_17 Depth=1
	s_or_b64 exec, exec, s[34:35]
                                        ; implicit-def: $vgpr14_vgpr15
.LBB14_213:                             ;   in Loop: Header=BB14_17 Depth=1
	s_andn2_saveexec_b64 s[30:31], s[30:31]
	s_cbranch_execz .LBB14_231
; %bb.214:                              ;   in Loop: Header=BB14_17 Depth=1
	v_cmp_gt_i16_sdwa s[34:35], v8, v52 src0_sel:BYTE_0 src1_sel:DWORD
                                        ; implicit-def: $vgpr64
	s_and_saveexec_b64 s[36:37], s[34:35]
	s_xor_b64 s[34:35], exec, s[36:37]
	s_cbranch_execz .LBB14_224
; %bb.215:                              ;   in Loop: Header=BB14_17 Depth=1
	v_cmp_gt_i16_sdwa s[36:37], v8, v53 src0_sel:BYTE_0 src1_sel:DWORD
                                        ; implicit-def: $vgpr64
	s_and_saveexec_b64 s[38:39], s[36:37]
	s_xor_b64 s[36:37], exec, s[38:39]
	;; [unrolled: 6-line block ×3, first 2 shown]
	s_cbranch_execz .LBB14_218
; %bb.217:                              ;   in Loop: Header=BB14_17 Depth=1
	flat_load_dwordx2 v[14:15], v[14:15]
	s_waitcnt vmcnt(0) lgkmcnt(0)
	v_xor_b32_e32 v66, v14, v15
	v_ffbh_i32_e32 v64, v15
	v_ashrrev_i32_e32 v66, 31, v66
	v_add_u32_e32 v64, -1, v64
	v_add_u32_e32 v66, 32, v66
	v_min_u32_e32 v64, v64, v66
	v_lshlrev_b64 v[14:15], v64, v[14:15]
	v_min_u32_e32 v14, 1, v14
	v_or_b32_e32 v14, v15, v14
	v_cvt_f32_i32_e32 v14, v14
	v_sub_u32_e32 v15, 32, v64
	v_ldexp_f32 v64, v14, v15
                                        ; implicit-def: $vgpr14_vgpr15
.LBB14_218:                             ;   in Loop: Header=BB14_17 Depth=1
	s_andn2_saveexec_b64 s[38:39], s[38:39]
	s_cbranch_execz .LBB14_220
; %bb.219:                              ;   in Loop: Header=BB14_17 Depth=1
	flat_load_dword v14, v[14:15]
	s_waitcnt vmcnt(0) lgkmcnt(0)
	v_cvt_f32_i32_e32 v64, v14
.LBB14_220:                             ;   in Loop: Header=BB14_17 Depth=1
	s_or_b64 exec, exec, s[38:39]
                                        ; implicit-def: $vgpr14_vgpr15
.LBB14_221:                             ;   in Loop: Header=BB14_17 Depth=1
	s_andn2_saveexec_b64 s[36:37], s[36:37]
	s_cbranch_execz .LBB14_223
; %bb.222:                              ;   in Loop: Header=BB14_17 Depth=1
	flat_load_sshort v14, v[14:15]
	s_waitcnt vmcnt(0) lgkmcnt(0)
	v_cvt_f32_i32_e32 v64, v14
.LBB14_223:                             ;   in Loop: Header=BB14_17 Depth=1
	s_or_b64 exec, exec, s[36:37]
                                        ; implicit-def: $vgpr14_vgpr15
.LBB14_224:                             ;   in Loop: Header=BB14_17 Depth=1
	s_andn2_saveexec_b64 s[34:35], s[34:35]
	s_cbranch_execz .LBB14_230
; %bb.225:                              ;   in Loop: Header=BB14_17 Depth=1
	v_cmp_gt_i16_sdwa s[36:37], v8, v16 src0_sel:BYTE_0 src1_sel:DWORD
                                        ; implicit-def: $vgpr64
	s_and_saveexec_b64 s[38:39], s[36:37]
	s_xor_b64 s[36:37], exec, s[38:39]
	s_cbranch_execz .LBB14_227
; %bb.226:                              ;   in Loop: Header=BB14_17 Depth=1
	flat_load_sbyte v14, v[14:15]
	s_waitcnt vmcnt(0) lgkmcnt(0)
	v_cvt_f32_i32_e32 v64, v14
                                        ; implicit-def: $vgpr14_vgpr15
.LBB14_227:                             ;   in Loop: Header=BB14_17 Depth=1
	s_andn2_saveexec_b64 s[36:37], s[36:37]
	s_cbranch_execz .LBB14_229
; %bb.228:                              ;   in Loop: Header=BB14_17 Depth=1
	flat_load_ubyte v14, v[14:15]
	s_waitcnt vmcnt(0) lgkmcnt(0)
	v_cvt_f32_ubyte0_e32 v64, v14
.LBB14_229:                             ;   in Loop: Header=BB14_17 Depth=1
	s_or_b64 exec, exec, s[36:37]
.LBB14_230:                             ;   in Loop: Header=BB14_17 Depth=1
	s_or_b64 exec, exec, s[34:35]
.LBB14_231:                             ;   in Loop: Header=BB14_17 Depth=1
	s_or_b64 exec, exec, s[30:31]
	s_andn2_b64 s[28:29], s[28:29], exec
	s_andn2_b64 s[26:27], s[26:27], exec
	s_or_b64 vcc, vcc, exec
	s_or_b64 exec, exec, s[24:25]
	s_mov_b64 s[24:25], 0
	s_and_saveexec_b64 s[30:31], vcc
	s_cbranch_execnz .LBB14_124
	s_branch .LBB14_125
.LBB14_232:                             ;   in Loop: Header=BB14_17 Depth=1
	v_cmp_gt_i16_sdwa s[16:17], v7, v19 src0_sel:BYTE_0 src1_sel:DWORD
                                        ; implicit-def: $sgpr28_sgpr29
                                        ; implicit-def: $sgpr18_sgpr19
                                        ; implicit-def: $vgpr66
	s_and_saveexec_b64 vcc, s[16:17]
	s_xor_b64 s[16:17], exec, vcc
	s_cbranch_execz .LBB14_264
; %bb.233:                              ;   in Loop: Header=BB14_17 Depth=1
	v_cmp_gt_i16_sdwa s[18:19], v7, v20 src0_sel:BYTE_0 src1_sel:DWORD
                                        ; implicit-def: $sgpr28_sgpr29
                                        ; implicit-def: $sgpr30_sgpr31
                                        ; implicit-def: $vgpr66
	s_and_saveexec_b64 vcc, s[18:19]
	s_xor_b64 s[18:19], exec, vcc
	s_cbranch_execz .LBB14_249
; %bb.234:                              ;   in Loop: Header=BB14_17 Depth=1
	v_cmp_gt_i16_sdwa s[26:27], v7, v21 src0_sel:BYTE_0 src1_sel:DWORD
	s_mov_b64 vcc, 0
                                        ; implicit-def: $sgpr28_sgpr29
                                        ; implicit-def: $sgpr30_sgpr31
                                        ; implicit-def: $vgpr66
	s_and_saveexec_b64 s[34:35], s[26:27]
	s_xor_b64 s[26:27], exec, s[34:35]
	s_cbranch_execz .LBB14_244
; %bb.235:                              ;   in Loop: Header=BB14_17 Depth=1
	v_cmp_gt_i16_sdwa vcc, v7, v22 src0_sel:BYTE_0 src1_sel:DWORD
	s_mov_b64 s[34:35], 0
                                        ; implicit-def: $sgpr28_sgpr29
                                        ; implicit-def: $sgpr36_sgpr37
                                        ; implicit-def: $vgpr66
	s_and_saveexec_b64 s[30:31], vcc
	s_xor_b64 vcc, exec, s[30:31]
	s_cbranch_execz .LBB14_239
; %bb.236:                              ;   in Loop: Header=BB14_17 Depth=1
	v_cmp_eq_u16_sdwa s[36:37], v7, v23 src0_sel:BYTE_0 src1_sel:DWORD
	s_mov_b64 s[28:29], 0
	s_mov_b64 s[30:31], 0
                                        ; implicit-def: $vgpr66
	s_and_saveexec_b64 s[34:35], s[36:37]
	s_cbranch_execz .LBB14_238
; %bb.237:                              ;   in Loop: Header=BB14_17 Depth=1
	flat_load_dword v14, v[14:15]
	s_mov_b64 s[30:31], exec
	s_waitcnt vmcnt(0) lgkmcnt(0)
	v_lshlrev_b32_e32 v66, 16, v14
.LBB14_238:                             ;   in Loop: Header=BB14_17 Depth=1
	s_or_b64 exec, exec, s[34:35]
	s_mov_b64 s[36:37], -1
	s_and_b64 s[34:35], s[30:31], exec
                                        ; implicit-def: $vgpr14_vgpr15
.LBB14_239:                             ;   in Loop: Header=BB14_17 Depth=1
	s_andn2_saveexec_b64 s[30:31], vcc
	s_cbranch_execz .LBB14_243
; %bb.240:                              ;   in Loop: Header=BB14_17 Depth=1
	v_cmp_eq_u16_sdwa s[40:41], v7, v24 src0_sel:BYTE_0 src1_sel:DWORD
	s_mov_b64 vcc, s[34:35]
                                        ; implicit-def: $vgpr66
	s_and_saveexec_b64 s[38:39], s[40:41]
	s_cbranch_execz .LBB14_242
; %bb.241:                              ;   in Loop: Header=BB14_17 Depth=1
	flat_load_ubyte v14, v[14:15]
	s_movk_i32 vcc_lo, 0xff
	s_waitcnt vmcnt(0) lgkmcnt(0)
	v_lshlrev_b32_e32 v15, 23, v14
	v_cmp_ne_u32_e32 vcc, vcc_lo, v14
	v_cndmask_b32_e32 v15, v25, v15, vcc
	v_cmp_ne_u32_e32 vcc, 0, v14
	v_cndmask_b32_e32 v66, v26, v15, vcc
	s_or_b64 vcc, s[34:35], exec
.LBB14_242:                             ;   in Loop: Header=BB14_17 Depth=1
	s_or_b64 exec, exec, s[38:39]
	s_andn2_b64 s[34:35], s[34:35], exec
	s_and_b64 vcc, vcc, exec
	s_andn2_b64 s[28:29], s[28:29], exec
	s_or_b64 s[36:37], s[36:37], exec
	s_or_b64 s[34:35], s[34:35], vcc
.LBB14_243:                             ;   in Loop: Header=BB14_17 Depth=1
	s_or_b64 exec, exec, s[30:31]
	s_and_b64 s[30:31], s[28:29], exec
	s_and_b64 s[28:29], s[36:37], exec
	s_and_b64 vcc, s[34:35], exec
                                        ; implicit-def: $vgpr14_vgpr15
.LBB14_244:                             ;   in Loop: Header=BB14_17 Depth=1
	s_andn2_saveexec_b64 s[26:27], s[26:27]
	s_cbranch_execz .LBB14_248
; %bb.245:                              ;   in Loop: Header=BB14_17 Depth=1
	v_cmp_eq_u16_sdwa s[38:39], v7, v27 src0_sel:BYTE_0 src1_sel:DWORD
	s_mov_b64 s[36:37], vcc
                                        ; implicit-def: $vgpr66
	s_and_saveexec_b64 s[34:35], s[38:39]
	s_cbranch_execz .LBB14_247
; %bb.246:                              ;   in Loop: Header=BB14_17 Depth=1
	flat_load_dwordx2 v[14:15], v[14:15]
	s_or_b64 s[36:37], vcc, exec
	s_waitcnt vmcnt(0) lgkmcnt(0)
	v_ffbh_u32_e32 v65, v15
	v_min_u32_e32 v65, 32, v65
	v_lshlrev_b64 v[14:15], v65, v[14:15]
	v_min_u32_e32 v14, 1, v14
	v_or_b32_e32 v14, v15, v14
	v_cvt_f32_u32_e32 v14, v14
	v_sub_u32_e32 v15, 32, v65
	v_ldexp_f32 v66, v14, v15
.LBB14_247:                             ;   in Loop: Header=BB14_17 Depth=1
	s_or_b64 exec, exec, s[34:35]
	s_andn2_b64 vcc, vcc, exec
	s_and_b64 s[34:35], s[36:37], exec
	s_andn2_b64 s[30:31], s[30:31], exec
	s_or_b64 s[28:29], s[28:29], exec
	s_or_b64 vcc, vcc, s[34:35]
.LBB14_248:                             ;   in Loop: Header=BB14_17 Depth=1
	s_or_b64 exec, exec, s[26:27]
	s_and_b64 s[30:31], s[30:31], exec
	s_and_b64 s[28:29], s[28:29], exec
	s_and_b64 s[26:27], vcc, exec
                                        ; implicit-def: $vgpr14_vgpr15
.LBB14_249:                             ;   in Loop: Header=BB14_17 Depth=1
	s_andn2_saveexec_b64 s[18:19], s[18:19]
	s_cbranch_execz .LBB14_263
; %bb.250:                              ;   in Loop: Header=BB14_17 Depth=1
	v_cmp_gt_i16_sdwa vcc, v7, v28 src0_sel:BYTE_0 src1_sel:DWORD
                                        ; implicit-def: $vgpr66
	s_and_saveexec_b64 s[34:35], vcc
	s_xor_b64 vcc, exec, s[34:35]
	s_cbranch_execz .LBB14_256
; %bb.251:                              ;   in Loop: Header=BB14_17 Depth=1
	v_cmp_gt_i16_sdwa s[34:35], v7, v29 src0_sel:BYTE_0 src1_sel:DWORD
                                        ; implicit-def: $vgpr66
	s_and_saveexec_b64 s[36:37], s[34:35]
	s_xor_b64 s[34:35], exec, s[36:37]
	s_cbranch_execz .LBB14_253
; %bb.252:                              ;   in Loop: Header=BB14_17 Depth=1
	flat_load_dword v14, v[14:15]
	s_waitcnt vmcnt(0) lgkmcnt(0)
	v_cvt_f32_u32_e32 v66, v14
                                        ; implicit-def: $vgpr14_vgpr15
.LBB14_253:                             ;   in Loop: Header=BB14_17 Depth=1
	s_andn2_saveexec_b64 s[34:35], s[34:35]
	s_cbranch_execz .LBB14_255
; %bb.254:                              ;   in Loop: Header=BB14_17 Depth=1
	flat_load_ushort v14, v[14:15]
	s_waitcnt vmcnt(0) lgkmcnt(0)
	v_cvt_f32_u32_e32 v66, v14
.LBB14_255:                             ;   in Loop: Header=BB14_17 Depth=1
	s_or_b64 exec, exec, s[34:35]
                                        ; implicit-def: $vgpr14_vgpr15
.LBB14_256:                             ;   in Loop: Header=BB14_17 Depth=1
	s_andn2_saveexec_b64 s[34:35], vcc
	s_cbranch_execz .LBB14_262
; %bb.257:                              ;   in Loop: Header=BB14_17 Depth=1
	flat_load_ubyte v14, v[14:15]
	s_movk_i32 vcc_lo, 0x7f
	s_mov_b64 s[36:37], 0
                                        ; implicit-def: $sgpr42
	s_waitcnt vmcnt(0) lgkmcnt(0)
	v_cmp_lt_i16_e32 vcc, vcc_lo, v14
	s_and_saveexec_b64 s[38:39], vcc
	s_xor_b64 s[38:39], exec, s[38:39]
	s_cbranch_execnz .LBB14_988
; %bb.258:                              ;   in Loop: Header=BB14_17 Depth=1
	s_or_saveexec_b64 s[38:39], s[38:39]
	v_mov_b32_e32 v66, s42
	s_xor_b64 exec, exec, s[38:39]
	s_cbranch_execnz .LBB14_991
.LBB14_259:                             ;   in Loop: Header=BB14_17 Depth=1
	s_or_b64 exec, exec, s[38:39]
	s_and_saveexec_b64 s[38:39], s[36:37]
	s_cbranch_execz .LBB14_261
.LBB14_260:                             ;   in Loop: Header=BB14_17 Depth=1
	v_lshlrev_b32_e32 v15, 24, v14
	v_and_b32_e32 v14, 0xffff, v14
	v_and_b32_e32 v65, 7, v14
	v_ffbh_u32_e32 v67, v65
	v_min_u32_e32 v67, 32, v67
	v_subrev_u32_e32 v68, 28, v67
	v_bfe_u32 v66, v14, 3, 4
	v_lshlrev_b32_e32 v14, v68, v14
	v_sub_u32_e32 v67, 29, v67
	v_and_b32_e32 v14, 7, v14
	v_cmp_eq_u32_e32 vcc, 0, v66
	v_cndmask_b32_e32 v66, v66, v67, vcc
	v_cndmask_b32_e32 v14, v65, v14, vcc
	v_lshlrev_b32_e32 v14, 20, v14
	v_and_b32_e32 v15, 0x80000000, v15
	v_lshl_add_u32 v65, v66, 23, v30
	v_or3_b32 v66, v15, v65, v14
.LBB14_261:                             ;   in Loop: Header=BB14_17 Depth=1
	s_or_b64 exec, exec, s[38:39]
.LBB14_262:                             ;   in Loop: Header=BB14_17 Depth=1
	s_or_b64 exec, exec, s[34:35]
	s_andn2_b64 s[30:31], s[30:31], exec
	s_andn2_b64 s[28:29], s[28:29], exec
	s_or_b64 s[26:27], s[26:27], exec
.LBB14_263:                             ;   in Loop: Header=BB14_17 Depth=1
	s_or_b64 exec, exec, s[18:19]
	s_and_b64 s[18:19], s[30:31], exec
	s_and_b64 s[28:29], s[28:29], exec
	;; [unrolled: 1-line block ×3, first 2 shown]
                                        ; implicit-def: $vgpr14_vgpr15
.LBB14_264:                             ;   in Loop: Header=BB14_17 Depth=1
	s_andn2_saveexec_b64 s[16:17], s[16:17]
	s_cbranch_execz .LBB14_290
; %bb.265:                              ;   in Loop: Header=BB14_17 Depth=1
	v_cmp_gt_i16_sdwa vcc, v7, v31 src0_sel:BYTE_0 src1_sel:DWORD
	s_mov_b64 s[34:35], s[26:27]
                                        ; implicit-def: $vgpr66
	s_and_saveexec_b64 s[30:31], vcc
	s_xor_b64 s[30:31], exec, s[30:31]
	s_cbranch_execz .LBB14_279
; %bb.266:                              ;   in Loop: Header=BB14_17 Depth=1
	v_cmp_gt_i16_sdwa vcc, v7, v32 src0_sel:BYTE_0 src1_sel:DWORD
                                        ; implicit-def: $vgpr66
	s_and_saveexec_b64 s[34:35], vcc
	s_xor_b64 s[34:35], exec, s[34:35]
	s_cbranch_execz .LBB14_276
; %bb.267:                              ;   in Loop: Header=BB14_17 Depth=1
	v_cmp_gt_i16_sdwa vcc, v7, v33 src0_sel:BYTE_0 src1_sel:DWORD
                                        ; implicit-def: $vgpr66
	s_and_saveexec_b64 s[36:37], vcc
	s_xor_b64 s[36:37], exec, s[36:37]
	s_cbranch_execz .LBB14_273
; %bb.268:                              ;   in Loop: Header=BB14_17 Depth=1
	flat_load_ubyte v14, v[14:15]
	s_movk_i32 vcc_lo, 0x7f
	s_mov_b64 s[38:39], 0
                                        ; implicit-def: $sgpr44
	s_waitcnt vmcnt(0) lgkmcnt(0)
	v_cmp_lt_i16_e32 vcc, vcc_lo, v14
	s_and_saveexec_b64 s[40:41], vcc
	s_xor_b64 s[40:41], exec, s[40:41]
	s_cbranch_execnz .LBB14_1207
; %bb.269:                              ;   in Loop: Header=BB14_17 Depth=1
	s_or_saveexec_b64 s[40:41], s[40:41]
	v_mov_b32_e32 v66, s44
	s_xor_b64 exec, exec, s[40:41]
	s_cbranch_execnz .LBB14_1210
.LBB14_270:                             ;   in Loop: Header=BB14_17 Depth=1
	s_or_b64 exec, exec, s[40:41]
	s_and_saveexec_b64 s[40:41], s[38:39]
	s_cbranch_execz .LBB14_272
.LBB14_271:                             ;   in Loop: Header=BB14_17 Depth=1
	v_lshlrev_b32_e32 v15, 24, v14
	v_and_b32_e32 v14, 0xffff, v14
	v_and_b32_e32 v65, 3, v14
	v_ffbh_u32_e32 v67, v65
	v_min_u32_e32 v67, 32, v67
	v_subrev_u32_e32 v68, 29, v67
	v_bfe_u32 v66, v14, 2, 5
	v_lshlrev_b32_e32 v14, v68, v14
	v_sub_u32_e32 v67, 30, v67
	v_and_b32_e32 v14, 3, v14
	v_cmp_eq_u32_e32 vcc, 0, v66
	v_cndmask_b32_e32 v66, v66, v67, vcc
	v_cndmask_b32_e32 v14, v65, v14, vcc
	v_lshlrev_b32_e32 v14, 21, v14
	v_and_b32_e32 v15, 0x80000000, v15
	v_lshl_add_u32 v65, v66, 23, v34
	v_or3_b32 v66, v15, v65, v14
.LBB14_272:                             ;   in Loop: Header=BB14_17 Depth=1
	s_or_b64 exec, exec, s[40:41]
                                        ; implicit-def: $vgpr14_vgpr15
.LBB14_273:                             ;   in Loop: Header=BB14_17 Depth=1
	s_andn2_saveexec_b64 s[36:37], s[36:37]
	s_cbranch_execz .LBB14_275
; %bb.274:                              ;   in Loop: Header=BB14_17 Depth=1
	flat_load_ubyte v14, v[14:15]
	s_mov_b32 vcc_lo, 0x7f800000
	s_waitcnt vmcnt(0) lgkmcnt(0)
	v_lshlrev_b32_e32 v14, 24, v14
	v_and_b32_e32 v15, 0x7f000000, v14
	v_ffbh_u32_e32 v65, v15
	v_min_u32_e32 v65, 32, v65
	v_sub_u32_e64 v65, v65, 4 clamp
	v_lshlrev_b32_e32 v67, v65, v15
	v_lshlrev_b32_e32 v65, 23, v65
	v_lshrrev_b32_e32 v67, 4, v67
	v_add_u32_e32 v66, 0x1000000, v15
	v_sub_u32_e32 v65, v67, v65
	v_ashrrev_i32_e32 v66, 8, v66
	v_add_u32_e32 v65, 0x3c000000, v65
	v_and_or_b32 v65, v66, vcc_lo, v65
	v_cmp_ne_u32_e32 vcc, 0, v15
	v_cndmask_b32_e32 v15, 0, v65, vcc
	s_brev_b32 vcc_lo, 1
	v_and_or_b32 v66, v14, vcc_lo, v15
.LBB14_275:                             ;   in Loop: Header=BB14_17 Depth=1
	s_or_b64 exec, exec, s[36:37]
                                        ; implicit-def: $vgpr14_vgpr15
.LBB14_276:                             ;   in Loop: Header=BB14_17 Depth=1
	s_andn2_saveexec_b64 s[34:35], s[34:35]
	s_cbranch_execz .LBB14_278
; %bb.277:                              ;   in Loop: Header=BB14_17 Depth=1
	flat_load_ubyte v14, v[14:15]
	s_movk_i32 vcc_lo, 0x7f00
	s_waitcnt vmcnt(0) lgkmcnt(0)
	v_lshlrev_b16_e32 v15, 8, v14
	v_lshlrev_b32_e32 v14, 25, v14
	v_lshrrev_b32_e32 v65, 4, v14
	v_and_or_b32 v66, v15, vcc_lo, 0.5
	v_or_b32_e32 v65, 0x70000000, v65
	s_brev_b32 vcc_lo, 16
	v_add_f32_e32 v66, -0.5, v66
	v_mul_f32_e32 v65, 0x7800000, v65
	v_cmp_gt_u32_e32 vcc, vcc_lo, v14
	v_cndmask_b32_e32 v14, v65, v66, vcc
	v_bfe_i32 v15, v15, 0, 16
	s_brev_b32 vcc_lo, 1
	v_and_or_b32 v66, v15, vcc_lo, v14
.LBB14_278:                             ;   in Loop: Header=BB14_17 Depth=1
	s_or_b64 exec, exec, s[34:35]
	s_or_b64 s[34:35], s[26:27], exec
                                        ; implicit-def: $vgpr14_vgpr15
.LBB14_279:                             ;   in Loop: Header=BB14_17 Depth=1
	s_or_saveexec_b64 s[30:31], s[30:31]
                                        ; implicit-def: $vcc
                                        ; implicit-def: $sgpr40_sgpr41
	s_xor_b64 exec, exec, s[30:31]
	s_cbranch_execz .LBB14_289
; %bb.280:                              ;   in Loop: Header=BB14_17 Depth=1
	v_cmp_gt_i16_sdwa vcc, v7, v35 src0_sel:BYTE_0 src1_sel:DWORD
	s_mov_b64 s[38:39], s[34:35]
                                        ; implicit-def: $sgpr40_sgpr41
                                        ; implicit-def: $sgpr36_sgpr37
                                        ; implicit-def: $vgpr66
	s_and_saveexec_b64 s[42:43], vcc
	s_xor_b64 vcc, exec, s[42:43]
	s_cbranch_execz .LBB14_284
; %bb.281:                              ;   in Loop: Header=BB14_17 Depth=1
	v_cmp_eq_u16_sdwa s[40:41], v7, v36 src0_sel:BYTE_0 src1_sel:DWORD
	s_mov_b64 s[38:39], s[34:35]
                                        ; implicit-def: $vgpr66
	s_and_saveexec_b64 s[36:37], s[40:41]
	s_cbranch_execz .LBB14_283
; %bb.282:                              ;   in Loop: Header=BB14_17 Depth=1
	flat_load_ushort v14, v[14:15]
	s_or_b64 s[38:39], s[34:35], exec
	s_waitcnt vmcnt(0) lgkmcnt(0)
	v_lshlrev_b32_e32 v66, 16, v14
.LBB14_283:                             ;   in Loop: Header=BB14_17 Depth=1
	s_or_b64 exec, exec, s[36:37]
	s_andn2_b64 s[42:43], s[34:35], exec
	s_and_b64 s[38:39], s[38:39], exec
	s_mov_b64 s[36:37], -1
	s_mov_b64 s[40:41], 0
	s_or_b64 s[38:39], s[42:43], s[38:39]
                                        ; implicit-def: $vgpr14_vgpr15
.LBB14_284:                             ;   in Loop: Header=BB14_17 Depth=1
	s_andn2_saveexec_b64 s[42:43], vcc
	s_cbranch_execz .LBB14_288
; %bb.285:                              ;   in Loop: Header=BB14_17 Depth=1
	v_cmp_eq_u16_sdwa s[46:47], v7, v37 src0_sel:BYTE_0 src1_sel:DWORD
	s_mov_b64 vcc, s[38:39]
                                        ; implicit-def: $vgpr66
	s_and_saveexec_b64 s[44:45], s[46:47]
	s_cbranch_execz .LBB14_287
; %bb.286:                              ;   in Loop: Header=BB14_17 Depth=1
	flat_load_ubyte v14, v[14:15]
	s_waitcnt vmcnt(0) lgkmcnt(0)
	v_cmp_ne_u16_e32 vcc, 0, v14
	v_cndmask_b32_e64 v66, 0, 1.0, vcc
	s_or_b64 vcc, s[38:39], exec
.LBB14_287:                             ;   in Loop: Header=BB14_17 Depth=1
	s_or_b64 exec, exec, s[44:45]
	s_andn2_b64 s[38:39], s[38:39], exec
	s_and_b64 vcc, vcc, exec
	s_andn2_b64 s[40:41], s[40:41], exec
	s_or_b64 s[36:37], s[36:37], exec
	s_or_b64 s[38:39], s[38:39], vcc
.LBB14_288:                             ;   in Loop: Header=BB14_17 Depth=1
	s_or_b64 exec, exec, s[42:43]
	s_and_b64 vcc, s[36:37], exec
	s_andn2_b64 s[34:35], s[34:35], exec
	s_and_b64 s[36:37], s[38:39], exec
	s_and_b64 s[40:41], s[40:41], exec
	s_or_b64 s[34:35], s[34:35], s[36:37]
.LBB14_289:                             ;   in Loop: Header=BB14_17 Depth=1
	s_or_b64 exec, exec, s[30:31]
	s_andn2_b64 s[28:29], s[28:29], exec
	s_and_b64 vcc, vcc, exec
	s_andn2_b64 s[18:19], s[18:19], exec
	s_and_b64 s[30:31], s[40:41], exec
	s_or_b64 s[28:29], s[28:29], vcc
	s_andn2_b64 s[26:27], s[26:27], exec
	s_and_b64 vcc, s[34:35], exec
	s_or_b64 s[18:19], s[18:19], s[30:31]
	s_or_b64 s[26:27], s[26:27], vcc
.LBB14_290:                             ;   in Loop: Header=BB14_17 Depth=1
	s_or_b64 exec, exec, s[16:17]
	s_and_b64 s[18:19], s[18:19], exec
	s_and_b64 s[16:17], s[28:29], exec
	;; [unrolled: 1-line block ×3, first 2 shown]
                                        ; implicit-def: $vgpr14_vgpr15
	s_andn2_saveexec_b64 s[24:25], s[24:25]
	s_cbranch_execz .LBB14_131
.LBB14_291:                             ;   in Loop: Header=BB14_17 Depth=1
	v_cmp_gt_i16_sdwa s[28:29], v7, v38 src0_sel:BYTE_0 src1_sel:DWORD
                                        ; implicit-def: $vgpr66
	s_and_saveexec_b64 vcc, s[28:29]
	s_xor_b64 s[28:29], exec, vcc
	s_cbranch_execz .LBB14_313
; %bb.292:                              ;   in Loop: Header=BB14_17 Depth=1
	v_cmp_gt_i16_sdwa vcc, v7, v39 src0_sel:BYTE_0 src1_sel:DWORD
                                        ; implicit-def: $vgpr66
	s_and_saveexec_b64 s[30:31], vcc
	s_xor_b64 vcc, exec, s[30:31]
	s_cbranch_execz .LBB14_302
; %bb.293:                              ;   in Loop: Header=BB14_17 Depth=1
	v_cmp_gt_i16_sdwa s[30:31], v7, v48 src0_sel:BYTE_0 src1_sel:DWORD
                                        ; implicit-def: $vgpr66
	s_and_saveexec_b64 s[34:35], s[30:31]
	s_xor_b64 s[30:31], exec, s[34:35]
	s_cbranch_execz .LBB14_299
; %bb.294:                              ;   in Loop: Header=BB14_17 Depth=1
	v_cmp_gt_i16_sdwa s[34:35], v7, v49 src0_sel:BYTE_0 src1_sel:DWORD
                                        ; implicit-def: $vgpr66
	s_and_saveexec_b64 s[36:37], s[34:35]
	s_xor_b64 s[34:35], exec, s[36:37]
	s_cbranch_execz .LBB14_296
; %bb.295:                              ;   in Loop: Header=BB14_17 Depth=1
	flat_load_dwordx2 v[14:15], v[14:15]
	s_waitcnt vmcnt(0) lgkmcnt(0)
	v_cvt_f32_f64_e32 v66, v[14:15]
                                        ; implicit-def: $vgpr14_vgpr15
.LBB14_296:                             ;   in Loop: Header=BB14_17 Depth=1
	s_andn2_saveexec_b64 s[34:35], s[34:35]
	s_cbranch_execz .LBB14_298
; %bb.297:                              ;   in Loop: Header=BB14_17 Depth=1
	flat_load_dword v66, v[14:15]
.LBB14_298:                             ;   in Loop: Header=BB14_17 Depth=1
	s_or_b64 exec, exec, s[34:35]
                                        ; implicit-def: $vgpr14_vgpr15
.LBB14_299:                             ;   in Loop: Header=BB14_17 Depth=1
	s_andn2_saveexec_b64 s[30:31], s[30:31]
	s_cbranch_execz .LBB14_301
; %bb.300:                              ;   in Loop: Header=BB14_17 Depth=1
	flat_load_dword v14, v[14:15]
	s_waitcnt vmcnt(0) lgkmcnt(0)
	v_cvt_f32_f16_e32 v66, v14
.LBB14_301:                             ;   in Loop: Header=BB14_17 Depth=1
	s_or_b64 exec, exec, s[30:31]
                                        ; implicit-def: $vgpr14_vgpr15
.LBB14_302:                             ;   in Loop: Header=BB14_17 Depth=1
	s_andn2_saveexec_b64 vcc, vcc
	s_cbranch_execz .LBB14_312
; %bb.303:                              ;   in Loop: Header=BB14_17 Depth=1
	v_cmp_gt_i16_sdwa s[30:31], v7, v50 src0_sel:BYTE_0 src1_sel:DWORD
                                        ; implicit-def: $vgpr66
	s_and_saveexec_b64 s[34:35], s[30:31]
	s_xor_b64 s[30:31], exec, s[34:35]
	s_cbranch_execz .LBB14_309
; %bb.304:                              ;   in Loop: Header=BB14_17 Depth=1
	v_cmp_gt_i16_sdwa s[34:35], v7, v51 src0_sel:BYTE_0 src1_sel:DWORD
                                        ; implicit-def: $vgpr66
	s_and_saveexec_b64 s[36:37], s[34:35]
	s_xor_b64 s[34:35], exec, s[36:37]
	s_cbranch_execz .LBB14_306
; %bb.305:                              ;   in Loop: Header=BB14_17 Depth=1
	flat_load_dwordx2 v[14:15], v[14:15]
	s_waitcnt vmcnt(0) lgkmcnt(0)
	v_cvt_f32_f64_e32 v66, v[14:15]
                                        ; implicit-def: $vgpr14_vgpr15
.LBB14_306:                             ;   in Loop: Header=BB14_17 Depth=1
	s_andn2_saveexec_b64 s[34:35], s[34:35]
	s_cbranch_execz .LBB14_308
; %bb.307:                              ;   in Loop: Header=BB14_17 Depth=1
	s_waitcnt vmcnt(0) lgkmcnt(0)
	flat_load_dword v66, v[14:15]
.LBB14_308:                             ;   in Loop: Header=BB14_17 Depth=1
	s_or_b64 exec, exec, s[34:35]
                                        ; implicit-def: $vgpr14_vgpr15
.LBB14_309:                             ;   in Loop: Header=BB14_17 Depth=1
	s_andn2_saveexec_b64 s[30:31], s[30:31]
	s_cbranch_execz .LBB14_311
; %bb.310:                              ;   in Loop: Header=BB14_17 Depth=1
	flat_load_ushort v14, v[14:15]
	s_waitcnt vmcnt(0) lgkmcnt(0)
	v_cvt_f32_f16_e32 v66, v14
.LBB14_311:                             ;   in Loop: Header=BB14_17 Depth=1
	s_or_b64 exec, exec, s[30:31]
.LBB14_312:                             ;   in Loop: Header=BB14_17 Depth=1
	s_or_b64 exec, exec, vcc
                                        ; implicit-def: $vgpr14_vgpr15
.LBB14_313:                             ;   in Loop: Header=BB14_17 Depth=1
	s_andn2_saveexec_b64 s[28:29], s[28:29]
	s_cbranch_execz .LBB14_331
; %bb.314:                              ;   in Loop: Header=BB14_17 Depth=1
	v_cmp_gt_i16_sdwa vcc, v7, v52 src0_sel:BYTE_0 src1_sel:DWORD
                                        ; implicit-def: $vgpr66
	s_and_saveexec_b64 s[30:31], vcc
	s_xor_b64 vcc, exec, s[30:31]
	s_cbranch_execz .LBB14_324
; %bb.315:                              ;   in Loop: Header=BB14_17 Depth=1
	v_cmp_gt_i16_sdwa s[30:31], v7, v53 src0_sel:BYTE_0 src1_sel:DWORD
                                        ; implicit-def: $vgpr66
	s_and_saveexec_b64 s[34:35], s[30:31]
	s_xor_b64 s[30:31], exec, s[34:35]
	s_cbranch_execz .LBB14_321
; %bb.316:                              ;   in Loop: Header=BB14_17 Depth=1
	v_cmp_gt_i16_sdwa s[34:35], v7, v54 src0_sel:BYTE_0 src1_sel:DWORD
                                        ; implicit-def: $vgpr66
	s_and_saveexec_b64 s[36:37], s[34:35]
	s_xor_b64 s[34:35], exec, s[36:37]
	s_cbranch_execz .LBB14_318
; %bb.317:                              ;   in Loop: Header=BB14_17 Depth=1
	flat_load_dwordx2 v[14:15], v[14:15]
	s_waitcnt vmcnt(0) lgkmcnt(0)
	v_xor_b32_e32 v66, v14, v15
	v_ffbh_i32_e32 v65, v15
	v_ashrrev_i32_e32 v66, 31, v66
	v_add_u32_e32 v65, -1, v65
	v_add_u32_e32 v66, 32, v66
	v_min_u32_e32 v65, v65, v66
	v_lshlrev_b64 v[14:15], v65, v[14:15]
	v_min_u32_e32 v14, 1, v14
	v_or_b32_e32 v14, v15, v14
	v_cvt_f32_i32_e32 v14, v14
	v_sub_u32_e32 v15, 32, v65
	v_ldexp_f32 v66, v14, v15
                                        ; implicit-def: $vgpr14_vgpr15
.LBB14_318:                             ;   in Loop: Header=BB14_17 Depth=1
	s_andn2_saveexec_b64 s[34:35], s[34:35]
	s_cbranch_execz .LBB14_320
; %bb.319:                              ;   in Loop: Header=BB14_17 Depth=1
	flat_load_dword v14, v[14:15]
	s_waitcnt vmcnt(0) lgkmcnt(0)
	v_cvt_f32_i32_e32 v66, v14
.LBB14_320:                             ;   in Loop: Header=BB14_17 Depth=1
	s_or_b64 exec, exec, s[34:35]
                                        ; implicit-def: $vgpr14_vgpr15
.LBB14_321:                             ;   in Loop: Header=BB14_17 Depth=1
	s_andn2_saveexec_b64 s[30:31], s[30:31]
	s_cbranch_execz .LBB14_323
; %bb.322:                              ;   in Loop: Header=BB14_17 Depth=1
	flat_load_sshort v14, v[14:15]
	s_waitcnt vmcnt(0) lgkmcnt(0)
	v_cvt_f32_i32_e32 v66, v14
.LBB14_323:                             ;   in Loop: Header=BB14_17 Depth=1
	s_or_b64 exec, exec, s[30:31]
                                        ; implicit-def: $vgpr14_vgpr15
.LBB14_324:                             ;   in Loop: Header=BB14_17 Depth=1
	s_andn2_saveexec_b64 vcc, vcc
	s_cbranch_execz .LBB14_330
; %bb.325:                              ;   in Loop: Header=BB14_17 Depth=1
	v_cmp_gt_i16_sdwa s[30:31], v7, v16 src0_sel:BYTE_0 src1_sel:DWORD
                                        ; implicit-def: $vgpr66
	s_and_saveexec_b64 s[34:35], s[30:31]
	s_xor_b64 s[30:31], exec, s[34:35]
	s_cbranch_execz .LBB14_327
; %bb.326:                              ;   in Loop: Header=BB14_17 Depth=1
	flat_load_sbyte v14, v[14:15]
	s_waitcnt vmcnt(0) lgkmcnt(0)
	v_cvt_f32_i32_e32 v66, v14
                                        ; implicit-def: $vgpr14_vgpr15
.LBB14_327:                             ;   in Loop: Header=BB14_17 Depth=1
	s_andn2_saveexec_b64 s[30:31], s[30:31]
	s_cbranch_execz .LBB14_329
; %bb.328:                              ;   in Loop: Header=BB14_17 Depth=1
	flat_load_ubyte v14, v[14:15]
	s_waitcnt vmcnt(0) lgkmcnt(0)
	v_cvt_f32_ubyte0_e32 v66, v14
.LBB14_329:                             ;   in Loop: Header=BB14_17 Depth=1
	s_or_b64 exec, exec, s[30:31]
.LBB14_330:                             ;   in Loop: Header=BB14_17 Depth=1
	s_or_b64 exec, exec, vcc
.LBB14_331:                             ;   in Loop: Header=BB14_17 Depth=1
	s_or_b64 exec, exec, s[28:29]
	s_andn2_b64 s[18:19], s[18:19], exec
	s_andn2_b64 s[16:17], s[16:17], exec
	s_or_b64 s[26:27], s[26:27], exec
	s_or_b64 exec, exec, s[24:25]
	s_mov_b64 s[28:29], 0
	s_and_saveexec_b64 s[24:25], s[26:27]
	s_cbranch_execz .LBB14_337
.LBB14_332:                             ;   in Loop: Header=BB14_17 Depth=1
	v_mul_lo_u32 v14, v64, v10
	v_readlane_b32 s26, v44, 0
	v_add_co_u32_e32 v14, vcc, v4, v14
	v_add_u32_e32 v65, s26, v17
	v_addc_co_u32_e32 v15, vcc, 0, v5, vcc
	v_cmp_gt_i16_sdwa s[26:27], v8, v18 src0_sel:BYTE_0 src1_sel:DWORD
	s_mov_b64 s[30:31], 0
	s_waitcnt vmcnt(0) lgkmcnt(0)
	buffer_store_dword v66, v65, s[0:3], 0 offen offset:12
                                        ; implicit-def: $sgpr28_sgpr29
                                        ; implicit-def: $vcc
                                        ; implicit-def: $vgpr64
	s_and_saveexec_b64 s[34:35], s[26:27]
	s_xor_b64 s[26:27], exec, s[34:35]
	s_cbranch_execnz .LBB14_343
; %bb.333:                              ;   in Loop: Header=BB14_17 Depth=1
	s_andn2_saveexec_b64 s[26:27], s[26:27]
	s_cbranch_execnz .LBB14_402
.LBB14_334:                             ;   in Loop: Header=BB14_17 Depth=1
	s_or_b64 exec, exec, s[26:27]
	s_mov_b64 s[26:27], 0
	s_and_saveexec_b64 s[34:35], s[30:31]
	s_cbranch_execz .LBB14_336
.LBB14_335:                             ;   in Loop: Header=BB14_17 Depth=1
	s_mov_b64 s[26:27], exec
	v_add_u32_e32 v55, 0x200, v55
	s_andn2_b64 vcc, vcc, exec
	s_andn2_b64 s[28:29], s[28:29], exec
	s_waitcnt vmcnt(0) lgkmcnt(0)
	buffer_store_dword v64, v65, s[0:3], 0 offen offset:8
.LBB14_336:                             ;   in Loop: Header=BB14_17 Depth=1
	s_or_b64 exec, exec, s[34:35]
	s_andn2_b64 s[18:19], s[18:19], exec
	s_and_b64 vcc, vcc, exec
	s_andn2_b64 s[16:17], s[16:17], exec
	s_and_b64 s[28:29], s[28:29], exec
	s_or_b64 s[18:19], s[18:19], vcc
	s_or_b64 s[16:17], s[16:17], s[28:29]
	s_and_b64 s[28:29], s[26:27], exec
.LBB14_337:                             ;   in Loop: Header=BB14_17 Depth=1
	s_or_b64 exec, exec, s[24:25]
	s_and_b64 s[18:19], s[18:19], exec
	s_and_b64 s[16:17], s[16:17], exec
	s_orn2_b64 s[24:25], s[28:29], exec
.LBB14_338:                             ;   in Loop: Header=BB14_17 Depth=1
	s_or_b64 exec, exec, s[20:21]
	s_and_saveexec_b64 s[20:21], s[24:25]
	s_cbranch_execz .LBB14_15
; %bb.339:                              ;   in Loop: Header=BB14_17 Depth=1
	v_cmp_lt_i32_e32 vcc, v55, v6
	s_mov_b64 s[28:29], -1
	s_mov_b64 s[30:31], -1
                                        ; implicit-def: $sgpr22_sgpr23
                                        ; implicit-def: $sgpr24_sgpr25
	s_and_saveexec_b64 s[26:27], vcc
	s_cbranch_execz .LBB14_549
; %bb.340:                              ;   in Loop: Header=BB14_17 Depth=1
	v_readlane_b32 s22, v44, 1
	s_waitcnt vmcnt(0) lgkmcnt(0)
	v_add_u32_e32 v64, s22, v55
	v_mul_lo_u32 v14, v64, v9
	v_add_co_u32_e32 v14, vcc, v2, v14
	v_addc_co_u32_e32 v15, vcc, 0, v3, vcc
	v_cmp_gt_i16_sdwa s[30:31], v7, v18 src0_sel:BYTE_0 src1_sel:DWORD
	s_mov_b64 vcc, 0
                                        ; implicit-def: $sgpr22_sgpr23
                                        ; implicit-def: $sgpr24_sgpr25
                                        ; implicit-def: $vgpr66
	s_and_saveexec_b64 s[34:35], s[30:31]
	s_xor_b64 s[30:31], exec, s[34:35]
	s_cbranch_execnz .LBB14_443
; %bb.341:                              ;   in Loop: Header=BB14_17 Depth=1
	s_andn2_saveexec_b64 s[30:31], s[30:31]
	s_cbranch_execnz .LBB14_502
.LBB14_342:                             ;   in Loop: Header=BB14_17 Depth=1
	s_or_b64 exec, exec, s[30:31]
	s_mov_b64 s[34:35], 0
	s_and_saveexec_b64 s[30:31], vcc
	s_cbranch_execnz .LBB14_543
	s_branch .LBB14_548
.LBB14_343:                             ;   in Loop: Header=BB14_17 Depth=1
	v_cmp_gt_i16_sdwa s[28:29], v8, v19 src0_sel:BYTE_0 src1_sel:DWORD
                                        ; implicit-def: $sgpr34_sgpr35
                                        ; implicit-def: $sgpr36_sgpr37
                                        ; implicit-def: $vgpr64
	s_and_saveexec_b64 vcc, s[28:29]
	s_xor_b64 s[28:29], exec, vcc
	s_cbranch_execz .LBB14_375
; %bb.344:                              ;   in Loop: Header=BB14_17 Depth=1
	v_cmp_gt_i16_sdwa vcc, v8, v20 src0_sel:BYTE_0 src1_sel:DWORD
                                        ; implicit-def: $sgpr34_sgpr35
                                        ; implicit-def: $sgpr38_sgpr39
                                        ; implicit-def: $vgpr64
	s_and_saveexec_b64 s[36:37], vcc
	s_xor_b64 s[36:37], exec, s[36:37]
	s_cbranch_execz .LBB14_360
; %bb.345:                              ;   in Loop: Header=BB14_17 Depth=1
	v_cmp_gt_i16_sdwa s[30:31], v8, v21 src0_sel:BYTE_0 src1_sel:DWORD
	s_mov_b64 s[40:41], 0
                                        ; implicit-def: $vcc
                                        ; implicit-def: $sgpr38_sgpr39
                                        ; implicit-def: $vgpr64
	s_and_saveexec_b64 s[34:35], s[30:31]
	s_xor_b64 s[30:31], exec, s[34:35]
	s_cbranch_execz .LBB14_355
; %bb.346:                              ;   in Loop: Header=BB14_17 Depth=1
	v_cmp_gt_i16_sdwa vcc, v8, v22 src0_sel:BYTE_0 src1_sel:DWORD
                                        ; implicit-def: $sgpr38_sgpr39
                                        ; implicit-def: $sgpr34_sgpr35
                                        ; implicit-def: $vgpr64
	s_and_saveexec_b64 s[42:43], vcc
	s_xor_b64 vcc, exec, s[42:43]
	s_cbranch_execz .LBB14_350
; %bb.347:                              ;   in Loop: Header=BB14_17 Depth=1
	v_cmp_eq_u16_sdwa s[42:43], v8, v23 src0_sel:BYTE_0 src1_sel:DWORD
	s_mov_b64 s[34:35], 0
                                        ; implicit-def: $vgpr64
	s_and_saveexec_b64 s[38:39], s[42:43]
	s_cbranch_execz .LBB14_349
; %bb.348:                              ;   in Loop: Header=BB14_17 Depth=1
	flat_load_dword v14, v[14:15]
	s_mov_b64 s[40:41], exec
	s_waitcnt vmcnt(0) lgkmcnt(0)
	v_lshlrev_b32_e32 v64, 16, v14
.LBB14_349:                             ;   in Loop: Header=BB14_17 Depth=1
	s_or_b64 exec, exec, s[38:39]
	s_mov_b64 s[38:39], -1
	s_and_b64 s[40:41], s[40:41], exec
                                        ; implicit-def: $vgpr14_vgpr15
.LBB14_350:                             ;   in Loop: Header=BB14_17 Depth=1
	s_andn2_saveexec_b64 s[42:43], vcc
	s_cbranch_execz .LBB14_354
; %bb.351:                              ;   in Loop: Header=BB14_17 Depth=1
	v_cmp_eq_u16_sdwa s[46:47], v8, v24 src0_sel:BYTE_0 src1_sel:DWORD
	s_mov_b64 vcc, s[40:41]
                                        ; implicit-def: $vgpr64
	s_and_saveexec_b64 s[44:45], s[46:47]
	s_cbranch_execz .LBB14_353
; %bb.352:                              ;   in Loop: Header=BB14_17 Depth=1
	flat_load_ubyte v14, v[14:15]
	s_movk_i32 vcc_lo, 0xff
	s_waitcnt vmcnt(0) lgkmcnt(0)
	v_lshlrev_b32_e32 v15, 23, v14
	v_cmp_ne_u32_e32 vcc, vcc_lo, v14
	v_cndmask_b32_e32 v15, v25, v15, vcc
	v_cmp_ne_u32_e32 vcc, 0, v14
	v_cndmask_b32_e32 v64, v26, v15, vcc
	s_or_b64 vcc, s[40:41], exec
.LBB14_353:                             ;   in Loop: Header=BB14_17 Depth=1
	s_or_b64 exec, exec, s[44:45]
	s_andn2_b64 s[40:41], s[40:41], exec
	s_and_b64 vcc, vcc, exec
	s_or_b64 s[38:39], s[38:39], exec
	s_andn2_b64 s[34:35], s[34:35], exec
	s_or_b64 s[40:41], s[40:41], vcc
.LBB14_354:                             ;   in Loop: Header=BB14_17 Depth=1
	s_or_b64 exec, exec, s[42:43]
	s_and_b64 s[38:39], s[38:39], exec
	s_and_b64 vcc, s[34:35], exec
	s_and_b64 s[40:41], s[40:41], exec
                                        ; implicit-def: $vgpr14_vgpr15
.LBB14_355:                             ;   in Loop: Header=BB14_17 Depth=1
	s_andn2_saveexec_b64 s[30:31], s[30:31]
	s_cbranch_execz .LBB14_359
; %bb.356:                              ;   in Loop: Header=BB14_17 Depth=1
	v_cmp_eq_u16_sdwa s[44:45], v8, v27 src0_sel:BYTE_0 src1_sel:DWORD
	s_mov_b64 s[42:43], s[40:41]
                                        ; implicit-def: $vgpr64
	s_and_saveexec_b64 s[34:35], s[44:45]
	s_cbranch_execz .LBB14_358
; %bb.357:                              ;   in Loop: Header=BB14_17 Depth=1
	flat_load_dwordx2 v[14:15], v[14:15]
	s_or_b64 s[42:43], s[40:41], exec
	s_waitcnt vmcnt(0) lgkmcnt(0)
	v_ffbh_u32_e32 v64, v15
	v_min_u32_e32 v64, 32, v64
	v_lshlrev_b64 v[14:15], v64, v[14:15]
	v_min_u32_e32 v14, 1, v14
	v_or_b32_e32 v14, v15, v14
	v_cvt_f32_u32_e32 v14, v14
	v_sub_u32_e32 v15, 32, v64
	v_ldexp_f32 v64, v14, v15
.LBB14_358:                             ;   in Loop: Header=BB14_17 Depth=1
	s_or_b64 exec, exec, s[34:35]
	s_andn2_b64 s[34:35], s[40:41], exec
	s_and_b64 s[40:41], s[42:43], exec
	s_or_b64 s[38:39], s[38:39], exec
	s_andn2_b64 vcc, vcc, exec
	s_or_b64 s[40:41], s[34:35], s[40:41]
.LBB14_359:                             ;   in Loop: Header=BB14_17 Depth=1
	s_or_b64 exec, exec, s[30:31]
	s_and_b64 s[38:39], s[38:39], exec
	s_and_b64 s[34:35], vcc, exec
	s_and_b64 s[30:31], s[40:41], exec
                                        ; implicit-def: $vgpr14_vgpr15
.LBB14_360:                             ;   in Loop: Header=BB14_17 Depth=1
	s_andn2_saveexec_b64 s[36:37], s[36:37]
	s_cbranch_execz .LBB14_374
; %bb.361:                              ;   in Loop: Header=BB14_17 Depth=1
	v_cmp_gt_i16_sdwa vcc, v8, v28 src0_sel:BYTE_0 src1_sel:DWORD
                                        ; implicit-def: $vgpr64
	s_and_saveexec_b64 s[40:41], vcc
	s_xor_b64 vcc, exec, s[40:41]
	s_cbranch_execz .LBB14_367
; %bb.362:                              ;   in Loop: Header=BB14_17 Depth=1
	v_cmp_gt_i16_sdwa s[40:41], v8, v29 src0_sel:BYTE_0 src1_sel:DWORD
                                        ; implicit-def: $vgpr64
	s_and_saveexec_b64 s[42:43], s[40:41]
	s_xor_b64 s[40:41], exec, s[42:43]
	s_cbranch_execz .LBB14_364
; %bb.363:                              ;   in Loop: Header=BB14_17 Depth=1
	flat_load_dword v14, v[14:15]
	s_waitcnt vmcnt(0) lgkmcnt(0)
	v_cvt_f32_u32_e32 v64, v14
                                        ; implicit-def: $vgpr14_vgpr15
.LBB14_364:                             ;   in Loop: Header=BB14_17 Depth=1
	s_andn2_saveexec_b64 s[40:41], s[40:41]
	s_cbranch_execz .LBB14_366
; %bb.365:                              ;   in Loop: Header=BB14_17 Depth=1
	flat_load_ushort v14, v[14:15]
	s_waitcnt vmcnt(0) lgkmcnt(0)
	v_cvt_f32_u32_e32 v64, v14
.LBB14_366:                             ;   in Loop: Header=BB14_17 Depth=1
	s_or_b64 exec, exec, s[40:41]
                                        ; implicit-def: $vgpr14_vgpr15
.LBB14_367:                             ;   in Loop: Header=BB14_17 Depth=1
	s_andn2_saveexec_b64 s[40:41], vcc
	s_cbranch_execz .LBB14_373
; %bb.368:                              ;   in Loop: Header=BB14_17 Depth=1
	flat_load_ubyte v14, v[14:15]
	s_movk_i32 vcc_lo, 0x7f
	s_mov_b64 s[42:43], 0
                                        ; implicit-def: $sgpr48
	s_waitcnt vmcnt(0) lgkmcnt(0)
	v_cmp_lt_i16_e32 vcc, vcc_lo, v14
	s_and_saveexec_b64 s[44:45], vcc
	s_xor_b64 s[44:45], exec, s[44:45]
	s_cbranch_execnz .LBB14_1211
; %bb.369:                              ;   in Loop: Header=BB14_17 Depth=1
	s_or_saveexec_b64 s[44:45], s[44:45]
	v_mov_b32_e32 v64, s48
	s_xor_b64 exec, exec, s[44:45]
	s_cbranch_execnz .LBB14_1214
.LBB14_370:                             ;   in Loop: Header=BB14_17 Depth=1
	s_or_b64 exec, exec, s[44:45]
	s_and_saveexec_b64 s[44:45], s[42:43]
	s_cbranch_execz .LBB14_372
.LBB14_371:                             ;   in Loop: Header=BB14_17 Depth=1
	v_lshlrev_b32_e32 v15, 24, v14
	v_and_b32_e32 v14, 0xffff, v14
	v_and_b32_e32 v64, 7, v14
	v_ffbh_u32_e32 v67, v64
	v_min_u32_e32 v67, 32, v67
	v_subrev_u32_e32 v68, 28, v67
	v_bfe_u32 v66, v14, 3, 4
	v_lshlrev_b32_e32 v14, v68, v14
	v_sub_u32_e32 v67, 29, v67
	v_and_b32_e32 v14, 7, v14
	v_cmp_eq_u32_e32 vcc, 0, v66
	v_cndmask_b32_e32 v66, v66, v67, vcc
	v_cndmask_b32_e32 v14, v64, v14, vcc
	v_lshlrev_b32_e32 v14, 20, v14
	v_and_b32_e32 v15, 0x80000000, v15
	v_lshl_add_u32 v64, v66, 23, v30
	v_or3_b32 v64, v15, v64, v14
.LBB14_372:                             ;   in Loop: Header=BB14_17 Depth=1
	s_or_b64 exec, exec, s[44:45]
.LBB14_373:                             ;   in Loop: Header=BB14_17 Depth=1
	s_or_b64 exec, exec, s[40:41]
	s_andn2_b64 s[38:39], s[38:39], exec
	s_andn2_b64 s[34:35], s[34:35], exec
	s_or_b64 s[30:31], s[30:31], exec
.LBB14_374:                             ;   in Loop: Header=BB14_17 Depth=1
	s_or_b64 exec, exec, s[36:37]
	s_and_b64 s[36:37], s[38:39], exec
	s_and_b64 s[34:35], s[34:35], exec
	;; [unrolled: 1-line block ×3, first 2 shown]
                                        ; implicit-def: $vgpr14_vgpr15
.LBB14_375:                             ;   in Loop: Header=BB14_17 Depth=1
	s_andn2_saveexec_b64 s[28:29], s[28:29]
	s_cbranch_execz .LBB14_401
; %bb.376:                              ;   in Loop: Header=BB14_17 Depth=1
	v_cmp_gt_i16_sdwa vcc, v8, v31 src0_sel:BYTE_0 src1_sel:DWORD
	s_mov_b64 s[40:41], s[30:31]
                                        ; implicit-def: $vgpr64
	s_and_saveexec_b64 s[38:39], vcc
	s_xor_b64 s[38:39], exec, s[38:39]
	s_cbranch_execz .LBB14_390
; %bb.377:                              ;   in Loop: Header=BB14_17 Depth=1
	v_cmp_gt_i16_sdwa vcc, v8, v32 src0_sel:BYTE_0 src1_sel:DWORD
                                        ; implicit-def: $vgpr64
	s_and_saveexec_b64 s[40:41], vcc
	s_xor_b64 s[40:41], exec, s[40:41]
	s_cbranch_execz .LBB14_387
; %bb.378:                              ;   in Loop: Header=BB14_17 Depth=1
	v_cmp_gt_i16_sdwa vcc, v8, v33 src0_sel:BYTE_0 src1_sel:DWORD
                                        ; implicit-def: $vgpr64
	s_and_saveexec_b64 s[42:43], vcc
	s_xor_b64 s[42:43], exec, s[42:43]
	s_cbranch_execz .LBB14_384
; %bb.379:                              ;   in Loop: Header=BB14_17 Depth=1
	flat_load_ubyte v14, v[14:15]
	s_movk_i32 vcc_lo, 0x7f
	s_mov_b64 s[44:45], 0
                                        ; implicit-def: $sgpr50
	s_waitcnt vmcnt(0) lgkmcnt(0)
	v_cmp_lt_i16_e32 vcc, vcc_lo, v14
	s_and_saveexec_b64 s[46:47], vcc
	s_xor_b64 s[46:47], exec, s[46:47]
	s_cbranch_execnz .LBB14_1430
; %bb.380:                              ;   in Loop: Header=BB14_17 Depth=1
	s_or_saveexec_b64 s[46:47], s[46:47]
	v_mov_b32_e32 v64, s50
	s_xor_b64 exec, exec, s[46:47]
	s_cbranch_execnz .LBB14_1433
.LBB14_381:                             ;   in Loop: Header=BB14_17 Depth=1
	s_or_b64 exec, exec, s[46:47]
	s_and_saveexec_b64 s[46:47], s[44:45]
	s_cbranch_execz .LBB14_383
.LBB14_382:                             ;   in Loop: Header=BB14_17 Depth=1
	v_lshlrev_b32_e32 v15, 24, v14
	v_and_b32_e32 v14, 0xffff, v14
	v_and_b32_e32 v64, 3, v14
	v_ffbh_u32_e32 v67, v64
	v_min_u32_e32 v67, 32, v67
	v_subrev_u32_e32 v68, 29, v67
	v_bfe_u32 v66, v14, 2, 5
	v_lshlrev_b32_e32 v14, v68, v14
	v_sub_u32_e32 v67, 30, v67
	v_and_b32_e32 v14, 3, v14
	v_cmp_eq_u32_e32 vcc, 0, v66
	v_cndmask_b32_e32 v66, v66, v67, vcc
	v_cndmask_b32_e32 v14, v64, v14, vcc
	v_lshlrev_b32_e32 v14, 21, v14
	v_and_b32_e32 v15, 0x80000000, v15
	v_lshl_add_u32 v64, v66, 23, v34
	v_or3_b32 v64, v15, v64, v14
.LBB14_383:                             ;   in Loop: Header=BB14_17 Depth=1
	s_or_b64 exec, exec, s[46:47]
                                        ; implicit-def: $vgpr14_vgpr15
.LBB14_384:                             ;   in Loop: Header=BB14_17 Depth=1
	s_andn2_saveexec_b64 s[42:43], s[42:43]
	s_cbranch_execz .LBB14_386
; %bb.385:                              ;   in Loop: Header=BB14_17 Depth=1
	flat_load_ubyte v14, v[14:15]
	s_mov_b32 vcc_lo, 0x7f800000
	s_waitcnt vmcnt(0) lgkmcnt(0)
	v_lshlrev_b32_e32 v14, 24, v14
	v_and_b32_e32 v15, 0x7f000000, v14
	v_ffbh_u32_e32 v64, v15
	v_min_u32_e32 v64, 32, v64
	v_sub_u32_e64 v64, v64, 4 clamp
	v_lshlrev_b32_e32 v67, v64, v15
	v_lshlrev_b32_e32 v64, 23, v64
	v_lshrrev_b32_e32 v67, 4, v67
	v_add_u32_e32 v66, 0x1000000, v15
	v_sub_u32_e32 v64, v67, v64
	v_ashrrev_i32_e32 v66, 8, v66
	v_add_u32_e32 v64, 0x3c000000, v64
	v_and_or_b32 v64, v66, vcc_lo, v64
	v_cmp_ne_u32_e32 vcc, 0, v15
	v_cndmask_b32_e32 v15, 0, v64, vcc
	s_brev_b32 vcc_lo, 1
	v_and_or_b32 v64, v14, vcc_lo, v15
.LBB14_386:                             ;   in Loop: Header=BB14_17 Depth=1
	s_or_b64 exec, exec, s[42:43]
                                        ; implicit-def: $vgpr14_vgpr15
.LBB14_387:                             ;   in Loop: Header=BB14_17 Depth=1
	s_andn2_saveexec_b64 s[40:41], s[40:41]
	s_cbranch_execz .LBB14_389
; %bb.388:                              ;   in Loop: Header=BB14_17 Depth=1
	flat_load_ubyte v14, v[14:15]
	s_movk_i32 vcc_lo, 0x7f00
	s_waitcnt vmcnt(0) lgkmcnt(0)
	v_lshlrev_b16_e32 v15, 8, v14
	v_lshlrev_b32_e32 v14, 25, v14
	v_lshrrev_b32_e32 v64, 4, v14
	v_and_or_b32 v66, v15, vcc_lo, 0.5
	v_or_b32_e32 v64, 0x70000000, v64
	s_brev_b32 vcc_lo, 16
	v_add_f32_e32 v66, -0.5, v66
	v_mul_f32_e32 v64, 0x7800000, v64
	v_cmp_gt_u32_e32 vcc, vcc_lo, v14
	v_cndmask_b32_e32 v14, v64, v66, vcc
	v_bfe_i32 v15, v15, 0, 16
	s_brev_b32 vcc_lo, 1
	v_and_or_b32 v64, v15, vcc_lo, v14
.LBB14_389:                             ;   in Loop: Header=BB14_17 Depth=1
	s_or_b64 exec, exec, s[40:41]
	s_or_b64 s[40:41], s[30:31], exec
                                        ; implicit-def: $vgpr14_vgpr15
.LBB14_390:                             ;   in Loop: Header=BB14_17 Depth=1
	s_or_saveexec_b64 s[38:39], s[38:39]
                                        ; implicit-def: $vcc
                                        ; implicit-def: $sgpr46_sgpr47
	s_xor_b64 exec, exec, s[38:39]
	s_cbranch_execz .LBB14_400
; %bb.391:                              ;   in Loop: Header=BB14_17 Depth=1
	v_cmp_gt_i16_sdwa vcc, v8, v35 src0_sel:BYTE_0 src1_sel:DWORD
	s_mov_b64 s[44:45], s[40:41]
                                        ; implicit-def: $sgpr46_sgpr47
                                        ; implicit-def: $sgpr42_sgpr43
                                        ; implicit-def: $vgpr64
	s_and_saveexec_b64 s[48:49], vcc
	s_xor_b64 vcc, exec, s[48:49]
	s_cbranch_execz .LBB14_395
; %bb.392:                              ;   in Loop: Header=BB14_17 Depth=1
	v_cmp_eq_u16_sdwa s[46:47], v8, v36 src0_sel:BYTE_0 src1_sel:DWORD
	s_mov_b64 s[44:45], s[40:41]
                                        ; implicit-def: $vgpr64
	s_and_saveexec_b64 s[42:43], s[46:47]
	s_cbranch_execz .LBB14_394
; %bb.393:                              ;   in Loop: Header=BB14_17 Depth=1
	flat_load_ushort v14, v[14:15]
	s_or_b64 s[44:45], s[40:41], exec
	s_waitcnt vmcnt(0) lgkmcnt(0)
	v_lshlrev_b32_e32 v64, 16, v14
.LBB14_394:                             ;   in Loop: Header=BB14_17 Depth=1
	s_or_b64 exec, exec, s[42:43]
	s_andn2_b64 s[48:49], s[40:41], exec
	s_and_b64 s[44:45], s[44:45], exec
	s_mov_b64 s[42:43], 0
	s_mov_b64 s[46:47], -1
	s_or_b64 s[44:45], s[48:49], s[44:45]
                                        ; implicit-def: $vgpr14_vgpr15
.LBB14_395:                             ;   in Loop: Header=BB14_17 Depth=1
	s_andn2_saveexec_b64 s[48:49], vcc
	s_cbranch_execz .LBB14_399
; %bb.396:                              ;   in Loop: Header=BB14_17 Depth=1
	v_cmp_eq_u16_sdwa s[52:53], v8, v37 src0_sel:BYTE_0 src1_sel:DWORD
	s_mov_b64 vcc, s[44:45]
                                        ; implicit-def: $vgpr64
	s_and_saveexec_b64 s[50:51], s[52:53]
	s_cbranch_execz .LBB14_398
; %bb.397:                              ;   in Loop: Header=BB14_17 Depth=1
	flat_load_ubyte v14, v[14:15]
	s_waitcnt vmcnt(0) lgkmcnt(0)
	v_cmp_ne_u16_e32 vcc, 0, v14
	v_cndmask_b32_e64 v64, 0, 1.0, vcc
	s_or_b64 vcc, s[44:45], exec
.LBB14_398:                             ;   in Loop: Header=BB14_17 Depth=1
	s_or_b64 exec, exec, s[50:51]
	s_andn2_b64 s[44:45], s[44:45], exec
	s_and_b64 vcc, vcc, exec
	s_or_b64 s[46:47], s[46:47], exec
	s_andn2_b64 s[42:43], s[42:43], exec
	s_or_b64 s[44:45], s[44:45], vcc
.LBB14_399:                             ;   in Loop: Header=BB14_17 Depth=1
	s_or_b64 exec, exec, s[48:49]
	s_and_b64 vcc, s[42:43], exec
	s_andn2_b64 s[40:41], s[40:41], exec
	s_and_b64 s[42:43], s[44:45], exec
	s_and_b64 s[46:47], s[46:47], exec
	s_or_b64 s[40:41], s[40:41], s[42:43]
.LBB14_400:                             ;   in Loop: Header=BB14_17 Depth=1
	s_or_b64 exec, exec, s[38:39]
	s_andn2_b64 s[34:35], s[34:35], exec
	s_and_b64 vcc, vcc, exec
	s_andn2_b64 s[36:37], s[36:37], exec
	s_and_b64 s[38:39], s[46:47], exec
	s_or_b64 s[34:35], s[34:35], vcc
	s_andn2_b64 vcc, s[30:31], exec
	s_and_b64 s[30:31], s[40:41], exec
	s_or_b64 s[36:37], s[36:37], s[38:39]
	s_or_b64 s[30:31], vcc, s[30:31]
.LBB14_401:                             ;   in Loop: Header=BB14_17 Depth=1
	s_or_b64 exec, exec, s[28:29]
	s_and_b64 vcc, s[36:37], exec
	s_and_b64 s[28:29], s[34:35], exec
	s_and_b64 s[30:31], s[30:31], exec
                                        ; implicit-def: $vgpr14_vgpr15
	s_andn2_saveexec_b64 s[26:27], s[26:27]
	s_cbranch_execz .LBB14_334
.LBB14_402:                             ;   in Loop: Header=BB14_17 Depth=1
	v_cmp_gt_i16_sdwa s[34:35], v8, v38 src0_sel:BYTE_0 src1_sel:DWORD
                                        ; implicit-def: $vgpr64
	s_and_saveexec_b64 s[36:37], s[34:35]
	s_xor_b64 s[34:35], exec, s[36:37]
	s_cbranch_execz .LBB14_424
; %bb.403:                              ;   in Loop: Header=BB14_17 Depth=1
	v_cmp_gt_i16_sdwa s[36:37], v8, v39 src0_sel:BYTE_0 src1_sel:DWORD
                                        ; implicit-def: $vgpr64
	s_and_saveexec_b64 s[38:39], s[36:37]
	s_xor_b64 s[36:37], exec, s[38:39]
	s_cbranch_execz .LBB14_413
; %bb.404:                              ;   in Loop: Header=BB14_17 Depth=1
	;; [unrolled: 6-line block ×4, first 2 shown]
	flat_load_dwordx2 v[14:15], v[14:15]
	s_waitcnt vmcnt(0) lgkmcnt(0)
	v_cvt_f32_f64_e32 v64, v[14:15]
                                        ; implicit-def: $vgpr14_vgpr15
.LBB14_407:                             ;   in Loop: Header=BB14_17 Depth=1
	s_andn2_saveexec_b64 s[40:41], s[40:41]
	s_cbranch_execz .LBB14_409
; %bb.408:                              ;   in Loop: Header=BB14_17 Depth=1
	flat_load_dword v64, v[14:15]
.LBB14_409:                             ;   in Loop: Header=BB14_17 Depth=1
	s_or_b64 exec, exec, s[40:41]
                                        ; implicit-def: $vgpr14_vgpr15
.LBB14_410:                             ;   in Loop: Header=BB14_17 Depth=1
	s_andn2_saveexec_b64 s[38:39], s[38:39]
	s_cbranch_execz .LBB14_412
; %bb.411:                              ;   in Loop: Header=BB14_17 Depth=1
	flat_load_dword v14, v[14:15]
	s_waitcnt vmcnt(0) lgkmcnt(0)
	v_cvt_f32_f16_e32 v64, v14
.LBB14_412:                             ;   in Loop: Header=BB14_17 Depth=1
	s_or_b64 exec, exec, s[38:39]
                                        ; implicit-def: $vgpr14_vgpr15
.LBB14_413:                             ;   in Loop: Header=BB14_17 Depth=1
	s_andn2_saveexec_b64 s[36:37], s[36:37]
	s_cbranch_execz .LBB14_423
; %bb.414:                              ;   in Loop: Header=BB14_17 Depth=1
	v_cmp_gt_i16_sdwa s[38:39], v8, v50 src0_sel:BYTE_0 src1_sel:DWORD
                                        ; implicit-def: $vgpr64
	s_and_saveexec_b64 s[40:41], s[38:39]
	s_xor_b64 s[38:39], exec, s[40:41]
	s_cbranch_execz .LBB14_420
; %bb.415:                              ;   in Loop: Header=BB14_17 Depth=1
	v_cmp_gt_i16_sdwa s[40:41], v8, v51 src0_sel:BYTE_0 src1_sel:DWORD
                                        ; implicit-def: $vgpr64
	s_and_saveexec_b64 s[42:43], s[40:41]
	s_xor_b64 s[40:41], exec, s[42:43]
	s_cbranch_execz .LBB14_417
; %bb.416:                              ;   in Loop: Header=BB14_17 Depth=1
	flat_load_dwordx2 v[14:15], v[14:15]
	s_waitcnt vmcnt(0) lgkmcnt(0)
	v_cvt_f32_f64_e32 v64, v[14:15]
                                        ; implicit-def: $vgpr14_vgpr15
.LBB14_417:                             ;   in Loop: Header=BB14_17 Depth=1
	s_andn2_saveexec_b64 s[40:41], s[40:41]
	s_cbranch_execz .LBB14_419
; %bb.418:                              ;   in Loop: Header=BB14_17 Depth=1
	s_waitcnt vmcnt(0) lgkmcnt(0)
	flat_load_dword v64, v[14:15]
.LBB14_419:                             ;   in Loop: Header=BB14_17 Depth=1
	s_or_b64 exec, exec, s[40:41]
                                        ; implicit-def: $vgpr14_vgpr15
.LBB14_420:                             ;   in Loop: Header=BB14_17 Depth=1
	s_andn2_saveexec_b64 s[38:39], s[38:39]
	s_cbranch_execz .LBB14_422
; %bb.421:                              ;   in Loop: Header=BB14_17 Depth=1
	flat_load_ushort v14, v[14:15]
	s_waitcnt vmcnt(0) lgkmcnt(0)
	v_cvt_f32_f16_e32 v64, v14
.LBB14_422:                             ;   in Loop: Header=BB14_17 Depth=1
	s_or_b64 exec, exec, s[38:39]
.LBB14_423:                             ;   in Loop: Header=BB14_17 Depth=1
	s_or_b64 exec, exec, s[36:37]
                                        ; implicit-def: $vgpr14_vgpr15
.LBB14_424:                             ;   in Loop: Header=BB14_17 Depth=1
	s_andn2_saveexec_b64 s[34:35], s[34:35]
	s_cbranch_execz .LBB14_442
; %bb.425:                              ;   in Loop: Header=BB14_17 Depth=1
	v_cmp_gt_i16_sdwa s[36:37], v8, v52 src0_sel:BYTE_0 src1_sel:DWORD
                                        ; implicit-def: $vgpr64
	s_and_saveexec_b64 s[38:39], s[36:37]
	s_xor_b64 s[36:37], exec, s[38:39]
	s_cbranch_execz .LBB14_435
; %bb.426:                              ;   in Loop: Header=BB14_17 Depth=1
	v_cmp_gt_i16_sdwa s[38:39], v8, v53 src0_sel:BYTE_0 src1_sel:DWORD
                                        ; implicit-def: $vgpr64
	s_and_saveexec_b64 s[40:41], s[38:39]
	s_xor_b64 s[38:39], exec, s[40:41]
	;; [unrolled: 6-line block ×3, first 2 shown]
	s_cbranch_execz .LBB14_429
; %bb.428:                              ;   in Loop: Header=BB14_17 Depth=1
	flat_load_dwordx2 v[14:15], v[14:15]
	s_waitcnt vmcnt(0) lgkmcnt(0)
	v_xor_b32_e32 v66, v14, v15
	v_ffbh_i32_e32 v64, v15
	v_ashrrev_i32_e32 v66, 31, v66
	v_add_u32_e32 v64, -1, v64
	v_add_u32_e32 v66, 32, v66
	v_min_u32_e32 v64, v64, v66
	v_lshlrev_b64 v[14:15], v64, v[14:15]
	v_min_u32_e32 v14, 1, v14
	v_or_b32_e32 v14, v15, v14
	v_cvt_f32_i32_e32 v14, v14
	v_sub_u32_e32 v15, 32, v64
	v_ldexp_f32 v64, v14, v15
                                        ; implicit-def: $vgpr14_vgpr15
.LBB14_429:                             ;   in Loop: Header=BB14_17 Depth=1
	s_andn2_saveexec_b64 s[40:41], s[40:41]
	s_cbranch_execz .LBB14_431
; %bb.430:                              ;   in Loop: Header=BB14_17 Depth=1
	flat_load_dword v14, v[14:15]
	s_waitcnt vmcnt(0) lgkmcnt(0)
	v_cvt_f32_i32_e32 v64, v14
.LBB14_431:                             ;   in Loop: Header=BB14_17 Depth=1
	s_or_b64 exec, exec, s[40:41]
                                        ; implicit-def: $vgpr14_vgpr15
.LBB14_432:                             ;   in Loop: Header=BB14_17 Depth=1
	s_andn2_saveexec_b64 s[38:39], s[38:39]
	s_cbranch_execz .LBB14_434
; %bb.433:                              ;   in Loop: Header=BB14_17 Depth=1
	flat_load_sshort v14, v[14:15]
	s_waitcnt vmcnt(0) lgkmcnt(0)
	v_cvt_f32_i32_e32 v64, v14
.LBB14_434:                             ;   in Loop: Header=BB14_17 Depth=1
	s_or_b64 exec, exec, s[38:39]
                                        ; implicit-def: $vgpr14_vgpr15
.LBB14_435:                             ;   in Loop: Header=BB14_17 Depth=1
	s_andn2_saveexec_b64 s[36:37], s[36:37]
	s_cbranch_execz .LBB14_441
; %bb.436:                              ;   in Loop: Header=BB14_17 Depth=1
	v_cmp_gt_i16_sdwa s[38:39], v8, v16 src0_sel:BYTE_0 src1_sel:DWORD
                                        ; implicit-def: $vgpr64
	s_and_saveexec_b64 s[40:41], s[38:39]
	s_xor_b64 s[38:39], exec, s[40:41]
	s_cbranch_execz .LBB14_438
; %bb.437:                              ;   in Loop: Header=BB14_17 Depth=1
	flat_load_sbyte v14, v[14:15]
	s_waitcnt vmcnt(0) lgkmcnt(0)
	v_cvt_f32_i32_e32 v64, v14
                                        ; implicit-def: $vgpr14_vgpr15
.LBB14_438:                             ;   in Loop: Header=BB14_17 Depth=1
	s_andn2_saveexec_b64 s[38:39], s[38:39]
	s_cbranch_execz .LBB14_440
; %bb.439:                              ;   in Loop: Header=BB14_17 Depth=1
	flat_load_ubyte v14, v[14:15]
	s_waitcnt vmcnt(0) lgkmcnt(0)
	v_cvt_f32_ubyte0_e32 v64, v14
.LBB14_440:                             ;   in Loop: Header=BB14_17 Depth=1
	s_or_b64 exec, exec, s[38:39]
.LBB14_441:                             ;   in Loop: Header=BB14_17 Depth=1
	s_or_b64 exec, exec, s[36:37]
.LBB14_442:                             ;   in Loop: Header=BB14_17 Depth=1
	s_or_b64 exec, exec, s[34:35]
	s_andn2_b64 vcc, vcc, exec
	s_andn2_b64 s[28:29], s[28:29], exec
	s_or_b64 s[30:31], s[30:31], exec
	s_or_b64 exec, exec, s[26:27]
	s_mov_b64 s[26:27], 0
	s_and_saveexec_b64 s[34:35], s[30:31]
	s_cbranch_execnz .LBB14_335
	s_branch .LBB14_336
.LBB14_443:                             ;   in Loop: Header=BB14_17 Depth=1
	v_cmp_gt_i16_sdwa s[22:23], v7, v19 src0_sel:BYTE_0 src1_sel:DWORD
	s_mov_b64 s[34:35], 0
                                        ; implicit-def: $sgpr36_sgpr37
                                        ; implicit-def: $sgpr24_sgpr25
                                        ; implicit-def: $vgpr66
	s_and_saveexec_b64 vcc, s[22:23]
	s_xor_b64 s[22:23], exec, vcc
	s_cbranch_execz .LBB14_475
; %bb.444:                              ;   in Loop: Header=BB14_17 Depth=1
	v_cmp_gt_i16_sdwa s[24:25], v7, v20 src0_sel:BYTE_0 src1_sel:DWORD
                                        ; implicit-def: $sgpr36_sgpr37
                                        ; implicit-def: $sgpr38_sgpr39
                                        ; implicit-def: $vgpr66
	s_and_saveexec_b64 vcc, s[24:25]
	s_xor_b64 s[24:25], exec, vcc
	s_cbranch_execz .LBB14_460
; %bb.445:                              ;   in Loop: Header=BB14_17 Depth=1
	v_cmp_gt_i16_sdwa s[34:35], v7, v21 src0_sel:BYTE_0 src1_sel:DWORD
	s_mov_b64 s[40:41], 0
                                        ; implicit-def: $vcc
                                        ; implicit-def: $sgpr36_sgpr37
                                        ; implicit-def: $vgpr66
	s_and_saveexec_b64 s[38:39], s[34:35]
	s_xor_b64 s[34:35], exec, s[38:39]
	s_cbranch_execz .LBB14_455
; %bb.446:                              ;   in Loop: Header=BB14_17 Depth=1
	v_cmp_gt_i16_sdwa vcc, v7, v22 src0_sel:BYTE_0 src1_sel:DWORD
	s_mov_b64 s[38:39], 0
                                        ; implicit-def: $sgpr36_sgpr37
                                        ; implicit-def: $sgpr40_sgpr41
                                        ; implicit-def: $vgpr66
	s_and_saveexec_b64 s[42:43], vcc
	s_xor_b64 vcc, exec, s[42:43]
	s_cbranch_execz .LBB14_450
; %bb.447:                              ;   in Loop: Header=BB14_17 Depth=1
	v_cmp_eq_u16_sdwa s[42:43], v7, v23 src0_sel:BYTE_0 src1_sel:DWORD
	s_mov_b64 s[36:37], 0
                                        ; implicit-def: $vgpr66
	s_and_saveexec_b64 s[40:41], s[42:43]
	s_cbranch_execz .LBB14_449
; %bb.448:                              ;   in Loop: Header=BB14_17 Depth=1
	flat_load_dword v14, v[14:15]
	s_mov_b64 s[38:39], exec
	s_waitcnt vmcnt(0) lgkmcnt(0)
	v_lshlrev_b32_e32 v66, 16, v14
.LBB14_449:                             ;   in Loop: Header=BB14_17 Depth=1
	s_or_b64 exec, exec, s[40:41]
	s_mov_b64 s[40:41], -1
	s_and_b64 s[38:39], s[38:39], exec
                                        ; implicit-def: $vgpr14_vgpr15
.LBB14_450:                             ;   in Loop: Header=BB14_17 Depth=1
	s_andn2_saveexec_b64 s[42:43], vcc
	s_cbranch_execz .LBB14_454
; %bb.451:                              ;   in Loop: Header=BB14_17 Depth=1
	v_cmp_eq_u16_sdwa s[46:47], v7, v24 src0_sel:BYTE_0 src1_sel:DWORD
	s_mov_b64 vcc, s[38:39]
                                        ; implicit-def: $vgpr66
	s_and_saveexec_b64 s[44:45], s[46:47]
	s_cbranch_execz .LBB14_453
; %bb.452:                              ;   in Loop: Header=BB14_17 Depth=1
	flat_load_ubyte v14, v[14:15]
	s_movk_i32 vcc_lo, 0xff
	s_waitcnt vmcnt(0) lgkmcnt(0)
	v_lshlrev_b32_e32 v15, 23, v14
	v_cmp_ne_u32_e32 vcc, vcc_lo, v14
	v_cndmask_b32_e32 v15, v25, v15, vcc
	v_cmp_ne_u32_e32 vcc, 0, v14
	v_cndmask_b32_e32 v66, v26, v15, vcc
	s_or_b64 vcc, s[38:39], exec
.LBB14_453:                             ;   in Loop: Header=BB14_17 Depth=1
	s_or_b64 exec, exec, s[44:45]
	s_andn2_b64 s[38:39], s[38:39], exec
	s_and_b64 vcc, vcc, exec
	s_andn2_b64 s[36:37], s[36:37], exec
	s_or_b64 s[40:41], s[40:41], exec
	s_or_b64 s[38:39], s[38:39], vcc
.LBB14_454:                             ;   in Loop: Header=BB14_17 Depth=1
	s_or_b64 exec, exec, s[42:43]
	s_and_b64 s[36:37], s[36:37], exec
	s_and_b64 vcc, s[40:41], exec
	s_and_b64 s[40:41], s[38:39], exec
                                        ; implicit-def: $vgpr14_vgpr15
.LBB14_455:                             ;   in Loop: Header=BB14_17 Depth=1
	s_andn2_saveexec_b64 s[34:35], s[34:35]
	s_cbranch_execz .LBB14_459
; %bb.456:                              ;   in Loop: Header=BB14_17 Depth=1
	v_cmp_eq_u16_sdwa s[44:45], v7, v27 src0_sel:BYTE_0 src1_sel:DWORD
	s_mov_b64 s[42:43], s[40:41]
                                        ; implicit-def: $vgpr66
	s_and_saveexec_b64 s[38:39], s[44:45]
	s_cbranch_execz .LBB14_458
; %bb.457:                              ;   in Loop: Header=BB14_17 Depth=1
	flat_load_dwordx2 v[14:15], v[14:15]
	s_or_b64 s[42:43], s[40:41], exec
	s_waitcnt vmcnt(0) lgkmcnt(0)
	v_ffbh_u32_e32 v65, v15
	v_min_u32_e32 v65, 32, v65
	v_lshlrev_b64 v[14:15], v65, v[14:15]
	v_min_u32_e32 v14, 1, v14
	v_or_b32_e32 v14, v15, v14
	v_cvt_f32_u32_e32 v14, v14
	v_sub_u32_e32 v15, 32, v65
	v_ldexp_f32 v66, v14, v15
.LBB14_458:                             ;   in Loop: Header=BB14_17 Depth=1
	s_or_b64 exec, exec, s[38:39]
	s_andn2_b64 s[38:39], s[40:41], exec
	s_and_b64 s[40:41], s[42:43], exec
	s_andn2_b64 s[36:37], s[36:37], exec
	s_or_b64 vcc, vcc, exec
	s_or_b64 s[40:41], s[38:39], s[40:41]
.LBB14_459:                             ;   in Loop: Header=BB14_17 Depth=1
	s_or_b64 exec, exec, s[34:35]
	s_and_b64 s[38:39], s[36:37], exec
	s_and_b64 s[36:37], vcc, exec
	s_and_b64 s[34:35], s[40:41], exec
                                        ; implicit-def: $vgpr14_vgpr15
.LBB14_460:                             ;   in Loop: Header=BB14_17 Depth=1
	s_andn2_saveexec_b64 s[24:25], s[24:25]
	s_cbranch_execz .LBB14_474
; %bb.461:                              ;   in Loop: Header=BB14_17 Depth=1
	v_cmp_gt_i16_sdwa vcc, v7, v28 src0_sel:BYTE_0 src1_sel:DWORD
                                        ; implicit-def: $vgpr66
	s_and_saveexec_b64 s[40:41], vcc
	s_xor_b64 vcc, exec, s[40:41]
	s_cbranch_execz .LBB14_467
; %bb.462:                              ;   in Loop: Header=BB14_17 Depth=1
	v_cmp_gt_i16_sdwa s[40:41], v7, v29 src0_sel:BYTE_0 src1_sel:DWORD
                                        ; implicit-def: $vgpr66
	s_and_saveexec_b64 s[42:43], s[40:41]
	s_xor_b64 s[40:41], exec, s[42:43]
	s_cbranch_execz .LBB14_464
; %bb.463:                              ;   in Loop: Header=BB14_17 Depth=1
	flat_load_dword v14, v[14:15]
	s_waitcnt vmcnt(0) lgkmcnt(0)
	v_cvt_f32_u32_e32 v66, v14
                                        ; implicit-def: $vgpr14_vgpr15
.LBB14_464:                             ;   in Loop: Header=BB14_17 Depth=1
	s_andn2_saveexec_b64 s[40:41], s[40:41]
	s_cbranch_execz .LBB14_466
; %bb.465:                              ;   in Loop: Header=BB14_17 Depth=1
	flat_load_ushort v14, v[14:15]
	s_waitcnt vmcnt(0) lgkmcnt(0)
	v_cvt_f32_u32_e32 v66, v14
.LBB14_466:                             ;   in Loop: Header=BB14_17 Depth=1
	s_or_b64 exec, exec, s[40:41]
                                        ; implicit-def: $vgpr14_vgpr15
.LBB14_467:                             ;   in Loop: Header=BB14_17 Depth=1
	s_andn2_saveexec_b64 s[40:41], vcc
	s_cbranch_execz .LBB14_473
; %bb.468:                              ;   in Loop: Header=BB14_17 Depth=1
	flat_load_ubyte v14, v[14:15]
	s_movk_i32 vcc_lo, 0x7f
	s_mov_b64 s[42:43], 0
                                        ; implicit-def: $sgpr48
	s_waitcnt vmcnt(0) lgkmcnt(0)
	v_cmp_lt_i16_e32 vcc, vcc_lo, v14
	s_and_saveexec_b64 s[44:45], vcc
	s_xor_b64 s[44:45], exec, s[44:45]
	s_cbranch_execnz .LBB14_1215
; %bb.469:                              ;   in Loop: Header=BB14_17 Depth=1
	s_or_saveexec_b64 s[44:45], s[44:45]
	v_mov_b32_e32 v66, s48
	s_xor_b64 exec, exec, s[44:45]
	s_cbranch_execnz .LBB14_1218
.LBB14_470:                             ;   in Loop: Header=BB14_17 Depth=1
	s_or_b64 exec, exec, s[44:45]
	s_and_saveexec_b64 s[44:45], s[42:43]
	s_cbranch_execz .LBB14_472
.LBB14_471:                             ;   in Loop: Header=BB14_17 Depth=1
	v_lshlrev_b32_e32 v15, 24, v14
	v_and_b32_e32 v14, 0xffff, v14
	v_and_b32_e32 v65, 7, v14
	v_ffbh_u32_e32 v67, v65
	v_min_u32_e32 v67, 32, v67
	v_subrev_u32_e32 v68, 28, v67
	v_bfe_u32 v66, v14, 3, 4
	v_lshlrev_b32_e32 v14, v68, v14
	v_sub_u32_e32 v67, 29, v67
	v_and_b32_e32 v14, 7, v14
	v_cmp_eq_u32_e32 vcc, 0, v66
	v_cndmask_b32_e32 v66, v66, v67, vcc
	v_cndmask_b32_e32 v14, v65, v14, vcc
	v_lshlrev_b32_e32 v14, 20, v14
	v_and_b32_e32 v15, 0x80000000, v15
	v_lshl_add_u32 v65, v66, 23, v30
	v_or3_b32 v66, v15, v65, v14
.LBB14_472:                             ;   in Loop: Header=BB14_17 Depth=1
	s_or_b64 exec, exec, s[44:45]
.LBB14_473:                             ;   in Loop: Header=BB14_17 Depth=1
	s_or_b64 exec, exec, s[40:41]
	s_andn2_b64 s[38:39], s[38:39], exec
	s_andn2_b64 s[36:37], s[36:37], exec
	s_or_b64 s[34:35], s[34:35], exec
.LBB14_474:                             ;   in Loop: Header=BB14_17 Depth=1
	s_or_b64 exec, exec, s[24:25]
	s_and_b64 s[24:25], s[38:39], exec
	s_and_b64 s[36:37], s[36:37], exec
	;; [unrolled: 1-line block ×3, first 2 shown]
                                        ; implicit-def: $vgpr14_vgpr15
.LBB14_475:                             ;   in Loop: Header=BB14_17 Depth=1
	s_andn2_saveexec_b64 s[22:23], s[22:23]
	s_cbranch_execz .LBB14_501
; %bb.476:                              ;   in Loop: Header=BB14_17 Depth=1
	v_cmp_gt_i16_sdwa vcc, v7, v31 src0_sel:BYTE_0 src1_sel:DWORD
	s_mov_b64 s[40:41], s[34:35]
                                        ; implicit-def: $vgpr66
	s_and_saveexec_b64 s[38:39], vcc
	s_xor_b64 s[38:39], exec, s[38:39]
	s_cbranch_execz .LBB14_490
; %bb.477:                              ;   in Loop: Header=BB14_17 Depth=1
	v_cmp_gt_i16_sdwa vcc, v7, v32 src0_sel:BYTE_0 src1_sel:DWORD
                                        ; implicit-def: $vgpr66
	s_and_saveexec_b64 s[40:41], vcc
	s_xor_b64 s[40:41], exec, s[40:41]
	s_cbranch_execz .LBB14_487
; %bb.478:                              ;   in Loop: Header=BB14_17 Depth=1
	v_cmp_gt_i16_sdwa vcc, v7, v33 src0_sel:BYTE_0 src1_sel:DWORD
                                        ; implicit-def: $vgpr66
	s_and_saveexec_b64 s[42:43], vcc
	s_xor_b64 s[42:43], exec, s[42:43]
	s_cbranch_execz .LBB14_484
; %bb.479:                              ;   in Loop: Header=BB14_17 Depth=1
	flat_load_ubyte v14, v[14:15]
	s_movk_i32 vcc_lo, 0x7f
	s_mov_b64 s[44:45], 0
                                        ; implicit-def: $sgpr50
	s_waitcnt vmcnt(0) lgkmcnt(0)
	v_cmp_lt_i16_e32 vcc, vcc_lo, v14
	s_and_saveexec_b64 s[46:47], vcc
	s_xor_b64 s[46:47], exec, s[46:47]
	s_cbranch_execnz .LBB14_1434
; %bb.480:                              ;   in Loop: Header=BB14_17 Depth=1
	s_or_saveexec_b64 s[46:47], s[46:47]
	v_mov_b32_e32 v66, s50
	s_xor_b64 exec, exec, s[46:47]
	s_cbranch_execnz .LBB14_1437
.LBB14_481:                             ;   in Loop: Header=BB14_17 Depth=1
	s_or_b64 exec, exec, s[46:47]
	s_and_saveexec_b64 s[46:47], s[44:45]
	s_cbranch_execz .LBB14_483
.LBB14_482:                             ;   in Loop: Header=BB14_17 Depth=1
	v_lshlrev_b32_e32 v15, 24, v14
	v_and_b32_e32 v14, 0xffff, v14
	v_and_b32_e32 v65, 3, v14
	v_ffbh_u32_e32 v67, v65
	v_min_u32_e32 v67, 32, v67
	v_subrev_u32_e32 v68, 29, v67
	v_bfe_u32 v66, v14, 2, 5
	v_lshlrev_b32_e32 v14, v68, v14
	v_sub_u32_e32 v67, 30, v67
	v_and_b32_e32 v14, 3, v14
	v_cmp_eq_u32_e32 vcc, 0, v66
	v_cndmask_b32_e32 v66, v66, v67, vcc
	v_cndmask_b32_e32 v14, v65, v14, vcc
	v_lshlrev_b32_e32 v14, 21, v14
	v_and_b32_e32 v15, 0x80000000, v15
	v_lshl_add_u32 v65, v66, 23, v34
	v_or3_b32 v66, v15, v65, v14
.LBB14_483:                             ;   in Loop: Header=BB14_17 Depth=1
	s_or_b64 exec, exec, s[46:47]
                                        ; implicit-def: $vgpr14_vgpr15
.LBB14_484:                             ;   in Loop: Header=BB14_17 Depth=1
	s_andn2_saveexec_b64 s[42:43], s[42:43]
	s_cbranch_execz .LBB14_486
; %bb.485:                              ;   in Loop: Header=BB14_17 Depth=1
	flat_load_ubyte v14, v[14:15]
	s_mov_b32 vcc_lo, 0x7f800000
	s_waitcnt vmcnt(0) lgkmcnt(0)
	v_lshlrev_b32_e32 v14, 24, v14
	v_and_b32_e32 v15, 0x7f000000, v14
	v_ffbh_u32_e32 v65, v15
	v_min_u32_e32 v65, 32, v65
	v_sub_u32_e64 v65, v65, 4 clamp
	v_lshlrev_b32_e32 v67, v65, v15
	v_lshlrev_b32_e32 v65, 23, v65
	v_lshrrev_b32_e32 v67, 4, v67
	v_add_u32_e32 v66, 0x1000000, v15
	v_sub_u32_e32 v65, v67, v65
	v_ashrrev_i32_e32 v66, 8, v66
	v_add_u32_e32 v65, 0x3c000000, v65
	v_and_or_b32 v65, v66, vcc_lo, v65
	v_cmp_ne_u32_e32 vcc, 0, v15
	v_cndmask_b32_e32 v15, 0, v65, vcc
	s_brev_b32 vcc_lo, 1
	v_and_or_b32 v66, v14, vcc_lo, v15
.LBB14_486:                             ;   in Loop: Header=BB14_17 Depth=1
	s_or_b64 exec, exec, s[42:43]
                                        ; implicit-def: $vgpr14_vgpr15
.LBB14_487:                             ;   in Loop: Header=BB14_17 Depth=1
	s_andn2_saveexec_b64 s[40:41], s[40:41]
	s_cbranch_execz .LBB14_489
; %bb.488:                              ;   in Loop: Header=BB14_17 Depth=1
	flat_load_ubyte v14, v[14:15]
	s_movk_i32 vcc_lo, 0x7f00
	s_waitcnt vmcnt(0) lgkmcnt(0)
	v_lshlrev_b16_e32 v15, 8, v14
	v_lshlrev_b32_e32 v14, 25, v14
	v_lshrrev_b32_e32 v65, 4, v14
	v_and_or_b32 v66, v15, vcc_lo, 0.5
	v_or_b32_e32 v65, 0x70000000, v65
	s_brev_b32 vcc_lo, 16
	v_add_f32_e32 v66, -0.5, v66
	v_mul_f32_e32 v65, 0x7800000, v65
	v_cmp_gt_u32_e32 vcc, vcc_lo, v14
	v_cndmask_b32_e32 v14, v65, v66, vcc
	v_bfe_i32 v15, v15, 0, 16
	s_brev_b32 vcc_lo, 1
	v_and_or_b32 v66, v15, vcc_lo, v14
.LBB14_489:                             ;   in Loop: Header=BB14_17 Depth=1
	s_or_b64 exec, exec, s[40:41]
	s_or_b64 s[40:41], s[34:35], exec
                                        ; implicit-def: $vgpr14_vgpr15
.LBB14_490:                             ;   in Loop: Header=BB14_17 Depth=1
	s_or_saveexec_b64 s[38:39], s[38:39]
                                        ; implicit-def: $vcc
                                        ; implicit-def: $sgpr46_sgpr47
	s_xor_b64 exec, exec, s[38:39]
	s_cbranch_execz .LBB14_500
; %bb.491:                              ;   in Loop: Header=BB14_17 Depth=1
	v_cmp_gt_i16_sdwa vcc, v7, v35 src0_sel:BYTE_0 src1_sel:DWORD
	s_mov_b64 s[44:45], s[40:41]
                                        ; implicit-def: $sgpr46_sgpr47
                                        ; implicit-def: $sgpr42_sgpr43
                                        ; implicit-def: $vgpr66
	s_and_saveexec_b64 s[48:49], vcc
	s_xor_b64 vcc, exec, s[48:49]
	s_cbranch_execz .LBB14_495
; %bb.492:                              ;   in Loop: Header=BB14_17 Depth=1
	v_cmp_eq_u16_sdwa s[46:47], v7, v36 src0_sel:BYTE_0 src1_sel:DWORD
	s_mov_b64 s[44:45], s[40:41]
                                        ; implicit-def: $vgpr66
	s_and_saveexec_b64 s[42:43], s[46:47]
	s_cbranch_execz .LBB14_494
; %bb.493:                              ;   in Loop: Header=BB14_17 Depth=1
	flat_load_ushort v14, v[14:15]
	s_or_b64 s[44:45], s[40:41], exec
	s_waitcnt vmcnt(0) lgkmcnt(0)
	v_lshlrev_b32_e32 v66, 16, v14
.LBB14_494:                             ;   in Loop: Header=BB14_17 Depth=1
	s_or_b64 exec, exec, s[42:43]
	s_andn2_b64 s[48:49], s[40:41], exec
	s_and_b64 s[44:45], s[44:45], exec
	s_mov_b64 s[42:43], -1
	s_mov_b64 s[46:47], 0
	s_or_b64 s[44:45], s[48:49], s[44:45]
                                        ; implicit-def: $vgpr14_vgpr15
.LBB14_495:                             ;   in Loop: Header=BB14_17 Depth=1
	s_andn2_saveexec_b64 s[48:49], vcc
	s_cbranch_execz .LBB14_499
; %bb.496:                              ;   in Loop: Header=BB14_17 Depth=1
	v_cmp_eq_u16_sdwa s[52:53], v7, v37 src0_sel:BYTE_0 src1_sel:DWORD
	s_mov_b64 vcc, s[44:45]
                                        ; implicit-def: $vgpr66
	s_and_saveexec_b64 s[50:51], s[52:53]
	s_cbranch_execz .LBB14_498
; %bb.497:                              ;   in Loop: Header=BB14_17 Depth=1
	flat_load_ubyte v14, v[14:15]
	s_waitcnt vmcnt(0) lgkmcnt(0)
	v_cmp_ne_u16_e32 vcc, 0, v14
	v_cndmask_b32_e64 v66, 0, 1.0, vcc
	s_or_b64 vcc, s[44:45], exec
.LBB14_498:                             ;   in Loop: Header=BB14_17 Depth=1
	s_or_b64 exec, exec, s[50:51]
	s_andn2_b64 s[44:45], s[44:45], exec
	s_and_b64 vcc, vcc, exec
	s_andn2_b64 s[46:47], s[46:47], exec
	s_or_b64 s[42:43], s[42:43], exec
	s_or_b64 s[44:45], s[44:45], vcc
.LBB14_499:                             ;   in Loop: Header=BB14_17 Depth=1
	s_or_b64 exec, exec, s[48:49]
	s_and_b64 vcc, s[42:43], exec
	s_andn2_b64 s[40:41], s[40:41], exec
	s_and_b64 s[42:43], s[44:45], exec
	s_and_b64 s[46:47], s[46:47], exec
	s_or_b64 s[40:41], s[40:41], s[42:43]
.LBB14_500:                             ;   in Loop: Header=BB14_17 Depth=1
	s_or_b64 exec, exec, s[38:39]
	s_andn2_b64 s[36:37], s[36:37], exec
	s_and_b64 vcc, vcc, exec
	s_andn2_b64 s[24:25], s[24:25], exec
	s_and_b64 s[38:39], s[46:47], exec
	s_or_b64 s[36:37], s[36:37], vcc
	s_andn2_b64 vcc, s[34:35], exec
	s_and_b64 s[34:35], s[40:41], exec
	s_or_b64 s[24:25], s[24:25], s[38:39]
	s_or_b64 s[34:35], vcc, s[34:35]
.LBB14_501:                             ;   in Loop: Header=BB14_17 Depth=1
	s_or_b64 exec, exec, s[22:23]
	s_and_b64 s[24:25], s[24:25], exec
	s_and_b64 s[22:23], s[36:37], exec
	s_and_b64 vcc, s[34:35], exec
                                        ; implicit-def: $vgpr14_vgpr15
	s_andn2_saveexec_b64 s[30:31], s[30:31]
	s_cbranch_execz .LBB14_342
.LBB14_502:                             ;   in Loop: Header=BB14_17 Depth=1
	v_cmp_gt_i16_sdwa s[34:35], v7, v38 src0_sel:BYTE_0 src1_sel:DWORD
                                        ; implicit-def: $vgpr66
	s_and_saveexec_b64 s[36:37], s[34:35]
	s_xor_b64 s[34:35], exec, s[36:37]
	s_cbranch_execz .LBB14_524
; %bb.503:                              ;   in Loop: Header=BB14_17 Depth=1
	v_cmp_gt_i16_sdwa s[36:37], v7, v39 src0_sel:BYTE_0 src1_sel:DWORD
                                        ; implicit-def: $vgpr66
	s_and_saveexec_b64 s[38:39], s[36:37]
	s_xor_b64 s[36:37], exec, s[38:39]
	s_cbranch_execz .LBB14_513
; %bb.504:                              ;   in Loop: Header=BB14_17 Depth=1
	v_cmp_gt_i16_sdwa s[38:39], v7, v48 src0_sel:BYTE_0 src1_sel:DWORD
                                        ; implicit-def: $vgpr66
	s_and_saveexec_b64 s[40:41], s[38:39]
	s_xor_b64 s[38:39], exec, s[40:41]
	s_cbranch_execz .LBB14_510
; %bb.505:                              ;   in Loop: Header=BB14_17 Depth=1
	v_cmp_gt_i16_sdwa s[40:41], v7, v49 src0_sel:BYTE_0 src1_sel:DWORD
                                        ; implicit-def: $vgpr66
	s_and_saveexec_b64 s[42:43], s[40:41]
	s_xor_b64 s[40:41], exec, s[42:43]
	s_cbranch_execz .LBB14_507
; %bb.506:                              ;   in Loop: Header=BB14_17 Depth=1
	flat_load_dwordx2 v[14:15], v[14:15]
	s_waitcnt vmcnt(0) lgkmcnt(0)
	v_cvt_f32_f64_e32 v66, v[14:15]
                                        ; implicit-def: $vgpr14_vgpr15
.LBB14_507:                             ;   in Loop: Header=BB14_17 Depth=1
	s_andn2_saveexec_b64 s[40:41], s[40:41]
	s_cbranch_execz .LBB14_509
; %bb.508:                              ;   in Loop: Header=BB14_17 Depth=1
	flat_load_dword v66, v[14:15]
.LBB14_509:                             ;   in Loop: Header=BB14_17 Depth=1
	s_or_b64 exec, exec, s[40:41]
                                        ; implicit-def: $vgpr14_vgpr15
.LBB14_510:                             ;   in Loop: Header=BB14_17 Depth=1
	s_andn2_saveexec_b64 s[38:39], s[38:39]
	s_cbranch_execz .LBB14_512
; %bb.511:                              ;   in Loop: Header=BB14_17 Depth=1
	flat_load_dword v14, v[14:15]
	s_waitcnt vmcnt(0) lgkmcnt(0)
	v_cvt_f32_f16_e32 v66, v14
.LBB14_512:                             ;   in Loop: Header=BB14_17 Depth=1
	s_or_b64 exec, exec, s[38:39]
                                        ; implicit-def: $vgpr14_vgpr15
.LBB14_513:                             ;   in Loop: Header=BB14_17 Depth=1
	s_andn2_saveexec_b64 s[36:37], s[36:37]
	s_cbranch_execz .LBB14_523
; %bb.514:                              ;   in Loop: Header=BB14_17 Depth=1
	v_cmp_gt_i16_sdwa s[38:39], v7, v50 src0_sel:BYTE_0 src1_sel:DWORD
                                        ; implicit-def: $vgpr66
	s_and_saveexec_b64 s[40:41], s[38:39]
	s_xor_b64 s[38:39], exec, s[40:41]
	s_cbranch_execz .LBB14_520
; %bb.515:                              ;   in Loop: Header=BB14_17 Depth=1
	v_cmp_gt_i16_sdwa s[40:41], v7, v51 src0_sel:BYTE_0 src1_sel:DWORD
                                        ; implicit-def: $vgpr66
	s_and_saveexec_b64 s[42:43], s[40:41]
	s_xor_b64 s[40:41], exec, s[42:43]
	s_cbranch_execz .LBB14_517
; %bb.516:                              ;   in Loop: Header=BB14_17 Depth=1
	flat_load_dwordx2 v[14:15], v[14:15]
	s_waitcnt vmcnt(0) lgkmcnt(0)
	v_cvt_f32_f64_e32 v66, v[14:15]
                                        ; implicit-def: $vgpr14_vgpr15
.LBB14_517:                             ;   in Loop: Header=BB14_17 Depth=1
	s_andn2_saveexec_b64 s[40:41], s[40:41]
	s_cbranch_execz .LBB14_519
; %bb.518:                              ;   in Loop: Header=BB14_17 Depth=1
	s_waitcnt vmcnt(0) lgkmcnt(0)
	flat_load_dword v66, v[14:15]
.LBB14_519:                             ;   in Loop: Header=BB14_17 Depth=1
	s_or_b64 exec, exec, s[40:41]
                                        ; implicit-def: $vgpr14_vgpr15
.LBB14_520:                             ;   in Loop: Header=BB14_17 Depth=1
	s_andn2_saveexec_b64 s[38:39], s[38:39]
	s_cbranch_execz .LBB14_522
; %bb.521:                              ;   in Loop: Header=BB14_17 Depth=1
	flat_load_ushort v14, v[14:15]
	s_waitcnt vmcnt(0) lgkmcnt(0)
	v_cvt_f32_f16_e32 v66, v14
.LBB14_522:                             ;   in Loop: Header=BB14_17 Depth=1
	s_or_b64 exec, exec, s[38:39]
.LBB14_523:                             ;   in Loop: Header=BB14_17 Depth=1
	s_or_b64 exec, exec, s[36:37]
                                        ; implicit-def: $vgpr14_vgpr15
.LBB14_524:                             ;   in Loop: Header=BB14_17 Depth=1
	s_andn2_saveexec_b64 s[34:35], s[34:35]
	s_cbranch_execz .LBB14_542
; %bb.525:                              ;   in Loop: Header=BB14_17 Depth=1
	v_cmp_gt_i16_sdwa s[36:37], v7, v52 src0_sel:BYTE_0 src1_sel:DWORD
                                        ; implicit-def: $vgpr66
	s_and_saveexec_b64 s[38:39], s[36:37]
	s_xor_b64 s[36:37], exec, s[38:39]
	s_cbranch_execz .LBB14_535
; %bb.526:                              ;   in Loop: Header=BB14_17 Depth=1
	v_cmp_gt_i16_sdwa s[38:39], v7, v53 src0_sel:BYTE_0 src1_sel:DWORD
                                        ; implicit-def: $vgpr66
	s_and_saveexec_b64 s[40:41], s[38:39]
	s_xor_b64 s[38:39], exec, s[40:41]
	;; [unrolled: 6-line block ×3, first 2 shown]
	s_cbranch_execz .LBB14_529
; %bb.528:                              ;   in Loop: Header=BB14_17 Depth=1
	flat_load_dwordx2 v[14:15], v[14:15]
	s_waitcnt vmcnt(0) lgkmcnt(0)
	v_xor_b32_e32 v66, v14, v15
	v_ffbh_i32_e32 v65, v15
	v_ashrrev_i32_e32 v66, 31, v66
	v_add_u32_e32 v65, -1, v65
	v_add_u32_e32 v66, 32, v66
	v_min_u32_e32 v65, v65, v66
	v_lshlrev_b64 v[14:15], v65, v[14:15]
	v_min_u32_e32 v14, 1, v14
	v_or_b32_e32 v14, v15, v14
	v_cvt_f32_i32_e32 v14, v14
	v_sub_u32_e32 v15, 32, v65
	v_ldexp_f32 v66, v14, v15
                                        ; implicit-def: $vgpr14_vgpr15
.LBB14_529:                             ;   in Loop: Header=BB14_17 Depth=1
	s_andn2_saveexec_b64 s[40:41], s[40:41]
	s_cbranch_execz .LBB14_531
; %bb.530:                              ;   in Loop: Header=BB14_17 Depth=1
	flat_load_dword v14, v[14:15]
	s_waitcnt vmcnt(0) lgkmcnt(0)
	v_cvt_f32_i32_e32 v66, v14
.LBB14_531:                             ;   in Loop: Header=BB14_17 Depth=1
	s_or_b64 exec, exec, s[40:41]
                                        ; implicit-def: $vgpr14_vgpr15
.LBB14_532:                             ;   in Loop: Header=BB14_17 Depth=1
	s_andn2_saveexec_b64 s[38:39], s[38:39]
	s_cbranch_execz .LBB14_534
; %bb.533:                              ;   in Loop: Header=BB14_17 Depth=1
	flat_load_sshort v14, v[14:15]
	s_waitcnt vmcnt(0) lgkmcnt(0)
	v_cvt_f32_i32_e32 v66, v14
.LBB14_534:                             ;   in Loop: Header=BB14_17 Depth=1
	s_or_b64 exec, exec, s[38:39]
                                        ; implicit-def: $vgpr14_vgpr15
.LBB14_535:                             ;   in Loop: Header=BB14_17 Depth=1
	s_andn2_saveexec_b64 s[36:37], s[36:37]
	s_cbranch_execz .LBB14_541
; %bb.536:                              ;   in Loop: Header=BB14_17 Depth=1
	v_cmp_gt_i16_sdwa s[38:39], v7, v16 src0_sel:BYTE_0 src1_sel:DWORD
                                        ; implicit-def: $vgpr66
	s_and_saveexec_b64 s[40:41], s[38:39]
	s_xor_b64 s[38:39], exec, s[40:41]
	s_cbranch_execz .LBB14_538
; %bb.537:                              ;   in Loop: Header=BB14_17 Depth=1
	flat_load_sbyte v14, v[14:15]
	s_waitcnt vmcnt(0) lgkmcnt(0)
	v_cvt_f32_i32_e32 v66, v14
                                        ; implicit-def: $vgpr14_vgpr15
.LBB14_538:                             ;   in Loop: Header=BB14_17 Depth=1
	s_andn2_saveexec_b64 s[38:39], s[38:39]
	s_cbranch_execz .LBB14_540
; %bb.539:                              ;   in Loop: Header=BB14_17 Depth=1
	flat_load_ubyte v14, v[14:15]
	s_waitcnt vmcnt(0) lgkmcnt(0)
	v_cvt_f32_ubyte0_e32 v66, v14
.LBB14_540:                             ;   in Loop: Header=BB14_17 Depth=1
	s_or_b64 exec, exec, s[38:39]
.LBB14_541:                             ;   in Loop: Header=BB14_17 Depth=1
	s_or_b64 exec, exec, s[36:37]
.LBB14_542:                             ;   in Loop: Header=BB14_17 Depth=1
	s_or_b64 exec, exec, s[34:35]
	s_andn2_b64 s[24:25], s[24:25], exec
	s_andn2_b64 s[22:23], s[22:23], exec
	s_or_b64 vcc, vcc, exec
	s_or_b64 exec, exec, s[30:31]
	s_mov_b64 s[34:35], 0
	s_and_saveexec_b64 s[30:31], vcc
	s_cbranch_execz .LBB14_548
.LBB14_543:                             ;   in Loop: Header=BB14_17 Depth=1
	v_mul_lo_u32 v14, v64, v10
	v_readlane_b32 s34, v44, 0
	v_add_co_u32_e32 v14, vcc, v4, v14
	v_add_u32_e32 v65, s34, v17
	v_addc_co_u32_e32 v15, vcc, 0, v5, vcc
	v_cmp_gt_i16_sdwa s[34:35], v8, v18 src0_sel:BYTE_0 src1_sel:DWORD
	s_mov_b64 s[38:39], 0
	s_waitcnt vmcnt(0) lgkmcnt(0)
	buffer_store_dword v66, v65, s[0:3], 0 offen offset:20
                                        ; implicit-def: $vcc
                                        ; implicit-def: $sgpr36_sgpr37
                                        ; implicit-def: $vgpr64
	s_and_saveexec_b64 s[40:41], s[34:35]
	s_xor_b64 s[34:35], exec, s[40:41]
	s_cbranch_execnz .LBB14_554
; %bb.544:                              ;   in Loop: Header=BB14_17 Depth=1
	s_andn2_saveexec_b64 s[34:35], s[34:35]
	s_cbranch_execnz .LBB14_613
.LBB14_545:                             ;   in Loop: Header=BB14_17 Depth=1
	s_or_b64 exec, exec, s[34:35]
	s_mov_b64 s[34:35], 0
	s_and_saveexec_b64 s[40:41], s[38:39]
	s_cbranch_execz .LBB14_547
.LBB14_546:                             ;   in Loop: Header=BB14_17 Depth=1
	s_mov_b64 s[34:35], exec
	v_add_u32_e32 v55, 0x200, v55
	s_andn2_b64 s[36:37], s[36:37], exec
	s_andn2_b64 vcc, vcc, exec
	s_waitcnt vmcnt(0) lgkmcnt(0)
	buffer_store_dword v64, v65, s[0:3], 0 offen offset:16
.LBB14_547:                             ;   in Loop: Header=BB14_17 Depth=1
	s_or_b64 exec, exec, s[40:41]
	s_andn2_b64 s[24:25], s[24:25], exec
	s_and_b64 s[36:37], s[36:37], exec
	s_andn2_b64 s[22:23], s[22:23], exec
	s_and_b64 vcc, vcc, exec
	s_or_b64 s[24:25], s[24:25], s[36:37]
	s_or_b64 s[22:23], s[22:23], vcc
	s_and_b64 s[34:35], s[34:35], exec
.LBB14_548:                             ;   in Loop: Header=BB14_17 Depth=1
	s_or_b64 exec, exec, s[30:31]
	s_and_b64 s[24:25], s[24:25], exec
	s_and_b64 s[22:23], s[22:23], exec
	s_orn2_b64 s[30:31], s[34:35], exec
.LBB14_549:                             ;   in Loop: Header=BB14_17 Depth=1
	s_or_b64 exec, exec, s[26:27]
	s_and_saveexec_b64 s[26:27], s[30:31]
	s_cbranch_execz .LBB14_14
; %bb.550:                              ;   in Loop: Header=BB14_17 Depth=1
	v_cmp_lt_i32_e32 vcc, v55, v6
	s_mov_b64 s[36:37], -1
	s_mov_b64 s[38:39], -1
                                        ; implicit-def: $sgpr28_sgpr29
                                        ; implicit-def: $sgpr30_sgpr31
	s_and_saveexec_b64 s[34:35], vcc
	s_cbranch_execz .LBB14_760
; %bb.551:                              ;   in Loop: Header=BB14_17 Depth=1
	v_readlane_b32 s28, v44, 1
	s_waitcnt vmcnt(0) lgkmcnt(0)
	v_add_u32_e32 v64, s28, v55
	v_mul_lo_u32 v14, v64, v9
	v_add_co_u32_e32 v14, vcc, v2, v14
	v_addc_co_u32_e32 v15, vcc, 0, v3, vcc
	v_cmp_gt_i16_sdwa s[38:39], v7, v18 src0_sel:BYTE_0 src1_sel:DWORD
	s_mov_b64 vcc, 0
                                        ; implicit-def: $sgpr28_sgpr29
                                        ; implicit-def: $sgpr30_sgpr31
                                        ; implicit-def: $vgpr66
	s_and_saveexec_b64 s[40:41], s[38:39]
	s_xor_b64 s[38:39], exec, s[40:41]
	s_cbranch_execnz .LBB14_654
; %bb.552:                              ;   in Loop: Header=BB14_17 Depth=1
	s_andn2_saveexec_b64 s[38:39], s[38:39]
	s_cbranch_execnz .LBB14_713
.LBB14_553:                             ;   in Loop: Header=BB14_17 Depth=1
	s_or_b64 exec, exec, s[38:39]
	s_mov_b64 s[40:41], 0
	s_and_saveexec_b64 s[38:39], vcc
	s_cbranch_execnz .LBB14_754
	s_branch .LBB14_759
.LBB14_554:                             ;   in Loop: Header=BB14_17 Depth=1
	v_cmp_gt_i16_sdwa vcc, v8, v19 src0_sel:BYTE_0 src1_sel:DWORD
                                        ; implicit-def: $sgpr40_sgpr41
                                        ; implicit-def: $sgpr42_sgpr43
                                        ; implicit-def: $vgpr64
	s_and_saveexec_b64 s[36:37], vcc
	s_xor_b64 s[36:37], exec, s[36:37]
	s_cbranch_execz .LBB14_586
; %bb.555:                              ;   in Loop: Header=BB14_17 Depth=1
	v_cmp_gt_i16_sdwa vcc, v8, v20 src0_sel:BYTE_0 src1_sel:DWORD
                                        ; implicit-def: $sgpr40_sgpr41
                                        ; implicit-def: $sgpr44_sgpr45
                                        ; implicit-def: $vgpr64
	s_and_saveexec_b64 s[42:43], vcc
	s_xor_b64 s[42:43], exec, s[42:43]
	s_cbranch_execz .LBB14_571
; %bb.556:                              ;   in Loop: Header=BB14_17 Depth=1
	v_cmp_gt_i16_sdwa s[38:39], v8, v21 src0_sel:BYTE_0 src1_sel:DWORD
	s_mov_b64 s[46:47], 0
                                        ; implicit-def: $vcc
                                        ; implicit-def: $sgpr44_sgpr45
                                        ; implicit-def: $vgpr64
	s_and_saveexec_b64 s[40:41], s[38:39]
	s_xor_b64 s[38:39], exec, s[40:41]
	s_cbranch_execz .LBB14_566
; %bb.557:                              ;   in Loop: Header=BB14_17 Depth=1
	v_cmp_gt_i16_sdwa vcc, v8, v22 src0_sel:BYTE_0 src1_sel:DWORD
                                        ; implicit-def: $sgpr44_sgpr45
                                        ; implicit-def: $sgpr40_sgpr41
                                        ; implicit-def: $vgpr64
	s_and_saveexec_b64 s[48:49], vcc
	s_xor_b64 vcc, exec, s[48:49]
	s_cbranch_execz .LBB14_561
; %bb.558:                              ;   in Loop: Header=BB14_17 Depth=1
	v_cmp_eq_u16_sdwa s[48:49], v8, v23 src0_sel:BYTE_0 src1_sel:DWORD
	s_mov_b64 s[40:41], 0
                                        ; implicit-def: $vgpr64
	s_and_saveexec_b64 s[44:45], s[48:49]
	s_cbranch_execz .LBB14_560
; %bb.559:                              ;   in Loop: Header=BB14_17 Depth=1
	flat_load_dword v14, v[14:15]
	s_mov_b64 s[46:47], exec
	s_waitcnt vmcnt(0) lgkmcnt(0)
	v_lshlrev_b32_e32 v64, 16, v14
.LBB14_560:                             ;   in Loop: Header=BB14_17 Depth=1
	s_or_b64 exec, exec, s[44:45]
	s_mov_b64 s[44:45], -1
	s_and_b64 s[46:47], s[46:47], exec
                                        ; implicit-def: $vgpr14_vgpr15
.LBB14_561:                             ;   in Loop: Header=BB14_17 Depth=1
	s_andn2_saveexec_b64 s[48:49], vcc
	s_cbranch_execz .LBB14_565
; %bb.562:                              ;   in Loop: Header=BB14_17 Depth=1
	v_cmp_eq_u16_sdwa s[52:53], v8, v24 src0_sel:BYTE_0 src1_sel:DWORD
	s_mov_b64 vcc, s[46:47]
                                        ; implicit-def: $vgpr64
	s_and_saveexec_b64 s[50:51], s[52:53]
	s_cbranch_execz .LBB14_564
; %bb.563:                              ;   in Loop: Header=BB14_17 Depth=1
	flat_load_ubyte v14, v[14:15]
	s_movk_i32 vcc_lo, 0xff
	s_waitcnt vmcnt(0) lgkmcnt(0)
	v_lshlrev_b32_e32 v15, 23, v14
	v_cmp_ne_u32_e32 vcc, vcc_lo, v14
	v_cndmask_b32_e32 v15, v25, v15, vcc
	v_cmp_ne_u32_e32 vcc, 0, v14
	v_cndmask_b32_e32 v64, v26, v15, vcc
	s_or_b64 vcc, s[46:47], exec
.LBB14_564:                             ;   in Loop: Header=BB14_17 Depth=1
	s_or_b64 exec, exec, s[50:51]
	s_andn2_b64 s[46:47], s[46:47], exec
	s_and_b64 vcc, vcc, exec
	s_or_b64 s[44:45], s[44:45], exec
	s_andn2_b64 s[40:41], s[40:41], exec
	s_or_b64 s[46:47], s[46:47], vcc
.LBB14_565:                             ;   in Loop: Header=BB14_17 Depth=1
	s_or_b64 exec, exec, s[48:49]
	s_and_b64 s[44:45], s[44:45], exec
	s_and_b64 vcc, s[40:41], exec
	s_and_b64 s[46:47], s[46:47], exec
                                        ; implicit-def: $vgpr14_vgpr15
.LBB14_566:                             ;   in Loop: Header=BB14_17 Depth=1
	s_andn2_saveexec_b64 s[38:39], s[38:39]
	s_cbranch_execz .LBB14_570
; %bb.567:                              ;   in Loop: Header=BB14_17 Depth=1
	v_cmp_eq_u16_sdwa s[50:51], v8, v27 src0_sel:BYTE_0 src1_sel:DWORD
	s_mov_b64 s[48:49], s[46:47]
                                        ; implicit-def: $vgpr64
	s_and_saveexec_b64 s[40:41], s[50:51]
	s_cbranch_execz .LBB14_569
; %bb.568:                              ;   in Loop: Header=BB14_17 Depth=1
	flat_load_dwordx2 v[14:15], v[14:15]
	s_or_b64 s[48:49], s[46:47], exec
	s_waitcnt vmcnt(0) lgkmcnt(0)
	v_ffbh_u32_e32 v64, v15
	v_min_u32_e32 v64, 32, v64
	v_lshlrev_b64 v[14:15], v64, v[14:15]
	v_min_u32_e32 v14, 1, v14
	v_or_b32_e32 v14, v15, v14
	v_cvt_f32_u32_e32 v14, v14
	v_sub_u32_e32 v15, 32, v64
	v_ldexp_f32 v64, v14, v15
.LBB14_569:                             ;   in Loop: Header=BB14_17 Depth=1
	s_or_b64 exec, exec, s[40:41]
	s_andn2_b64 s[40:41], s[46:47], exec
	s_and_b64 s[46:47], s[48:49], exec
	s_or_b64 s[44:45], s[44:45], exec
	s_andn2_b64 vcc, vcc, exec
	s_or_b64 s[46:47], s[40:41], s[46:47]
.LBB14_570:                             ;   in Loop: Header=BB14_17 Depth=1
	s_or_b64 exec, exec, s[38:39]
	s_and_b64 s[44:45], s[44:45], exec
	s_and_b64 s[40:41], vcc, exec
	s_and_b64 s[38:39], s[46:47], exec
                                        ; implicit-def: $vgpr14_vgpr15
.LBB14_571:                             ;   in Loop: Header=BB14_17 Depth=1
	s_andn2_saveexec_b64 s[42:43], s[42:43]
	s_cbranch_execz .LBB14_585
; %bb.572:                              ;   in Loop: Header=BB14_17 Depth=1
	v_cmp_gt_i16_sdwa vcc, v8, v28 src0_sel:BYTE_0 src1_sel:DWORD
                                        ; implicit-def: $vgpr64
	s_and_saveexec_b64 s[46:47], vcc
	s_xor_b64 vcc, exec, s[46:47]
	s_cbranch_execz .LBB14_578
; %bb.573:                              ;   in Loop: Header=BB14_17 Depth=1
	v_cmp_gt_i16_sdwa s[46:47], v8, v29 src0_sel:BYTE_0 src1_sel:DWORD
                                        ; implicit-def: $vgpr64
	s_and_saveexec_b64 s[48:49], s[46:47]
	s_xor_b64 s[46:47], exec, s[48:49]
	s_cbranch_execz .LBB14_575
; %bb.574:                              ;   in Loop: Header=BB14_17 Depth=1
	flat_load_dword v14, v[14:15]
	s_waitcnt vmcnt(0) lgkmcnt(0)
	v_cvt_f32_u32_e32 v64, v14
                                        ; implicit-def: $vgpr14_vgpr15
.LBB14_575:                             ;   in Loop: Header=BB14_17 Depth=1
	s_andn2_saveexec_b64 s[46:47], s[46:47]
	s_cbranch_execz .LBB14_577
; %bb.576:                              ;   in Loop: Header=BB14_17 Depth=1
	flat_load_ushort v14, v[14:15]
	s_waitcnt vmcnt(0) lgkmcnt(0)
	v_cvt_f32_u32_e32 v64, v14
.LBB14_577:                             ;   in Loop: Header=BB14_17 Depth=1
	s_or_b64 exec, exec, s[46:47]
                                        ; implicit-def: $vgpr14_vgpr15
.LBB14_578:                             ;   in Loop: Header=BB14_17 Depth=1
	s_andn2_saveexec_b64 s[46:47], vcc
	s_cbranch_execz .LBB14_584
; %bb.579:                              ;   in Loop: Header=BB14_17 Depth=1
	flat_load_ubyte v14, v[14:15]
	s_movk_i32 vcc_lo, 0x7f
	s_mov_b64 s[48:49], 0
                                        ; implicit-def: $sgpr54
	s_waitcnt vmcnt(0) lgkmcnt(0)
	v_cmp_lt_i16_e32 vcc, vcc_lo, v14
	s_and_saveexec_b64 s[50:51], vcc
	s_xor_b64 s[50:51], exec, s[50:51]
	s_cbranch_execnz .LBB14_1438
; %bb.580:                              ;   in Loop: Header=BB14_17 Depth=1
	s_or_saveexec_b64 s[50:51], s[50:51]
	v_mov_b32_e32 v64, s54
	s_xor_b64 exec, exec, s[50:51]
	s_cbranch_execnz .LBB14_1441
.LBB14_581:                             ;   in Loop: Header=BB14_17 Depth=1
	s_or_b64 exec, exec, s[50:51]
	s_and_saveexec_b64 s[50:51], s[48:49]
	s_cbranch_execz .LBB14_583
.LBB14_582:                             ;   in Loop: Header=BB14_17 Depth=1
	v_lshlrev_b32_e32 v15, 24, v14
	v_and_b32_e32 v14, 0xffff, v14
	v_and_b32_e32 v64, 7, v14
	v_ffbh_u32_e32 v67, v64
	v_min_u32_e32 v67, 32, v67
	v_subrev_u32_e32 v68, 28, v67
	v_bfe_u32 v66, v14, 3, 4
	v_lshlrev_b32_e32 v14, v68, v14
	v_sub_u32_e32 v67, 29, v67
	v_and_b32_e32 v14, 7, v14
	v_cmp_eq_u32_e32 vcc, 0, v66
	v_cndmask_b32_e32 v66, v66, v67, vcc
	v_cndmask_b32_e32 v14, v64, v14, vcc
	v_lshlrev_b32_e32 v14, 20, v14
	v_and_b32_e32 v15, 0x80000000, v15
	v_lshl_add_u32 v64, v66, 23, v30
	v_or3_b32 v64, v15, v64, v14
.LBB14_583:                             ;   in Loop: Header=BB14_17 Depth=1
	s_or_b64 exec, exec, s[50:51]
.LBB14_584:                             ;   in Loop: Header=BB14_17 Depth=1
	s_or_b64 exec, exec, s[46:47]
	s_andn2_b64 s[44:45], s[44:45], exec
	s_andn2_b64 s[40:41], s[40:41], exec
	s_or_b64 s[38:39], s[38:39], exec
.LBB14_585:                             ;   in Loop: Header=BB14_17 Depth=1
	s_or_b64 exec, exec, s[42:43]
	s_and_b64 s[42:43], s[44:45], exec
	s_and_b64 s[40:41], s[40:41], exec
	;; [unrolled: 1-line block ×3, first 2 shown]
                                        ; implicit-def: $vgpr14_vgpr15
.LBB14_586:                             ;   in Loop: Header=BB14_17 Depth=1
	s_andn2_saveexec_b64 s[36:37], s[36:37]
	s_cbranch_execz .LBB14_612
; %bb.587:                              ;   in Loop: Header=BB14_17 Depth=1
	v_cmp_gt_i16_sdwa vcc, v8, v31 src0_sel:BYTE_0 src1_sel:DWORD
	s_mov_b64 s[46:47], s[38:39]
                                        ; implicit-def: $vgpr64
	s_and_saveexec_b64 s[44:45], vcc
	s_xor_b64 s[44:45], exec, s[44:45]
	s_cbranch_execz .LBB14_601
; %bb.588:                              ;   in Loop: Header=BB14_17 Depth=1
	v_cmp_gt_i16_sdwa vcc, v8, v32 src0_sel:BYTE_0 src1_sel:DWORD
                                        ; implicit-def: $vgpr64
	s_and_saveexec_b64 s[46:47], vcc
	s_xor_b64 s[46:47], exec, s[46:47]
	s_cbranch_execz .LBB14_598
; %bb.589:                              ;   in Loop: Header=BB14_17 Depth=1
	v_cmp_gt_i16_sdwa vcc, v8, v33 src0_sel:BYTE_0 src1_sel:DWORD
                                        ; implicit-def: $vgpr64
	s_and_saveexec_b64 s[48:49], vcc
	s_xor_b64 s[48:49], exec, s[48:49]
	s_cbranch_execz .LBB14_595
; %bb.590:                              ;   in Loop: Header=BB14_17 Depth=1
	flat_load_ubyte v14, v[14:15]
	s_movk_i32 vcc_lo, 0x7f
	s_mov_b64 s[50:51], 0
                                        ; implicit-def: $sgpr56
	s_waitcnt vmcnt(0) lgkmcnt(0)
	v_cmp_lt_i16_e32 vcc, vcc_lo, v14
	s_and_saveexec_b64 s[52:53], vcc
	s_xor_b64 s[52:53], exec, s[52:53]
	s_cbranch_execnz .LBB14_1657
; %bb.591:                              ;   in Loop: Header=BB14_17 Depth=1
	s_or_saveexec_b64 s[52:53], s[52:53]
	v_mov_b32_e32 v64, s56
	s_xor_b64 exec, exec, s[52:53]
	s_cbranch_execnz .LBB14_1660
.LBB14_592:                             ;   in Loop: Header=BB14_17 Depth=1
	s_or_b64 exec, exec, s[52:53]
	s_and_saveexec_b64 s[52:53], s[50:51]
	s_cbranch_execz .LBB14_594
.LBB14_593:                             ;   in Loop: Header=BB14_17 Depth=1
	v_lshlrev_b32_e32 v15, 24, v14
	v_and_b32_e32 v14, 0xffff, v14
	v_and_b32_e32 v64, 3, v14
	v_ffbh_u32_e32 v67, v64
	v_min_u32_e32 v67, 32, v67
	v_subrev_u32_e32 v68, 29, v67
	v_bfe_u32 v66, v14, 2, 5
	v_lshlrev_b32_e32 v14, v68, v14
	v_sub_u32_e32 v67, 30, v67
	v_and_b32_e32 v14, 3, v14
	v_cmp_eq_u32_e32 vcc, 0, v66
	v_cndmask_b32_e32 v66, v66, v67, vcc
	v_cndmask_b32_e32 v14, v64, v14, vcc
	v_lshlrev_b32_e32 v14, 21, v14
	v_and_b32_e32 v15, 0x80000000, v15
	v_lshl_add_u32 v64, v66, 23, v34
	v_or3_b32 v64, v15, v64, v14
.LBB14_594:                             ;   in Loop: Header=BB14_17 Depth=1
	s_or_b64 exec, exec, s[52:53]
                                        ; implicit-def: $vgpr14_vgpr15
.LBB14_595:                             ;   in Loop: Header=BB14_17 Depth=1
	s_andn2_saveexec_b64 s[48:49], s[48:49]
	s_cbranch_execz .LBB14_597
; %bb.596:                              ;   in Loop: Header=BB14_17 Depth=1
	flat_load_ubyte v14, v[14:15]
	s_mov_b32 vcc_lo, 0x7f800000
	s_waitcnt vmcnt(0) lgkmcnt(0)
	v_lshlrev_b32_e32 v14, 24, v14
	v_and_b32_e32 v15, 0x7f000000, v14
	v_ffbh_u32_e32 v64, v15
	v_min_u32_e32 v64, 32, v64
	v_sub_u32_e64 v64, v64, 4 clamp
	v_lshlrev_b32_e32 v67, v64, v15
	v_lshlrev_b32_e32 v64, 23, v64
	v_lshrrev_b32_e32 v67, 4, v67
	v_add_u32_e32 v66, 0x1000000, v15
	v_sub_u32_e32 v64, v67, v64
	v_ashrrev_i32_e32 v66, 8, v66
	v_add_u32_e32 v64, 0x3c000000, v64
	v_and_or_b32 v64, v66, vcc_lo, v64
	v_cmp_ne_u32_e32 vcc, 0, v15
	v_cndmask_b32_e32 v15, 0, v64, vcc
	s_brev_b32 vcc_lo, 1
	v_and_or_b32 v64, v14, vcc_lo, v15
.LBB14_597:                             ;   in Loop: Header=BB14_17 Depth=1
	s_or_b64 exec, exec, s[48:49]
                                        ; implicit-def: $vgpr14_vgpr15
.LBB14_598:                             ;   in Loop: Header=BB14_17 Depth=1
	s_andn2_saveexec_b64 s[46:47], s[46:47]
	s_cbranch_execz .LBB14_600
; %bb.599:                              ;   in Loop: Header=BB14_17 Depth=1
	flat_load_ubyte v14, v[14:15]
	s_movk_i32 vcc_lo, 0x7f00
	s_waitcnt vmcnt(0) lgkmcnt(0)
	v_lshlrev_b16_e32 v15, 8, v14
	v_lshlrev_b32_e32 v14, 25, v14
	v_lshrrev_b32_e32 v64, 4, v14
	v_and_or_b32 v66, v15, vcc_lo, 0.5
	v_or_b32_e32 v64, 0x70000000, v64
	s_brev_b32 vcc_lo, 16
	v_add_f32_e32 v66, -0.5, v66
	v_mul_f32_e32 v64, 0x7800000, v64
	v_cmp_gt_u32_e32 vcc, vcc_lo, v14
	v_cndmask_b32_e32 v14, v64, v66, vcc
	v_bfe_i32 v15, v15, 0, 16
	s_brev_b32 vcc_lo, 1
	v_and_or_b32 v64, v15, vcc_lo, v14
.LBB14_600:                             ;   in Loop: Header=BB14_17 Depth=1
	s_or_b64 exec, exec, s[46:47]
	s_or_b64 s[46:47], s[38:39], exec
                                        ; implicit-def: $vgpr14_vgpr15
.LBB14_601:                             ;   in Loop: Header=BB14_17 Depth=1
	s_or_saveexec_b64 s[44:45], s[44:45]
                                        ; implicit-def: $vcc
                                        ; implicit-def: $sgpr52_sgpr53
	s_xor_b64 exec, exec, s[44:45]
	s_cbranch_execz .LBB14_611
; %bb.602:                              ;   in Loop: Header=BB14_17 Depth=1
	v_cmp_gt_i16_sdwa vcc, v8, v35 src0_sel:BYTE_0 src1_sel:DWORD
	s_mov_b64 s[50:51], s[46:47]
                                        ; implicit-def: $sgpr52_sgpr53
                                        ; implicit-def: $sgpr48_sgpr49
                                        ; implicit-def: $vgpr64
	s_and_saveexec_b64 s[54:55], vcc
	s_xor_b64 vcc, exec, s[54:55]
	s_cbranch_execz .LBB14_606
; %bb.603:                              ;   in Loop: Header=BB14_17 Depth=1
	v_cmp_eq_u16_sdwa s[52:53], v8, v36 src0_sel:BYTE_0 src1_sel:DWORD
	s_mov_b64 s[50:51], s[46:47]
                                        ; implicit-def: $vgpr64
	s_and_saveexec_b64 s[48:49], s[52:53]
	s_cbranch_execz .LBB14_605
; %bb.604:                              ;   in Loop: Header=BB14_17 Depth=1
	flat_load_ushort v14, v[14:15]
	s_or_b64 s[50:51], s[46:47], exec
	s_waitcnt vmcnt(0) lgkmcnt(0)
	v_lshlrev_b32_e32 v64, 16, v14
.LBB14_605:                             ;   in Loop: Header=BB14_17 Depth=1
	s_or_b64 exec, exec, s[48:49]
	s_andn2_b64 s[54:55], s[46:47], exec
	s_and_b64 s[50:51], s[50:51], exec
	s_mov_b64 s[48:49], 0
	s_mov_b64 s[52:53], -1
	s_or_b64 s[50:51], s[54:55], s[50:51]
                                        ; implicit-def: $vgpr14_vgpr15
.LBB14_606:                             ;   in Loop: Header=BB14_17 Depth=1
	s_andn2_saveexec_b64 s[54:55], vcc
	s_cbranch_execz .LBB14_610
; %bb.607:                              ;   in Loop: Header=BB14_17 Depth=1
	v_cmp_eq_u16_sdwa s[58:59], v8, v37 src0_sel:BYTE_0 src1_sel:DWORD
	s_mov_b64 vcc, s[50:51]
                                        ; implicit-def: $vgpr64
	s_and_saveexec_b64 s[56:57], s[58:59]
	s_cbranch_execz .LBB14_609
; %bb.608:                              ;   in Loop: Header=BB14_17 Depth=1
	flat_load_ubyte v14, v[14:15]
	s_waitcnt vmcnt(0) lgkmcnt(0)
	v_cmp_ne_u16_e32 vcc, 0, v14
	v_cndmask_b32_e64 v64, 0, 1.0, vcc
	s_or_b64 vcc, s[50:51], exec
.LBB14_609:                             ;   in Loop: Header=BB14_17 Depth=1
	s_or_b64 exec, exec, s[56:57]
	s_andn2_b64 s[50:51], s[50:51], exec
	s_and_b64 vcc, vcc, exec
	s_or_b64 s[52:53], s[52:53], exec
	s_andn2_b64 s[48:49], s[48:49], exec
	s_or_b64 s[50:51], s[50:51], vcc
.LBB14_610:                             ;   in Loop: Header=BB14_17 Depth=1
	s_or_b64 exec, exec, s[54:55]
	s_and_b64 vcc, s[48:49], exec
	s_andn2_b64 s[46:47], s[46:47], exec
	s_and_b64 s[48:49], s[50:51], exec
	s_and_b64 s[52:53], s[52:53], exec
	s_or_b64 s[46:47], s[46:47], s[48:49]
.LBB14_611:                             ;   in Loop: Header=BB14_17 Depth=1
	s_or_b64 exec, exec, s[44:45]
	s_andn2_b64 s[40:41], s[40:41], exec
	s_and_b64 vcc, vcc, exec
	s_andn2_b64 s[42:43], s[42:43], exec
	s_and_b64 s[44:45], s[52:53], exec
	s_or_b64 s[40:41], s[40:41], vcc
	s_andn2_b64 vcc, s[38:39], exec
	s_and_b64 s[38:39], s[46:47], exec
	s_or_b64 s[42:43], s[42:43], s[44:45]
	s_or_b64 s[38:39], vcc, s[38:39]
.LBB14_612:                             ;   in Loop: Header=BB14_17 Depth=1
	s_or_b64 exec, exec, s[36:37]
	s_and_b64 s[36:37], s[42:43], exec
	s_and_b64 vcc, s[40:41], exec
	s_and_b64 s[38:39], s[38:39], exec
                                        ; implicit-def: $vgpr14_vgpr15
	s_andn2_saveexec_b64 s[34:35], s[34:35]
	s_cbranch_execz .LBB14_545
.LBB14_613:                             ;   in Loop: Header=BB14_17 Depth=1
	v_cmp_gt_i16_sdwa s[40:41], v8, v38 src0_sel:BYTE_0 src1_sel:DWORD
                                        ; implicit-def: $vgpr64
	s_and_saveexec_b64 s[42:43], s[40:41]
	s_xor_b64 s[40:41], exec, s[42:43]
	s_cbranch_execz .LBB14_635
; %bb.614:                              ;   in Loop: Header=BB14_17 Depth=1
	v_cmp_gt_i16_sdwa s[42:43], v8, v39 src0_sel:BYTE_0 src1_sel:DWORD
                                        ; implicit-def: $vgpr64
	s_and_saveexec_b64 s[44:45], s[42:43]
	s_xor_b64 s[42:43], exec, s[44:45]
	s_cbranch_execz .LBB14_624
; %bb.615:                              ;   in Loop: Header=BB14_17 Depth=1
	v_cmp_gt_i16_sdwa s[44:45], v8, v48 src0_sel:BYTE_0 src1_sel:DWORD
                                        ; implicit-def: $vgpr64
	s_and_saveexec_b64 s[46:47], s[44:45]
	s_xor_b64 s[44:45], exec, s[46:47]
	s_cbranch_execz .LBB14_621
; %bb.616:                              ;   in Loop: Header=BB14_17 Depth=1
	v_cmp_gt_i16_sdwa s[46:47], v8, v49 src0_sel:BYTE_0 src1_sel:DWORD
                                        ; implicit-def: $vgpr64
	s_and_saveexec_b64 s[48:49], s[46:47]
	s_xor_b64 s[46:47], exec, s[48:49]
	s_cbranch_execz .LBB14_618
; %bb.617:                              ;   in Loop: Header=BB14_17 Depth=1
	flat_load_dwordx2 v[14:15], v[14:15]
	s_waitcnt vmcnt(0) lgkmcnt(0)
	v_cvt_f32_f64_e32 v64, v[14:15]
                                        ; implicit-def: $vgpr14_vgpr15
.LBB14_618:                             ;   in Loop: Header=BB14_17 Depth=1
	s_andn2_saveexec_b64 s[46:47], s[46:47]
	s_cbranch_execz .LBB14_620
; %bb.619:                              ;   in Loop: Header=BB14_17 Depth=1
	flat_load_dword v64, v[14:15]
.LBB14_620:                             ;   in Loop: Header=BB14_17 Depth=1
	s_or_b64 exec, exec, s[46:47]
                                        ; implicit-def: $vgpr14_vgpr15
.LBB14_621:                             ;   in Loop: Header=BB14_17 Depth=1
	s_andn2_saveexec_b64 s[44:45], s[44:45]
	s_cbranch_execz .LBB14_623
; %bb.622:                              ;   in Loop: Header=BB14_17 Depth=1
	flat_load_dword v14, v[14:15]
	s_waitcnt vmcnt(0) lgkmcnt(0)
	v_cvt_f32_f16_e32 v64, v14
.LBB14_623:                             ;   in Loop: Header=BB14_17 Depth=1
	s_or_b64 exec, exec, s[44:45]
                                        ; implicit-def: $vgpr14_vgpr15
.LBB14_624:                             ;   in Loop: Header=BB14_17 Depth=1
	s_andn2_saveexec_b64 s[42:43], s[42:43]
	s_cbranch_execz .LBB14_634
; %bb.625:                              ;   in Loop: Header=BB14_17 Depth=1
	v_cmp_gt_i16_sdwa s[44:45], v8, v50 src0_sel:BYTE_0 src1_sel:DWORD
                                        ; implicit-def: $vgpr64
	s_and_saveexec_b64 s[46:47], s[44:45]
	s_xor_b64 s[44:45], exec, s[46:47]
	s_cbranch_execz .LBB14_631
; %bb.626:                              ;   in Loop: Header=BB14_17 Depth=1
	v_cmp_gt_i16_sdwa s[46:47], v8, v51 src0_sel:BYTE_0 src1_sel:DWORD
                                        ; implicit-def: $vgpr64
	s_and_saveexec_b64 s[48:49], s[46:47]
	s_xor_b64 s[46:47], exec, s[48:49]
	s_cbranch_execz .LBB14_628
; %bb.627:                              ;   in Loop: Header=BB14_17 Depth=1
	flat_load_dwordx2 v[14:15], v[14:15]
	s_waitcnt vmcnt(0) lgkmcnt(0)
	v_cvt_f32_f64_e32 v64, v[14:15]
                                        ; implicit-def: $vgpr14_vgpr15
.LBB14_628:                             ;   in Loop: Header=BB14_17 Depth=1
	s_andn2_saveexec_b64 s[46:47], s[46:47]
	s_cbranch_execz .LBB14_630
; %bb.629:                              ;   in Loop: Header=BB14_17 Depth=1
	s_waitcnt vmcnt(0) lgkmcnt(0)
	flat_load_dword v64, v[14:15]
.LBB14_630:                             ;   in Loop: Header=BB14_17 Depth=1
	s_or_b64 exec, exec, s[46:47]
                                        ; implicit-def: $vgpr14_vgpr15
.LBB14_631:                             ;   in Loop: Header=BB14_17 Depth=1
	s_andn2_saveexec_b64 s[44:45], s[44:45]
	s_cbranch_execz .LBB14_633
; %bb.632:                              ;   in Loop: Header=BB14_17 Depth=1
	flat_load_ushort v14, v[14:15]
	s_waitcnt vmcnt(0) lgkmcnt(0)
	v_cvt_f32_f16_e32 v64, v14
.LBB14_633:                             ;   in Loop: Header=BB14_17 Depth=1
	s_or_b64 exec, exec, s[44:45]
.LBB14_634:                             ;   in Loop: Header=BB14_17 Depth=1
	s_or_b64 exec, exec, s[42:43]
                                        ; implicit-def: $vgpr14_vgpr15
.LBB14_635:                             ;   in Loop: Header=BB14_17 Depth=1
	s_andn2_saveexec_b64 s[40:41], s[40:41]
	s_cbranch_execz .LBB14_653
; %bb.636:                              ;   in Loop: Header=BB14_17 Depth=1
	v_cmp_gt_i16_sdwa s[42:43], v8, v52 src0_sel:BYTE_0 src1_sel:DWORD
                                        ; implicit-def: $vgpr64
	s_and_saveexec_b64 s[44:45], s[42:43]
	s_xor_b64 s[42:43], exec, s[44:45]
	s_cbranch_execz .LBB14_646
; %bb.637:                              ;   in Loop: Header=BB14_17 Depth=1
	v_cmp_gt_i16_sdwa s[44:45], v8, v53 src0_sel:BYTE_0 src1_sel:DWORD
                                        ; implicit-def: $vgpr64
	s_and_saveexec_b64 s[46:47], s[44:45]
	s_xor_b64 s[44:45], exec, s[46:47]
	;; [unrolled: 6-line block ×3, first 2 shown]
	s_cbranch_execz .LBB14_640
; %bb.639:                              ;   in Loop: Header=BB14_17 Depth=1
	flat_load_dwordx2 v[14:15], v[14:15]
	s_waitcnt vmcnt(0) lgkmcnt(0)
	v_xor_b32_e32 v66, v14, v15
	v_ffbh_i32_e32 v64, v15
	v_ashrrev_i32_e32 v66, 31, v66
	v_add_u32_e32 v64, -1, v64
	v_add_u32_e32 v66, 32, v66
	v_min_u32_e32 v64, v64, v66
	v_lshlrev_b64 v[14:15], v64, v[14:15]
	v_min_u32_e32 v14, 1, v14
	v_or_b32_e32 v14, v15, v14
	v_cvt_f32_i32_e32 v14, v14
	v_sub_u32_e32 v15, 32, v64
	v_ldexp_f32 v64, v14, v15
                                        ; implicit-def: $vgpr14_vgpr15
.LBB14_640:                             ;   in Loop: Header=BB14_17 Depth=1
	s_andn2_saveexec_b64 s[46:47], s[46:47]
	s_cbranch_execz .LBB14_642
; %bb.641:                              ;   in Loop: Header=BB14_17 Depth=1
	flat_load_dword v14, v[14:15]
	s_waitcnt vmcnt(0) lgkmcnt(0)
	v_cvt_f32_i32_e32 v64, v14
.LBB14_642:                             ;   in Loop: Header=BB14_17 Depth=1
	s_or_b64 exec, exec, s[46:47]
                                        ; implicit-def: $vgpr14_vgpr15
.LBB14_643:                             ;   in Loop: Header=BB14_17 Depth=1
	s_andn2_saveexec_b64 s[44:45], s[44:45]
	s_cbranch_execz .LBB14_645
; %bb.644:                              ;   in Loop: Header=BB14_17 Depth=1
	flat_load_sshort v14, v[14:15]
	s_waitcnt vmcnt(0) lgkmcnt(0)
	v_cvt_f32_i32_e32 v64, v14
.LBB14_645:                             ;   in Loop: Header=BB14_17 Depth=1
	s_or_b64 exec, exec, s[44:45]
                                        ; implicit-def: $vgpr14_vgpr15
.LBB14_646:                             ;   in Loop: Header=BB14_17 Depth=1
	s_andn2_saveexec_b64 s[42:43], s[42:43]
	s_cbranch_execz .LBB14_652
; %bb.647:                              ;   in Loop: Header=BB14_17 Depth=1
	v_cmp_gt_i16_sdwa s[44:45], v8, v16 src0_sel:BYTE_0 src1_sel:DWORD
                                        ; implicit-def: $vgpr64
	s_and_saveexec_b64 s[46:47], s[44:45]
	s_xor_b64 s[44:45], exec, s[46:47]
	s_cbranch_execz .LBB14_649
; %bb.648:                              ;   in Loop: Header=BB14_17 Depth=1
	flat_load_sbyte v14, v[14:15]
	s_waitcnt vmcnt(0) lgkmcnt(0)
	v_cvt_f32_i32_e32 v64, v14
                                        ; implicit-def: $vgpr14_vgpr15
.LBB14_649:                             ;   in Loop: Header=BB14_17 Depth=1
	s_andn2_saveexec_b64 s[44:45], s[44:45]
	s_cbranch_execz .LBB14_651
; %bb.650:                              ;   in Loop: Header=BB14_17 Depth=1
	flat_load_ubyte v14, v[14:15]
	s_waitcnt vmcnt(0) lgkmcnt(0)
	v_cvt_f32_ubyte0_e32 v64, v14
.LBB14_651:                             ;   in Loop: Header=BB14_17 Depth=1
	s_or_b64 exec, exec, s[44:45]
.LBB14_652:                             ;   in Loop: Header=BB14_17 Depth=1
	s_or_b64 exec, exec, s[42:43]
.LBB14_653:                             ;   in Loop: Header=BB14_17 Depth=1
	s_or_b64 exec, exec, s[40:41]
	s_andn2_b64 s[36:37], s[36:37], exec
	s_andn2_b64 vcc, vcc, exec
	s_or_b64 s[38:39], s[38:39], exec
	s_or_b64 exec, exec, s[34:35]
	s_mov_b64 s[34:35], 0
	s_and_saveexec_b64 s[40:41], s[38:39]
	s_cbranch_execnz .LBB14_546
	s_branch .LBB14_547
.LBB14_654:                             ;   in Loop: Header=BB14_17 Depth=1
	v_cmp_gt_i16_sdwa s[28:29], v7, v19 src0_sel:BYTE_0 src1_sel:DWORD
	s_mov_b64 s[40:41], 0
                                        ; implicit-def: $sgpr42_sgpr43
                                        ; implicit-def: $sgpr30_sgpr31
                                        ; implicit-def: $vgpr66
	s_and_saveexec_b64 vcc, s[28:29]
	s_xor_b64 s[28:29], exec, vcc
	s_cbranch_execz .LBB14_686
; %bb.655:                              ;   in Loop: Header=BB14_17 Depth=1
	v_cmp_gt_i16_sdwa vcc, v7, v20 src0_sel:BYTE_0 src1_sel:DWORD
                                        ; implicit-def: $sgpr42_sgpr43
                                        ; implicit-def: $sgpr44_sgpr45
                                        ; implicit-def: $vgpr66
	s_and_saveexec_b64 s[30:31], vcc
	s_xor_b64 s[30:31], exec, s[30:31]
	s_cbranch_execz .LBB14_671
; %bb.656:                              ;   in Loop: Header=BB14_17 Depth=1
	v_cmp_gt_i16_sdwa s[40:41], v7, v21 src0_sel:BYTE_0 src1_sel:DWORD
	s_mov_b64 s[46:47], 0
                                        ; implicit-def: $vcc
                                        ; implicit-def: $sgpr42_sgpr43
                                        ; implicit-def: $vgpr66
	s_and_saveexec_b64 s[44:45], s[40:41]
	s_xor_b64 s[40:41], exec, s[44:45]
	s_cbranch_execz .LBB14_666
; %bb.657:                              ;   in Loop: Header=BB14_17 Depth=1
	v_cmp_gt_i16_sdwa vcc, v7, v22 src0_sel:BYTE_0 src1_sel:DWORD
	s_mov_b64 s[44:45], 0
                                        ; implicit-def: $sgpr42_sgpr43
                                        ; implicit-def: $sgpr46_sgpr47
                                        ; implicit-def: $vgpr66
	s_and_saveexec_b64 s[48:49], vcc
	s_xor_b64 vcc, exec, s[48:49]
	s_cbranch_execz .LBB14_661
; %bb.658:                              ;   in Loop: Header=BB14_17 Depth=1
	v_cmp_eq_u16_sdwa s[48:49], v7, v23 src0_sel:BYTE_0 src1_sel:DWORD
	s_mov_b64 s[42:43], 0
                                        ; implicit-def: $vgpr66
	s_and_saveexec_b64 s[46:47], s[48:49]
	s_cbranch_execz .LBB14_660
; %bb.659:                              ;   in Loop: Header=BB14_17 Depth=1
	flat_load_dword v14, v[14:15]
	s_mov_b64 s[44:45], exec
	s_waitcnt vmcnt(0) lgkmcnt(0)
	v_lshlrev_b32_e32 v66, 16, v14
.LBB14_660:                             ;   in Loop: Header=BB14_17 Depth=1
	s_or_b64 exec, exec, s[46:47]
	s_mov_b64 s[46:47], -1
	s_and_b64 s[44:45], s[44:45], exec
                                        ; implicit-def: $vgpr14_vgpr15
.LBB14_661:                             ;   in Loop: Header=BB14_17 Depth=1
	s_andn2_saveexec_b64 s[48:49], vcc
	s_cbranch_execz .LBB14_665
; %bb.662:                              ;   in Loop: Header=BB14_17 Depth=1
	v_cmp_eq_u16_sdwa s[52:53], v7, v24 src0_sel:BYTE_0 src1_sel:DWORD
	s_mov_b64 vcc, s[44:45]
                                        ; implicit-def: $vgpr66
	s_and_saveexec_b64 s[50:51], s[52:53]
	s_cbranch_execz .LBB14_664
; %bb.663:                              ;   in Loop: Header=BB14_17 Depth=1
	flat_load_ubyte v14, v[14:15]
	s_movk_i32 vcc_lo, 0xff
	s_waitcnt vmcnt(0) lgkmcnt(0)
	v_lshlrev_b32_e32 v15, 23, v14
	v_cmp_ne_u32_e32 vcc, vcc_lo, v14
	v_cndmask_b32_e32 v15, v25, v15, vcc
	v_cmp_ne_u32_e32 vcc, 0, v14
	v_cndmask_b32_e32 v66, v26, v15, vcc
	s_or_b64 vcc, s[44:45], exec
.LBB14_664:                             ;   in Loop: Header=BB14_17 Depth=1
	s_or_b64 exec, exec, s[50:51]
	s_andn2_b64 s[44:45], s[44:45], exec
	s_and_b64 vcc, vcc, exec
	s_andn2_b64 s[42:43], s[42:43], exec
	s_or_b64 s[46:47], s[46:47], exec
	s_or_b64 s[44:45], s[44:45], vcc
.LBB14_665:                             ;   in Loop: Header=BB14_17 Depth=1
	s_or_b64 exec, exec, s[48:49]
	s_and_b64 s[42:43], s[42:43], exec
	s_and_b64 vcc, s[46:47], exec
	s_and_b64 s[46:47], s[44:45], exec
                                        ; implicit-def: $vgpr14_vgpr15
.LBB14_666:                             ;   in Loop: Header=BB14_17 Depth=1
	s_andn2_saveexec_b64 s[40:41], s[40:41]
	s_cbranch_execz .LBB14_670
; %bb.667:                              ;   in Loop: Header=BB14_17 Depth=1
	v_cmp_eq_u16_sdwa s[50:51], v7, v27 src0_sel:BYTE_0 src1_sel:DWORD
	s_mov_b64 s[48:49], s[46:47]
                                        ; implicit-def: $vgpr66
	s_and_saveexec_b64 s[44:45], s[50:51]
	s_cbranch_execz .LBB14_669
; %bb.668:                              ;   in Loop: Header=BB14_17 Depth=1
	flat_load_dwordx2 v[14:15], v[14:15]
	s_or_b64 s[48:49], s[46:47], exec
	s_waitcnt vmcnt(0) lgkmcnt(0)
	v_ffbh_u32_e32 v65, v15
	v_min_u32_e32 v65, 32, v65
	v_lshlrev_b64 v[14:15], v65, v[14:15]
	v_min_u32_e32 v14, 1, v14
	v_or_b32_e32 v14, v15, v14
	v_cvt_f32_u32_e32 v14, v14
	v_sub_u32_e32 v15, 32, v65
	v_ldexp_f32 v66, v14, v15
.LBB14_669:                             ;   in Loop: Header=BB14_17 Depth=1
	s_or_b64 exec, exec, s[44:45]
	s_andn2_b64 s[44:45], s[46:47], exec
	s_and_b64 s[46:47], s[48:49], exec
	s_andn2_b64 s[42:43], s[42:43], exec
	s_or_b64 vcc, vcc, exec
	s_or_b64 s[46:47], s[44:45], s[46:47]
.LBB14_670:                             ;   in Loop: Header=BB14_17 Depth=1
	s_or_b64 exec, exec, s[40:41]
	s_and_b64 s[44:45], s[42:43], exec
	s_and_b64 s[42:43], vcc, exec
	s_and_b64 s[40:41], s[46:47], exec
                                        ; implicit-def: $vgpr14_vgpr15
.LBB14_671:                             ;   in Loop: Header=BB14_17 Depth=1
	s_andn2_saveexec_b64 s[30:31], s[30:31]
	s_cbranch_execz .LBB14_685
; %bb.672:                              ;   in Loop: Header=BB14_17 Depth=1
	v_cmp_gt_i16_sdwa vcc, v7, v28 src0_sel:BYTE_0 src1_sel:DWORD
                                        ; implicit-def: $vgpr66
	s_and_saveexec_b64 s[46:47], vcc
	s_xor_b64 vcc, exec, s[46:47]
	s_cbranch_execz .LBB14_678
; %bb.673:                              ;   in Loop: Header=BB14_17 Depth=1
	v_cmp_gt_i16_sdwa s[46:47], v7, v29 src0_sel:BYTE_0 src1_sel:DWORD
                                        ; implicit-def: $vgpr66
	s_and_saveexec_b64 s[48:49], s[46:47]
	s_xor_b64 s[46:47], exec, s[48:49]
	s_cbranch_execz .LBB14_675
; %bb.674:                              ;   in Loop: Header=BB14_17 Depth=1
	flat_load_dword v14, v[14:15]
	s_waitcnt vmcnt(0) lgkmcnt(0)
	v_cvt_f32_u32_e32 v66, v14
                                        ; implicit-def: $vgpr14_vgpr15
.LBB14_675:                             ;   in Loop: Header=BB14_17 Depth=1
	s_andn2_saveexec_b64 s[46:47], s[46:47]
	s_cbranch_execz .LBB14_677
; %bb.676:                              ;   in Loop: Header=BB14_17 Depth=1
	flat_load_ushort v14, v[14:15]
	s_waitcnt vmcnt(0) lgkmcnt(0)
	v_cvt_f32_u32_e32 v66, v14
.LBB14_677:                             ;   in Loop: Header=BB14_17 Depth=1
	s_or_b64 exec, exec, s[46:47]
                                        ; implicit-def: $vgpr14_vgpr15
.LBB14_678:                             ;   in Loop: Header=BB14_17 Depth=1
	s_andn2_saveexec_b64 s[46:47], vcc
	s_cbranch_execz .LBB14_684
; %bb.679:                              ;   in Loop: Header=BB14_17 Depth=1
	flat_load_ubyte v14, v[14:15]
	s_movk_i32 vcc_lo, 0x7f
	s_mov_b64 s[48:49], 0
                                        ; implicit-def: $sgpr54
	s_waitcnt vmcnt(0) lgkmcnt(0)
	v_cmp_lt_i16_e32 vcc, vcc_lo, v14
	s_and_saveexec_b64 s[50:51], vcc
	s_xor_b64 s[50:51], exec, s[50:51]
	s_cbranch_execnz .LBB14_1442
; %bb.680:                              ;   in Loop: Header=BB14_17 Depth=1
	s_or_saveexec_b64 s[50:51], s[50:51]
	v_mov_b32_e32 v66, s54
	s_xor_b64 exec, exec, s[50:51]
	s_cbranch_execnz .LBB14_1445
.LBB14_681:                             ;   in Loop: Header=BB14_17 Depth=1
	s_or_b64 exec, exec, s[50:51]
	s_and_saveexec_b64 s[50:51], s[48:49]
	s_cbranch_execz .LBB14_683
.LBB14_682:                             ;   in Loop: Header=BB14_17 Depth=1
	v_lshlrev_b32_e32 v15, 24, v14
	v_and_b32_e32 v14, 0xffff, v14
	v_and_b32_e32 v65, 7, v14
	v_ffbh_u32_e32 v67, v65
	v_min_u32_e32 v67, 32, v67
	v_subrev_u32_e32 v68, 28, v67
	v_bfe_u32 v66, v14, 3, 4
	v_lshlrev_b32_e32 v14, v68, v14
	v_sub_u32_e32 v67, 29, v67
	v_and_b32_e32 v14, 7, v14
	v_cmp_eq_u32_e32 vcc, 0, v66
	v_cndmask_b32_e32 v66, v66, v67, vcc
	v_cndmask_b32_e32 v14, v65, v14, vcc
	v_lshlrev_b32_e32 v14, 20, v14
	v_and_b32_e32 v15, 0x80000000, v15
	v_lshl_add_u32 v65, v66, 23, v30
	v_or3_b32 v66, v15, v65, v14
.LBB14_683:                             ;   in Loop: Header=BB14_17 Depth=1
	s_or_b64 exec, exec, s[50:51]
.LBB14_684:                             ;   in Loop: Header=BB14_17 Depth=1
	s_or_b64 exec, exec, s[46:47]
	s_andn2_b64 s[44:45], s[44:45], exec
	s_andn2_b64 s[42:43], s[42:43], exec
	s_or_b64 s[40:41], s[40:41], exec
.LBB14_685:                             ;   in Loop: Header=BB14_17 Depth=1
	s_or_b64 exec, exec, s[30:31]
	s_and_b64 s[30:31], s[44:45], exec
	s_and_b64 s[42:43], s[42:43], exec
	;; [unrolled: 1-line block ×3, first 2 shown]
                                        ; implicit-def: $vgpr14_vgpr15
.LBB14_686:                             ;   in Loop: Header=BB14_17 Depth=1
	s_andn2_saveexec_b64 s[28:29], s[28:29]
	s_cbranch_execz .LBB14_712
; %bb.687:                              ;   in Loop: Header=BB14_17 Depth=1
	v_cmp_gt_i16_sdwa vcc, v7, v31 src0_sel:BYTE_0 src1_sel:DWORD
	s_mov_b64 s[46:47], s[40:41]
                                        ; implicit-def: $vgpr66
	s_and_saveexec_b64 s[44:45], vcc
	s_xor_b64 s[44:45], exec, s[44:45]
	s_cbranch_execz .LBB14_701
; %bb.688:                              ;   in Loop: Header=BB14_17 Depth=1
	v_cmp_gt_i16_sdwa vcc, v7, v32 src0_sel:BYTE_0 src1_sel:DWORD
                                        ; implicit-def: $vgpr66
	s_and_saveexec_b64 s[46:47], vcc
	s_xor_b64 s[46:47], exec, s[46:47]
	s_cbranch_execz .LBB14_698
; %bb.689:                              ;   in Loop: Header=BB14_17 Depth=1
	v_cmp_gt_i16_sdwa vcc, v7, v33 src0_sel:BYTE_0 src1_sel:DWORD
                                        ; implicit-def: $vgpr66
	s_and_saveexec_b64 s[48:49], vcc
	s_xor_b64 s[48:49], exec, s[48:49]
	s_cbranch_execz .LBB14_695
; %bb.690:                              ;   in Loop: Header=BB14_17 Depth=1
	flat_load_ubyte v14, v[14:15]
	s_movk_i32 vcc_lo, 0x7f
	s_mov_b64 s[50:51], 0
                                        ; implicit-def: $sgpr56
	s_waitcnt vmcnt(0) lgkmcnt(0)
	v_cmp_lt_i16_e32 vcc, vcc_lo, v14
	s_and_saveexec_b64 s[52:53], vcc
	s_xor_b64 s[52:53], exec, s[52:53]
	s_cbranch_execnz .LBB14_1661
; %bb.691:                              ;   in Loop: Header=BB14_17 Depth=1
	s_or_saveexec_b64 s[52:53], s[52:53]
	v_mov_b32_e32 v66, s56
	s_xor_b64 exec, exec, s[52:53]
	s_cbranch_execnz .LBB14_1664
.LBB14_692:                             ;   in Loop: Header=BB14_17 Depth=1
	s_or_b64 exec, exec, s[52:53]
	s_and_saveexec_b64 s[52:53], s[50:51]
	s_cbranch_execz .LBB14_694
.LBB14_693:                             ;   in Loop: Header=BB14_17 Depth=1
	v_lshlrev_b32_e32 v15, 24, v14
	v_and_b32_e32 v14, 0xffff, v14
	v_and_b32_e32 v65, 3, v14
	v_ffbh_u32_e32 v67, v65
	v_min_u32_e32 v67, 32, v67
	v_subrev_u32_e32 v68, 29, v67
	v_bfe_u32 v66, v14, 2, 5
	v_lshlrev_b32_e32 v14, v68, v14
	v_sub_u32_e32 v67, 30, v67
	v_and_b32_e32 v14, 3, v14
	v_cmp_eq_u32_e32 vcc, 0, v66
	v_cndmask_b32_e32 v66, v66, v67, vcc
	v_cndmask_b32_e32 v14, v65, v14, vcc
	v_lshlrev_b32_e32 v14, 21, v14
	v_and_b32_e32 v15, 0x80000000, v15
	v_lshl_add_u32 v65, v66, 23, v34
	v_or3_b32 v66, v15, v65, v14
.LBB14_694:                             ;   in Loop: Header=BB14_17 Depth=1
	s_or_b64 exec, exec, s[52:53]
                                        ; implicit-def: $vgpr14_vgpr15
.LBB14_695:                             ;   in Loop: Header=BB14_17 Depth=1
	s_andn2_saveexec_b64 s[48:49], s[48:49]
	s_cbranch_execz .LBB14_697
; %bb.696:                              ;   in Loop: Header=BB14_17 Depth=1
	flat_load_ubyte v14, v[14:15]
	s_mov_b32 vcc_lo, 0x7f800000
	s_waitcnt vmcnt(0) lgkmcnt(0)
	v_lshlrev_b32_e32 v14, 24, v14
	v_and_b32_e32 v15, 0x7f000000, v14
	v_ffbh_u32_e32 v65, v15
	v_min_u32_e32 v65, 32, v65
	v_sub_u32_e64 v65, v65, 4 clamp
	v_lshlrev_b32_e32 v67, v65, v15
	v_lshlrev_b32_e32 v65, 23, v65
	v_lshrrev_b32_e32 v67, 4, v67
	v_add_u32_e32 v66, 0x1000000, v15
	v_sub_u32_e32 v65, v67, v65
	v_ashrrev_i32_e32 v66, 8, v66
	v_add_u32_e32 v65, 0x3c000000, v65
	v_and_or_b32 v65, v66, vcc_lo, v65
	v_cmp_ne_u32_e32 vcc, 0, v15
	v_cndmask_b32_e32 v15, 0, v65, vcc
	s_brev_b32 vcc_lo, 1
	v_and_or_b32 v66, v14, vcc_lo, v15
.LBB14_697:                             ;   in Loop: Header=BB14_17 Depth=1
	s_or_b64 exec, exec, s[48:49]
                                        ; implicit-def: $vgpr14_vgpr15
.LBB14_698:                             ;   in Loop: Header=BB14_17 Depth=1
	s_andn2_saveexec_b64 s[46:47], s[46:47]
	s_cbranch_execz .LBB14_700
; %bb.699:                              ;   in Loop: Header=BB14_17 Depth=1
	flat_load_ubyte v14, v[14:15]
	s_movk_i32 vcc_lo, 0x7f00
	s_waitcnt vmcnt(0) lgkmcnt(0)
	v_lshlrev_b16_e32 v15, 8, v14
	v_lshlrev_b32_e32 v14, 25, v14
	v_lshrrev_b32_e32 v65, 4, v14
	v_and_or_b32 v66, v15, vcc_lo, 0.5
	v_or_b32_e32 v65, 0x70000000, v65
	s_brev_b32 vcc_lo, 16
	v_add_f32_e32 v66, -0.5, v66
	v_mul_f32_e32 v65, 0x7800000, v65
	v_cmp_gt_u32_e32 vcc, vcc_lo, v14
	v_cndmask_b32_e32 v14, v65, v66, vcc
	v_bfe_i32 v15, v15, 0, 16
	s_brev_b32 vcc_lo, 1
	v_and_or_b32 v66, v15, vcc_lo, v14
.LBB14_700:                             ;   in Loop: Header=BB14_17 Depth=1
	s_or_b64 exec, exec, s[46:47]
	s_or_b64 s[46:47], s[40:41], exec
                                        ; implicit-def: $vgpr14_vgpr15
.LBB14_701:                             ;   in Loop: Header=BB14_17 Depth=1
	s_or_saveexec_b64 s[44:45], s[44:45]
                                        ; implicit-def: $vcc
                                        ; implicit-def: $sgpr52_sgpr53
	s_xor_b64 exec, exec, s[44:45]
	s_cbranch_execz .LBB14_711
; %bb.702:                              ;   in Loop: Header=BB14_17 Depth=1
	v_cmp_gt_i16_sdwa vcc, v7, v35 src0_sel:BYTE_0 src1_sel:DWORD
	s_mov_b64 s[50:51], s[46:47]
                                        ; implicit-def: $sgpr52_sgpr53
                                        ; implicit-def: $sgpr48_sgpr49
                                        ; implicit-def: $vgpr66
	s_and_saveexec_b64 s[54:55], vcc
	s_xor_b64 vcc, exec, s[54:55]
	s_cbranch_execz .LBB14_706
; %bb.703:                              ;   in Loop: Header=BB14_17 Depth=1
	v_cmp_eq_u16_sdwa s[52:53], v7, v36 src0_sel:BYTE_0 src1_sel:DWORD
	s_mov_b64 s[50:51], s[46:47]
                                        ; implicit-def: $vgpr66
	s_and_saveexec_b64 s[48:49], s[52:53]
	s_cbranch_execz .LBB14_705
; %bb.704:                              ;   in Loop: Header=BB14_17 Depth=1
	flat_load_ushort v14, v[14:15]
	s_or_b64 s[50:51], s[46:47], exec
	s_waitcnt vmcnt(0) lgkmcnt(0)
	v_lshlrev_b32_e32 v66, 16, v14
.LBB14_705:                             ;   in Loop: Header=BB14_17 Depth=1
	s_or_b64 exec, exec, s[48:49]
	s_andn2_b64 s[54:55], s[46:47], exec
	s_and_b64 s[50:51], s[50:51], exec
	s_mov_b64 s[48:49], -1
	s_mov_b64 s[52:53], 0
	s_or_b64 s[50:51], s[54:55], s[50:51]
                                        ; implicit-def: $vgpr14_vgpr15
.LBB14_706:                             ;   in Loop: Header=BB14_17 Depth=1
	s_andn2_saveexec_b64 s[54:55], vcc
	s_cbranch_execz .LBB14_710
; %bb.707:                              ;   in Loop: Header=BB14_17 Depth=1
	v_cmp_eq_u16_sdwa s[58:59], v7, v37 src0_sel:BYTE_0 src1_sel:DWORD
	s_mov_b64 vcc, s[50:51]
                                        ; implicit-def: $vgpr66
	s_and_saveexec_b64 s[56:57], s[58:59]
	s_cbranch_execz .LBB14_709
; %bb.708:                              ;   in Loop: Header=BB14_17 Depth=1
	flat_load_ubyte v14, v[14:15]
	s_waitcnt vmcnt(0) lgkmcnt(0)
	v_cmp_ne_u16_e32 vcc, 0, v14
	v_cndmask_b32_e64 v66, 0, 1.0, vcc
	s_or_b64 vcc, s[50:51], exec
.LBB14_709:                             ;   in Loop: Header=BB14_17 Depth=1
	s_or_b64 exec, exec, s[56:57]
	s_andn2_b64 s[50:51], s[50:51], exec
	s_and_b64 vcc, vcc, exec
	s_andn2_b64 s[52:53], s[52:53], exec
	s_or_b64 s[48:49], s[48:49], exec
	s_or_b64 s[50:51], s[50:51], vcc
.LBB14_710:                             ;   in Loop: Header=BB14_17 Depth=1
	s_or_b64 exec, exec, s[54:55]
	s_and_b64 vcc, s[48:49], exec
	s_andn2_b64 s[46:47], s[46:47], exec
	s_and_b64 s[48:49], s[50:51], exec
	s_and_b64 s[52:53], s[52:53], exec
	s_or_b64 s[46:47], s[46:47], s[48:49]
.LBB14_711:                             ;   in Loop: Header=BB14_17 Depth=1
	s_or_b64 exec, exec, s[44:45]
	s_andn2_b64 s[42:43], s[42:43], exec
	s_and_b64 vcc, vcc, exec
	s_andn2_b64 s[30:31], s[30:31], exec
	s_and_b64 s[44:45], s[52:53], exec
	s_or_b64 s[42:43], s[42:43], vcc
	s_andn2_b64 vcc, s[40:41], exec
	s_and_b64 s[40:41], s[46:47], exec
	s_or_b64 s[30:31], s[30:31], s[44:45]
	s_or_b64 s[40:41], vcc, s[40:41]
.LBB14_712:                             ;   in Loop: Header=BB14_17 Depth=1
	s_or_b64 exec, exec, s[28:29]
	s_and_b64 s[30:31], s[30:31], exec
	s_and_b64 s[28:29], s[42:43], exec
	s_and_b64 vcc, s[40:41], exec
                                        ; implicit-def: $vgpr14_vgpr15
	s_andn2_saveexec_b64 s[38:39], s[38:39]
	s_cbranch_execz .LBB14_553
.LBB14_713:                             ;   in Loop: Header=BB14_17 Depth=1
	v_cmp_gt_i16_sdwa s[40:41], v7, v38 src0_sel:BYTE_0 src1_sel:DWORD
                                        ; implicit-def: $vgpr66
	s_and_saveexec_b64 s[42:43], s[40:41]
	s_xor_b64 s[40:41], exec, s[42:43]
	s_cbranch_execz .LBB14_735
; %bb.714:                              ;   in Loop: Header=BB14_17 Depth=1
	v_cmp_gt_i16_sdwa s[42:43], v7, v39 src0_sel:BYTE_0 src1_sel:DWORD
                                        ; implicit-def: $vgpr66
	s_and_saveexec_b64 s[44:45], s[42:43]
	s_xor_b64 s[42:43], exec, s[44:45]
	s_cbranch_execz .LBB14_724
; %bb.715:                              ;   in Loop: Header=BB14_17 Depth=1
	;; [unrolled: 6-line block ×4, first 2 shown]
	flat_load_dwordx2 v[14:15], v[14:15]
	s_waitcnt vmcnt(0) lgkmcnt(0)
	v_cvt_f32_f64_e32 v66, v[14:15]
                                        ; implicit-def: $vgpr14_vgpr15
.LBB14_718:                             ;   in Loop: Header=BB14_17 Depth=1
	s_andn2_saveexec_b64 s[46:47], s[46:47]
	s_cbranch_execz .LBB14_720
; %bb.719:                              ;   in Loop: Header=BB14_17 Depth=1
	flat_load_dword v66, v[14:15]
.LBB14_720:                             ;   in Loop: Header=BB14_17 Depth=1
	s_or_b64 exec, exec, s[46:47]
                                        ; implicit-def: $vgpr14_vgpr15
.LBB14_721:                             ;   in Loop: Header=BB14_17 Depth=1
	s_andn2_saveexec_b64 s[44:45], s[44:45]
	s_cbranch_execz .LBB14_723
; %bb.722:                              ;   in Loop: Header=BB14_17 Depth=1
	flat_load_dword v14, v[14:15]
	s_waitcnt vmcnt(0) lgkmcnt(0)
	v_cvt_f32_f16_e32 v66, v14
.LBB14_723:                             ;   in Loop: Header=BB14_17 Depth=1
	s_or_b64 exec, exec, s[44:45]
                                        ; implicit-def: $vgpr14_vgpr15
.LBB14_724:                             ;   in Loop: Header=BB14_17 Depth=1
	s_andn2_saveexec_b64 s[42:43], s[42:43]
	s_cbranch_execz .LBB14_734
; %bb.725:                              ;   in Loop: Header=BB14_17 Depth=1
	v_cmp_gt_i16_sdwa s[44:45], v7, v50 src0_sel:BYTE_0 src1_sel:DWORD
                                        ; implicit-def: $vgpr66
	s_and_saveexec_b64 s[46:47], s[44:45]
	s_xor_b64 s[44:45], exec, s[46:47]
	s_cbranch_execz .LBB14_731
; %bb.726:                              ;   in Loop: Header=BB14_17 Depth=1
	v_cmp_gt_i16_sdwa s[46:47], v7, v51 src0_sel:BYTE_0 src1_sel:DWORD
                                        ; implicit-def: $vgpr66
	s_and_saveexec_b64 s[48:49], s[46:47]
	s_xor_b64 s[46:47], exec, s[48:49]
	s_cbranch_execz .LBB14_728
; %bb.727:                              ;   in Loop: Header=BB14_17 Depth=1
	flat_load_dwordx2 v[14:15], v[14:15]
	s_waitcnt vmcnt(0) lgkmcnt(0)
	v_cvt_f32_f64_e32 v66, v[14:15]
                                        ; implicit-def: $vgpr14_vgpr15
.LBB14_728:                             ;   in Loop: Header=BB14_17 Depth=1
	s_andn2_saveexec_b64 s[46:47], s[46:47]
	s_cbranch_execz .LBB14_730
; %bb.729:                              ;   in Loop: Header=BB14_17 Depth=1
	s_waitcnt vmcnt(0) lgkmcnt(0)
	flat_load_dword v66, v[14:15]
.LBB14_730:                             ;   in Loop: Header=BB14_17 Depth=1
	s_or_b64 exec, exec, s[46:47]
                                        ; implicit-def: $vgpr14_vgpr15
.LBB14_731:                             ;   in Loop: Header=BB14_17 Depth=1
	s_andn2_saveexec_b64 s[44:45], s[44:45]
	s_cbranch_execz .LBB14_733
; %bb.732:                              ;   in Loop: Header=BB14_17 Depth=1
	flat_load_ushort v14, v[14:15]
	s_waitcnt vmcnt(0) lgkmcnt(0)
	v_cvt_f32_f16_e32 v66, v14
.LBB14_733:                             ;   in Loop: Header=BB14_17 Depth=1
	s_or_b64 exec, exec, s[44:45]
.LBB14_734:                             ;   in Loop: Header=BB14_17 Depth=1
	s_or_b64 exec, exec, s[42:43]
                                        ; implicit-def: $vgpr14_vgpr15
.LBB14_735:                             ;   in Loop: Header=BB14_17 Depth=1
	s_andn2_saveexec_b64 s[40:41], s[40:41]
	s_cbranch_execz .LBB14_753
; %bb.736:                              ;   in Loop: Header=BB14_17 Depth=1
	v_cmp_gt_i16_sdwa s[42:43], v7, v52 src0_sel:BYTE_0 src1_sel:DWORD
                                        ; implicit-def: $vgpr66
	s_and_saveexec_b64 s[44:45], s[42:43]
	s_xor_b64 s[42:43], exec, s[44:45]
	s_cbranch_execz .LBB14_746
; %bb.737:                              ;   in Loop: Header=BB14_17 Depth=1
	v_cmp_gt_i16_sdwa s[44:45], v7, v53 src0_sel:BYTE_0 src1_sel:DWORD
                                        ; implicit-def: $vgpr66
	s_and_saveexec_b64 s[46:47], s[44:45]
	s_xor_b64 s[44:45], exec, s[46:47]
	;; [unrolled: 6-line block ×3, first 2 shown]
	s_cbranch_execz .LBB14_740
; %bb.739:                              ;   in Loop: Header=BB14_17 Depth=1
	flat_load_dwordx2 v[14:15], v[14:15]
	s_waitcnt vmcnt(0) lgkmcnt(0)
	v_xor_b32_e32 v66, v14, v15
	v_ffbh_i32_e32 v65, v15
	v_ashrrev_i32_e32 v66, 31, v66
	v_add_u32_e32 v65, -1, v65
	v_add_u32_e32 v66, 32, v66
	v_min_u32_e32 v65, v65, v66
	v_lshlrev_b64 v[14:15], v65, v[14:15]
	v_min_u32_e32 v14, 1, v14
	v_or_b32_e32 v14, v15, v14
	v_cvt_f32_i32_e32 v14, v14
	v_sub_u32_e32 v15, 32, v65
	v_ldexp_f32 v66, v14, v15
                                        ; implicit-def: $vgpr14_vgpr15
.LBB14_740:                             ;   in Loop: Header=BB14_17 Depth=1
	s_andn2_saveexec_b64 s[46:47], s[46:47]
	s_cbranch_execz .LBB14_742
; %bb.741:                              ;   in Loop: Header=BB14_17 Depth=1
	flat_load_dword v14, v[14:15]
	s_waitcnt vmcnt(0) lgkmcnt(0)
	v_cvt_f32_i32_e32 v66, v14
.LBB14_742:                             ;   in Loop: Header=BB14_17 Depth=1
	s_or_b64 exec, exec, s[46:47]
                                        ; implicit-def: $vgpr14_vgpr15
.LBB14_743:                             ;   in Loop: Header=BB14_17 Depth=1
	s_andn2_saveexec_b64 s[44:45], s[44:45]
	s_cbranch_execz .LBB14_745
; %bb.744:                              ;   in Loop: Header=BB14_17 Depth=1
	flat_load_sshort v14, v[14:15]
	s_waitcnt vmcnt(0) lgkmcnt(0)
	v_cvt_f32_i32_e32 v66, v14
.LBB14_745:                             ;   in Loop: Header=BB14_17 Depth=1
	s_or_b64 exec, exec, s[44:45]
                                        ; implicit-def: $vgpr14_vgpr15
.LBB14_746:                             ;   in Loop: Header=BB14_17 Depth=1
	s_andn2_saveexec_b64 s[42:43], s[42:43]
	s_cbranch_execz .LBB14_752
; %bb.747:                              ;   in Loop: Header=BB14_17 Depth=1
	v_cmp_gt_i16_sdwa s[44:45], v7, v16 src0_sel:BYTE_0 src1_sel:DWORD
                                        ; implicit-def: $vgpr66
	s_and_saveexec_b64 s[46:47], s[44:45]
	s_xor_b64 s[44:45], exec, s[46:47]
	s_cbranch_execz .LBB14_749
; %bb.748:                              ;   in Loop: Header=BB14_17 Depth=1
	flat_load_sbyte v14, v[14:15]
	s_waitcnt vmcnt(0) lgkmcnt(0)
	v_cvt_f32_i32_e32 v66, v14
                                        ; implicit-def: $vgpr14_vgpr15
.LBB14_749:                             ;   in Loop: Header=BB14_17 Depth=1
	s_andn2_saveexec_b64 s[44:45], s[44:45]
	s_cbranch_execz .LBB14_751
; %bb.750:                              ;   in Loop: Header=BB14_17 Depth=1
	flat_load_ubyte v14, v[14:15]
	s_waitcnt vmcnt(0) lgkmcnt(0)
	v_cvt_f32_ubyte0_e32 v66, v14
.LBB14_751:                             ;   in Loop: Header=BB14_17 Depth=1
	s_or_b64 exec, exec, s[44:45]
.LBB14_752:                             ;   in Loop: Header=BB14_17 Depth=1
	s_or_b64 exec, exec, s[42:43]
.LBB14_753:                             ;   in Loop: Header=BB14_17 Depth=1
	s_or_b64 exec, exec, s[40:41]
	s_andn2_b64 s[30:31], s[30:31], exec
	s_andn2_b64 s[28:29], s[28:29], exec
	s_or_b64 vcc, vcc, exec
	s_or_b64 exec, exec, s[38:39]
	s_mov_b64 s[40:41], 0
	s_and_saveexec_b64 s[38:39], vcc
	s_cbranch_execz .LBB14_759
.LBB14_754:                             ;   in Loop: Header=BB14_17 Depth=1
	v_mul_lo_u32 v14, v64, v10
	v_readlane_b32 s40, v44, 0
	v_add_co_u32_e32 v14, vcc, v4, v14
	v_add_u32_e32 v65, s40, v17
	v_addc_co_u32_e32 v15, vcc, 0, v5, vcc
	v_cmp_gt_i16_sdwa s[40:41], v8, v18 src0_sel:BYTE_0 src1_sel:DWORD
	s_mov_b64 s[44:45], 0
	s_waitcnt vmcnt(0) lgkmcnt(0)
	buffer_store_dword v66, v65, s[0:3], 0 offen offset:28
                                        ; implicit-def: $vcc
                                        ; implicit-def: $sgpr42_sgpr43
                                        ; implicit-def: $vgpr64
	s_and_saveexec_b64 s[46:47], s[40:41]
	s_xor_b64 s[40:41], exec, s[46:47]
	s_cbranch_execnz .LBB14_769
; %bb.755:                              ;   in Loop: Header=BB14_17 Depth=1
	s_andn2_saveexec_b64 s[40:41], s[40:41]
	s_cbranch_execnz .LBB14_828
.LBB14_756:                             ;   in Loop: Header=BB14_17 Depth=1
	s_or_b64 exec, exec, s[40:41]
	s_mov_b64 s[40:41], 0
	s_and_saveexec_b64 s[46:47], s[44:45]
	s_cbranch_execz .LBB14_758
.LBB14_757:                             ;   in Loop: Header=BB14_17 Depth=1
	s_mov_b64 s[40:41], exec
	v_add_u32_e32 v55, 0x200, v55
	s_andn2_b64 s[42:43], s[42:43], exec
	s_andn2_b64 vcc, vcc, exec
	s_waitcnt vmcnt(0) lgkmcnt(0)
	buffer_store_dword v64, v65, s[0:3], 0 offen offset:24
.LBB14_758:                             ;   in Loop: Header=BB14_17 Depth=1
	s_or_b64 exec, exec, s[46:47]
	s_andn2_b64 s[30:31], s[30:31], exec
	s_and_b64 s[42:43], s[42:43], exec
	s_andn2_b64 s[28:29], s[28:29], exec
	s_and_b64 vcc, vcc, exec
	s_or_b64 s[30:31], s[30:31], s[42:43]
	s_or_b64 s[28:29], s[28:29], vcc
	s_and_b64 s[40:41], s[40:41], exec
.LBB14_759:                             ;   in Loop: Header=BB14_17 Depth=1
	s_or_b64 exec, exec, s[38:39]
	s_and_b64 s[30:31], s[30:31], exec
	s_and_b64 s[28:29], s[28:29], exec
	s_orn2_b64 s[38:39], s[40:41], exec
.LBB14_760:                             ;   in Loop: Header=BB14_17 Depth=1
	s_or_b64 exec, exec, s[34:35]
	s_and_saveexec_b64 s[34:35], s[38:39]
	s_cbranch_execz .LBB14_13
; %bb.761:                              ;   in Loop: Header=BB14_17 Depth=1
	v_cmp_lt_i32_e32 vcc, v55, v6
	s_mov_b64 s[42:43], -1
	s_mov_b64 s[44:45], -1
                                        ; implicit-def: $sgpr36_sgpr37
                                        ; implicit-def: $sgpr38_sgpr39
	s_and_saveexec_b64 s[40:41], vcc
	s_cbranch_execz .LBB14_975
; %bb.762:                              ;   in Loop: Header=BB14_17 Depth=1
	v_readlane_b32 vcc_lo, v44, 1
	s_waitcnt vmcnt(0) lgkmcnt(0)
	v_add_u32_e32 v64, vcc_lo, v55
	v_mul_lo_u32 v14, v64, v9
	v_add_co_u32_e32 v14, vcc, v2, v14
	v_addc_co_u32_e32 v15, vcc, 0, v3, vcc
	v_cmp_gt_i16_sdwa s[44:45], v7, v18 src0_sel:BYTE_0 src1_sel:DWORD
	s_mov_b64 vcc, 0
                                        ; implicit-def: $sgpr36_sgpr37
                                        ; implicit-def: $sgpr38_sgpr39
                                        ; implicit-def: $vgpr66
	s_and_saveexec_b64 s[46:47], s[44:45]
	s_xor_b64 s[44:45], exec, s[46:47]
	s_cbranch_execnz .LBB14_869
; %bb.763:                              ;   in Loop: Header=BB14_17 Depth=1
	s_andn2_saveexec_b64 s[44:45], s[44:45]
	s_cbranch_execnz .LBB14_928
.LBB14_764:                             ;   in Loop: Header=BB14_17 Depth=1
	s_or_b64 exec, exec, s[44:45]
	s_mov_b64 s[46:47], 0
	s_and_saveexec_b64 s[44:45], vcc
	s_cbranch_execnz .LBB14_969
	s_branch .LBB14_974
.LBB14_765:                             ;   in Loop: Header=BB14_17 Depth=1
	s_movk_i32 vcc_lo, 0x80
	v_cmp_eq_u16_e32 vcc, vcc_lo, v14
	s_mov_b64 s[34:35], -1
                                        ; implicit-def: $sgpr40
	s_and_saveexec_b64 s[38:39], vcc
; %bb.766:                              ;   in Loop: Header=BB14_17 Depth=1
	s_mov_b32 s40, 0x7f800001
	s_xor_b64 s[34:35], exec, -1
; %bb.767:                              ;   in Loop: Header=BB14_17 Depth=1
	s_or_b64 exec, exec, s[38:39]
	s_and_b64 s[34:35], s[34:35], exec
	s_or_saveexec_b64 s[36:37], s[36:37]
	v_mov_b32_e32 v66, s40
	s_xor_b64 exec, exec, s[36:37]
	s_cbranch_execz .LBB14_48
.LBB14_768:                             ;   in Loop: Header=BB14_17 Depth=1
	v_cmp_ne_u16_e32 vcc, 0, v14
	s_andn2_b64 s[34:35], s[34:35], exec
	s_and_b64 vcc, vcc, exec
	v_mov_b32_e32 v66, 0
	s_or_b64 s[34:35], s[34:35], vcc
	s_or_b64 exec, exec, s[36:37]
	s_and_saveexec_b64 s[36:37], s[34:35]
	s_cbranch_execnz .LBB14_49
	s_branch .LBB14_50
.LBB14_769:                             ;   in Loop: Header=BB14_17 Depth=1
	v_cmp_gt_i16_sdwa vcc, v8, v19 src0_sel:BYTE_0 src1_sel:DWORD
                                        ; implicit-def: $sgpr46_sgpr47
                                        ; implicit-def: $sgpr48_sgpr49
                                        ; implicit-def: $vgpr64
	s_and_saveexec_b64 s[42:43], vcc
	s_xor_b64 s[42:43], exec, s[42:43]
	s_cbranch_execz .LBB14_801
; %bb.770:                              ;   in Loop: Header=BB14_17 Depth=1
	v_cmp_gt_i16_sdwa vcc, v8, v20 src0_sel:BYTE_0 src1_sel:DWORD
                                        ; implicit-def: $sgpr46_sgpr47
                                        ; implicit-def: $sgpr50_sgpr51
                                        ; implicit-def: $vgpr64
	s_and_saveexec_b64 s[48:49], vcc
	s_xor_b64 s[48:49], exec, s[48:49]
	s_cbranch_execz .LBB14_786
; %bb.771:                              ;   in Loop: Header=BB14_17 Depth=1
	v_cmp_gt_i16_sdwa s[44:45], v8, v21 src0_sel:BYTE_0 src1_sel:DWORD
	s_mov_b64 s[52:53], 0
                                        ; implicit-def: $vcc
                                        ; implicit-def: $sgpr50_sgpr51
                                        ; implicit-def: $vgpr64
	s_and_saveexec_b64 s[46:47], s[44:45]
	s_xor_b64 s[44:45], exec, s[46:47]
	s_cbranch_execz .LBB14_781
; %bb.772:                              ;   in Loop: Header=BB14_17 Depth=1
	v_cmp_gt_i16_sdwa vcc, v8, v22 src0_sel:BYTE_0 src1_sel:DWORD
                                        ; implicit-def: $sgpr50_sgpr51
                                        ; implicit-def: $sgpr46_sgpr47
                                        ; implicit-def: $vgpr64
	s_and_saveexec_b64 s[54:55], vcc
	s_xor_b64 vcc, exec, s[54:55]
	s_cbranch_execz .LBB14_776
; %bb.773:                              ;   in Loop: Header=BB14_17 Depth=1
	v_cmp_eq_u16_sdwa s[54:55], v8, v23 src0_sel:BYTE_0 src1_sel:DWORD
	s_mov_b64 s[46:47], 0
                                        ; implicit-def: $vgpr64
	s_and_saveexec_b64 s[50:51], s[54:55]
	s_cbranch_execz .LBB14_775
; %bb.774:                              ;   in Loop: Header=BB14_17 Depth=1
	flat_load_dword v14, v[14:15]
	s_mov_b64 s[52:53], exec
	s_waitcnt vmcnt(0) lgkmcnt(0)
	v_lshlrev_b32_e32 v64, 16, v14
.LBB14_775:                             ;   in Loop: Header=BB14_17 Depth=1
	s_or_b64 exec, exec, s[50:51]
	s_mov_b64 s[50:51], -1
	s_and_b64 s[52:53], s[52:53], exec
                                        ; implicit-def: $vgpr14_vgpr15
.LBB14_776:                             ;   in Loop: Header=BB14_17 Depth=1
	s_andn2_saveexec_b64 s[54:55], vcc
	s_cbranch_execz .LBB14_780
; %bb.777:                              ;   in Loop: Header=BB14_17 Depth=1
	v_cmp_eq_u16_sdwa s[58:59], v8, v24 src0_sel:BYTE_0 src1_sel:DWORD
	s_mov_b64 vcc, s[52:53]
                                        ; implicit-def: $vgpr64
	s_and_saveexec_b64 s[56:57], s[58:59]
	s_cbranch_execz .LBB14_779
; %bb.778:                              ;   in Loop: Header=BB14_17 Depth=1
	flat_load_ubyte v14, v[14:15]
	s_movk_i32 vcc_lo, 0xff
	s_waitcnt vmcnt(0) lgkmcnt(0)
	v_lshlrev_b32_e32 v15, 23, v14
	v_cmp_ne_u32_e32 vcc, vcc_lo, v14
	v_cndmask_b32_e32 v15, v25, v15, vcc
	v_cmp_ne_u32_e32 vcc, 0, v14
	v_cndmask_b32_e32 v64, v26, v15, vcc
	s_or_b64 vcc, s[52:53], exec
.LBB14_779:                             ;   in Loop: Header=BB14_17 Depth=1
	s_or_b64 exec, exec, s[56:57]
	s_andn2_b64 s[52:53], s[52:53], exec
	s_and_b64 vcc, vcc, exec
	s_or_b64 s[50:51], s[50:51], exec
	s_andn2_b64 s[46:47], s[46:47], exec
	s_or_b64 s[52:53], s[52:53], vcc
.LBB14_780:                             ;   in Loop: Header=BB14_17 Depth=1
	s_or_b64 exec, exec, s[54:55]
	s_and_b64 s[50:51], s[50:51], exec
	s_and_b64 vcc, s[46:47], exec
	s_and_b64 s[52:53], s[52:53], exec
                                        ; implicit-def: $vgpr14_vgpr15
.LBB14_781:                             ;   in Loop: Header=BB14_17 Depth=1
	s_andn2_saveexec_b64 s[44:45], s[44:45]
	s_cbranch_execz .LBB14_785
; %bb.782:                              ;   in Loop: Header=BB14_17 Depth=1
	v_cmp_eq_u16_sdwa s[56:57], v8, v27 src0_sel:BYTE_0 src1_sel:DWORD
	s_mov_b64 s[54:55], s[52:53]
                                        ; implicit-def: $vgpr64
	s_and_saveexec_b64 s[46:47], s[56:57]
	s_cbranch_execz .LBB14_784
; %bb.783:                              ;   in Loop: Header=BB14_17 Depth=1
	flat_load_dwordx2 v[14:15], v[14:15]
	s_or_b64 s[54:55], s[52:53], exec
	s_waitcnt vmcnt(0) lgkmcnt(0)
	v_ffbh_u32_e32 v64, v15
	v_min_u32_e32 v64, 32, v64
	v_lshlrev_b64 v[14:15], v64, v[14:15]
	v_min_u32_e32 v14, 1, v14
	v_or_b32_e32 v14, v15, v14
	v_cvt_f32_u32_e32 v14, v14
	v_sub_u32_e32 v15, 32, v64
	v_ldexp_f32 v64, v14, v15
.LBB14_784:                             ;   in Loop: Header=BB14_17 Depth=1
	s_or_b64 exec, exec, s[46:47]
	s_andn2_b64 s[46:47], s[52:53], exec
	s_and_b64 s[52:53], s[54:55], exec
	s_or_b64 s[50:51], s[50:51], exec
	s_andn2_b64 vcc, vcc, exec
	s_or_b64 s[52:53], s[46:47], s[52:53]
.LBB14_785:                             ;   in Loop: Header=BB14_17 Depth=1
	s_or_b64 exec, exec, s[44:45]
	s_and_b64 s[50:51], s[50:51], exec
	s_and_b64 s[46:47], vcc, exec
	s_and_b64 s[44:45], s[52:53], exec
                                        ; implicit-def: $vgpr14_vgpr15
.LBB14_786:                             ;   in Loop: Header=BB14_17 Depth=1
	s_andn2_saveexec_b64 s[48:49], s[48:49]
	s_cbranch_execz .LBB14_800
; %bb.787:                              ;   in Loop: Header=BB14_17 Depth=1
	v_cmp_gt_i16_sdwa vcc, v8, v28 src0_sel:BYTE_0 src1_sel:DWORD
                                        ; implicit-def: $vgpr64
	s_and_saveexec_b64 s[52:53], vcc
	s_xor_b64 vcc, exec, s[52:53]
	s_cbranch_execz .LBB14_793
; %bb.788:                              ;   in Loop: Header=BB14_17 Depth=1
	v_cmp_gt_i16_sdwa s[52:53], v8, v29 src0_sel:BYTE_0 src1_sel:DWORD
                                        ; implicit-def: $vgpr64
	s_and_saveexec_b64 s[54:55], s[52:53]
	s_xor_b64 s[52:53], exec, s[54:55]
	s_cbranch_execz .LBB14_790
; %bb.789:                              ;   in Loop: Header=BB14_17 Depth=1
	flat_load_dword v14, v[14:15]
	s_waitcnt vmcnt(0) lgkmcnt(0)
	v_cvt_f32_u32_e32 v64, v14
                                        ; implicit-def: $vgpr14_vgpr15
.LBB14_790:                             ;   in Loop: Header=BB14_17 Depth=1
	s_andn2_saveexec_b64 s[52:53], s[52:53]
	s_cbranch_execz .LBB14_792
; %bb.791:                              ;   in Loop: Header=BB14_17 Depth=1
	flat_load_ushort v14, v[14:15]
	s_waitcnt vmcnt(0) lgkmcnt(0)
	v_cvt_f32_u32_e32 v64, v14
.LBB14_792:                             ;   in Loop: Header=BB14_17 Depth=1
	s_or_b64 exec, exec, s[52:53]
                                        ; implicit-def: $vgpr14_vgpr15
.LBB14_793:                             ;   in Loop: Header=BB14_17 Depth=1
	s_andn2_saveexec_b64 s[52:53], vcc
	s_cbranch_execz .LBB14_799
; %bb.794:                              ;   in Loop: Header=BB14_17 Depth=1
	flat_load_ubyte v14, v[14:15]
	s_movk_i32 vcc_lo, 0x7f
	s_mov_b64 s[54:55], 0
                                        ; implicit-def: $sgpr60
	s_waitcnt vmcnt(0) lgkmcnt(0)
	v_cmp_lt_i16_e32 vcc, vcc_lo, v14
	s_and_saveexec_b64 s[56:57], vcc
	s_xor_b64 s[56:57], exec, s[56:57]
	s_cbranch_execnz .LBB14_1665
; %bb.795:                              ;   in Loop: Header=BB14_17 Depth=1
	s_or_saveexec_b64 s[56:57], s[56:57]
	v_mov_b32_e32 v64, s60
	s_xor_b64 exec, exec, s[56:57]
	s_cbranch_execnz .LBB14_1668
.LBB14_796:                             ;   in Loop: Header=BB14_17 Depth=1
	s_or_b64 exec, exec, s[56:57]
	s_and_saveexec_b64 s[56:57], s[54:55]
	s_cbranch_execz .LBB14_798
.LBB14_797:                             ;   in Loop: Header=BB14_17 Depth=1
	v_lshlrev_b32_e32 v15, 24, v14
	v_and_b32_e32 v14, 0xffff, v14
	v_and_b32_e32 v64, 7, v14
	v_ffbh_u32_e32 v67, v64
	v_min_u32_e32 v67, 32, v67
	v_subrev_u32_e32 v68, 28, v67
	v_bfe_u32 v66, v14, 3, 4
	v_lshlrev_b32_e32 v14, v68, v14
	v_sub_u32_e32 v67, 29, v67
	v_and_b32_e32 v14, 7, v14
	v_cmp_eq_u32_e32 vcc, 0, v66
	v_cndmask_b32_e32 v66, v66, v67, vcc
	v_cndmask_b32_e32 v14, v64, v14, vcc
	v_lshlrev_b32_e32 v14, 20, v14
	v_and_b32_e32 v15, 0x80000000, v15
	v_lshl_add_u32 v64, v66, 23, v30
	v_or3_b32 v64, v15, v64, v14
.LBB14_798:                             ;   in Loop: Header=BB14_17 Depth=1
	s_or_b64 exec, exec, s[56:57]
.LBB14_799:                             ;   in Loop: Header=BB14_17 Depth=1
	s_or_b64 exec, exec, s[52:53]
	s_andn2_b64 s[50:51], s[50:51], exec
	s_andn2_b64 s[46:47], s[46:47], exec
	s_or_b64 s[44:45], s[44:45], exec
.LBB14_800:                             ;   in Loop: Header=BB14_17 Depth=1
	s_or_b64 exec, exec, s[48:49]
	s_and_b64 s[48:49], s[50:51], exec
	s_and_b64 s[46:47], s[46:47], exec
	;; [unrolled: 1-line block ×3, first 2 shown]
                                        ; implicit-def: $vgpr14_vgpr15
.LBB14_801:                             ;   in Loop: Header=BB14_17 Depth=1
	s_andn2_saveexec_b64 s[42:43], s[42:43]
	s_cbranch_execz .LBB14_827
; %bb.802:                              ;   in Loop: Header=BB14_17 Depth=1
	v_cmp_gt_i16_sdwa vcc, v8, v31 src0_sel:BYTE_0 src1_sel:DWORD
	s_mov_b64 s[52:53], s[44:45]
                                        ; implicit-def: $vgpr64
	s_and_saveexec_b64 s[50:51], vcc
	s_xor_b64 s[50:51], exec, s[50:51]
	s_cbranch_execz .LBB14_816
; %bb.803:                              ;   in Loop: Header=BB14_17 Depth=1
	v_cmp_gt_i16_sdwa vcc, v8, v32 src0_sel:BYTE_0 src1_sel:DWORD
                                        ; implicit-def: $vgpr64
	s_and_saveexec_b64 s[52:53], vcc
	s_xor_b64 s[52:53], exec, s[52:53]
	s_cbranch_execz .LBB14_813
; %bb.804:                              ;   in Loop: Header=BB14_17 Depth=1
	v_cmp_gt_i16_sdwa vcc, v8, v33 src0_sel:BYTE_0 src1_sel:DWORD
                                        ; implicit-def: $vgpr64
	s_and_saveexec_b64 s[54:55], vcc
	s_xor_b64 s[54:55], exec, s[54:55]
	s_cbranch_execz .LBB14_810
; %bb.805:                              ;   in Loop: Header=BB14_17 Depth=1
	flat_load_ubyte v14, v[14:15]
	s_movk_i32 vcc_lo, 0x7f
	s_mov_b64 s[56:57], 0
                                        ; implicit-def: $sgpr62
	s_waitcnt vmcnt(0) lgkmcnt(0)
	v_cmp_lt_i16_e32 vcc, vcc_lo, v14
	s_and_saveexec_b64 s[58:59], vcc
	s_xor_b64 s[58:59], exec, s[58:59]
	s_cbranch_execnz .LBB14_1884
; %bb.806:                              ;   in Loop: Header=BB14_17 Depth=1
	s_or_saveexec_b64 s[58:59], s[58:59]
	v_mov_b32_e32 v64, s62
	s_xor_b64 exec, exec, s[58:59]
	s_cbranch_execnz .LBB14_1887
.LBB14_807:                             ;   in Loop: Header=BB14_17 Depth=1
	s_or_b64 exec, exec, s[58:59]
	s_and_saveexec_b64 s[58:59], s[56:57]
	s_cbranch_execz .LBB14_809
.LBB14_808:                             ;   in Loop: Header=BB14_17 Depth=1
	v_lshlrev_b32_e32 v15, 24, v14
	v_and_b32_e32 v14, 0xffff, v14
	v_and_b32_e32 v64, 3, v14
	v_ffbh_u32_e32 v67, v64
	v_min_u32_e32 v67, 32, v67
	v_subrev_u32_e32 v68, 29, v67
	v_bfe_u32 v66, v14, 2, 5
	v_lshlrev_b32_e32 v14, v68, v14
	v_sub_u32_e32 v67, 30, v67
	v_and_b32_e32 v14, 3, v14
	v_cmp_eq_u32_e32 vcc, 0, v66
	v_cndmask_b32_e32 v66, v66, v67, vcc
	v_cndmask_b32_e32 v14, v64, v14, vcc
	v_lshlrev_b32_e32 v14, 21, v14
	v_and_b32_e32 v15, 0x80000000, v15
	v_lshl_add_u32 v64, v66, 23, v34
	v_or3_b32 v64, v15, v64, v14
.LBB14_809:                             ;   in Loop: Header=BB14_17 Depth=1
	s_or_b64 exec, exec, s[58:59]
                                        ; implicit-def: $vgpr14_vgpr15
.LBB14_810:                             ;   in Loop: Header=BB14_17 Depth=1
	s_andn2_saveexec_b64 s[54:55], s[54:55]
	s_cbranch_execz .LBB14_812
; %bb.811:                              ;   in Loop: Header=BB14_17 Depth=1
	flat_load_ubyte v14, v[14:15]
	s_mov_b32 vcc_lo, 0x7f800000
	s_waitcnt vmcnt(0) lgkmcnt(0)
	v_lshlrev_b32_e32 v14, 24, v14
	v_and_b32_e32 v15, 0x7f000000, v14
	v_ffbh_u32_e32 v64, v15
	v_min_u32_e32 v64, 32, v64
	v_sub_u32_e64 v64, v64, 4 clamp
	v_lshlrev_b32_e32 v67, v64, v15
	v_lshlrev_b32_e32 v64, 23, v64
	v_lshrrev_b32_e32 v67, 4, v67
	v_add_u32_e32 v66, 0x1000000, v15
	v_sub_u32_e32 v64, v67, v64
	v_ashrrev_i32_e32 v66, 8, v66
	v_add_u32_e32 v64, 0x3c000000, v64
	v_and_or_b32 v64, v66, vcc_lo, v64
	v_cmp_ne_u32_e32 vcc, 0, v15
	v_cndmask_b32_e32 v15, 0, v64, vcc
	s_brev_b32 vcc_lo, 1
	v_and_or_b32 v64, v14, vcc_lo, v15
.LBB14_812:                             ;   in Loop: Header=BB14_17 Depth=1
	s_or_b64 exec, exec, s[54:55]
                                        ; implicit-def: $vgpr14_vgpr15
.LBB14_813:                             ;   in Loop: Header=BB14_17 Depth=1
	s_andn2_saveexec_b64 s[52:53], s[52:53]
	s_cbranch_execz .LBB14_815
; %bb.814:                              ;   in Loop: Header=BB14_17 Depth=1
	flat_load_ubyte v14, v[14:15]
	s_movk_i32 vcc_lo, 0x7f00
	s_waitcnt vmcnt(0) lgkmcnt(0)
	v_lshlrev_b16_e32 v15, 8, v14
	v_lshlrev_b32_e32 v14, 25, v14
	v_lshrrev_b32_e32 v64, 4, v14
	v_and_or_b32 v66, v15, vcc_lo, 0.5
	v_or_b32_e32 v64, 0x70000000, v64
	s_brev_b32 vcc_lo, 16
	v_add_f32_e32 v66, -0.5, v66
	v_mul_f32_e32 v64, 0x7800000, v64
	v_cmp_gt_u32_e32 vcc, vcc_lo, v14
	v_cndmask_b32_e32 v14, v64, v66, vcc
	v_bfe_i32 v15, v15, 0, 16
	s_brev_b32 vcc_lo, 1
	v_and_or_b32 v64, v15, vcc_lo, v14
.LBB14_815:                             ;   in Loop: Header=BB14_17 Depth=1
	s_or_b64 exec, exec, s[52:53]
	s_or_b64 s[52:53], s[44:45], exec
                                        ; implicit-def: $vgpr14_vgpr15
.LBB14_816:                             ;   in Loop: Header=BB14_17 Depth=1
	s_or_saveexec_b64 s[50:51], s[50:51]
                                        ; implicit-def: $vcc
                                        ; implicit-def: $sgpr58_sgpr59
	s_xor_b64 exec, exec, s[50:51]
	s_cbranch_execz .LBB14_826
; %bb.817:                              ;   in Loop: Header=BB14_17 Depth=1
	v_cmp_gt_i16_sdwa vcc, v8, v35 src0_sel:BYTE_0 src1_sel:DWORD
	s_mov_b64 s[56:57], s[52:53]
                                        ; implicit-def: $sgpr58_sgpr59
                                        ; implicit-def: $sgpr54_sgpr55
                                        ; implicit-def: $vgpr64
	s_and_saveexec_b64 s[60:61], vcc
	s_xor_b64 vcc, exec, s[60:61]
	s_cbranch_execz .LBB14_821
; %bb.818:                              ;   in Loop: Header=BB14_17 Depth=1
	v_cmp_eq_u16_sdwa s[58:59], v8, v36 src0_sel:BYTE_0 src1_sel:DWORD
	s_mov_b64 s[56:57], s[52:53]
                                        ; implicit-def: $vgpr64
	s_and_saveexec_b64 s[54:55], s[58:59]
	s_cbranch_execz .LBB14_820
; %bb.819:                              ;   in Loop: Header=BB14_17 Depth=1
	flat_load_ushort v14, v[14:15]
	s_or_b64 s[56:57], s[52:53], exec
	s_waitcnt vmcnt(0) lgkmcnt(0)
	v_lshlrev_b32_e32 v64, 16, v14
.LBB14_820:                             ;   in Loop: Header=BB14_17 Depth=1
	s_or_b64 exec, exec, s[54:55]
	s_andn2_b64 s[60:61], s[52:53], exec
	s_and_b64 s[56:57], s[56:57], exec
	s_mov_b64 s[54:55], 0
	s_mov_b64 s[58:59], -1
	s_or_b64 s[56:57], s[60:61], s[56:57]
                                        ; implicit-def: $vgpr14_vgpr15
.LBB14_821:                             ;   in Loop: Header=BB14_17 Depth=1
	s_andn2_saveexec_b64 s[60:61], vcc
	s_cbranch_execz .LBB14_825
; %bb.822:                              ;   in Loop: Header=BB14_17 Depth=1
	v_cmp_eq_u16_sdwa s[64:65], v8, v37 src0_sel:BYTE_0 src1_sel:DWORD
	s_mov_b64 vcc, s[56:57]
                                        ; implicit-def: $vgpr64
	s_and_saveexec_b64 s[62:63], s[64:65]
	s_cbranch_execz .LBB14_824
; %bb.823:                              ;   in Loop: Header=BB14_17 Depth=1
	flat_load_ubyte v14, v[14:15]
	s_waitcnt vmcnt(0) lgkmcnt(0)
	v_cmp_ne_u16_e32 vcc, 0, v14
	v_cndmask_b32_e64 v64, 0, 1.0, vcc
	s_or_b64 vcc, s[56:57], exec
.LBB14_824:                             ;   in Loop: Header=BB14_17 Depth=1
	s_or_b64 exec, exec, s[62:63]
	s_andn2_b64 s[56:57], s[56:57], exec
	s_and_b64 vcc, vcc, exec
	s_or_b64 s[58:59], s[58:59], exec
	s_andn2_b64 s[54:55], s[54:55], exec
	s_or_b64 s[56:57], s[56:57], vcc
.LBB14_825:                             ;   in Loop: Header=BB14_17 Depth=1
	s_or_b64 exec, exec, s[60:61]
	s_and_b64 vcc, s[54:55], exec
	s_andn2_b64 s[52:53], s[52:53], exec
	s_and_b64 s[54:55], s[56:57], exec
	s_and_b64 s[58:59], s[58:59], exec
	s_or_b64 s[52:53], s[52:53], s[54:55]
.LBB14_826:                             ;   in Loop: Header=BB14_17 Depth=1
	s_or_b64 exec, exec, s[50:51]
	s_andn2_b64 s[46:47], s[46:47], exec
	s_and_b64 vcc, vcc, exec
	s_andn2_b64 s[48:49], s[48:49], exec
	s_and_b64 s[50:51], s[58:59], exec
	s_or_b64 s[46:47], s[46:47], vcc
	s_andn2_b64 vcc, s[44:45], exec
	s_and_b64 s[44:45], s[52:53], exec
	s_or_b64 s[48:49], s[48:49], s[50:51]
	s_or_b64 s[44:45], vcc, s[44:45]
.LBB14_827:                             ;   in Loop: Header=BB14_17 Depth=1
	s_or_b64 exec, exec, s[42:43]
	s_and_b64 s[42:43], s[48:49], exec
	s_and_b64 vcc, s[46:47], exec
	s_and_b64 s[44:45], s[44:45], exec
                                        ; implicit-def: $vgpr14_vgpr15
	s_andn2_saveexec_b64 s[40:41], s[40:41]
	s_cbranch_execz .LBB14_756
.LBB14_828:                             ;   in Loop: Header=BB14_17 Depth=1
	v_cmp_gt_i16_sdwa s[46:47], v8, v38 src0_sel:BYTE_0 src1_sel:DWORD
                                        ; implicit-def: $vgpr64
	s_and_saveexec_b64 s[48:49], s[46:47]
	s_xor_b64 s[46:47], exec, s[48:49]
	s_cbranch_execz .LBB14_850
; %bb.829:                              ;   in Loop: Header=BB14_17 Depth=1
	v_cmp_gt_i16_sdwa s[48:49], v8, v39 src0_sel:BYTE_0 src1_sel:DWORD
                                        ; implicit-def: $vgpr64
	s_and_saveexec_b64 s[50:51], s[48:49]
	s_xor_b64 s[48:49], exec, s[50:51]
	s_cbranch_execz .LBB14_839
; %bb.830:                              ;   in Loop: Header=BB14_17 Depth=1
	;; [unrolled: 6-line block ×4, first 2 shown]
	flat_load_dwordx2 v[14:15], v[14:15]
	s_waitcnt vmcnt(0) lgkmcnt(0)
	v_cvt_f32_f64_e32 v64, v[14:15]
                                        ; implicit-def: $vgpr14_vgpr15
.LBB14_833:                             ;   in Loop: Header=BB14_17 Depth=1
	s_andn2_saveexec_b64 s[52:53], s[52:53]
	s_cbranch_execz .LBB14_835
; %bb.834:                              ;   in Loop: Header=BB14_17 Depth=1
	flat_load_dword v64, v[14:15]
.LBB14_835:                             ;   in Loop: Header=BB14_17 Depth=1
	s_or_b64 exec, exec, s[52:53]
                                        ; implicit-def: $vgpr14_vgpr15
.LBB14_836:                             ;   in Loop: Header=BB14_17 Depth=1
	s_andn2_saveexec_b64 s[50:51], s[50:51]
	s_cbranch_execz .LBB14_838
; %bb.837:                              ;   in Loop: Header=BB14_17 Depth=1
	flat_load_dword v14, v[14:15]
	s_waitcnt vmcnt(0) lgkmcnt(0)
	v_cvt_f32_f16_e32 v64, v14
.LBB14_838:                             ;   in Loop: Header=BB14_17 Depth=1
	s_or_b64 exec, exec, s[50:51]
                                        ; implicit-def: $vgpr14_vgpr15
.LBB14_839:                             ;   in Loop: Header=BB14_17 Depth=1
	s_andn2_saveexec_b64 s[48:49], s[48:49]
	s_cbranch_execz .LBB14_849
; %bb.840:                              ;   in Loop: Header=BB14_17 Depth=1
	v_cmp_gt_i16_sdwa s[50:51], v8, v50 src0_sel:BYTE_0 src1_sel:DWORD
                                        ; implicit-def: $vgpr64
	s_and_saveexec_b64 s[52:53], s[50:51]
	s_xor_b64 s[50:51], exec, s[52:53]
	s_cbranch_execz .LBB14_846
; %bb.841:                              ;   in Loop: Header=BB14_17 Depth=1
	v_cmp_gt_i16_sdwa s[52:53], v8, v51 src0_sel:BYTE_0 src1_sel:DWORD
                                        ; implicit-def: $vgpr64
	s_and_saveexec_b64 s[54:55], s[52:53]
	s_xor_b64 s[52:53], exec, s[54:55]
	s_cbranch_execz .LBB14_843
; %bb.842:                              ;   in Loop: Header=BB14_17 Depth=1
	flat_load_dwordx2 v[14:15], v[14:15]
	s_waitcnt vmcnt(0) lgkmcnt(0)
	v_cvt_f32_f64_e32 v64, v[14:15]
                                        ; implicit-def: $vgpr14_vgpr15
.LBB14_843:                             ;   in Loop: Header=BB14_17 Depth=1
	s_andn2_saveexec_b64 s[52:53], s[52:53]
	s_cbranch_execz .LBB14_845
; %bb.844:                              ;   in Loop: Header=BB14_17 Depth=1
	s_waitcnt vmcnt(0) lgkmcnt(0)
	flat_load_dword v64, v[14:15]
.LBB14_845:                             ;   in Loop: Header=BB14_17 Depth=1
	s_or_b64 exec, exec, s[52:53]
                                        ; implicit-def: $vgpr14_vgpr15
.LBB14_846:                             ;   in Loop: Header=BB14_17 Depth=1
	s_andn2_saveexec_b64 s[50:51], s[50:51]
	s_cbranch_execz .LBB14_848
; %bb.847:                              ;   in Loop: Header=BB14_17 Depth=1
	flat_load_ushort v14, v[14:15]
	s_waitcnt vmcnt(0) lgkmcnt(0)
	v_cvt_f32_f16_e32 v64, v14
.LBB14_848:                             ;   in Loop: Header=BB14_17 Depth=1
	s_or_b64 exec, exec, s[50:51]
.LBB14_849:                             ;   in Loop: Header=BB14_17 Depth=1
	s_or_b64 exec, exec, s[48:49]
                                        ; implicit-def: $vgpr14_vgpr15
.LBB14_850:                             ;   in Loop: Header=BB14_17 Depth=1
	s_andn2_saveexec_b64 s[46:47], s[46:47]
	s_cbranch_execz .LBB14_868
; %bb.851:                              ;   in Loop: Header=BB14_17 Depth=1
	v_cmp_gt_i16_sdwa s[48:49], v8, v52 src0_sel:BYTE_0 src1_sel:DWORD
                                        ; implicit-def: $vgpr64
	s_and_saveexec_b64 s[50:51], s[48:49]
	s_xor_b64 s[48:49], exec, s[50:51]
	s_cbranch_execz .LBB14_861
; %bb.852:                              ;   in Loop: Header=BB14_17 Depth=1
	v_cmp_gt_i16_sdwa s[50:51], v8, v53 src0_sel:BYTE_0 src1_sel:DWORD
                                        ; implicit-def: $vgpr64
	s_and_saveexec_b64 s[52:53], s[50:51]
	s_xor_b64 s[50:51], exec, s[52:53]
	;; [unrolled: 6-line block ×3, first 2 shown]
	s_cbranch_execz .LBB14_855
; %bb.854:                              ;   in Loop: Header=BB14_17 Depth=1
	flat_load_dwordx2 v[14:15], v[14:15]
	s_waitcnt vmcnt(0) lgkmcnt(0)
	v_xor_b32_e32 v66, v14, v15
	v_ffbh_i32_e32 v64, v15
	v_ashrrev_i32_e32 v66, 31, v66
	v_add_u32_e32 v64, -1, v64
	v_add_u32_e32 v66, 32, v66
	v_min_u32_e32 v64, v64, v66
	v_lshlrev_b64 v[14:15], v64, v[14:15]
	v_min_u32_e32 v14, 1, v14
	v_or_b32_e32 v14, v15, v14
	v_cvt_f32_i32_e32 v14, v14
	v_sub_u32_e32 v15, 32, v64
	v_ldexp_f32 v64, v14, v15
                                        ; implicit-def: $vgpr14_vgpr15
.LBB14_855:                             ;   in Loop: Header=BB14_17 Depth=1
	s_andn2_saveexec_b64 s[52:53], s[52:53]
	s_cbranch_execz .LBB14_857
; %bb.856:                              ;   in Loop: Header=BB14_17 Depth=1
	flat_load_dword v14, v[14:15]
	s_waitcnt vmcnt(0) lgkmcnt(0)
	v_cvt_f32_i32_e32 v64, v14
.LBB14_857:                             ;   in Loop: Header=BB14_17 Depth=1
	s_or_b64 exec, exec, s[52:53]
                                        ; implicit-def: $vgpr14_vgpr15
.LBB14_858:                             ;   in Loop: Header=BB14_17 Depth=1
	s_andn2_saveexec_b64 s[50:51], s[50:51]
	s_cbranch_execz .LBB14_860
; %bb.859:                              ;   in Loop: Header=BB14_17 Depth=1
	flat_load_sshort v14, v[14:15]
	s_waitcnt vmcnt(0) lgkmcnt(0)
	v_cvt_f32_i32_e32 v64, v14
.LBB14_860:                             ;   in Loop: Header=BB14_17 Depth=1
	s_or_b64 exec, exec, s[50:51]
                                        ; implicit-def: $vgpr14_vgpr15
.LBB14_861:                             ;   in Loop: Header=BB14_17 Depth=1
	s_andn2_saveexec_b64 s[48:49], s[48:49]
	s_cbranch_execz .LBB14_867
; %bb.862:                              ;   in Loop: Header=BB14_17 Depth=1
	v_cmp_gt_i16_sdwa s[50:51], v8, v16 src0_sel:BYTE_0 src1_sel:DWORD
                                        ; implicit-def: $vgpr64
	s_and_saveexec_b64 s[52:53], s[50:51]
	s_xor_b64 s[50:51], exec, s[52:53]
	s_cbranch_execz .LBB14_864
; %bb.863:                              ;   in Loop: Header=BB14_17 Depth=1
	flat_load_sbyte v14, v[14:15]
	s_waitcnt vmcnt(0) lgkmcnt(0)
	v_cvt_f32_i32_e32 v64, v14
                                        ; implicit-def: $vgpr14_vgpr15
.LBB14_864:                             ;   in Loop: Header=BB14_17 Depth=1
	s_andn2_saveexec_b64 s[50:51], s[50:51]
	s_cbranch_execz .LBB14_866
; %bb.865:                              ;   in Loop: Header=BB14_17 Depth=1
	flat_load_ubyte v14, v[14:15]
	s_waitcnt vmcnt(0) lgkmcnt(0)
	v_cvt_f32_ubyte0_e32 v64, v14
.LBB14_866:                             ;   in Loop: Header=BB14_17 Depth=1
	s_or_b64 exec, exec, s[50:51]
.LBB14_867:                             ;   in Loop: Header=BB14_17 Depth=1
	s_or_b64 exec, exec, s[48:49]
.LBB14_868:                             ;   in Loop: Header=BB14_17 Depth=1
	s_or_b64 exec, exec, s[46:47]
	s_andn2_b64 s[42:43], s[42:43], exec
	s_andn2_b64 vcc, vcc, exec
	s_or_b64 s[44:45], s[44:45], exec
	s_or_b64 exec, exec, s[40:41]
	s_mov_b64 s[40:41], 0
	s_and_saveexec_b64 s[46:47], s[44:45]
	s_cbranch_execnz .LBB14_757
	s_branch .LBB14_758
.LBB14_869:                             ;   in Loop: Header=BB14_17 Depth=1
	v_cmp_gt_i16_sdwa vcc, v7, v19 src0_sel:BYTE_0 src1_sel:DWORD
	s_mov_b64 s[46:47], 0
                                        ; implicit-def: $sgpr48_sgpr49
                                        ; implicit-def: $sgpr38_sgpr39
                                        ; implicit-def: $vgpr66
	s_and_saveexec_b64 s[36:37], vcc
	s_xor_b64 s[36:37], exec, s[36:37]
	s_cbranch_execz .LBB14_901
; %bb.870:                              ;   in Loop: Header=BB14_17 Depth=1
	v_cmp_gt_i16_sdwa vcc, v7, v20 src0_sel:BYTE_0 src1_sel:DWORD
                                        ; implicit-def: $sgpr48_sgpr49
                                        ; implicit-def: $sgpr50_sgpr51
                                        ; implicit-def: $vgpr66
	s_and_saveexec_b64 s[38:39], vcc
	s_xor_b64 s[38:39], exec, s[38:39]
	s_cbranch_execz .LBB14_886
; %bb.871:                              ;   in Loop: Header=BB14_17 Depth=1
	v_cmp_gt_i16_sdwa s[46:47], v7, v21 src0_sel:BYTE_0 src1_sel:DWORD
	s_mov_b64 s[52:53], 0
                                        ; implicit-def: $vcc
                                        ; implicit-def: $sgpr48_sgpr49
                                        ; implicit-def: $vgpr66
	s_and_saveexec_b64 s[50:51], s[46:47]
	s_xor_b64 s[46:47], exec, s[50:51]
	s_cbranch_execz .LBB14_881
; %bb.872:                              ;   in Loop: Header=BB14_17 Depth=1
	v_cmp_gt_i16_sdwa vcc, v7, v22 src0_sel:BYTE_0 src1_sel:DWORD
	s_mov_b64 s[50:51], 0
                                        ; implicit-def: $sgpr48_sgpr49
                                        ; implicit-def: $sgpr52_sgpr53
                                        ; implicit-def: $vgpr66
	s_and_saveexec_b64 s[54:55], vcc
	s_xor_b64 vcc, exec, s[54:55]
	s_cbranch_execz .LBB14_876
; %bb.873:                              ;   in Loop: Header=BB14_17 Depth=1
	v_cmp_eq_u16_sdwa s[54:55], v7, v23 src0_sel:BYTE_0 src1_sel:DWORD
	s_mov_b64 s[48:49], 0
                                        ; implicit-def: $vgpr66
	s_and_saveexec_b64 s[52:53], s[54:55]
	s_cbranch_execz .LBB14_875
; %bb.874:                              ;   in Loop: Header=BB14_17 Depth=1
	flat_load_dword v14, v[14:15]
	s_mov_b64 s[50:51], exec
	s_waitcnt vmcnt(0) lgkmcnt(0)
	v_lshlrev_b32_e32 v66, 16, v14
.LBB14_875:                             ;   in Loop: Header=BB14_17 Depth=1
	s_or_b64 exec, exec, s[52:53]
	s_mov_b64 s[52:53], -1
	s_and_b64 s[50:51], s[50:51], exec
                                        ; implicit-def: $vgpr14_vgpr15
.LBB14_876:                             ;   in Loop: Header=BB14_17 Depth=1
	s_andn2_saveexec_b64 s[54:55], vcc
	s_cbranch_execz .LBB14_880
; %bb.877:                              ;   in Loop: Header=BB14_17 Depth=1
	v_cmp_eq_u16_sdwa s[58:59], v7, v24 src0_sel:BYTE_0 src1_sel:DWORD
	s_mov_b64 vcc, s[50:51]
                                        ; implicit-def: $vgpr66
	s_and_saveexec_b64 s[56:57], s[58:59]
	s_cbranch_execz .LBB14_879
; %bb.878:                              ;   in Loop: Header=BB14_17 Depth=1
	flat_load_ubyte v14, v[14:15]
	s_movk_i32 vcc_lo, 0xff
	s_waitcnt vmcnt(0) lgkmcnt(0)
	v_lshlrev_b32_e32 v15, 23, v14
	v_cmp_ne_u32_e32 vcc, vcc_lo, v14
	v_cndmask_b32_e32 v15, v25, v15, vcc
	v_cmp_ne_u32_e32 vcc, 0, v14
	v_cndmask_b32_e32 v66, v26, v15, vcc
	s_or_b64 vcc, s[50:51], exec
.LBB14_879:                             ;   in Loop: Header=BB14_17 Depth=1
	s_or_b64 exec, exec, s[56:57]
	s_andn2_b64 s[50:51], s[50:51], exec
	s_and_b64 vcc, vcc, exec
	s_andn2_b64 s[48:49], s[48:49], exec
	s_or_b64 s[52:53], s[52:53], exec
	s_or_b64 s[50:51], s[50:51], vcc
.LBB14_880:                             ;   in Loop: Header=BB14_17 Depth=1
	s_or_b64 exec, exec, s[54:55]
	s_and_b64 s[48:49], s[48:49], exec
	s_and_b64 vcc, s[52:53], exec
	s_and_b64 s[52:53], s[50:51], exec
                                        ; implicit-def: $vgpr14_vgpr15
.LBB14_881:                             ;   in Loop: Header=BB14_17 Depth=1
	s_andn2_saveexec_b64 s[46:47], s[46:47]
	s_cbranch_execz .LBB14_885
; %bb.882:                              ;   in Loop: Header=BB14_17 Depth=1
	v_cmp_eq_u16_sdwa s[56:57], v7, v27 src0_sel:BYTE_0 src1_sel:DWORD
	s_mov_b64 s[54:55], s[52:53]
                                        ; implicit-def: $vgpr66
	s_and_saveexec_b64 s[50:51], s[56:57]
	s_cbranch_execz .LBB14_884
; %bb.883:                              ;   in Loop: Header=BB14_17 Depth=1
	flat_load_dwordx2 v[14:15], v[14:15]
	s_or_b64 s[54:55], s[52:53], exec
	s_waitcnt vmcnt(0) lgkmcnt(0)
	v_ffbh_u32_e32 v65, v15
	v_min_u32_e32 v65, 32, v65
	v_lshlrev_b64 v[14:15], v65, v[14:15]
	v_min_u32_e32 v14, 1, v14
	v_or_b32_e32 v14, v15, v14
	v_cvt_f32_u32_e32 v14, v14
	v_sub_u32_e32 v15, 32, v65
	v_ldexp_f32 v66, v14, v15
.LBB14_884:                             ;   in Loop: Header=BB14_17 Depth=1
	s_or_b64 exec, exec, s[50:51]
	s_andn2_b64 s[50:51], s[52:53], exec
	s_and_b64 s[52:53], s[54:55], exec
	s_andn2_b64 s[48:49], s[48:49], exec
	s_or_b64 vcc, vcc, exec
	s_or_b64 s[52:53], s[50:51], s[52:53]
.LBB14_885:                             ;   in Loop: Header=BB14_17 Depth=1
	s_or_b64 exec, exec, s[46:47]
	s_and_b64 s[50:51], s[48:49], exec
	s_and_b64 s[48:49], vcc, exec
	s_and_b64 s[46:47], s[52:53], exec
                                        ; implicit-def: $vgpr14_vgpr15
.LBB14_886:                             ;   in Loop: Header=BB14_17 Depth=1
	s_andn2_saveexec_b64 s[38:39], s[38:39]
	s_cbranch_execz .LBB14_900
; %bb.887:                              ;   in Loop: Header=BB14_17 Depth=1
	v_cmp_gt_i16_sdwa vcc, v7, v28 src0_sel:BYTE_0 src1_sel:DWORD
                                        ; implicit-def: $vgpr66
	s_and_saveexec_b64 s[52:53], vcc
	s_xor_b64 vcc, exec, s[52:53]
	s_cbranch_execz .LBB14_893
; %bb.888:                              ;   in Loop: Header=BB14_17 Depth=1
	v_cmp_gt_i16_sdwa s[52:53], v7, v29 src0_sel:BYTE_0 src1_sel:DWORD
                                        ; implicit-def: $vgpr66
	s_and_saveexec_b64 s[54:55], s[52:53]
	s_xor_b64 s[52:53], exec, s[54:55]
	s_cbranch_execz .LBB14_890
; %bb.889:                              ;   in Loop: Header=BB14_17 Depth=1
	flat_load_dword v14, v[14:15]
	s_waitcnt vmcnt(0) lgkmcnt(0)
	v_cvt_f32_u32_e32 v66, v14
                                        ; implicit-def: $vgpr14_vgpr15
.LBB14_890:                             ;   in Loop: Header=BB14_17 Depth=1
	s_andn2_saveexec_b64 s[52:53], s[52:53]
	s_cbranch_execz .LBB14_892
; %bb.891:                              ;   in Loop: Header=BB14_17 Depth=1
	flat_load_ushort v14, v[14:15]
	s_waitcnt vmcnt(0) lgkmcnt(0)
	v_cvt_f32_u32_e32 v66, v14
.LBB14_892:                             ;   in Loop: Header=BB14_17 Depth=1
	s_or_b64 exec, exec, s[52:53]
                                        ; implicit-def: $vgpr14_vgpr15
.LBB14_893:                             ;   in Loop: Header=BB14_17 Depth=1
	s_andn2_saveexec_b64 s[52:53], vcc
	s_cbranch_execz .LBB14_899
; %bb.894:                              ;   in Loop: Header=BB14_17 Depth=1
	flat_load_ubyte v14, v[14:15]
	s_movk_i32 vcc_lo, 0x7f
	s_mov_b64 s[54:55], 0
                                        ; implicit-def: $sgpr60
	s_waitcnt vmcnt(0) lgkmcnt(0)
	v_cmp_lt_i16_e32 vcc, vcc_lo, v14
	s_and_saveexec_b64 s[56:57], vcc
	s_xor_b64 s[56:57], exec, s[56:57]
	s_cbranch_execnz .LBB14_1669
; %bb.895:                              ;   in Loop: Header=BB14_17 Depth=1
	s_or_saveexec_b64 s[56:57], s[56:57]
	v_mov_b32_e32 v66, s60
	s_xor_b64 exec, exec, s[56:57]
	s_cbranch_execnz .LBB14_1672
.LBB14_896:                             ;   in Loop: Header=BB14_17 Depth=1
	s_or_b64 exec, exec, s[56:57]
	s_and_saveexec_b64 s[56:57], s[54:55]
	s_cbranch_execz .LBB14_898
.LBB14_897:                             ;   in Loop: Header=BB14_17 Depth=1
	v_lshlrev_b32_e32 v15, 24, v14
	v_and_b32_e32 v14, 0xffff, v14
	v_and_b32_e32 v65, 7, v14
	v_ffbh_u32_e32 v67, v65
	v_min_u32_e32 v67, 32, v67
	v_subrev_u32_e32 v68, 28, v67
	v_bfe_u32 v66, v14, 3, 4
	v_lshlrev_b32_e32 v14, v68, v14
	v_sub_u32_e32 v67, 29, v67
	v_and_b32_e32 v14, 7, v14
	v_cmp_eq_u32_e32 vcc, 0, v66
	v_cndmask_b32_e32 v66, v66, v67, vcc
	v_cndmask_b32_e32 v14, v65, v14, vcc
	v_lshlrev_b32_e32 v14, 20, v14
	v_and_b32_e32 v15, 0x80000000, v15
	v_lshl_add_u32 v65, v66, 23, v30
	v_or3_b32 v66, v15, v65, v14
.LBB14_898:                             ;   in Loop: Header=BB14_17 Depth=1
	s_or_b64 exec, exec, s[56:57]
.LBB14_899:                             ;   in Loop: Header=BB14_17 Depth=1
	s_or_b64 exec, exec, s[52:53]
	s_andn2_b64 s[50:51], s[50:51], exec
	s_andn2_b64 s[48:49], s[48:49], exec
	s_or_b64 s[46:47], s[46:47], exec
.LBB14_900:                             ;   in Loop: Header=BB14_17 Depth=1
	s_or_b64 exec, exec, s[38:39]
	s_and_b64 s[38:39], s[50:51], exec
	s_and_b64 s[48:49], s[48:49], exec
	s_and_b64 s[46:47], s[46:47], exec
                                        ; implicit-def: $vgpr14_vgpr15
.LBB14_901:                             ;   in Loop: Header=BB14_17 Depth=1
	s_andn2_saveexec_b64 s[36:37], s[36:37]
	s_cbranch_execz .LBB14_927
; %bb.902:                              ;   in Loop: Header=BB14_17 Depth=1
	v_cmp_gt_i16_sdwa vcc, v7, v31 src0_sel:BYTE_0 src1_sel:DWORD
	s_mov_b64 s[52:53], s[46:47]
                                        ; implicit-def: $vgpr66
	s_and_saveexec_b64 s[50:51], vcc
	s_xor_b64 s[50:51], exec, s[50:51]
	s_cbranch_execz .LBB14_916
; %bb.903:                              ;   in Loop: Header=BB14_17 Depth=1
	v_cmp_gt_i16_sdwa vcc, v7, v32 src0_sel:BYTE_0 src1_sel:DWORD
                                        ; implicit-def: $vgpr66
	s_and_saveexec_b64 s[52:53], vcc
	s_xor_b64 s[52:53], exec, s[52:53]
	s_cbranch_execz .LBB14_913
; %bb.904:                              ;   in Loop: Header=BB14_17 Depth=1
	v_cmp_gt_i16_sdwa vcc, v7, v33 src0_sel:BYTE_0 src1_sel:DWORD
                                        ; implicit-def: $vgpr66
	s_and_saveexec_b64 s[54:55], vcc
	s_xor_b64 s[54:55], exec, s[54:55]
	s_cbranch_execz .LBB14_910
; %bb.905:                              ;   in Loop: Header=BB14_17 Depth=1
	flat_load_ubyte v14, v[14:15]
	s_movk_i32 vcc_lo, 0x7f
	s_mov_b64 s[56:57], 0
                                        ; implicit-def: $sgpr62
	s_waitcnt vmcnt(0) lgkmcnt(0)
	v_cmp_lt_i16_e32 vcc, vcc_lo, v14
	s_and_saveexec_b64 s[58:59], vcc
	s_xor_b64 s[58:59], exec, s[58:59]
	s_cbranch_execnz .LBB14_1888
; %bb.906:                              ;   in Loop: Header=BB14_17 Depth=1
	s_or_saveexec_b64 s[58:59], s[58:59]
	v_mov_b32_e32 v66, s62
	s_xor_b64 exec, exec, s[58:59]
	s_cbranch_execnz .LBB14_1891
.LBB14_907:                             ;   in Loop: Header=BB14_17 Depth=1
	s_or_b64 exec, exec, s[58:59]
	s_and_saveexec_b64 s[58:59], s[56:57]
	s_cbranch_execz .LBB14_909
.LBB14_908:                             ;   in Loop: Header=BB14_17 Depth=1
	v_lshlrev_b32_e32 v15, 24, v14
	v_and_b32_e32 v14, 0xffff, v14
	v_and_b32_e32 v65, 3, v14
	v_ffbh_u32_e32 v67, v65
	v_min_u32_e32 v67, 32, v67
	v_subrev_u32_e32 v68, 29, v67
	v_bfe_u32 v66, v14, 2, 5
	v_lshlrev_b32_e32 v14, v68, v14
	v_sub_u32_e32 v67, 30, v67
	v_and_b32_e32 v14, 3, v14
	v_cmp_eq_u32_e32 vcc, 0, v66
	v_cndmask_b32_e32 v66, v66, v67, vcc
	v_cndmask_b32_e32 v14, v65, v14, vcc
	v_lshlrev_b32_e32 v14, 21, v14
	v_and_b32_e32 v15, 0x80000000, v15
	v_lshl_add_u32 v65, v66, 23, v34
	v_or3_b32 v66, v15, v65, v14
.LBB14_909:                             ;   in Loop: Header=BB14_17 Depth=1
	s_or_b64 exec, exec, s[58:59]
                                        ; implicit-def: $vgpr14_vgpr15
.LBB14_910:                             ;   in Loop: Header=BB14_17 Depth=1
	s_andn2_saveexec_b64 s[54:55], s[54:55]
	s_cbranch_execz .LBB14_912
; %bb.911:                              ;   in Loop: Header=BB14_17 Depth=1
	flat_load_ubyte v14, v[14:15]
	s_mov_b32 vcc_lo, 0x7f800000
	s_waitcnt vmcnt(0) lgkmcnt(0)
	v_lshlrev_b32_e32 v14, 24, v14
	v_and_b32_e32 v15, 0x7f000000, v14
	v_ffbh_u32_e32 v65, v15
	v_min_u32_e32 v65, 32, v65
	v_sub_u32_e64 v65, v65, 4 clamp
	v_lshlrev_b32_e32 v67, v65, v15
	v_lshlrev_b32_e32 v65, 23, v65
	v_lshrrev_b32_e32 v67, 4, v67
	v_add_u32_e32 v66, 0x1000000, v15
	v_sub_u32_e32 v65, v67, v65
	v_ashrrev_i32_e32 v66, 8, v66
	v_add_u32_e32 v65, 0x3c000000, v65
	v_and_or_b32 v65, v66, vcc_lo, v65
	v_cmp_ne_u32_e32 vcc, 0, v15
	v_cndmask_b32_e32 v15, 0, v65, vcc
	s_brev_b32 vcc_lo, 1
	v_and_or_b32 v66, v14, vcc_lo, v15
.LBB14_912:                             ;   in Loop: Header=BB14_17 Depth=1
	s_or_b64 exec, exec, s[54:55]
                                        ; implicit-def: $vgpr14_vgpr15
.LBB14_913:                             ;   in Loop: Header=BB14_17 Depth=1
	s_andn2_saveexec_b64 s[52:53], s[52:53]
	s_cbranch_execz .LBB14_915
; %bb.914:                              ;   in Loop: Header=BB14_17 Depth=1
	flat_load_ubyte v14, v[14:15]
	s_movk_i32 vcc_lo, 0x7f00
	s_waitcnt vmcnt(0) lgkmcnt(0)
	v_lshlrev_b16_e32 v15, 8, v14
	v_lshlrev_b32_e32 v14, 25, v14
	v_lshrrev_b32_e32 v65, 4, v14
	v_and_or_b32 v66, v15, vcc_lo, 0.5
	v_or_b32_e32 v65, 0x70000000, v65
	s_brev_b32 vcc_lo, 16
	v_add_f32_e32 v66, -0.5, v66
	v_mul_f32_e32 v65, 0x7800000, v65
	v_cmp_gt_u32_e32 vcc, vcc_lo, v14
	v_cndmask_b32_e32 v14, v65, v66, vcc
	v_bfe_i32 v15, v15, 0, 16
	s_brev_b32 vcc_lo, 1
	v_and_or_b32 v66, v15, vcc_lo, v14
.LBB14_915:                             ;   in Loop: Header=BB14_17 Depth=1
	s_or_b64 exec, exec, s[52:53]
	s_or_b64 s[52:53], s[46:47], exec
                                        ; implicit-def: $vgpr14_vgpr15
.LBB14_916:                             ;   in Loop: Header=BB14_17 Depth=1
	s_or_saveexec_b64 s[50:51], s[50:51]
                                        ; implicit-def: $vcc
                                        ; implicit-def: $sgpr58_sgpr59
	s_xor_b64 exec, exec, s[50:51]
	s_cbranch_execz .LBB14_926
; %bb.917:                              ;   in Loop: Header=BB14_17 Depth=1
	v_cmp_gt_i16_sdwa vcc, v7, v35 src0_sel:BYTE_0 src1_sel:DWORD
	s_mov_b64 s[56:57], s[52:53]
                                        ; implicit-def: $sgpr58_sgpr59
                                        ; implicit-def: $sgpr54_sgpr55
                                        ; implicit-def: $vgpr66
	s_and_saveexec_b64 s[60:61], vcc
	s_xor_b64 vcc, exec, s[60:61]
	s_cbranch_execz .LBB14_921
; %bb.918:                              ;   in Loop: Header=BB14_17 Depth=1
	v_cmp_eq_u16_sdwa s[58:59], v7, v36 src0_sel:BYTE_0 src1_sel:DWORD
	s_mov_b64 s[56:57], s[52:53]
                                        ; implicit-def: $vgpr66
	s_and_saveexec_b64 s[54:55], s[58:59]
	s_cbranch_execz .LBB14_920
; %bb.919:                              ;   in Loop: Header=BB14_17 Depth=1
	flat_load_ushort v14, v[14:15]
	s_or_b64 s[56:57], s[52:53], exec
	s_waitcnt vmcnt(0) lgkmcnt(0)
	v_lshlrev_b32_e32 v66, 16, v14
.LBB14_920:                             ;   in Loop: Header=BB14_17 Depth=1
	s_or_b64 exec, exec, s[54:55]
	s_andn2_b64 s[60:61], s[52:53], exec
	s_and_b64 s[56:57], s[56:57], exec
	s_mov_b64 s[54:55], -1
	s_mov_b64 s[58:59], 0
	s_or_b64 s[56:57], s[60:61], s[56:57]
                                        ; implicit-def: $vgpr14_vgpr15
.LBB14_921:                             ;   in Loop: Header=BB14_17 Depth=1
	s_andn2_saveexec_b64 s[60:61], vcc
	s_cbranch_execz .LBB14_925
; %bb.922:                              ;   in Loop: Header=BB14_17 Depth=1
	v_cmp_eq_u16_sdwa s[64:65], v7, v37 src0_sel:BYTE_0 src1_sel:DWORD
	s_mov_b64 vcc, s[56:57]
                                        ; implicit-def: $vgpr66
	s_and_saveexec_b64 s[62:63], s[64:65]
	s_cbranch_execz .LBB14_924
; %bb.923:                              ;   in Loop: Header=BB14_17 Depth=1
	flat_load_ubyte v14, v[14:15]
	s_waitcnt vmcnt(0) lgkmcnt(0)
	v_cmp_ne_u16_e32 vcc, 0, v14
	v_cndmask_b32_e64 v66, 0, 1.0, vcc
	s_or_b64 vcc, s[56:57], exec
.LBB14_924:                             ;   in Loop: Header=BB14_17 Depth=1
	s_or_b64 exec, exec, s[62:63]
	s_andn2_b64 s[56:57], s[56:57], exec
	s_and_b64 vcc, vcc, exec
	s_andn2_b64 s[58:59], s[58:59], exec
	s_or_b64 s[54:55], s[54:55], exec
	s_or_b64 s[56:57], s[56:57], vcc
.LBB14_925:                             ;   in Loop: Header=BB14_17 Depth=1
	s_or_b64 exec, exec, s[60:61]
	s_and_b64 vcc, s[54:55], exec
	s_andn2_b64 s[52:53], s[52:53], exec
	s_and_b64 s[54:55], s[56:57], exec
	s_and_b64 s[58:59], s[58:59], exec
	s_or_b64 s[52:53], s[52:53], s[54:55]
.LBB14_926:                             ;   in Loop: Header=BB14_17 Depth=1
	s_or_b64 exec, exec, s[50:51]
	s_andn2_b64 s[48:49], s[48:49], exec
	s_and_b64 vcc, vcc, exec
	s_andn2_b64 s[38:39], s[38:39], exec
	s_and_b64 s[50:51], s[58:59], exec
	s_or_b64 s[48:49], s[48:49], vcc
	s_andn2_b64 vcc, s[46:47], exec
	s_and_b64 s[46:47], s[52:53], exec
	s_or_b64 s[38:39], s[38:39], s[50:51]
	s_or_b64 s[46:47], vcc, s[46:47]
.LBB14_927:                             ;   in Loop: Header=BB14_17 Depth=1
	s_or_b64 exec, exec, s[36:37]
	s_and_b64 s[38:39], s[38:39], exec
	s_and_b64 s[36:37], s[48:49], exec
	s_and_b64 vcc, s[46:47], exec
                                        ; implicit-def: $vgpr14_vgpr15
	s_andn2_saveexec_b64 s[44:45], s[44:45]
	s_cbranch_execz .LBB14_764
.LBB14_928:                             ;   in Loop: Header=BB14_17 Depth=1
	v_cmp_gt_i16_sdwa s[46:47], v7, v38 src0_sel:BYTE_0 src1_sel:DWORD
                                        ; implicit-def: $vgpr66
	s_and_saveexec_b64 s[48:49], s[46:47]
	s_xor_b64 s[46:47], exec, s[48:49]
	s_cbranch_execz .LBB14_950
; %bb.929:                              ;   in Loop: Header=BB14_17 Depth=1
	v_cmp_gt_i16_sdwa s[48:49], v7, v39 src0_sel:BYTE_0 src1_sel:DWORD
                                        ; implicit-def: $vgpr66
	s_and_saveexec_b64 s[50:51], s[48:49]
	s_xor_b64 s[48:49], exec, s[50:51]
	s_cbranch_execz .LBB14_939
; %bb.930:                              ;   in Loop: Header=BB14_17 Depth=1
	;; [unrolled: 6-line block ×4, first 2 shown]
	flat_load_dwordx2 v[14:15], v[14:15]
	s_waitcnt vmcnt(0) lgkmcnt(0)
	v_cvt_f32_f64_e32 v66, v[14:15]
                                        ; implicit-def: $vgpr14_vgpr15
.LBB14_933:                             ;   in Loop: Header=BB14_17 Depth=1
	s_andn2_saveexec_b64 s[52:53], s[52:53]
	s_cbranch_execz .LBB14_935
; %bb.934:                              ;   in Loop: Header=BB14_17 Depth=1
	flat_load_dword v66, v[14:15]
.LBB14_935:                             ;   in Loop: Header=BB14_17 Depth=1
	s_or_b64 exec, exec, s[52:53]
                                        ; implicit-def: $vgpr14_vgpr15
.LBB14_936:                             ;   in Loop: Header=BB14_17 Depth=1
	s_andn2_saveexec_b64 s[50:51], s[50:51]
	s_cbranch_execz .LBB14_938
; %bb.937:                              ;   in Loop: Header=BB14_17 Depth=1
	flat_load_dword v14, v[14:15]
	s_waitcnt vmcnt(0) lgkmcnt(0)
	v_cvt_f32_f16_e32 v66, v14
.LBB14_938:                             ;   in Loop: Header=BB14_17 Depth=1
	s_or_b64 exec, exec, s[50:51]
                                        ; implicit-def: $vgpr14_vgpr15
.LBB14_939:                             ;   in Loop: Header=BB14_17 Depth=1
	s_andn2_saveexec_b64 s[48:49], s[48:49]
	s_cbranch_execz .LBB14_949
; %bb.940:                              ;   in Loop: Header=BB14_17 Depth=1
	v_cmp_gt_i16_sdwa s[50:51], v7, v50 src0_sel:BYTE_0 src1_sel:DWORD
                                        ; implicit-def: $vgpr66
	s_and_saveexec_b64 s[52:53], s[50:51]
	s_xor_b64 s[50:51], exec, s[52:53]
	s_cbranch_execz .LBB14_946
; %bb.941:                              ;   in Loop: Header=BB14_17 Depth=1
	v_cmp_gt_i16_sdwa s[52:53], v7, v51 src0_sel:BYTE_0 src1_sel:DWORD
                                        ; implicit-def: $vgpr66
	s_and_saveexec_b64 s[54:55], s[52:53]
	s_xor_b64 s[52:53], exec, s[54:55]
	s_cbranch_execz .LBB14_943
; %bb.942:                              ;   in Loop: Header=BB14_17 Depth=1
	flat_load_dwordx2 v[14:15], v[14:15]
	s_waitcnt vmcnt(0) lgkmcnt(0)
	v_cvt_f32_f64_e32 v66, v[14:15]
                                        ; implicit-def: $vgpr14_vgpr15
.LBB14_943:                             ;   in Loop: Header=BB14_17 Depth=1
	s_andn2_saveexec_b64 s[52:53], s[52:53]
	s_cbranch_execz .LBB14_945
; %bb.944:                              ;   in Loop: Header=BB14_17 Depth=1
	s_waitcnt vmcnt(0) lgkmcnt(0)
	flat_load_dword v66, v[14:15]
.LBB14_945:                             ;   in Loop: Header=BB14_17 Depth=1
	s_or_b64 exec, exec, s[52:53]
                                        ; implicit-def: $vgpr14_vgpr15
.LBB14_946:                             ;   in Loop: Header=BB14_17 Depth=1
	s_andn2_saveexec_b64 s[50:51], s[50:51]
	s_cbranch_execz .LBB14_948
; %bb.947:                              ;   in Loop: Header=BB14_17 Depth=1
	flat_load_ushort v14, v[14:15]
	s_waitcnt vmcnt(0) lgkmcnt(0)
	v_cvt_f32_f16_e32 v66, v14
.LBB14_948:                             ;   in Loop: Header=BB14_17 Depth=1
	s_or_b64 exec, exec, s[50:51]
.LBB14_949:                             ;   in Loop: Header=BB14_17 Depth=1
	s_or_b64 exec, exec, s[48:49]
                                        ; implicit-def: $vgpr14_vgpr15
.LBB14_950:                             ;   in Loop: Header=BB14_17 Depth=1
	s_andn2_saveexec_b64 s[46:47], s[46:47]
	s_cbranch_execz .LBB14_968
; %bb.951:                              ;   in Loop: Header=BB14_17 Depth=1
	v_cmp_gt_i16_sdwa s[48:49], v7, v52 src0_sel:BYTE_0 src1_sel:DWORD
                                        ; implicit-def: $vgpr66
	s_and_saveexec_b64 s[50:51], s[48:49]
	s_xor_b64 s[48:49], exec, s[50:51]
	s_cbranch_execz .LBB14_961
; %bb.952:                              ;   in Loop: Header=BB14_17 Depth=1
	v_cmp_gt_i16_sdwa s[50:51], v7, v53 src0_sel:BYTE_0 src1_sel:DWORD
                                        ; implicit-def: $vgpr66
	s_and_saveexec_b64 s[52:53], s[50:51]
	s_xor_b64 s[50:51], exec, s[52:53]
	;; [unrolled: 6-line block ×3, first 2 shown]
	s_cbranch_execz .LBB14_955
; %bb.954:                              ;   in Loop: Header=BB14_17 Depth=1
	flat_load_dwordx2 v[14:15], v[14:15]
	s_waitcnt vmcnt(0) lgkmcnt(0)
	v_xor_b32_e32 v66, v14, v15
	v_ffbh_i32_e32 v65, v15
	v_ashrrev_i32_e32 v66, 31, v66
	v_add_u32_e32 v65, -1, v65
	v_add_u32_e32 v66, 32, v66
	v_min_u32_e32 v65, v65, v66
	v_lshlrev_b64 v[14:15], v65, v[14:15]
	v_min_u32_e32 v14, 1, v14
	v_or_b32_e32 v14, v15, v14
	v_cvt_f32_i32_e32 v14, v14
	v_sub_u32_e32 v15, 32, v65
	v_ldexp_f32 v66, v14, v15
                                        ; implicit-def: $vgpr14_vgpr15
.LBB14_955:                             ;   in Loop: Header=BB14_17 Depth=1
	s_andn2_saveexec_b64 s[52:53], s[52:53]
	s_cbranch_execz .LBB14_957
; %bb.956:                              ;   in Loop: Header=BB14_17 Depth=1
	flat_load_dword v14, v[14:15]
	s_waitcnt vmcnt(0) lgkmcnt(0)
	v_cvt_f32_i32_e32 v66, v14
.LBB14_957:                             ;   in Loop: Header=BB14_17 Depth=1
	s_or_b64 exec, exec, s[52:53]
                                        ; implicit-def: $vgpr14_vgpr15
.LBB14_958:                             ;   in Loop: Header=BB14_17 Depth=1
	s_andn2_saveexec_b64 s[50:51], s[50:51]
	s_cbranch_execz .LBB14_960
; %bb.959:                              ;   in Loop: Header=BB14_17 Depth=1
	flat_load_sshort v14, v[14:15]
	s_waitcnt vmcnt(0) lgkmcnt(0)
	v_cvt_f32_i32_e32 v66, v14
.LBB14_960:                             ;   in Loop: Header=BB14_17 Depth=1
	s_or_b64 exec, exec, s[50:51]
                                        ; implicit-def: $vgpr14_vgpr15
.LBB14_961:                             ;   in Loop: Header=BB14_17 Depth=1
	s_andn2_saveexec_b64 s[48:49], s[48:49]
	s_cbranch_execz .LBB14_967
; %bb.962:                              ;   in Loop: Header=BB14_17 Depth=1
	v_cmp_gt_i16_sdwa s[50:51], v7, v16 src0_sel:BYTE_0 src1_sel:DWORD
                                        ; implicit-def: $vgpr66
	s_and_saveexec_b64 s[52:53], s[50:51]
	s_xor_b64 s[50:51], exec, s[52:53]
	s_cbranch_execz .LBB14_964
; %bb.963:                              ;   in Loop: Header=BB14_17 Depth=1
	flat_load_sbyte v14, v[14:15]
	s_waitcnt vmcnt(0) lgkmcnt(0)
	v_cvt_f32_i32_e32 v66, v14
                                        ; implicit-def: $vgpr14_vgpr15
.LBB14_964:                             ;   in Loop: Header=BB14_17 Depth=1
	s_andn2_saveexec_b64 s[50:51], s[50:51]
	s_cbranch_execz .LBB14_966
; %bb.965:                              ;   in Loop: Header=BB14_17 Depth=1
	flat_load_ubyte v14, v[14:15]
	s_waitcnt vmcnt(0) lgkmcnt(0)
	v_cvt_f32_ubyte0_e32 v66, v14
.LBB14_966:                             ;   in Loop: Header=BB14_17 Depth=1
	s_or_b64 exec, exec, s[50:51]
.LBB14_967:                             ;   in Loop: Header=BB14_17 Depth=1
	s_or_b64 exec, exec, s[48:49]
.LBB14_968:                             ;   in Loop: Header=BB14_17 Depth=1
	s_or_b64 exec, exec, s[46:47]
	s_andn2_b64 s[38:39], s[38:39], exec
	s_andn2_b64 s[36:37], s[36:37], exec
	s_or_b64 vcc, vcc, exec
	s_or_b64 exec, exec, s[44:45]
	s_mov_b64 s[46:47], 0
	s_and_saveexec_b64 s[44:45], vcc
	s_cbranch_execz .LBB14_974
.LBB14_969:                             ;   in Loop: Header=BB14_17 Depth=1
	v_mul_lo_u32 v14, v64, v10
	v_readlane_b32 s46, v44, 0
	v_add_co_u32_e32 v14, vcc, v4, v14
	v_add_u32_e32 v65, s46, v17
	v_addc_co_u32_e32 v15, vcc, 0, v5, vcc
	v_cmp_gt_i16_sdwa s[46:47], v8, v18 src0_sel:BYTE_0 src1_sel:DWORD
	s_mov_b64 s[50:51], 0
	s_waitcnt vmcnt(0) lgkmcnt(0)
	buffer_store_dword v66, v65, s[0:3], 0 offen offset:36
                                        ; implicit-def: $vcc
                                        ; implicit-def: $sgpr48_sgpr49
                                        ; implicit-def: $vgpr64
	s_and_saveexec_b64 s[52:53], s[46:47]
	s_xor_b64 s[46:47], exec, s[52:53]
	s_cbranch_execnz .LBB14_992
; %bb.970:                              ;   in Loop: Header=BB14_17 Depth=1
	s_andn2_saveexec_b64 s[46:47], s[46:47]
	s_cbranch_execnz .LBB14_1051
.LBB14_971:                             ;   in Loop: Header=BB14_17 Depth=1
	s_or_b64 exec, exec, s[46:47]
	s_mov_b64 s[46:47], 0
	s_and_saveexec_b64 s[52:53], s[50:51]
	s_cbranch_execz .LBB14_973
.LBB14_972:                             ;   in Loop: Header=BB14_17 Depth=1
	s_mov_b64 s[46:47], exec
	v_add_u32_e32 v55, 0x200, v55
	s_andn2_b64 s[48:49], s[48:49], exec
	s_andn2_b64 vcc, vcc, exec
	s_waitcnt vmcnt(0) lgkmcnt(0)
	buffer_store_dword v64, v65, s[0:3], 0 offen offset:32
.LBB14_973:                             ;   in Loop: Header=BB14_17 Depth=1
	s_or_b64 exec, exec, s[52:53]
	s_andn2_b64 s[38:39], s[38:39], exec
	s_and_b64 s[48:49], s[48:49], exec
	s_andn2_b64 s[36:37], s[36:37], exec
	s_and_b64 vcc, vcc, exec
	s_or_b64 s[38:39], s[38:39], s[48:49]
	s_or_b64 s[36:37], s[36:37], vcc
	s_and_b64 s[46:47], s[46:47], exec
.LBB14_974:                             ;   in Loop: Header=BB14_17 Depth=1
	s_or_b64 exec, exec, s[44:45]
	s_and_b64 s[38:39], s[38:39], exec
	s_and_b64 s[36:37], s[36:37], exec
	s_orn2_b64 s[44:45], s[46:47], exec
.LBB14_975:                             ;   in Loop: Header=BB14_17 Depth=1
	s_or_b64 exec, exec, s[40:41]
	s_and_saveexec_b64 s[40:41], s[44:45]
	s_cbranch_execz .LBB14_12
; %bb.976:                              ;   in Loop: Header=BB14_17 Depth=1
	v_cmp_lt_i32_e32 vcc, v55, v6
	s_mov_b64 s[48:49], -1
	s_mov_b64 s[50:51], -1
                                        ; implicit-def: $sgpr42_sgpr43
                                        ; implicit-def: $sgpr44_sgpr45
	s_and_saveexec_b64 s[46:47], vcc
	s_cbranch_execz .LBB14_1198
; %bb.977:                              ;   in Loop: Header=BB14_17 Depth=1
	v_readlane_b32 vcc_lo, v44, 1
	s_waitcnt vmcnt(0) lgkmcnt(0)
	v_add_u32_e32 v64, vcc_lo, v55
	v_mul_lo_u32 v14, v64, v9
	v_add_co_u32_e32 v14, vcc, v2, v14
	v_addc_co_u32_e32 v15, vcc, 0, v3, vcc
	v_cmp_gt_i16_sdwa s[50:51], v7, v18 src0_sel:BYTE_0 src1_sel:DWORD
	s_mov_b64 vcc, 0
                                        ; implicit-def: $sgpr42_sgpr43
                                        ; implicit-def: $sgpr44_sgpr45
                                        ; implicit-def: $vgpr66
	s_and_saveexec_b64 s[52:53], s[50:51]
	s_xor_b64 s[50:51], exec, s[52:53]
	s_cbranch_execnz .LBB14_1092
; %bb.978:                              ;   in Loop: Header=BB14_17 Depth=1
	s_andn2_saveexec_b64 s[50:51], s[50:51]
	s_cbranch_execnz .LBB14_1151
.LBB14_979:                             ;   in Loop: Header=BB14_17 Depth=1
	s_or_b64 exec, exec, s[50:51]
	s_mov_b64 s[52:53], 0
	s_and_saveexec_b64 s[50:51], vcc
	s_cbranch_execnz .LBB14_1192
	s_branch .LBB14_1197
.LBB14_980:                             ;   in Loop: Header=BB14_17 Depth=1
	s_movk_i32 vcc_lo, 0x80
	v_cmp_eq_u16_e32 vcc, vcc_lo, v14
	s_mov_b64 s[36:37], -1
                                        ; implicit-def: $sgpr42
	s_and_saveexec_b64 s[40:41], vcc
; %bb.981:                              ;   in Loop: Header=BB14_17 Depth=1
	s_mov_b32 s42, 0x7f800001
	s_xor_b64 s[36:37], exec, -1
; %bb.982:                              ;   in Loop: Header=BB14_17 Depth=1
	s_or_b64 exec, exec, s[40:41]
	s_and_b64 s[36:37], s[36:37], exec
	s_or_saveexec_b64 s[38:39], s[38:39]
	v_mov_b32_e32 v66, s42
	s_xor_b64 exec, exec, s[38:39]
	s_cbranch_execz .LBB14_59
.LBB14_983:                             ;   in Loop: Header=BB14_17 Depth=1
	v_cmp_ne_u16_e32 vcc, 0, v14
	s_andn2_b64 s[36:37], s[36:37], exec
	s_and_b64 vcc, vcc, exec
	v_mov_b32_e32 v66, 0
	s_or_b64 s[36:37], s[36:37], vcc
	s_or_b64 exec, exec, s[38:39]
	s_and_saveexec_b64 s[38:39], s[36:37]
	s_cbranch_execnz .LBB14_60
	s_branch .LBB14_61
.LBB14_984:                             ;   in Loop: Header=BB14_17 Depth=1
	s_movk_i32 vcc_lo, 0x80
	v_cmp_eq_u16_e32 vcc, vcc_lo, v14
	s_mov_b64 s[40:41], -1
                                        ; implicit-def: $sgpr46
	s_and_saveexec_b64 s[44:45], vcc
; %bb.985:                              ;   in Loop: Header=BB14_17 Depth=1
	s_mov_b32 s46, 0x7f800001
	s_xor_b64 s[40:41], exec, -1
; %bb.986:                              ;   in Loop: Header=BB14_17 Depth=1
	s_or_b64 exec, exec, s[44:45]
	s_and_b64 s[40:41], s[40:41], exec
	s_or_saveexec_b64 s[42:43], s[42:43]
	v_mov_b32_e32 v64, s46
	s_xor_b64 exec, exec, s[42:43]
	s_cbranch_execz .LBB14_159
.LBB14_987:                             ;   in Loop: Header=BB14_17 Depth=1
	v_cmp_ne_u16_e32 vcc, 0, v14
	s_andn2_b64 s[40:41], s[40:41], exec
	s_and_b64 vcc, vcc, exec
	v_mov_b32_e32 v64, 0
	s_or_b64 s[40:41], s[40:41], vcc
	s_or_b64 exec, exec, s[42:43]
	s_and_saveexec_b64 s[42:43], s[40:41]
	s_cbranch_execnz .LBB14_160
	s_branch .LBB14_161
.LBB14_988:                             ;   in Loop: Header=BB14_17 Depth=1
	s_movk_i32 vcc_lo, 0x80
	v_cmp_eq_u16_e32 vcc, vcc_lo, v14
	s_mov_b64 s[36:37], -1
                                        ; implicit-def: $sgpr42
	s_and_saveexec_b64 s[40:41], vcc
; %bb.989:                              ;   in Loop: Header=BB14_17 Depth=1
	s_mov_b32 s42, 0x7f800001
	s_xor_b64 s[36:37], exec, -1
; %bb.990:                              ;   in Loop: Header=BB14_17 Depth=1
	s_or_b64 exec, exec, s[40:41]
	s_and_b64 s[36:37], s[36:37], exec
	s_or_saveexec_b64 s[38:39], s[38:39]
	v_mov_b32_e32 v66, s42
	s_xor_b64 exec, exec, s[38:39]
	s_cbranch_execz .LBB14_259
.LBB14_991:                             ;   in Loop: Header=BB14_17 Depth=1
	v_cmp_ne_u16_e32 vcc, 0, v14
	s_andn2_b64 s[36:37], s[36:37], exec
	s_and_b64 vcc, vcc, exec
	v_mov_b32_e32 v66, 0
	s_or_b64 s[36:37], s[36:37], vcc
	s_or_b64 exec, exec, s[38:39]
	s_and_saveexec_b64 s[38:39], s[36:37]
	s_cbranch_execnz .LBB14_260
	s_branch .LBB14_261
.LBB14_992:                             ;   in Loop: Header=BB14_17 Depth=1
	v_cmp_gt_i16_sdwa vcc, v8, v19 src0_sel:BYTE_0 src1_sel:DWORD
                                        ; implicit-def: $sgpr52_sgpr53
                                        ; implicit-def: $sgpr54_sgpr55
                                        ; implicit-def: $vgpr64
	s_and_saveexec_b64 s[48:49], vcc
	s_xor_b64 s[48:49], exec, s[48:49]
	s_cbranch_execz .LBB14_1024
; %bb.993:                              ;   in Loop: Header=BB14_17 Depth=1
	v_cmp_gt_i16_sdwa vcc, v8, v20 src0_sel:BYTE_0 src1_sel:DWORD
                                        ; implicit-def: $sgpr52_sgpr53
                                        ; implicit-def: $sgpr56_sgpr57
                                        ; implicit-def: $vgpr64
	s_and_saveexec_b64 s[54:55], vcc
	s_xor_b64 s[54:55], exec, s[54:55]
	s_cbranch_execz .LBB14_1009
; %bb.994:                              ;   in Loop: Header=BB14_17 Depth=1
	v_cmp_gt_i16_sdwa s[50:51], v8, v21 src0_sel:BYTE_0 src1_sel:DWORD
	s_mov_b64 s[58:59], 0
                                        ; implicit-def: $vcc
                                        ; implicit-def: $sgpr56_sgpr57
                                        ; implicit-def: $vgpr64
	s_and_saveexec_b64 s[52:53], s[50:51]
	s_xor_b64 s[50:51], exec, s[52:53]
	s_cbranch_execz .LBB14_1004
; %bb.995:                              ;   in Loop: Header=BB14_17 Depth=1
	v_cmp_gt_i16_sdwa vcc, v8, v22 src0_sel:BYTE_0 src1_sel:DWORD
                                        ; implicit-def: $sgpr56_sgpr57
                                        ; implicit-def: $sgpr52_sgpr53
                                        ; implicit-def: $vgpr64
	s_and_saveexec_b64 s[60:61], vcc
	s_xor_b64 vcc, exec, s[60:61]
	s_cbranch_execz .LBB14_999
; %bb.996:                              ;   in Loop: Header=BB14_17 Depth=1
	v_cmp_eq_u16_sdwa s[60:61], v8, v23 src0_sel:BYTE_0 src1_sel:DWORD
	s_mov_b64 s[52:53], 0
                                        ; implicit-def: $vgpr64
	s_and_saveexec_b64 s[56:57], s[60:61]
	s_cbranch_execz .LBB14_998
; %bb.997:                              ;   in Loop: Header=BB14_17 Depth=1
	flat_load_dword v14, v[14:15]
	s_mov_b64 s[58:59], exec
	s_waitcnt vmcnt(0) lgkmcnt(0)
	v_lshlrev_b32_e32 v64, 16, v14
.LBB14_998:                             ;   in Loop: Header=BB14_17 Depth=1
	s_or_b64 exec, exec, s[56:57]
	s_mov_b64 s[56:57], -1
	s_and_b64 s[58:59], s[58:59], exec
                                        ; implicit-def: $vgpr14_vgpr15
.LBB14_999:                             ;   in Loop: Header=BB14_17 Depth=1
	s_andn2_saveexec_b64 s[60:61], vcc
	s_cbranch_execz .LBB14_1003
; %bb.1000:                             ;   in Loop: Header=BB14_17 Depth=1
	v_cmp_eq_u16_sdwa s[64:65], v8, v24 src0_sel:BYTE_0 src1_sel:DWORD
	s_mov_b64 vcc, s[58:59]
                                        ; implicit-def: $vgpr64
	s_and_saveexec_b64 s[62:63], s[64:65]
	s_cbranch_execz .LBB14_1002
; %bb.1001:                             ;   in Loop: Header=BB14_17 Depth=1
	flat_load_ubyte v14, v[14:15]
	s_movk_i32 vcc_lo, 0xff
	s_waitcnt vmcnt(0) lgkmcnt(0)
	v_lshlrev_b32_e32 v15, 23, v14
	v_cmp_ne_u32_e32 vcc, vcc_lo, v14
	v_cndmask_b32_e32 v15, v25, v15, vcc
	v_cmp_ne_u32_e32 vcc, 0, v14
	v_cndmask_b32_e32 v64, v26, v15, vcc
	s_or_b64 vcc, s[58:59], exec
.LBB14_1002:                            ;   in Loop: Header=BB14_17 Depth=1
	s_or_b64 exec, exec, s[62:63]
	s_andn2_b64 s[58:59], s[58:59], exec
	s_and_b64 vcc, vcc, exec
	s_or_b64 s[56:57], s[56:57], exec
	s_andn2_b64 s[52:53], s[52:53], exec
	s_or_b64 s[58:59], s[58:59], vcc
.LBB14_1003:                            ;   in Loop: Header=BB14_17 Depth=1
	s_or_b64 exec, exec, s[60:61]
	s_and_b64 s[56:57], s[56:57], exec
	s_and_b64 vcc, s[52:53], exec
	s_and_b64 s[58:59], s[58:59], exec
                                        ; implicit-def: $vgpr14_vgpr15
.LBB14_1004:                            ;   in Loop: Header=BB14_17 Depth=1
	s_andn2_saveexec_b64 s[50:51], s[50:51]
	s_cbranch_execz .LBB14_1008
; %bb.1005:                             ;   in Loop: Header=BB14_17 Depth=1
	v_cmp_eq_u16_sdwa s[62:63], v8, v27 src0_sel:BYTE_0 src1_sel:DWORD
	s_mov_b64 s[60:61], s[58:59]
                                        ; implicit-def: $vgpr64
	s_and_saveexec_b64 s[52:53], s[62:63]
	s_cbranch_execz .LBB14_1007
; %bb.1006:                             ;   in Loop: Header=BB14_17 Depth=1
	flat_load_dwordx2 v[14:15], v[14:15]
	s_or_b64 s[60:61], s[58:59], exec
	s_waitcnt vmcnt(0) lgkmcnt(0)
	v_ffbh_u32_e32 v64, v15
	v_min_u32_e32 v64, 32, v64
	v_lshlrev_b64 v[14:15], v64, v[14:15]
	v_min_u32_e32 v14, 1, v14
	v_or_b32_e32 v14, v15, v14
	v_cvt_f32_u32_e32 v14, v14
	v_sub_u32_e32 v15, 32, v64
	v_ldexp_f32 v64, v14, v15
.LBB14_1007:                            ;   in Loop: Header=BB14_17 Depth=1
	s_or_b64 exec, exec, s[52:53]
	s_andn2_b64 s[52:53], s[58:59], exec
	s_and_b64 s[58:59], s[60:61], exec
	s_or_b64 s[56:57], s[56:57], exec
	s_andn2_b64 vcc, vcc, exec
	s_or_b64 s[58:59], s[52:53], s[58:59]
.LBB14_1008:                            ;   in Loop: Header=BB14_17 Depth=1
	s_or_b64 exec, exec, s[50:51]
	s_and_b64 s[56:57], s[56:57], exec
	s_and_b64 s[52:53], vcc, exec
	s_and_b64 s[50:51], s[58:59], exec
                                        ; implicit-def: $vgpr14_vgpr15
.LBB14_1009:                            ;   in Loop: Header=BB14_17 Depth=1
	s_andn2_saveexec_b64 s[54:55], s[54:55]
	s_cbranch_execz .LBB14_1023
; %bb.1010:                             ;   in Loop: Header=BB14_17 Depth=1
	v_cmp_gt_i16_sdwa vcc, v8, v28 src0_sel:BYTE_0 src1_sel:DWORD
                                        ; implicit-def: $vgpr64
	s_and_saveexec_b64 s[58:59], vcc
	s_xor_b64 vcc, exec, s[58:59]
	s_cbranch_execz .LBB14_1016
; %bb.1011:                             ;   in Loop: Header=BB14_17 Depth=1
	v_cmp_gt_i16_sdwa s[58:59], v8, v29 src0_sel:BYTE_0 src1_sel:DWORD
                                        ; implicit-def: $vgpr64
	s_and_saveexec_b64 s[60:61], s[58:59]
	s_xor_b64 s[58:59], exec, s[60:61]
	s_cbranch_execz .LBB14_1013
; %bb.1012:                             ;   in Loop: Header=BB14_17 Depth=1
	flat_load_dword v14, v[14:15]
	s_waitcnt vmcnt(0) lgkmcnt(0)
	v_cvt_f32_u32_e32 v64, v14
                                        ; implicit-def: $vgpr14_vgpr15
.LBB14_1013:                            ;   in Loop: Header=BB14_17 Depth=1
	s_andn2_saveexec_b64 s[58:59], s[58:59]
	s_cbranch_execz .LBB14_1015
; %bb.1014:                             ;   in Loop: Header=BB14_17 Depth=1
	flat_load_ushort v14, v[14:15]
	s_waitcnt vmcnt(0) lgkmcnt(0)
	v_cvt_f32_u32_e32 v64, v14
.LBB14_1015:                            ;   in Loop: Header=BB14_17 Depth=1
	s_or_b64 exec, exec, s[58:59]
                                        ; implicit-def: $vgpr14_vgpr15
.LBB14_1016:                            ;   in Loop: Header=BB14_17 Depth=1
	s_andn2_saveexec_b64 s[58:59], vcc
	s_cbranch_execz .LBB14_1022
; %bb.1017:                             ;   in Loop: Header=BB14_17 Depth=1
	flat_load_ubyte v14, v[14:15]
	s_movk_i32 vcc_lo, 0x7f
	s_mov_b64 s[60:61], 0
                                        ; implicit-def: $sgpr66
	s_waitcnt vmcnt(0) lgkmcnt(0)
	v_cmp_lt_i16_e32 vcc, vcc_lo, v14
	s_and_saveexec_b64 s[62:63], vcc
	s_xor_b64 s[62:63], exec, s[62:63]
	s_cbranch_execnz .LBB14_1892
; %bb.1018:                             ;   in Loop: Header=BB14_17 Depth=1
	s_or_saveexec_b64 s[62:63], s[62:63]
	v_mov_b32_e32 v64, s66
	s_xor_b64 exec, exec, s[62:63]
	s_cbranch_execnz .LBB14_1895
.LBB14_1019:                            ;   in Loop: Header=BB14_17 Depth=1
	s_or_b64 exec, exec, s[62:63]
	s_and_saveexec_b64 s[62:63], s[60:61]
	s_cbranch_execz .LBB14_1021
.LBB14_1020:                            ;   in Loop: Header=BB14_17 Depth=1
	v_lshlrev_b32_e32 v15, 24, v14
	v_and_b32_e32 v14, 0xffff, v14
	v_and_b32_e32 v64, 7, v14
	v_ffbh_u32_e32 v67, v64
	v_min_u32_e32 v67, 32, v67
	v_subrev_u32_e32 v68, 28, v67
	v_bfe_u32 v66, v14, 3, 4
	v_lshlrev_b32_e32 v14, v68, v14
	v_sub_u32_e32 v67, 29, v67
	v_and_b32_e32 v14, 7, v14
	v_cmp_eq_u32_e32 vcc, 0, v66
	v_cndmask_b32_e32 v66, v66, v67, vcc
	v_cndmask_b32_e32 v14, v64, v14, vcc
	v_lshlrev_b32_e32 v14, 20, v14
	v_and_b32_e32 v15, 0x80000000, v15
	v_lshl_add_u32 v64, v66, 23, v30
	v_or3_b32 v64, v15, v64, v14
.LBB14_1021:                            ;   in Loop: Header=BB14_17 Depth=1
	s_or_b64 exec, exec, s[62:63]
.LBB14_1022:                            ;   in Loop: Header=BB14_17 Depth=1
	s_or_b64 exec, exec, s[58:59]
	s_andn2_b64 s[56:57], s[56:57], exec
	s_andn2_b64 s[52:53], s[52:53], exec
	s_or_b64 s[50:51], s[50:51], exec
.LBB14_1023:                            ;   in Loop: Header=BB14_17 Depth=1
	s_or_b64 exec, exec, s[54:55]
	s_and_b64 s[54:55], s[56:57], exec
	s_and_b64 s[52:53], s[52:53], exec
	;; [unrolled: 1-line block ×3, first 2 shown]
                                        ; implicit-def: $vgpr14_vgpr15
.LBB14_1024:                            ;   in Loop: Header=BB14_17 Depth=1
	s_andn2_saveexec_b64 s[48:49], s[48:49]
	s_cbranch_execz .LBB14_1050
; %bb.1025:                             ;   in Loop: Header=BB14_17 Depth=1
	v_cmp_gt_i16_sdwa vcc, v8, v31 src0_sel:BYTE_0 src1_sel:DWORD
	s_mov_b64 s[58:59], s[50:51]
                                        ; implicit-def: $vgpr64
	s_and_saveexec_b64 s[56:57], vcc
	s_xor_b64 s[56:57], exec, s[56:57]
	s_cbranch_execz .LBB14_1039
; %bb.1026:                             ;   in Loop: Header=BB14_17 Depth=1
	v_cmp_gt_i16_sdwa vcc, v8, v32 src0_sel:BYTE_0 src1_sel:DWORD
                                        ; implicit-def: $vgpr64
	s_and_saveexec_b64 s[58:59], vcc
	s_xor_b64 s[58:59], exec, s[58:59]
	s_cbranch_execz .LBB14_1036
; %bb.1027:                             ;   in Loop: Header=BB14_17 Depth=1
	v_cmp_gt_i16_sdwa vcc, v8, v33 src0_sel:BYTE_0 src1_sel:DWORD
                                        ; implicit-def: $vgpr64
	s_and_saveexec_b64 s[60:61], vcc
	s_xor_b64 s[60:61], exec, s[60:61]
	s_cbranch_execz .LBB14_1033
; %bb.1028:                             ;   in Loop: Header=BB14_17 Depth=1
	flat_load_ubyte v14, v[14:15]
	s_movk_i32 vcc_lo, 0x7f
	s_mov_b64 s[62:63], 0
                                        ; implicit-def: $sgpr68
	s_waitcnt vmcnt(0) lgkmcnt(0)
	v_cmp_lt_i16_e32 vcc, vcc_lo, v14
	s_and_saveexec_b64 s[64:65], vcc
	s_xor_b64 s[64:65], exec, s[64:65]
	s_cbranch_execnz .LBB14_2111
; %bb.1029:                             ;   in Loop: Header=BB14_17 Depth=1
	s_or_saveexec_b64 s[64:65], s[64:65]
	v_mov_b32_e32 v64, s68
	s_xor_b64 exec, exec, s[64:65]
	s_cbranch_execnz .LBB14_2114
.LBB14_1030:                            ;   in Loop: Header=BB14_17 Depth=1
	s_or_b64 exec, exec, s[64:65]
	s_and_saveexec_b64 s[64:65], s[62:63]
	s_cbranch_execz .LBB14_1032
.LBB14_1031:                            ;   in Loop: Header=BB14_17 Depth=1
	v_lshlrev_b32_e32 v15, 24, v14
	v_and_b32_e32 v14, 0xffff, v14
	v_and_b32_e32 v64, 3, v14
	v_ffbh_u32_e32 v67, v64
	v_min_u32_e32 v67, 32, v67
	v_subrev_u32_e32 v68, 29, v67
	v_bfe_u32 v66, v14, 2, 5
	v_lshlrev_b32_e32 v14, v68, v14
	v_sub_u32_e32 v67, 30, v67
	v_and_b32_e32 v14, 3, v14
	v_cmp_eq_u32_e32 vcc, 0, v66
	v_cndmask_b32_e32 v66, v66, v67, vcc
	v_cndmask_b32_e32 v14, v64, v14, vcc
	v_lshlrev_b32_e32 v14, 21, v14
	v_and_b32_e32 v15, 0x80000000, v15
	v_lshl_add_u32 v64, v66, 23, v34
	v_or3_b32 v64, v15, v64, v14
.LBB14_1032:                            ;   in Loop: Header=BB14_17 Depth=1
	s_or_b64 exec, exec, s[64:65]
                                        ; implicit-def: $vgpr14_vgpr15
.LBB14_1033:                            ;   in Loop: Header=BB14_17 Depth=1
	s_andn2_saveexec_b64 s[60:61], s[60:61]
	s_cbranch_execz .LBB14_1035
; %bb.1034:                             ;   in Loop: Header=BB14_17 Depth=1
	flat_load_ubyte v14, v[14:15]
	s_mov_b32 vcc_lo, 0x7f800000
	s_waitcnt vmcnt(0) lgkmcnt(0)
	v_lshlrev_b32_e32 v14, 24, v14
	v_and_b32_e32 v15, 0x7f000000, v14
	v_ffbh_u32_e32 v64, v15
	v_min_u32_e32 v64, 32, v64
	v_sub_u32_e64 v64, v64, 4 clamp
	v_lshlrev_b32_e32 v67, v64, v15
	v_lshlrev_b32_e32 v64, 23, v64
	v_lshrrev_b32_e32 v67, 4, v67
	v_add_u32_e32 v66, 0x1000000, v15
	v_sub_u32_e32 v64, v67, v64
	v_ashrrev_i32_e32 v66, 8, v66
	v_add_u32_e32 v64, 0x3c000000, v64
	v_and_or_b32 v64, v66, vcc_lo, v64
	v_cmp_ne_u32_e32 vcc, 0, v15
	v_cndmask_b32_e32 v15, 0, v64, vcc
	s_brev_b32 vcc_lo, 1
	v_and_or_b32 v64, v14, vcc_lo, v15
.LBB14_1035:                            ;   in Loop: Header=BB14_17 Depth=1
	s_or_b64 exec, exec, s[60:61]
                                        ; implicit-def: $vgpr14_vgpr15
.LBB14_1036:                            ;   in Loop: Header=BB14_17 Depth=1
	s_andn2_saveexec_b64 s[58:59], s[58:59]
	s_cbranch_execz .LBB14_1038
; %bb.1037:                             ;   in Loop: Header=BB14_17 Depth=1
	flat_load_ubyte v14, v[14:15]
	s_movk_i32 vcc_lo, 0x7f00
	s_waitcnt vmcnt(0) lgkmcnt(0)
	v_lshlrev_b16_e32 v15, 8, v14
	v_lshlrev_b32_e32 v14, 25, v14
	v_lshrrev_b32_e32 v64, 4, v14
	v_and_or_b32 v66, v15, vcc_lo, 0.5
	v_or_b32_e32 v64, 0x70000000, v64
	s_brev_b32 vcc_lo, 16
	v_add_f32_e32 v66, -0.5, v66
	v_mul_f32_e32 v64, 0x7800000, v64
	v_cmp_gt_u32_e32 vcc, vcc_lo, v14
	v_cndmask_b32_e32 v14, v64, v66, vcc
	v_bfe_i32 v15, v15, 0, 16
	s_brev_b32 vcc_lo, 1
	v_and_or_b32 v64, v15, vcc_lo, v14
.LBB14_1038:                            ;   in Loop: Header=BB14_17 Depth=1
	s_or_b64 exec, exec, s[58:59]
	s_or_b64 s[58:59], s[50:51], exec
                                        ; implicit-def: $vgpr14_vgpr15
.LBB14_1039:                            ;   in Loop: Header=BB14_17 Depth=1
	s_or_saveexec_b64 s[56:57], s[56:57]
                                        ; implicit-def: $vcc
                                        ; implicit-def: $sgpr64_sgpr65
	s_xor_b64 exec, exec, s[56:57]
	s_cbranch_execz .LBB14_1049
; %bb.1040:                             ;   in Loop: Header=BB14_17 Depth=1
	v_cmp_gt_i16_sdwa vcc, v8, v35 src0_sel:BYTE_0 src1_sel:DWORD
	s_mov_b64 s[62:63], s[58:59]
                                        ; implicit-def: $sgpr64_sgpr65
                                        ; implicit-def: $sgpr60_sgpr61
                                        ; implicit-def: $vgpr64
	s_and_saveexec_b64 s[66:67], vcc
	s_xor_b64 vcc, exec, s[66:67]
	s_cbranch_execz .LBB14_1044
; %bb.1041:                             ;   in Loop: Header=BB14_17 Depth=1
	v_cmp_eq_u16_sdwa s[64:65], v8, v36 src0_sel:BYTE_0 src1_sel:DWORD
	s_mov_b64 s[62:63], s[58:59]
                                        ; implicit-def: $vgpr64
	s_and_saveexec_b64 s[60:61], s[64:65]
	s_cbranch_execz .LBB14_1043
; %bb.1042:                             ;   in Loop: Header=BB14_17 Depth=1
	flat_load_ushort v14, v[14:15]
	s_or_b64 s[62:63], s[58:59], exec
	s_waitcnt vmcnt(0) lgkmcnt(0)
	v_lshlrev_b32_e32 v64, 16, v14
.LBB14_1043:                            ;   in Loop: Header=BB14_17 Depth=1
	s_or_b64 exec, exec, s[60:61]
	s_andn2_b64 s[66:67], s[58:59], exec
	s_and_b64 s[62:63], s[62:63], exec
	s_mov_b64 s[60:61], 0
	s_mov_b64 s[64:65], -1
	s_or_b64 s[62:63], s[66:67], s[62:63]
                                        ; implicit-def: $vgpr14_vgpr15
.LBB14_1044:                            ;   in Loop: Header=BB14_17 Depth=1
	s_andn2_saveexec_b64 s[66:67], vcc
	s_cbranch_execz .LBB14_1048
; %bb.1045:                             ;   in Loop: Header=BB14_17 Depth=1
	v_cmp_eq_u16_sdwa s[70:71], v8, v37 src0_sel:BYTE_0 src1_sel:DWORD
	s_mov_b64 vcc, s[62:63]
                                        ; implicit-def: $vgpr64
	s_and_saveexec_b64 s[68:69], s[70:71]
	s_cbranch_execz .LBB14_1047
; %bb.1046:                             ;   in Loop: Header=BB14_17 Depth=1
	flat_load_ubyte v14, v[14:15]
	s_waitcnt vmcnt(0) lgkmcnt(0)
	v_cmp_ne_u16_e32 vcc, 0, v14
	v_cndmask_b32_e64 v64, 0, 1.0, vcc
	s_or_b64 vcc, s[62:63], exec
.LBB14_1047:                            ;   in Loop: Header=BB14_17 Depth=1
	s_or_b64 exec, exec, s[68:69]
	s_andn2_b64 s[62:63], s[62:63], exec
	s_and_b64 vcc, vcc, exec
	s_or_b64 s[64:65], s[64:65], exec
	s_andn2_b64 s[60:61], s[60:61], exec
	s_or_b64 s[62:63], s[62:63], vcc
.LBB14_1048:                            ;   in Loop: Header=BB14_17 Depth=1
	s_or_b64 exec, exec, s[66:67]
	s_and_b64 vcc, s[60:61], exec
	s_andn2_b64 s[58:59], s[58:59], exec
	s_and_b64 s[60:61], s[62:63], exec
	s_and_b64 s[64:65], s[64:65], exec
	s_or_b64 s[58:59], s[58:59], s[60:61]
.LBB14_1049:                            ;   in Loop: Header=BB14_17 Depth=1
	s_or_b64 exec, exec, s[56:57]
	s_andn2_b64 s[52:53], s[52:53], exec
	s_and_b64 vcc, vcc, exec
	s_andn2_b64 s[54:55], s[54:55], exec
	s_and_b64 s[56:57], s[64:65], exec
	s_or_b64 s[52:53], s[52:53], vcc
	s_andn2_b64 vcc, s[50:51], exec
	s_and_b64 s[50:51], s[58:59], exec
	s_or_b64 s[54:55], s[54:55], s[56:57]
	s_or_b64 s[50:51], vcc, s[50:51]
.LBB14_1050:                            ;   in Loop: Header=BB14_17 Depth=1
	s_or_b64 exec, exec, s[48:49]
	s_and_b64 s[48:49], s[54:55], exec
	s_and_b64 vcc, s[52:53], exec
	s_and_b64 s[50:51], s[50:51], exec
                                        ; implicit-def: $vgpr14_vgpr15
	s_andn2_saveexec_b64 s[46:47], s[46:47]
	s_cbranch_execz .LBB14_971
.LBB14_1051:                            ;   in Loop: Header=BB14_17 Depth=1
	v_cmp_gt_i16_sdwa s[52:53], v8, v38 src0_sel:BYTE_0 src1_sel:DWORD
                                        ; implicit-def: $vgpr64
	s_and_saveexec_b64 s[54:55], s[52:53]
	s_xor_b64 s[52:53], exec, s[54:55]
	s_cbranch_execz .LBB14_1073
; %bb.1052:                             ;   in Loop: Header=BB14_17 Depth=1
	v_cmp_gt_i16_sdwa s[54:55], v8, v39 src0_sel:BYTE_0 src1_sel:DWORD
                                        ; implicit-def: $vgpr64
	s_and_saveexec_b64 s[56:57], s[54:55]
	s_xor_b64 s[54:55], exec, s[56:57]
	s_cbranch_execz .LBB14_1062
; %bb.1053:                             ;   in Loop: Header=BB14_17 Depth=1
	v_cmp_gt_i16_sdwa s[56:57], v8, v48 src0_sel:BYTE_0 src1_sel:DWORD
                                        ; implicit-def: $vgpr64
	s_and_saveexec_b64 s[58:59], s[56:57]
	s_xor_b64 s[56:57], exec, s[58:59]
	s_cbranch_execz .LBB14_1059
; %bb.1054:                             ;   in Loop: Header=BB14_17 Depth=1
	v_cmp_gt_i16_sdwa s[58:59], v8, v49 src0_sel:BYTE_0 src1_sel:DWORD
                                        ; implicit-def: $vgpr64
	s_and_saveexec_b64 s[60:61], s[58:59]
	s_xor_b64 s[58:59], exec, s[60:61]
	s_cbranch_execz .LBB14_1056
; %bb.1055:                             ;   in Loop: Header=BB14_17 Depth=1
	flat_load_dwordx2 v[14:15], v[14:15]
	s_waitcnt vmcnt(0) lgkmcnt(0)
	v_cvt_f32_f64_e32 v64, v[14:15]
                                        ; implicit-def: $vgpr14_vgpr15
.LBB14_1056:                            ;   in Loop: Header=BB14_17 Depth=1
	s_andn2_saveexec_b64 s[58:59], s[58:59]
	s_cbranch_execz .LBB14_1058
; %bb.1057:                             ;   in Loop: Header=BB14_17 Depth=1
	flat_load_dword v64, v[14:15]
.LBB14_1058:                            ;   in Loop: Header=BB14_17 Depth=1
	s_or_b64 exec, exec, s[58:59]
                                        ; implicit-def: $vgpr14_vgpr15
.LBB14_1059:                            ;   in Loop: Header=BB14_17 Depth=1
	s_andn2_saveexec_b64 s[56:57], s[56:57]
	s_cbranch_execz .LBB14_1061
; %bb.1060:                             ;   in Loop: Header=BB14_17 Depth=1
	flat_load_dword v14, v[14:15]
	s_waitcnt vmcnt(0) lgkmcnt(0)
	v_cvt_f32_f16_e32 v64, v14
.LBB14_1061:                            ;   in Loop: Header=BB14_17 Depth=1
	s_or_b64 exec, exec, s[56:57]
                                        ; implicit-def: $vgpr14_vgpr15
.LBB14_1062:                            ;   in Loop: Header=BB14_17 Depth=1
	s_andn2_saveexec_b64 s[54:55], s[54:55]
	s_cbranch_execz .LBB14_1072
; %bb.1063:                             ;   in Loop: Header=BB14_17 Depth=1
	v_cmp_gt_i16_sdwa s[56:57], v8, v50 src0_sel:BYTE_0 src1_sel:DWORD
                                        ; implicit-def: $vgpr64
	s_and_saveexec_b64 s[58:59], s[56:57]
	s_xor_b64 s[56:57], exec, s[58:59]
	s_cbranch_execz .LBB14_1069
; %bb.1064:                             ;   in Loop: Header=BB14_17 Depth=1
	v_cmp_gt_i16_sdwa s[58:59], v8, v51 src0_sel:BYTE_0 src1_sel:DWORD
                                        ; implicit-def: $vgpr64
	s_and_saveexec_b64 s[60:61], s[58:59]
	s_xor_b64 s[58:59], exec, s[60:61]
	s_cbranch_execz .LBB14_1066
; %bb.1065:                             ;   in Loop: Header=BB14_17 Depth=1
	flat_load_dwordx2 v[14:15], v[14:15]
	s_waitcnt vmcnt(0) lgkmcnt(0)
	v_cvt_f32_f64_e32 v64, v[14:15]
                                        ; implicit-def: $vgpr14_vgpr15
.LBB14_1066:                            ;   in Loop: Header=BB14_17 Depth=1
	s_andn2_saveexec_b64 s[58:59], s[58:59]
	s_cbranch_execz .LBB14_1068
; %bb.1067:                             ;   in Loop: Header=BB14_17 Depth=1
	s_waitcnt vmcnt(0) lgkmcnt(0)
	flat_load_dword v64, v[14:15]
.LBB14_1068:                            ;   in Loop: Header=BB14_17 Depth=1
	s_or_b64 exec, exec, s[58:59]
                                        ; implicit-def: $vgpr14_vgpr15
.LBB14_1069:                            ;   in Loop: Header=BB14_17 Depth=1
	s_andn2_saveexec_b64 s[56:57], s[56:57]
	s_cbranch_execz .LBB14_1071
; %bb.1070:                             ;   in Loop: Header=BB14_17 Depth=1
	flat_load_ushort v14, v[14:15]
	s_waitcnt vmcnt(0) lgkmcnt(0)
	v_cvt_f32_f16_e32 v64, v14
.LBB14_1071:                            ;   in Loop: Header=BB14_17 Depth=1
	s_or_b64 exec, exec, s[56:57]
.LBB14_1072:                            ;   in Loop: Header=BB14_17 Depth=1
	s_or_b64 exec, exec, s[54:55]
                                        ; implicit-def: $vgpr14_vgpr15
.LBB14_1073:                            ;   in Loop: Header=BB14_17 Depth=1
	s_andn2_saveexec_b64 s[52:53], s[52:53]
	s_cbranch_execz .LBB14_1091
; %bb.1074:                             ;   in Loop: Header=BB14_17 Depth=1
	v_cmp_gt_i16_sdwa s[54:55], v8, v52 src0_sel:BYTE_0 src1_sel:DWORD
                                        ; implicit-def: $vgpr64
	s_and_saveexec_b64 s[56:57], s[54:55]
	s_xor_b64 s[54:55], exec, s[56:57]
	s_cbranch_execz .LBB14_1084
; %bb.1075:                             ;   in Loop: Header=BB14_17 Depth=1
	v_cmp_gt_i16_sdwa s[56:57], v8, v53 src0_sel:BYTE_0 src1_sel:DWORD
                                        ; implicit-def: $vgpr64
	s_and_saveexec_b64 s[58:59], s[56:57]
	s_xor_b64 s[56:57], exec, s[58:59]
	;; [unrolled: 6-line block ×3, first 2 shown]
	s_cbranch_execz .LBB14_1078
; %bb.1077:                             ;   in Loop: Header=BB14_17 Depth=1
	flat_load_dwordx2 v[14:15], v[14:15]
	s_waitcnt vmcnt(0) lgkmcnt(0)
	v_xor_b32_e32 v66, v14, v15
	v_ffbh_i32_e32 v64, v15
	v_ashrrev_i32_e32 v66, 31, v66
	v_add_u32_e32 v64, -1, v64
	v_add_u32_e32 v66, 32, v66
	v_min_u32_e32 v64, v64, v66
	v_lshlrev_b64 v[14:15], v64, v[14:15]
	v_min_u32_e32 v14, 1, v14
	v_or_b32_e32 v14, v15, v14
	v_cvt_f32_i32_e32 v14, v14
	v_sub_u32_e32 v15, 32, v64
	v_ldexp_f32 v64, v14, v15
                                        ; implicit-def: $vgpr14_vgpr15
.LBB14_1078:                            ;   in Loop: Header=BB14_17 Depth=1
	s_andn2_saveexec_b64 s[58:59], s[58:59]
	s_cbranch_execz .LBB14_1080
; %bb.1079:                             ;   in Loop: Header=BB14_17 Depth=1
	flat_load_dword v14, v[14:15]
	s_waitcnt vmcnt(0) lgkmcnt(0)
	v_cvt_f32_i32_e32 v64, v14
.LBB14_1080:                            ;   in Loop: Header=BB14_17 Depth=1
	s_or_b64 exec, exec, s[58:59]
                                        ; implicit-def: $vgpr14_vgpr15
.LBB14_1081:                            ;   in Loop: Header=BB14_17 Depth=1
	s_andn2_saveexec_b64 s[56:57], s[56:57]
	s_cbranch_execz .LBB14_1083
; %bb.1082:                             ;   in Loop: Header=BB14_17 Depth=1
	flat_load_sshort v14, v[14:15]
	s_waitcnt vmcnt(0) lgkmcnt(0)
	v_cvt_f32_i32_e32 v64, v14
.LBB14_1083:                            ;   in Loop: Header=BB14_17 Depth=1
	s_or_b64 exec, exec, s[56:57]
                                        ; implicit-def: $vgpr14_vgpr15
.LBB14_1084:                            ;   in Loop: Header=BB14_17 Depth=1
	s_andn2_saveexec_b64 s[54:55], s[54:55]
	s_cbranch_execz .LBB14_1090
; %bb.1085:                             ;   in Loop: Header=BB14_17 Depth=1
	v_cmp_gt_i16_sdwa s[56:57], v8, v16 src0_sel:BYTE_0 src1_sel:DWORD
                                        ; implicit-def: $vgpr64
	s_and_saveexec_b64 s[58:59], s[56:57]
	s_xor_b64 s[56:57], exec, s[58:59]
	s_cbranch_execz .LBB14_1087
; %bb.1086:                             ;   in Loop: Header=BB14_17 Depth=1
	flat_load_sbyte v14, v[14:15]
	s_waitcnt vmcnt(0) lgkmcnt(0)
	v_cvt_f32_i32_e32 v64, v14
                                        ; implicit-def: $vgpr14_vgpr15
.LBB14_1087:                            ;   in Loop: Header=BB14_17 Depth=1
	s_andn2_saveexec_b64 s[56:57], s[56:57]
	s_cbranch_execz .LBB14_1089
; %bb.1088:                             ;   in Loop: Header=BB14_17 Depth=1
	flat_load_ubyte v14, v[14:15]
	s_waitcnt vmcnt(0) lgkmcnt(0)
	v_cvt_f32_ubyte0_e32 v64, v14
.LBB14_1089:                            ;   in Loop: Header=BB14_17 Depth=1
	s_or_b64 exec, exec, s[56:57]
.LBB14_1090:                            ;   in Loop: Header=BB14_17 Depth=1
	s_or_b64 exec, exec, s[54:55]
.LBB14_1091:                            ;   in Loop: Header=BB14_17 Depth=1
	s_or_b64 exec, exec, s[52:53]
	s_andn2_b64 s[48:49], s[48:49], exec
	s_andn2_b64 vcc, vcc, exec
	s_or_b64 s[50:51], s[50:51], exec
	s_or_b64 exec, exec, s[46:47]
	s_mov_b64 s[46:47], 0
	s_and_saveexec_b64 s[52:53], s[50:51]
	s_cbranch_execnz .LBB14_972
	s_branch .LBB14_973
.LBB14_1092:                            ;   in Loop: Header=BB14_17 Depth=1
	v_cmp_gt_i16_sdwa vcc, v7, v19 src0_sel:BYTE_0 src1_sel:DWORD
	s_mov_b64 s[52:53], 0
                                        ; implicit-def: $sgpr54_sgpr55
                                        ; implicit-def: $sgpr44_sgpr45
                                        ; implicit-def: $vgpr66
	s_and_saveexec_b64 s[42:43], vcc
	s_xor_b64 s[42:43], exec, s[42:43]
	s_cbranch_execz .LBB14_1124
; %bb.1093:                             ;   in Loop: Header=BB14_17 Depth=1
	v_cmp_gt_i16_sdwa vcc, v7, v20 src0_sel:BYTE_0 src1_sel:DWORD
                                        ; implicit-def: $sgpr54_sgpr55
                                        ; implicit-def: $sgpr56_sgpr57
                                        ; implicit-def: $vgpr66
	s_and_saveexec_b64 s[44:45], vcc
	s_xor_b64 s[44:45], exec, s[44:45]
	s_cbranch_execz .LBB14_1109
; %bb.1094:                             ;   in Loop: Header=BB14_17 Depth=1
	v_cmp_gt_i16_sdwa s[52:53], v7, v21 src0_sel:BYTE_0 src1_sel:DWORD
	s_mov_b64 s[58:59], 0
                                        ; implicit-def: $vcc
                                        ; implicit-def: $sgpr54_sgpr55
                                        ; implicit-def: $vgpr66
	s_and_saveexec_b64 s[56:57], s[52:53]
	s_xor_b64 s[52:53], exec, s[56:57]
	s_cbranch_execz .LBB14_1104
; %bb.1095:                             ;   in Loop: Header=BB14_17 Depth=1
	v_cmp_gt_i16_sdwa vcc, v7, v22 src0_sel:BYTE_0 src1_sel:DWORD
	s_mov_b64 s[56:57], 0
                                        ; implicit-def: $sgpr54_sgpr55
                                        ; implicit-def: $sgpr58_sgpr59
                                        ; implicit-def: $vgpr66
	s_and_saveexec_b64 s[60:61], vcc
	s_xor_b64 vcc, exec, s[60:61]
	s_cbranch_execz .LBB14_1099
; %bb.1096:                             ;   in Loop: Header=BB14_17 Depth=1
	v_cmp_eq_u16_sdwa s[60:61], v7, v23 src0_sel:BYTE_0 src1_sel:DWORD
	s_mov_b64 s[54:55], 0
                                        ; implicit-def: $vgpr66
	s_and_saveexec_b64 s[58:59], s[60:61]
	s_cbranch_execz .LBB14_1098
; %bb.1097:                             ;   in Loop: Header=BB14_17 Depth=1
	flat_load_dword v14, v[14:15]
	s_mov_b64 s[56:57], exec
	s_waitcnt vmcnt(0) lgkmcnt(0)
	v_lshlrev_b32_e32 v66, 16, v14
.LBB14_1098:                            ;   in Loop: Header=BB14_17 Depth=1
	s_or_b64 exec, exec, s[58:59]
	s_mov_b64 s[58:59], -1
	s_and_b64 s[56:57], s[56:57], exec
                                        ; implicit-def: $vgpr14_vgpr15
.LBB14_1099:                            ;   in Loop: Header=BB14_17 Depth=1
	s_andn2_saveexec_b64 s[60:61], vcc
	s_cbranch_execz .LBB14_1103
; %bb.1100:                             ;   in Loop: Header=BB14_17 Depth=1
	v_cmp_eq_u16_sdwa s[64:65], v7, v24 src0_sel:BYTE_0 src1_sel:DWORD
	s_mov_b64 vcc, s[56:57]
                                        ; implicit-def: $vgpr66
	s_and_saveexec_b64 s[62:63], s[64:65]
	s_cbranch_execz .LBB14_1102
; %bb.1101:                             ;   in Loop: Header=BB14_17 Depth=1
	flat_load_ubyte v14, v[14:15]
	s_movk_i32 vcc_lo, 0xff
	s_waitcnt vmcnt(0) lgkmcnt(0)
	v_lshlrev_b32_e32 v15, 23, v14
	v_cmp_ne_u32_e32 vcc, vcc_lo, v14
	v_cndmask_b32_e32 v15, v25, v15, vcc
	v_cmp_ne_u32_e32 vcc, 0, v14
	v_cndmask_b32_e32 v66, v26, v15, vcc
	s_or_b64 vcc, s[56:57], exec
.LBB14_1102:                            ;   in Loop: Header=BB14_17 Depth=1
	s_or_b64 exec, exec, s[62:63]
	s_andn2_b64 s[56:57], s[56:57], exec
	s_and_b64 vcc, vcc, exec
	s_andn2_b64 s[54:55], s[54:55], exec
	s_or_b64 s[58:59], s[58:59], exec
	s_or_b64 s[56:57], s[56:57], vcc
.LBB14_1103:                            ;   in Loop: Header=BB14_17 Depth=1
	s_or_b64 exec, exec, s[60:61]
	s_and_b64 s[54:55], s[54:55], exec
	s_and_b64 vcc, s[58:59], exec
	s_and_b64 s[58:59], s[56:57], exec
                                        ; implicit-def: $vgpr14_vgpr15
.LBB14_1104:                            ;   in Loop: Header=BB14_17 Depth=1
	s_andn2_saveexec_b64 s[52:53], s[52:53]
	s_cbranch_execz .LBB14_1108
; %bb.1105:                             ;   in Loop: Header=BB14_17 Depth=1
	v_cmp_eq_u16_sdwa s[62:63], v7, v27 src0_sel:BYTE_0 src1_sel:DWORD
	s_mov_b64 s[60:61], s[58:59]
                                        ; implicit-def: $vgpr66
	s_and_saveexec_b64 s[56:57], s[62:63]
	s_cbranch_execz .LBB14_1107
; %bb.1106:                             ;   in Loop: Header=BB14_17 Depth=1
	flat_load_dwordx2 v[14:15], v[14:15]
	s_or_b64 s[60:61], s[58:59], exec
	s_waitcnt vmcnt(0) lgkmcnt(0)
	v_ffbh_u32_e32 v65, v15
	v_min_u32_e32 v65, 32, v65
	v_lshlrev_b64 v[14:15], v65, v[14:15]
	v_min_u32_e32 v14, 1, v14
	v_or_b32_e32 v14, v15, v14
	v_cvt_f32_u32_e32 v14, v14
	v_sub_u32_e32 v15, 32, v65
	v_ldexp_f32 v66, v14, v15
.LBB14_1107:                            ;   in Loop: Header=BB14_17 Depth=1
	s_or_b64 exec, exec, s[56:57]
	s_andn2_b64 s[56:57], s[58:59], exec
	s_and_b64 s[58:59], s[60:61], exec
	s_andn2_b64 s[54:55], s[54:55], exec
	s_or_b64 vcc, vcc, exec
	s_or_b64 s[58:59], s[56:57], s[58:59]
.LBB14_1108:                            ;   in Loop: Header=BB14_17 Depth=1
	s_or_b64 exec, exec, s[52:53]
	s_and_b64 s[56:57], s[54:55], exec
	s_and_b64 s[54:55], vcc, exec
	s_and_b64 s[52:53], s[58:59], exec
                                        ; implicit-def: $vgpr14_vgpr15
.LBB14_1109:                            ;   in Loop: Header=BB14_17 Depth=1
	s_andn2_saveexec_b64 s[44:45], s[44:45]
	s_cbranch_execz .LBB14_1123
; %bb.1110:                             ;   in Loop: Header=BB14_17 Depth=1
	v_cmp_gt_i16_sdwa vcc, v7, v28 src0_sel:BYTE_0 src1_sel:DWORD
                                        ; implicit-def: $vgpr66
	s_and_saveexec_b64 s[58:59], vcc
	s_xor_b64 vcc, exec, s[58:59]
	s_cbranch_execz .LBB14_1116
; %bb.1111:                             ;   in Loop: Header=BB14_17 Depth=1
	v_cmp_gt_i16_sdwa s[58:59], v7, v29 src0_sel:BYTE_0 src1_sel:DWORD
                                        ; implicit-def: $vgpr66
	s_and_saveexec_b64 s[60:61], s[58:59]
	s_xor_b64 s[58:59], exec, s[60:61]
	s_cbranch_execz .LBB14_1113
; %bb.1112:                             ;   in Loop: Header=BB14_17 Depth=1
	flat_load_dword v14, v[14:15]
	s_waitcnt vmcnt(0) lgkmcnt(0)
	v_cvt_f32_u32_e32 v66, v14
                                        ; implicit-def: $vgpr14_vgpr15
.LBB14_1113:                            ;   in Loop: Header=BB14_17 Depth=1
	s_andn2_saveexec_b64 s[58:59], s[58:59]
	s_cbranch_execz .LBB14_1115
; %bb.1114:                             ;   in Loop: Header=BB14_17 Depth=1
	flat_load_ushort v14, v[14:15]
	s_waitcnt vmcnt(0) lgkmcnt(0)
	v_cvt_f32_u32_e32 v66, v14
.LBB14_1115:                            ;   in Loop: Header=BB14_17 Depth=1
	s_or_b64 exec, exec, s[58:59]
                                        ; implicit-def: $vgpr14_vgpr15
.LBB14_1116:                            ;   in Loop: Header=BB14_17 Depth=1
	s_andn2_saveexec_b64 s[58:59], vcc
	s_cbranch_execz .LBB14_1122
; %bb.1117:                             ;   in Loop: Header=BB14_17 Depth=1
	flat_load_ubyte v14, v[14:15]
	s_movk_i32 vcc_lo, 0x7f
	s_mov_b64 s[60:61], 0
                                        ; implicit-def: $sgpr66
	s_waitcnt vmcnt(0) lgkmcnt(0)
	v_cmp_lt_i16_e32 vcc, vcc_lo, v14
	s_and_saveexec_b64 s[62:63], vcc
	s_xor_b64 s[62:63], exec, s[62:63]
	s_cbranch_execnz .LBB14_1896
; %bb.1118:                             ;   in Loop: Header=BB14_17 Depth=1
	s_or_saveexec_b64 s[62:63], s[62:63]
	v_mov_b32_e32 v66, s66
	s_xor_b64 exec, exec, s[62:63]
	s_cbranch_execnz .LBB14_1899
.LBB14_1119:                            ;   in Loop: Header=BB14_17 Depth=1
	s_or_b64 exec, exec, s[62:63]
	s_and_saveexec_b64 s[62:63], s[60:61]
	s_cbranch_execz .LBB14_1121
.LBB14_1120:                            ;   in Loop: Header=BB14_17 Depth=1
	v_lshlrev_b32_e32 v15, 24, v14
	v_and_b32_e32 v14, 0xffff, v14
	v_and_b32_e32 v65, 7, v14
	v_ffbh_u32_e32 v67, v65
	v_min_u32_e32 v67, 32, v67
	v_subrev_u32_e32 v68, 28, v67
	v_bfe_u32 v66, v14, 3, 4
	v_lshlrev_b32_e32 v14, v68, v14
	v_sub_u32_e32 v67, 29, v67
	v_and_b32_e32 v14, 7, v14
	v_cmp_eq_u32_e32 vcc, 0, v66
	v_cndmask_b32_e32 v66, v66, v67, vcc
	v_cndmask_b32_e32 v14, v65, v14, vcc
	v_lshlrev_b32_e32 v14, 20, v14
	v_and_b32_e32 v15, 0x80000000, v15
	v_lshl_add_u32 v65, v66, 23, v30
	v_or3_b32 v66, v15, v65, v14
.LBB14_1121:                            ;   in Loop: Header=BB14_17 Depth=1
	s_or_b64 exec, exec, s[62:63]
.LBB14_1122:                            ;   in Loop: Header=BB14_17 Depth=1
	s_or_b64 exec, exec, s[58:59]
	s_andn2_b64 s[56:57], s[56:57], exec
	s_andn2_b64 s[54:55], s[54:55], exec
	s_or_b64 s[52:53], s[52:53], exec
.LBB14_1123:                            ;   in Loop: Header=BB14_17 Depth=1
	s_or_b64 exec, exec, s[44:45]
	s_and_b64 s[44:45], s[56:57], exec
	s_and_b64 s[54:55], s[54:55], exec
	;; [unrolled: 1-line block ×3, first 2 shown]
                                        ; implicit-def: $vgpr14_vgpr15
.LBB14_1124:                            ;   in Loop: Header=BB14_17 Depth=1
	s_andn2_saveexec_b64 s[42:43], s[42:43]
	s_cbranch_execz .LBB14_1150
; %bb.1125:                             ;   in Loop: Header=BB14_17 Depth=1
	v_cmp_gt_i16_sdwa vcc, v7, v31 src0_sel:BYTE_0 src1_sel:DWORD
	s_mov_b64 s[58:59], s[52:53]
                                        ; implicit-def: $vgpr66
	s_and_saveexec_b64 s[56:57], vcc
	s_xor_b64 s[56:57], exec, s[56:57]
	s_cbranch_execz .LBB14_1139
; %bb.1126:                             ;   in Loop: Header=BB14_17 Depth=1
	v_cmp_gt_i16_sdwa vcc, v7, v32 src0_sel:BYTE_0 src1_sel:DWORD
                                        ; implicit-def: $vgpr66
	s_and_saveexec_b64 s[58:59], vcc
	s_xor_b64 s[58:59], exec, s[58:59]
	s_cbranch_execz .LBB14_1136
; %bb.1127:                             ;   in Loop: Header=BB14_17 Depth=1
	v_cmp_gt_i16_sdwa vcc, v7, v33 src0_sel:BYTE_0 src1_sel:DWORD
                                        ; implicit-def: $vgpr66
	s_and_saveexec_b64 s[60:61], vcc
	s_xor_b64 s[60:61], exec, s[60:61]
	s_cbranch_execz .LBB14_1133
; %bb.1128:                             ;   in Loop: Header=BB14_17 Depth=1
	flat_load_ubyte v14, v[14:15]
	s_movk_i32 vcc_lo, 0x7f
	s_mov_b64 s[62:63], 0
                                        ; implicit-def: $sgpr68
	s_waitcnt vmcnt(0) lgkmcnt(0)
	v_cmp_lt_i16_e32 vcc, vcc_lo, v14
	s_and_saveexec_b64 s[64:65], vcc
	s_xor_b64 s[64:65], exec, s[64:65]
	s_cbranch_execnz .LBB14_2115
; %bb.1129:                             ;   in Loop: Header=BB14_17 Depth=1
	s_or_saveexec_b64 s[64:65], s[64:65]
	v_mov_b32_e32 v66, s68
	s_xor_b64 exec, exec, s[64:65]
	s_cbranch_execnz .LBB14_2118
.LBB14_1130:                            ;   in Loop: Header=BB14_17 Depth=1
	s_or_b64 exec, exec, s[64:65]
	s_and_saveexec_b64 s[64:65], s[62:63]
	s_cbranch_execz .LBB14_1132
.LBB14_1131:                            ;   in Loop: Header=BB14_17 Depth=1
	v_lshlrev_b32_e32 v15, 24, v14
	v_and_b32_e32 v14, 0xffff, v14
	v_and_b32_e32 v65, 3, v14
	v_ffbh_u32_e32 v67, v65
	v_min_u32_e32 v67, 32, v67
	v_subrev_u32_e32 v68, 29, v67
	v_bfe_u32 v66, v14, 2, 5
	v_lshlrev_b32_e32 v14, v68, v14
	v_sub_u32_e32 v67, 30, v67
	v_and_b32_e32 v14, 3, v14
	v_cmp_eq_u32_e32 vcc, 0, v66
	v_cndmask_b32_e32 v66, v66, v67, vcc
	v_cndmask_b32_e32 v14, v65, v14, vcc
	v_lshlrev_b32_e32 v14, 21, v14
	v_and_b32_e32 v15, 0x80000000, v15
	v_lshl_add_u32 v65, v66, 23, v34
	v_or3_b32 v66, v15, v65, v14
.LBB14_1132:                            ;   in Loop: Header=BB14_17 Depth=1
	s_or_b64 exec, exec, s[64:65]
                                        ; implicit-def: $vgpr14_vgpr15
.LBB14_1133:                            ;   in Loop: Header=BB14_17 Depth=1
	s_andn2_saveexec_b64 s[60:61], s[60:61]
	s_cbranch_execz .LBB14_1135
; %bb.1134:                             ;   in Loop: Header=BB14_17 Depth=1
	flat_load_ubyte v14, v[14:15]
	s_mov_b32 vcc_lo, 0x7f800000
	s_waitcnt vmcnt(0) lgkmcnt(0)
	v_lshlrev_b32_e32 v14, 24, v14
	v_and_b32_e32 v15, 0x7f000000, v14
	v_ffbh_u32_e32 v65, v15
	v_min_u32_e32 v65, 32, v65
	v_sub_u32_e64 v65, v65, 4 clamp
	v_lshlrev_b32_e32 v67, v65, v15
	v_lshlrev_b32_e32 v65, 23, v65
	v_lshrrev_b32_e32 v67, 4, v67
	v_add_u32_e32 v66, 0x1000000, v15
	v_sub_u32_e32 v65, v67, v65
	v_ashrrev_i32_e32 v66, 8, v66
	v_add_u32_e32 v65, 0x3c000000, v65
	v_and_or_b32 v65, v66, vcc_lo, v65
	v_cmp_ne_u32_e32 vcc, 0, v15
	v_cndmask_b32_e32 v15, 0, v65, vcc
	s_brev_b32 vcc_lo, 1
	v_and_or_b32 v66, v14, vcc_lo, v15
.LBB14_1135:                            ;   in Loop: Header=BB14_17 Depth=1
	s_or_b64 exec, exec, s[60:61]
                                        ; implicit-def: $vgpr14_vgpr15
.LBB14_1136:                            ;   in Loop: Header=BB14_17 Depth=1
	s_andn2_saveexec_b64 s[58:59], s[58:59]
	s_cbranch_execz .LBB14_1138
; %bb.1137:                             ;   in Loop: Header=BB14_17 Depth=1
	flat_load_ubyte v14, v[14:15]
	s_movk_i32 vcc_lo, 0x7f00
	s_waitcnt vmcnt(0) lgkmcnt(0)
	v_lshlrev_b16_e32 v15, 8, v14
	v_lshlrev_b32_e32 v14, 25, v14
	v_lshrrev_b32_e32 v65, 4, v14
	v_and_or_b32 v66, v15, vcc_lo, 0.5
	v_or_b32_e32 v65, 0x70000000, v65
	s_brev_b32 vcc_lo, 16
	v_add_f32_e32 v66, -0.5, v66
	v_mul_f32_e32 v65, 0x7800000, v65
	v_cmp_gt_u32_e32 vcc, vcc_lo, v14
	v_cndmask_b32_e32 v14, v65, v66, vcc
	v_bfe_i32 v15, v15, 0, 16
	s_brev_b32 vcc_lo, 1
	v_and_or_b32 v66, v15, vcc_lo, v14
.LBB14_1138:                            ;   in Loop: Header=BB14_17 Depth=1
	s_or_b64 exec, exec, s[58:59]
	s_or_b64 s[58:59], s[52:53], exec
                                        ; implicit-def: $vgpr14_vgpr15
.LBB14_1139:                            ;   in Loop: Header=BB14_17 Depth=1
	s_or_saveexec_b64 s[56:57], s[56:57]
                                        ; implicit-def: $vcc
                                        ; implicit-def: $sgpr64_sgpr65
	s_xor_b64 exec, exec, s[56:57]
	s_cbranch_execz .LBB14_1149
; %bb.1140:                             ;   in Loop: Header=BB14_17 Depth=1
	v_cmp_gt_i16_sdwa vcc, v7, v35 src0_sel:BYTE_0 src1_sel:DWORD
	s_mov_b64 s[62:63], s[58:59]
                                        ; implicit-def: $sgpr64_sgpr65
                                        ; implicit-def: $sgpr60_sgpr61
                                        ; implicit-def: $vgpr66
	s_and_saveexec_b64 s[66:67], vcc
	s_xor_b64 vcc, exec, s[66:67]
	s_cbranch_execz .LBB14_1144
; %bb.1141:                             ;   in Loop: Header=BB14_17 Depth=1
	v_cmp_eq_u16_sdwa s[64:65], v7, v36 src0_sel:BYTE_0 src1_sel:DWORD
	s_mov_b64 s[62:63], s[58:59]
                                        ; implicit-def: $vgpr66
	s_and_saveexec_b64 s[60:61], s[64:65]
	s_cbranch_execz .LBB14_1143
; %bb.1142:                             ;   in Loop: Header=BB14_17 Depth=1
	flat_load_ushort v14, v[14:15]
	s_or_b64 s[62:63], s[58:59], exec
	s_waitcnt vmcnt(0) lgkmcnt(0)
	v_lshlrev_b32_e32 v66, 16, v14
.LBB14_1143:                            ;   in Loop: Header=BB14_17 Depth=1
	s_or_b64 exec, exec, s[60:61]
	s_andn2_b64 s[66:67], s[58:59], exec
	s_and_b64 s[62:63], s[62:63], exec
	s_mov_b64 s[60:61], -1
	s_mov_b64 s[64:65], 0
	s_or_b64 s[62:63], s[66:67], s[62:63]
                                        ; implicit-def: $vgpr14_vgpr15
.LBB14_1144:                            ;   in Loop: Header=BB14_17 Depth=1
	s_andn2_saveexec_b64 s[66:67], vcc
	s_cbranch_execz .LBB14_1148
; %bb.1145:                             ;   in Loop: Header=BB14_17 Depth=1
	v_cmp_eq_u16_sdwa s[70:71], v7, v37 src0_sel:BYTE_0 src1_sel:DWORD
	s_mov_b64 vcc, s[62:63]
                                        ; implicit-def: $vgpr66
	s_and_saveexec_b64 s[68:69], s[70:71]
	s_cbranch_execz .LBB14_1147
; %bb.1146:                             ;   in Loop: Header=BB14_17 Depth=1
	flat_load_ubyte v14, v[14:15]
	s_waitcnt vmcnt(0) lgkmcnt(0)
	v_cmp_ne_u16_e32 vcc, 0, v14
	v_cndmask_b32_e64 v66, 0, 1.0, vcc
	s_or_b64 vcc, s[62:63], exec
.LBB14_1147:                            ;   in Loop: Header=BB14_17 Depth=1
	s_or_b64 exec, exec, s[68:69]
	s_andn2_b64 s[62:63], s[62:63], exec
	s_and_b64 vcc, vcc, exec
	s_andn2_b64 s[64:65], s[64:65], exec
	s_or_b64 s[60:61], s[60:61], exec
	s_or_b64 s[62:63], s[62:63], vcc
.LBB14_1148:                            ;   in Loop: Header=BB14_17 Depth=1
	s_or_b64 exec, exec, s[66:67]
	s_and_b64 vcc, s[60:61], exec
	s_andn2_b64 s[58:59], s[58:59], exec
	s_and_b64 s[60:61], s[62:63], exec
	s_and_b64 s[64:65], s[64:65], exec
	s_or_b64 s[58:59], s[58:59], s[60:61]
.LBB14_1149:                            ;   in Loop: Header=BB14_17 Depth=1
	s_or_b64 exec, exec, s[56:57]
	s_andn2_b64 s[54:55], s[54:55], exec
	s_and_b64 vcc, vcc, exec
	s_andn2_b64 s[44:45], s[44:45], exec
	s_and_b64 s[56:57], s[64:65], exec
	s_or_b64 s[54:55], s[54:55], vcc
	s_andn2_b64 vcc, s[52:53], exec
	s_and_b64 s[52:53], s[58:59], exec
	s_or_b64 s[44:45], s[44:45], s[56:57]
	s_or_b64 s[52:53], vcc, s[52:53]
.LBB14_1150:                            ;   in Loop: Header=BB14_17 Depth=1
	s_or_b64 exec, exec, s[42:43]
	s_and_b64 s[44:45], s[44:45], exec
	s_and_b64 s[42:43], s[54:55], exec
	s_and_b64 vcc, s[52:53], exec
                                        ; implicit-def: $vgpr14_vgpr15
	s_andn2_saveexec_b64 s[50:51], s[50:51]
	s_cbranch_execz .LBB14_979
.LBB14_1151:                            ;   in Loop: Header=BB14_17 Depth=1
	v_cmp_gt_i16_sdwa s[52:53], v7, v38 src0_sel:BYTE_0 src1_sel:DWORD
                                        ; implicit-def: $vgpr66
	s_and_saveexec_b64 s[54:55], s[52:53]
	s_xor_b64 s[52:53], exec, s[54:55]
	s_cbranch_execz .LBB14_1173
; %bb.1152:                             ;   in Loop: Header=BB14_17 Depth=1
	v_cmp_gt_i16_sdwa s[54:55], v7, v39 src0_sel:BYTE_0 src1_sel:DWORD
                                        ; implicit-def: $vgpr66
	s_and_saveexec_b64 s[56:57], s[54:55]
	s_xor_b64 s[54:55], exec, s[56:57]
	s_cbranch_execz .LBB14_1162
; %bb.1153:                             ;   in Loop: Header=BB14_17 Depth=1
	;; [unrolled: 6-line block ×4, first 2 shown]
	flat_load_dwordx2 v[14:15], v[14:15]
	s_waitcnt vmcnt(0) lgkmcnt(0)
	v_cvt_f32_f64_e32 v66, v[14:15]
                                        ; implicit-def: $vgpr14_vgpr15
.LBB14_1156:                            ;   in Loop: Header=BB14_17 Depth=1
	s_andn2_saveexec_b64 s[58:59], s[58:59]
	s_cbranch_execz .LBB14_1158
; %bb.1157:                             ;   in Loop: Header=BB14_17 Depth=1
	flat_load_dword v66, v[14:15]
.LBB14_1158:                            ;   in Loop: Header=BB14_17 Depth=1
	s_or_b64 exec, exec, s[58:59]
                                        ; implicit-def: $vgpr14_vgpr15
.LBB14_1159:                            ;   in Loop: Header=BB14_17 Depth=1
	s_andn2_saveexec_b64 s[56:57], s[56:57]
	s_cbranch_execz .LBB14_1161
; %bb.1160:                             ;   in Loop: Header=BB14_17 Depth=1
	flat_load_dword v14, v[14:15]
	s_waitcnt vmcnt(0) lgkmcnt(0)
	v_cvt_f32_f16_e32 v66, v14
.LBB14_1161:                            ;   in Loop: Header=BB14_17 Depth=1
	s_or_b64 exec, exec, s[56:57]
                                        ; implicit-def: $vgpr14_vgpr15
.LBB14_1162:                            ;   in Loop: Header=BB14_17 Depth=1
	s_andn2_saveexec_b64 s[54:55], s[54:55]
	s_cbranch_execz .LBB14_1172
; %bb.1163:                             ;   in Loop: Header=BB14_17 Depth=1
	v_cmp_gt_i16_sdwa s[56:57], v7, v50 src0_sel:BYTE_0 src1_sel:DWORD
                                        ; implicit-def: $vgpr66
	s_and_saveexec_b64 s[58:59], s[56:57]
	s_xor_b64 s[56:57], exec, s[58:59]
	s_cbranch_execz .LBB14_1169
; %bb.1164:                             ;   in Loop: Header=BB14_17 Depth=1
	v_cmp_gt_i16_sdwa s[58:59], v7, v51 src0_sel:BYTE_0 src1_sel:DWORD
                                        ; implicit-def: $vgpr66
	s_and_saveexec_b64 s[60:61], s[58:59]
	s_xor_b64 s[58:59], exec, s[60:61]
	s_cbranch_execz .LBB14_1166
; %bb.1165:                             ;   in Loop: Header=BB14_17 Depth=1
	flat_load_dwordx2 v[14:15], v[14:15]
	s_waitcnt vmcnt(0) lgkmcnt(0)
	v_cvt_f32_f64_e32 v66, v[14:15]
                                        ; implicit-def: $vgpr14_vgpr15
.LBB14_1166:                            ;   in Loop: Header=BB14_17 Depth=1
	s_andn2_saveexec_b64 s[58:59], s[58:59]
	s_cbranch_execz .LBB14_1168
; %bb.1167:                             ;   in Loop: Header=BB14_17 Depth=1
	s_waitcnt vmcnt(0) lgkmcnt(0)
	flat_load_dword v66, v[14:15]
.LBB14_1168:                            ;   in Loop: Header=BB14_17 Depth=1
	s_or_b64 exec, exec, s[58:59]
                                        ; implicit-def: $vgpr14_vgpr15
.LBB14_1169:                            ;   in Loop: Header=BB14_17 Depth=1
	s_andn2_saveexec_b64 s[56:57], s[56:57]
	s_cbranch_execz .LBB14_1171
; %bb.1170:                             ;   in Loop: Header=BB14_17 Depth=1
	flat_load_ushort v14, v[14:15]
	s_waitcnt vmcnt(0) lgkmcnt(0)
	v_cvt_f32_f16_e32 v66, v14
.LBB14_1171:                            ;   in Loop: Header=BB14_17 Depth=1
	s_or_b64 exec, exec, s[56:57]
.LBB14_1172:                            ;   in Loop: Header=BB14_17 Depth=1
	s_or_b64 exec, exec, s[54:55]
                                        ; implicit-def: $vgpr14_vgpr15
.LBB14_1173:                            ;   in Loop: Header=BB14_17 Depth=1
	s_andn2_saveexec_b64 s[52:53], s[52:53]
	s_cbranch_execz .LBB14_1191
; %bb.1174:                             ;   in Loop: Header=BB14_17 Depth=1
	v_cmp_gt_i16_sdwa s[54:55], v7, v52 src0_sel:BYTE_0 src1_sel:DWORD
                                        ; implicit-def: $vgpr66
	s_and_saveexec_b64 s[56:57], s[54:55]
	s_xor_b64 s[54:55], exec, s[56:57]
	s_cbranch_execz .LBB14_1184
; %bb.1175:                             ;   in Loop: Header=BB14_17 Depth=1
	v_cmp_gt_i16_sdwa s[56:57], v7, v53 src0_sel:BYTE_0 src1_sel:DWORD
                                        ; implicit-def: $vgpr66
	s_and_saveexec_b64 s[58:59], s[56:57]
	s_xor_b64 s[56:57], exec, s[58:59]
	;; [unrolled: 6-line block ×3, first 2 shown]
	s_cbranch_execz .LBB14_1178
; %bb.1177:                             ;   in Loop: Header=BB14_17 Depth=1
	flat_load_dwordx2 v[14:15], v[14:15]
	s_waitcnt vmcnt(0) lgkmcnt(0)
	v_xor_b32_e32 v66, v14, v15
	v_ffbh_i32_e32 v65, v15
	v_ashrrev_i32_e32 v66, 31, v66
	v_add_u32_e32 v65, -1, v65
	v_add_u32_e32 v66, 32, v66
	v_min_u32_e32 v65, v65, v66
	v_lshlrev_b64 v[14:15], v65, v[14:15]
	v_min_u32_e32 v14, 1, v14
	v_or_b32_e32 v14, v15, v14
	v_cvt_f32_i32_e32 v14, v14
	v_sub_u32_e32 v15, 32, v65
	v_ldexp_f32 v66, v14, v15
                                        ; implicit-def: $vgpr14_vgpr15
.LBB14_1178:                            ;   in Loop: Header=BB14_17 Depth=1
	s_andn2_saveexec_b64 s[58:59], s[58:59]
	s_cbranch_execz .LBB14_1180
; %bb.1179:                             ;   in Loop: Header=BB14_17 Depth=1
	flat_load_dword v14, v[14:15]
	s_waitcnt vmcnt(0) lgkmcnt(0)
	v_cvt_f32_i32_e32 v66, v14
.LBB14_1180:                            ;   in Loop: Header=BB14_17 Depth=1
	s_or_b64 exec, exec, s[58:59]
                                        ; implicit-def: $vgpr14_vgpr15
.LBB14_1181:                            ;   in Loop: Header=BB14_17 Depth=1
	s_andn2_saveexec_b64 s[56:57], s[56:57]
	s_cbranch_execz .LBB14_1183
; %bb.1182:                             ;   in Loop: Header=BB14_17 Depth=1
	flat_load_sshort v14, v[14:15]
	s_waitcnt vmcnt(0) lgkmcnt(0)
	v_cvt_f32_i32_e32 v66, v14
.LBB14_1183:                            ;   in Loop: Header=BB14_17 Depth=1
	s_or_b64 exec, exec, s[56:57]
                                        ; implicit-def: $vgpr14_vgpr15
.LBB14_1184:                            ;   in Loop: Header=BB14_17 Depth=1
	s_andn2_saveexec_b64 s[54:55], s[54:55]
	s_cbranch_execz .LBB14_1190
; %bb.1185:                             ;   in Loop: Header=BB14_17 Depth=1
	v_cmp_gt_i16_sdwa s[56:57], v7, v16 src0_sel:BYTE_0 src1_sel:DWORD
                                        ; implicit-def: $vgpr66
	s_and_saveexec_b64 s[58:59], s[56:57]
	s_xor_b64 s[56:57], exec, s[58:59]
	s_cbranch_execz .LBB14_1187
; %bb.1186:                             ;   in Loop: Header=BB14_17 Depth=1
	flat_load_sbyte v14, v[14:15]
	s_waitcnt vmcnt(0) lgkmcnt(0)
	v_cvt_f32_i32_e32 v66, v14
                                        ; implicit-def: $vgpr14_vgpr15
.LBB14_1187:                            ;   in Loop: Header=BB14_17 Depth=1
	s_andn2_saveexec_b64 s[56:57], s[56:57]
	s_cbranch_execz .LBB14_1189
; %bb.1188:                             ;   in Loop: Header=BB14_17 Depth=1
	flat_load_ubyte v14, v[14:15]
	s_waitcnt vmcnt(0) lgkmcnt(0)
	v_cvt_f32_ubyte0_e32 v66, v14
.LBB14_1189:                            ;   in Loop: Header=BB14_17 Depth=1
	s_or_b64 exec, exec, s[56:57]
.LBB14_1190:                            ;   in Loop: Header=BB14_17 Depth=1
	s_or_b64 exec, exec, s[54:55]
.LBB14_1191:                            ;   in Loop: Header=BB14_17 Depth=1
	s_or_b64 exec, exec, s[52:53]
	s_andn2_b64 s[44:45], s[44:45], exec
	s_andn2_b64 s[42:43], s[42:43], exec
	s_or_b64 vcc, vcc, exec
	s_or_b64 exec, exec, s[50:51]
	s_mov_b64 s[52:53], 0
	s_and_saveexec_b64 s[50:51], vcc
	s_cbranch_execz .LBB14_1197
.LBB14_1192:                            ;   in Loop: Header=BB14_17 Depth=1
	v_mul_lo_u32 v14, v64, v10
	v_readlane_b32 s52, v44, 0
	v_add_co_u32_e32 v14, vcc, v4, v14
	v_add_u32_e32 v65, s52, v17
	v_addc_co_u32_e32 v15, vcc, 0, v5, vcc
	v_cmp_gt_i16_sdwa s[52:53], v8, v18 src0_sel:BYTE_0 src1_sel:DWORD
	s_mov_b64 s[56:57], 0
	s_waitcnt vmcnt(0) lgkmcnt(0)
	buffer_store_dword v66, v65, s[0:3], 0 offen offset:44
                                        ; implicit-def: $vcc
                                        ; implicit-def: $sgpr54_sgpr55
                                        ; implicit-def: $vgpr64
	s_and_saveexec_b64 s[58:59], s[52:53]
	s_xor_b64 s[52:53], exec, s[58:59]
	s_cbranch_execnz .LBB14_1219
; %bb.1193:                             ;   in Loop: Header=BB14_17 Depth=1
	s_andn2_saveexec_b64 s[52:53], s[52:53]
	s_cbranch_execnz .LBB14_1278
.LBB14_1194:                            ;   in Loop: Header=BB14_17 Depth=1
	s_or_b64 exec, exec, s[52:53]
	s_mov_b64 s[52:53], 0
	s_and_saveexec_b64 s[58:59], s[56:57]
	s_cbranch_execz .LBB14_1196
.LBB14_1195:                            ;   in Loop: Header=BB14_17 Depth=1
	s_mov_b64 s[52:53], exec
	v_add_u32_e32 v55, 0x200, v55
	s_andn2_b64 s[54:55], s[54:55], exec
	s_andn2_b64 vcc, vcc, exec
	s_waitcnt vmcnt(0) lgkmcnt(0)
	buffer_store_dword v64, v65, s[0:3], 0 offen offset:40
.LBB14_1196:                            ;   in Loop: Header=BB14_17 Depth=1
	s_or_b64 exec, exec, s[58:59]
	s_andn2_b64 s[44:45], s[44:45], exec
	s_and_b64 s[54:55], s[54:55], exec
	s_andn2_b64 s[42:43], s[42:43], exec
	s_and_b64 vcc, vcc, exec
	s_or_b64 s[44:45], s[44:45], s[54:55]
	s_or_b64 s[42:43], s[42:43], vcc
	s_and_b64 s[52:53], s[52:53], exec
.LBB14_1197:                            ;   in Loop: Header=BB14_17 Depth=1
	s_or_b64 exec, exec, s[50:51]
	s_and_b64 s[44:45], s[44:45], exec
	s_and_b64 s[42:43], s[42:43], exec
	s_orn2_b64 s[50:51], s[52:53], exec
.LBB14_1198:                            ;   in Loop: Header=BB14_17 Depth=1
	s_or_b64 exec, exec, s[46:47]
	s_and_saveexec_b64 s[46:47], s[50:51]
	s_cbranch_execz .LBB14_11
; %bb.1199:                             ;   in Loop: Header=BB14_17 Depth=1
	v_cmp_lt_i32_e32 vcc, v55, v6
	s_mov_b64 s[54:55], -1
	s_mov_b64 s[56:57], -1
                                        ; implicit-def: $sgpr48_sgpr49
                                        ; implicit-def: $sgpr50_sgpr51
	s_and_saveexec_b64 s[52:53], vcc
	s_cbranch_execz .LBB14_1425
; %bb.1200:                             ;   in Loop: Header=BB14_17 Depth=1
	v_readlane_b32 vcc_lo, v44, 1
	s_waitcnt vmcnt(0) lgkmcnt(0)
	v_add_u32_e32 v64, vcc_lo, v55
	v_mul_lo_u32 v14, v64, v9
	v_add_co_u32_e32 v14, vcc, v2, v14
	v_addc_co_u32_e32 v15, vcc, 0, v3, vcc
	v_cmp_gt_i16_sdwa s[56:57], v7, v18 src0_sel:BYTE_0 src1_sel:DWORD
	s_mov_b64 vcc, 0
                                        ; implicit-def: $sgpr48_sgpr49
                                        ; implicit-def: $sgpr50_sgpr51
                                        ; implicit-def: $vgpr66
	s_and_saveexec_b64 s[58:59], s[56:57]
	s_xor_b64 s[56:57], exec, s[58:59]
	s_cbranch_execnz .LBB14_1319
; %bb.1201:                             ;   in Loop: Header=BB14_17 Depth=1
	s_andn2_saveexec_b64 s[56:57], s[56:57]
	s_cbranch_execnz .LBB14_1378
.LBB14_1202:                            ;   in Loop: Header=BB14_17 Depth=1
	s_or_b64 exec, exec, s[56:57]
	s_mov_b64 s[58:59], 0
	s_and_saveexec_b64 s[56:57], vcc
	s_cbranch_execnz .LBB14_1419
	s_branch .LBB14_1424
.LBB14_1203:                            ;   in Loop: Header=BB14_17 Depth=1
	s_movk_i32 vcc_lo, 0x80
	v_cmp_eq_u16_e32 vcc, vcc_lo, v14
	s_mov_b64 s[42:43], -1
                                        ; implicit-def: $sgpr48
	s_and_saveexec_b64 s[46:47], vcc
; %bb.1204:                             ;   in Loop: Header=BB14_17 Depth=1
	s_mov_b32 s48, 0x7f800001
	s_xor_b64 s[42:43], exec, -1
; %bb.1205:                             ;   in Loop: Header=BB14_17 Depth=1
	s_or_b64 exec, exec, s[46:47]
	s_and_b64 s[42:43], s[42:43], exec
	s_or_saveexec_b64 s[44:45], s[44:45]
	v_mov_b32_e32 v64, s48
	s_xor_b64 exec, exec, s[44:45]
	s_cbranch_execz .LBB14_170
.LBB14_1206:                            ;   in Loop: Header=BB14_17 Depth=1
	v_cmp_ne_u16_e32 vcc, 0, v14
	s_andn2_b64 s[42:43], s[42:43], exec
	s_and_b64 vcc, vcc, exec
	v_mov_b32_e32 v64, 0
	s_or_b64 s[42:43], s[42:43], vcc
	s_or_b64 exec, exec, s[44:45]
	s_and_saveexec_b64 s[44:45], s[42:43]
	s_cbranch_execnz .LBB14_171
	s_branch .LBB14_172
.LBB14_1207:                            ;   in Loop: Header=BB14_17 Depth=1
	s_movk_i32 vcc_lo, 0x80
	v_cmp_eq_u16_e32 vcc, vcc_lo, v14
	s_mov_b64 s[38:39], -1
                                        ; implicit-def: $sgpr44
	s_and_saveexec_b64 s[42:43], vcc
; %bb.1208:                             ;   in Loop: Header=BB14_17 Depth=1
	s_mov_b32 s44, 0x7f800001
	s_xor_b64 s[38:39], exec, -1
; %bb.1209:                             ;   in Loop: Header=BB14_17 Depth=1
	s_or_b64 exec, exec, s[42:43]
	s_and_b64 s[38:39], s[38:39], exec
	s_or_saveexec_b64 s[40:41], s[40:41]
	v_mov_b32_e32 v66, s44
	s_xor_b64 exec, exec, s[40:41]
	s_cbranch_execz .LBB14_270
.LBB14_1210:                            ;   in Loop: Header=BB14_17 Depth=1
	v_cmp_ne_u16_e32 vcc, 0, v14
	s_andn2_b64 s[38:39], s[38:39], exec
	s_and_b64 vcc, vcc, exec
	v_mov_b32_e32 v66, 0
	s_or_b64 s[38:39], s[38:39], vcc
	s_or_b64 exec, exec, s[40:41]
	s_and_saveexec_b64 s[40:41], s[38:39]
	s_cbranch_execnz .LBB14_271
	s_branch .LBB14_272
.LBB14_1211:                            ;   in Loop: Header=BB14_17 Depth=1
	s_movk_i32 vcc_lo, 0x80
	v_cmp_eq_u16_e32 vcc, vcc_lo, v14
	s_mov_b64 s[42:43], -1
                                        ; implicit-def: $sgpr48
	s_and_saveexec_b64 s[46:47], vcc
; %bb.1212:                             ;   in Loop: Header=BB14_17 Depth=1
	s_mov_b32 s48, 0x7f800001
	s_xor_b64 s[42:43], exec, -1
; %bb.1213:                             ;   in Loop: Header=BB14_17 Depth=1
	s_or_b64 exec, exec, s[46:47]
	s_and_b64 s[42:43], s[42:43], exec
	s_or_saveexec_b64 s[44:45], s[44:45]
	v_mov_b32_e32 v64, s48
	s_xor_b64 exec, exec, s[44:45]
	s_cbranch_execz .LBB14_370
.LBB14_1214:                            ;   in Loop: Header=BB14_17 Depth=1
	v_cmp_ne_u16_e32 vcc, 0, v14
	s_andn2_b64 s[42:43], s[42:43], exec
	s_and_b64 vcc, vcc, exec
	v_mov_b32_e32 v64, 0
	s_or_b64 s[42:43], s[42:43], vcc
	s_or_b64 exec, exec, s[44:45]
	s_and_saveexec_b64 s[44:45], s[42:43]
	s_cbranch_execnz .LBB14_371
	s_branch .LBB14_372
.LBB14_1215:                            ;   in Loop: Header=BB14_17 Depth=1
	s_movk_i32 vcc_lo, 0x80
	v_cmp_eq_u16_e32 vcc, vcc_lo, v14
	s_mov_b64 s[42:43], -1
                                        ; implicit-def: $sgpr48
	s_and_saveexec_b64 s[46:47], vcc
; %bb.1216:                             ;   in Loop: Header=BB14_17 Depth=1
	s_mov_b32 s48, 0x7f800001
	s_xor_b64 s[42:43], exec, -1
; %bb.1217:                             ;   in Loop: Header=BB14_17 Depth=1
	s_or_b64 exec, exec, s[46:47]
	s_and_b64 s[42:43], s[42:43], exec
	s_or_saveexec_b64 s[44:45], s[44:45]
	v_mov_b32_e32 v66, s48
	s_xor_b64 exec, exec, s[44:45]
	s_cbranch_execz .LBB14_470
.LBB14_1218:                            ;   in Loop: Header=BB14_17 Depth=1
	v_cmp_ne_u16_e32 vcc, 0, v14
	s_andn2_b64 s[42:43], s[42:43], exec
	s_and_b64 vcc, vcc, exec
	v_mov_b32_e32 v66, 0
	s_or_b64 s[42:43], s[42:43], vcc
	s_or_b64 exec, exec, s[44:45]
	s_and_saveexec_b64 s[44:45], s[42:43]
	s_cbranch_execnz .LBB14_471
	s_branch .LBB14_472
.LBB14_1219:                            ;   in Loop: Header=BB14_17 Depth=1
	v_cmp_gt_i16_sdwa vcc, v8, v19 src0_sel:BYTE_0 src1_sel:DWORD
                                        ; implicit-def: $sgpr58_sgpr59
                                        ; implicit-def: $sgpr60_sgpr61
                                        ; implicit-def: $vgpr64
	s_and_saveexec_b64 s[54:55], vcc
	s_xor_b64 s[54:55], exec, s[54:55]
	s_cbranch_execz .LBB14_1251
; %bb.1220:                             ;   in Loop: Header=BB14_17 Depth=1
	v_cmp_gt_i16_sdwa vcc, v8, v20 src0_sel:BYTE_0 src1_sel:DWORD
                                        ; implicit-def: $sgpr58_sgpr59
                                        ; implicit-def: $sgpr62_sgpr63
                                        ; implicit-def: $vgpr64
	s_and_saveexec_b64 s[60:61], vcc
	s_xor_b64 s[60:61], exec, s[60:61]
	s_cbranch_execz .LBB14_1236
; %bb.1221:                             ;   in Loop: Header=BB14_17 Depth=1
	v_cmp_gt_i16_sdwa s[56:57], v8, v21 src0_sel:BYTE_0 src1_sel:DWORD
	s_mov_b64 s[64:65], 0
                                        ; implicit-def: $vcc
                                        ; implicit-def: $sgpr62_sgpr63
                                        ; implicit-def: $vgpr64
	s_and_saveexec_b64 s[58:59], s[56:57]
	s_xor_b64 s[56:57], exec, s[58:59]
	s_cbranch_execz .LBB14_1231
; %bb.1222:                             ;   in Loop: Header=BB14_17 Depth=1
	v_cmp_gt_i16_sdwa vcc, v8, v22 src0_sel:BYTE_0 src1_sel:DWORD
                                        ; implicit-def: $sgpr62_sgpr63
                                        ; implicit-def: $sgpr58_sgpr59
                                        ; implicit-def: $vgpr64
	s_and_saveexec_b64 s[66:67], vcc
	s_xor_b64 vcc, exec, s[66:67]
	s_cbranch_execz .LBB14_1226
; %bb.1223:                             ;   in Loop: Header=BB14_17 Depth=1
	v_cmp_eq_u16_sdwa s[66:67], v8, v23 src0_sel:BYTE_0 src1_sel:DWORD
	s_mov_b64 s[58:59], 0
                                        ; implicit-def: $vgpr64
	s_and_saveexec_b64 s[62:63], s[66:67]
	s_cbranch_execz .LBB14_1225
; %bb.1224:                             ;   in Loop: Header=BB14_17 Depth=1
	flat_load_dword v14, v[14:15]
	s_mov_b64 s[64:65], exec
	s_waitcnt vmcnt(0) lgkmcnt(0)
	v_lshlrev_b32_e32 v64, 16, v14
.LBB14_1225:                            ;   in Loop: Header=BB14_17 Depth=1
	s_or_b64 exec, exec, s[62:63]
	s_mov_b64 s[62:63], -1
	s_and_b64 s[64:65], s[64:65], exec
                                        ; implicit-def: $vgpr14_vgpr15
.LBB14_1226:                            ;   in Loop: Header=BB14_17 Depth=1
	s_andn2_saveexec_b64 s[66:67], vcc
	s_cbranch_execz .LBB14_1230
; %bb.1227:                             ;   in Loop: Header=BB14_17 Depth=1
	v_cmp_eq_u16_sdwa s[70:71], v8, v24 src0_sel:BYTE_0 src1_sel:DWORD
	s_mov_b64 vcc, s[64:65]
                                        ; implicit-def: $vgpr64
	s_and_saveexec_b64 s[68:69], s[70:71]
	s_cbranch_execz .LBB14_1229
; %bb.1228:                             ;   in Loop: Header=BB14_17 Depth=1
	flat_load_ubyte v14, v[14:15]
	s_movk_i32 vcc_lo, 0xff
	s_waitcnt vmcnt(0) lgkmcnt(0)
	v_lshlrev_b32_e32 v15, 23, v14
	v_cmp_ne_u32_e32 vcc, vcc_lo, v14
	v_cndmask_b32_e32 v15, v25, v15, vcc
	v_cmp_ne_u32_e32 vcc, 0, v14
	v_cndmask_b32_e32 v64, v26, v15, vcc
	s_or_b64 vcc, s[64:65], exec
.LBB14_1229:                            ;   in Loop: Header=BB14_17 Depth=1
	s_or_b64 exec, exec, s[68:69]
	s_andn2_b64 s[64:65], s[64:65], exec
	s_and_b64 vcc, vcc, exec
	s_or_b64 s[62:63], s[62:63], exec
	s_andn2_b64 s[58:59], s[58:59], exec
	s_or_b64 s[64:65], s[64:65], vcc
.LBB14_1230:                            ;   in Loop: Header=BB14_17 Depth=1
	s_or_b64 exec, exec, s[66:67]
	s_and_b64 s[62:63], s[62:63], exec
	s_and_b64 vcc, s[58:59], exec
	s_and_b64 s[64:65], s[64:65], exec
                                        ; implicit-def: $vgpr14_vgpr15
.LBB14_1231:                            ;   in Loop: Header=BB14_17 Depth=1
	s_andn2_saveexec_b64 s[56:57], s[56:57]
	s_cbranch_execz .LBB14_1235
; %bb.1232:                             ;   in Loop: Header=BB14_17 Depth=1
	v_cmp_eq_u16_sdwa s[68:69], v8, v27 src0_sel:BYTE_0 src1_sel:DWORD
	s_mov_b64 s[66:67], s[64:65]
                                        ; implicit-def: $vgpr64
	s_and_saveexec_b64 s[58:59], s[68:69]
	s_cbranch_execz .LBB14_1234
; %bb.1233:                             ;   in Loop: Header=BB14_17 Depth=1
	flat_load_dwordx2 v[14:15], v[14:15]
	s_or_b64 s[66:67], s[64:65], exec
	s_waitcnt vmcnt(0) lgkmcnt(0)
	v_ffbh_u32_e32 v64, v15
	v_min_u32_e32 v64, 32, v64
	v_lshlrev_b64 v[14:15], v64, v[14:15]
	v_min_u32_e32 v14, 1, v14
	v_or_b32_e32 v14, v15, v14
	v_cvt_f32_u32_e32 v14, v14
	v_sub_u32_e32 v15, 32, v64
	v_ldexp_f32 v64, v14, v15
.LBB14_1234:                            ;   in Loop: Header=BB14_17 Depth=1
	s_or_b64 exec, exec, s[58:59]
	s_andn2_b64 s[58:59], s[64:65], exec
	s_and_b64 s[64:65], s[66:67], exec
	s_or_b64 s[62:63], s[62:63], exec
	s_andn2_b64 vcc, vcc, exec
	s_or_b64 s[64:65], s[58:59], s[64:65]
.LBB14_1235:                            ;   in Loop: Header=BB14_17 Depth=1
	s_or_b64 exec, exec, s[56:57]
	s_and_b64 s[62:63], s[62:63], exec
	s_and_b64 s[58:59], vcc, exec
	s_and_b64 s[56:57], s[64:65], exec
                                        ; implicit-def: $vgpr14_vgpr15
.LBB14_1236:                            ;   in Loop: Header=BB14_17 Depth=1
	s_andn2_saveexec_b64 s[60:61], s[60:61]
	s_cbranch_execz .LBB14_1250
; %bb.1237:                             ;   in Loop: Header=BB14_17 Depth=1
	v_cmp_gt_i16_sdwa vcc, v8, v28 src0_sel:BYTE_0 src1_sel:DWORD
                                        ; implicit-def: $vgpr64
	s_and_saveexec_b64 s[64:65], vcc
	s_xor_b64 vcc, exec, s[64:65]
	s_cbranch_execz .LBB14_1243
; %bb.1238:                             ;   in Loop: Header=BB14_17 Depth=1
	v_cmp_gt_i16_sdwa s[64:65], v8, v29 src0_sel:BYTE_0 src1_sel:DWORD
                                        ; implicit-def: $vgpr64
	s_and_saveexec_b64 s[66:67], s[64:65]
	s_xor_b64 s[64:65], exec, s[66:67]
	s_cbranch_execz .LBB14_1240
; %bb.1239:                             ;   in Loop: Header=BB14_17 Depth=1
	flat_load_dword v14, v[14:15]
	s_waitcnt vmcnt(0) lgkmcnt(0)
	v_cvt_f32_u32_e32 v64, v14
                                        ; implicit-def: $vgpr14_vgpr15
.LBB14_1240:                            ;   in Loop: Header=BB14_17 Depth=1
	s_andn2_saveexec_b64 s[64:65], s[64:65]
	s_cbranch_execz .LBB14_1242
; %bb.1241:                             ;   in Loop: Header=BB14_17 Depth=1
	flat_load_ushort v14, v[14:15]
	s_waitcnt vmcnt(0) lgkmcnt(0)
	v_cvt_f32_u32_e32 v64, v14
.LBB14_1242:                            ;   in Loop: Header=BB14_17 Depth=1
	s_or_b64 exec, exec, s[64:65]
                                        ; implicit-def: $vgpr14_vgpr15
.LBB14_1243:                            ;   in Loop: Header=BB14_17 Depth=1
	s_andn2_saveexec_b64 s[64:65], vcc
	s_cbranch_execz .LBB14_1249
; %bb.1244:                             ;   in Loop: Header=BB14_17 Depth=1
	flat_load_ubyte v14, v[14:15]
	s_movk_i32 vcc_lo, 0x7f
	s_mov_b64 s[66:67], 0
                                        ; implicit-def: $sgpr72
	s_waitcnt vmcnt(0) lgkmcnt(0)
	v_cmp_lt_i16_e32 vcc, vcc_lo, v14
	s_and_saveexec_b64 s[68:69], vcc
	s_xor_b64 s[68:69], exec, s[68:69]
	s_cbranch_execnz .LBB14_2119
; %bb.1245:                             ;   in Loop: Header=BB14_17 Depth=1
	s_or_saveexec_b64 s[68:69], s[68:69]
	v_mov_b32_e32 v64, s72
	s_xor_b64 exec, exec, s[68:69]
	s_cbranch_execnz .LBB14_2122
.LBB14_1246:                            ;   in Loop: Header=BB14_17 Depth=1
	s_or_b64 exec, exec, s[68:69]
	s_and_saveexec_b64 s[68:69], s[66:67]
	s_cbranch_execz .LBB14_1248
.LBB14_1247:                            ;   in Loop: Header=BB14_17 Depth=1
	v_lshlrev_b32_e32 v15, 24, v14
	v_and_b32_e32 v14, 0xffff, v14
	v_and_b32_e32 v64, 7, v14
	v_ffbh_u32_e32 v67, v64
	v_min_u32_e32 v67, 32, v67
	v_subrev_u32_e32 v68, 28, v67
	v_bfe_u32 v66, v14, 3, 4
	v_lshlrev_b32_e32 v14, v68, v14
	v_sub_u32_e32 v67, 29, v67
	v_and_b32_e32 v14, 7, v14
	v_cmp_eq_u32_e32 vcc, 0, v66
	v_cndmask_b32_e32 v66, v66, v67, vcc
	v_cndmask_b32_e32 v14, v64, v14, vcc
	v_lshlrev_b32_e32 v14, 20, v14
	v_and_b32_e32 v15, 0x80000000, v15
	v_lshl_add_u32 v64, v66, 23, v30
	v_or3_b32 v64, v15, v64, v14
.LBB14_1248:                            ;   in Loop: Header=BB14_17 Depth=1
	s_or_b64 exec, exec, s[68:69]
.LBB14_1249:                            ;   in Loop: Header=BB14_17 Depth=1
	s_or_b64 exec, exec, s[64:65]
	s_andn2_b64 s[62:63], s[62:63], exec
	s_andn2_b64 s[58:59], s[58:59], exec
	s_or_b64 s[56:57], s[56:57], exec
.LBB14_1250:                            ;   in Loop: Header=BB14_17 Depth=1
	s_or_b64 exec, exec, s[60:61]
	s_and_b64 s[60:61], s[62:63], exec
	s_and_b64 s[58:59], s[58:59], exec
	;; [unrolled: 1-line block ×3, first 2 shown]
                                        ; implicit-def: $vgpr14_vgpr15
.LBB14_1251:                            ;   in Loop: Header=BB14_17 Depth=1
	s_andn2_saveexec_b64 s[54:55], s[54:55]
	s_cbranch_execz .LBB14_1277
; %bb.1252:                             ;   in Loop: Header=BB14_17 Depth=1
	v_cmp_gt_i16_sdwa vcc, v8, v31 src0_sel:BYTE_0 src1_sel:DWORD
	s_mov_b64 s[64:65], s[56:57]
                                        ; implicit-def: $vgpr64
	s_and_saveexec_b64 s[62:63], vcc
	s_xor_b64 s[62:63], exec, s[62:63]
	s_cbranch_execz .LBB14_1266
; %bb.1253:                             ;   in Loop: Header=BB14_17 Depth=1
	v_cmp_gt_i16_sdwa vcc, v8, v32 src0_sel:BYTE_0 src1_sel:DWORD
                                        ; implicit-def: $vgpr64
	s_and_saveexec_b64 s[64:65], vcc
	s_xor_b64 s[64:65], exec, s[64:65]
	s_cbranch_execz .LBB14_1263
; %bb.1254:                             ;   in Loop: Header=BB14_17 Depth=1
	v_cmp_gt_i16_sdwa vcc, v8, v33 src0_sel:BYTE_0 src1_sel:DWORD
                                        ; implicit-def: $vgpr64
	s_and_saveexec_b64 s[66:67], vcc
	s_xor_b64 s[66:67], exec, s[66:67]
	s_cbranch_execz .LBB14_1260
; %bb.1255:                             ;   in Loop: Header=BB14_17 Depth=1
	flat_load_ubyte v14, v[14:15]
	s_movk_i32 vcc_lo, 0x7f
	s_mov_b64 s[68:69], 0
                                        ; implicit-def: $sgpr74
	s_waitcnt vmcnt(0) lgkmcnt(0)
	v_cmp_lt_i16_e32 vcc, vcc_lo, v14
	s_and_saveexec_b64 s[70:71], vcc
	s_xor_b64 s[70:71], exec, s[70:71]
	s_cbranch_execnz .LBB14_2338
; %bb.1256:                             ;   in Loop: Header=BB14_17 Depth=1
	s_or_saveexec_b64 s[70:71], s[70:71]
	v_mov_b32_e32 v64, s74
	s_xor_b64 exec, exec, s[70:71]
	s_cbranch_execnz .LBB14_2341
.LBB14_1257:                            ;   in Loop: Header=BB14_17 Depth=1
	s_or_b64 exec, exec, s[70:71]
	s_and_saveexec_b64 s[70:71], s[68:69]
	s_cbranch_execz .LBB14_1259
.LBB14_1258:                            ;   in Loop: Header=BB14_17 Depth=1
	v_lshlrev_b32_e32 v15, 24, v14
	v_and_b32_e32 v14, 0xffff, v14
	v_and_b32_e32 v64, 3, v14
	v_ffbh_u32_e32 v67, v64
	v_min_u32_e32 v67, 32, v67
	v_subrev_u32_e32 v68, 29, v67
	v_bfe_u32 v66, v14, 2, 5
	v_lshlrev_b32_e32 v14, v68, v14
	v_sub_u32_e32 v67, 30, v67
	v_and_b32_e32 v14, 3, v14
	v_cmp_eq_u32_e32 vcc, 0, v66
	v_cndmask_b32_e32 v66, v66, v67, vcc
	v_cndmask_b32_e32 v14, v64, v14, vcc
	v_lshlrev_b32_e32 v14, 21, v14
	v_and_b32_e32 v15, 0x80000000, v15
	v_lshl_add_u32 v64, v66, 23, v34
	v_or3_b32 v64, v15, v64, v14
.LBB14_1259:                            ;   in Loop: Header=BB14_17 Depth=1
	s_or_b64 exec, exec, s[70:71]
                                        ; implicit-def: $vgpr14_vgpr15
.LBB14_1260:                            ;   in Loop: Header=BB14_17 Depth=1
	s_andn2_saveexec_b64 s[66:67], s[66:67]
	s_cbranch_execz .LBB14_1262
; %bb.1261:                             ;   in Loop: Header=BB14_17 Depth=1
	flat_load_ubyte v14, v[14:15]
	s_mov_b32 vcc_lo, 0x7f800000
	s_waitcnt vmcnt(0) lgkmcnt(0)
	v_lshlrev_b32_e32 v14, 24, v14
	v_and_b32_e32 v15, 0x7f000000, v14
	v_ffbh_u32_e32 v64, v15
	v_min_u32_e32 v64, 32, v64
	v_sub_u32_e64 v64, v64, 4 clamp
	v_lshlrev_b32_e32 v67, v64, v15
	v_lshlrev_b32_e32 v64, 23, v64
	v_lshrrev_b32_e32 v67, 4, v67
	v_add_u32_e32 v66, 0x1000000, v15
	v_sub_u32_e32 v64, v67, v64
	v_ashrrev_i32_e32 v66, 8, v66
	v_add_u32_e32 v64, 0x3c000000, v64
	v_and_or_b32 v64, v66, vcc_lo, v64
	v_cmp_ne_u32_e32 vcc, 0, v15
	v_cndmask_b32_e32 v15, 0, v64, vcc
	s_brev_b32 vcc_lo, 1
	v_and_or_b32 v64, v14, vcc_lo, v15
.LBB14_1262:                            ;   in Loop: Header=BB14_17 Depth=1
	s_or_b64 exec, exec, s[66:67]
                                        ; implicit-def: $vgpr14_vgpr15
.LBB14_1263:                            ;   in Loop: Header=BB14_17 Depth=1
	s_andn2_saveexec_b64 s[64:65], s[64:65]
	s_cbranch_execz .LBB14_1265
; %bb.1264:                             ;   in Loop: Header=BB14_17 Depth=1
	flat_load_ubyte v14, v[14:15]
	s_movk_i32 vcc_lo, 0x7f00
	s_waitcnt vmcnt(0) lgkmcnt(0)
	v_lshlrev_b16_e32 v15, 8, v14
	v_lshlrev_b32_e32 v14, 25, v14
	v_lshrrev_b32_e32 v64, 4, v14
	v_and_or_b32 v66, v15, vcc_lo, 0.5
	v_or_b32_e32 v64, 0x70000000, v64
	s_brev_b32 vcc_lo, 16
	v_add_f32_e32 v66, -0.5, v66
	v_mul_f32_e32 v64, 0x7800000, v64
	v_cmp_gt_u32_e32 vcc, vcc_lo, v14
	v_cndmask_b32_e32 v14, v64, v66, vcc
	v_bfe_i32 v15, v15, 0, 16
	s_brev_b32 vcc_lo, 1
	v_and_or_b32 v64, v15, vcc_lo, v14
.LBB14_1265:                            ;   in Loop: Header=BB14_17 Depth=1
	s_or_b64 exec, exec, s[64:65]
	s_or_b64 s[64:65], s[56:57], exec
                                        ; implicit-def: $vgpr14_vgpr15
.LBB14_1266:                            ;   in Loop: Header=BB14_17 Depth=1
	s_or_saveexec_b64 s[62:63], s[62:63]
                                        ; implicit-def: $vcc
                                        ; implicit-def: $sgpr70_sgpr71
	s_xor_b64 exec, exec, s[62:63]
	s_cbranch_execz .LBB14_1276
; %bb.1267:                             ;   in Loop: Header=BB14_17 Depth=1
	v_cmp_gt_i16_sdwa vcc, v8, v35 src0_sel:BYTE_0 src1_sel:DWORD
	s_mov_b64 s[68:69], s[64:65]
                                        ; implicit-def: $sgpr70_sgpr71
                                        ; implicit-def: $sgpr66_sgpr67
                                        ; implicit-def: $vgpr64
	s_and_saveexec_b64 s[72:73], vcc
	s_xor_b64 vcc, exec, s[72:73]
	s_cbranch_execz .LBB14_1271
; %bb.1268:                             ;   in Loop: Header=BB14_17 Depth=1
	v_cmp_eq_u16_sdwa s[70:71], v8, v36 src0_sel:BYTE_0 src1_sel:DWORD
	s_mov_b64 s[68:69], s[64:65]
                                        ; implicit-def: $vgpr64
	s_and_saveexec_b64 s[66:67], s[70:71]
	s_cbranch_execz .LBB14_1270
; %bb.1269:                             ;   in Loop: Header=BB14_17 Depth=1
	flat_load_ushort v14, v[14:15]
	s_or_b64 s[68:69], s[64:65], exec
	s_waitcnt vmcnt(0) lgkmcnt(0)
	v_lshlrev_b32_e32 v64, 16, v14
.LBB14_1270:                            ;   in Loop: Header=BB14_17 Depth=1
	s_or_b64 exec, exec, s[66:67]
	s_andn2_b64 s[72:73], s[64:65], exec
	s_and_b64 s[68:69], s[68:69], exec
	s_mov_b64 s[66:67], 0
	s_mov_b64 s[70:71], -1
	s_or_b64 s[68:69], s[72:73], s[68:69]
                                        ; implicit-def: $vgpr14_vgpr15
.LBB14_1271:                            ;   in Loop: Header=BB14_17 Depth=1
	s_andn2_saveexec_b64 s[72:73], vcc
	s_cbranch_execz .LBB14_1275
; %bb.1272:                             ;   in Loop: Header=BB14_17 Depth=1
	v_cmp_eq_u16_sdwa s[76:77], v8, v37 src0_sel:BYTE_0 src1_sel:DWORD
	s_mov_b64 vcc, s[68:69]
                                        ; implicit-def: $vgpr64
	s_and_saveexec_b64 s[74:75], s[76:77]
	s_cbranch_execz .LBB14_1274
; %bb.1273:                             ;   in Loop: Header=BB14_17 Depth=1
	flat_load_ubyte v14, v[14:15]
	s_waitcnt vmcnt(0) lgkmcnt(0)
	v_cmp_ne_u16_e32 vcc, 0, v14
	v_cndmask_b32_e64 v64, 0, 1.0, vcc
	s_or_b64 vcc, s[68:69], exec
.LBB14_1274:                            ;   in Loop: Header=BB14_17 Depth=1
	s_or_b64 exec, exec, s[74:75]
	s_andn2_b64 s[68:69], s[68:69], exec
	s_and_b64 vcc, vcc, exec
	s_or_b64 s[70:71], s[70:71], exec
	s_andn2_b64 s[66:67], s[66:67], exec
	s_or_b64 s[68:69], s[68:69], vcc
.LBB14_1275:                            ;   in Loop: Header=BB14_17 Depth=1
	s_or_b64 exec, exec, s[72:73]
	s_and_b64 vcc, s[66:67], exec
	s_andn2_b64 s[64:65], s[64:65], exec
	s_and_b64 s[66:67], s[68:69], exec
	s_and_b64 s[70:71], s[70:71], exec
	s_or_b64 s[64:65], s[64:65], s[66:67]
.LBB14_1276:                            ;   in Loop: Header=BB14_17 Depth=1
	s_or_b64 exec, exec, s[62:63]
	s_andn2_b64 s[58:59], s[58:59], exec
	s_and_b64 vcc, vcc, exec
	s_andn2_b64 s[60:61], s[60:61], exec
	s_and_b64 s[62:63], s[70:71], exec
	s_or_b64 s[58:59], s[58:59], vcc
	s_andn2_b64 vcc, s[56:57], exec
	s_and_b64 s[56:57], s[64:65], exec
	s_or_b64 s[60:61], s[60:61], s[62:63]
	s_or_b64 s[56:57], vcc, s[56:57]
.LBB14_1277:                            ;   in Loop: Header=BB14_17 Depth=1
	s_or_b64 exec, exec, s[54:55]
	s_and_b64 s[54:55], s[60:61], exec
	s_and_b64 vcc, s[58:59], exec
	s_and_b64 s[56:57], s[56:57], exec
                                        ; implicit-def: $vgpr14_vgpr15
	s_andn2_saveexec_b64 s[52:53], s[52:53]
	s_cbranch_execz .LBB14_1194
.LBB14_1278:                            ;   in Loop: Header=BB14_17 Depth=1
	v_cmp_gt_i16_sdwa s[58:59], v8, v38 src0_sel:BYTE_0 src1_sel:DWORD
                                        ; implicit-def: $vgpr64
	s_and_saveexec_b64 s[60:61], s[58:59]
	s_xor_b64 s[58:59], exec, s[60:61]
	s_cbranch_execz .LBB14_1300
; %bb.1279:                             ;   in Loop: Header=BB14_17 Depth=1
	v_cmp_gt_i16_sdwa s[60:61], v8, v39 src0_sel:BYTE_0 src1_sel:DWORD
                                        ; implicit-def: $vgpr64
	s_and_saveexec_b64 s[62:63], s[60:61]
	s_xor_b64 s[60:61], exec, s[62:63]
	s_cbranch_execz .LBB14_1289
; %bb.1280:                             ;   in Loop: Header=BB14_17 Depth=1
	;; [unrolled: 6-line block ×4, first 2 shown]
	flat_load_dwordx2 v[14:15], v[14:15]
	s_waitcnt vmcnt(0) lgkmcnt(0)
	v_cvt_f32_f64_e32 v64, v[14:15]
                                        ; implicit-def: $vgpr14_vgpr15
.LBB14_1283:                            ;   in Loop: Header=BB14_17 Depth=1
	s_andn2_saveexec_b64 s[64:65], s[64:65]
	s_cbranch_execz .LBB14_1285
; %bb.1284:                             ;   in Loop: Header=BB14_17 Depth=1
	flat_load_dword v64, v[14:15]
.LBB14_1285:                            ;   in Loop: Header=BB14_17 Depth=1
	s_or_b64 exec, exec, s[64:65]
                                        ; implicit-def: $vgpr14_vgpr15
.LBB14_1286:                            ;   in Loop: Header=BB14_17 Depth=1
	s_andn2_saveexec_b64 s[62:63], s[62:63]
	s_cbranch_execz .LBB14_1288
; %bb.1287:                             ;   in Loop: Header=BB14_17 Depth=1
	flat_load_dword v14, v[14:15]
	s_waitcnt vmcnt(0) lgkmcnt(0)
	v_cvt_f32_f16_e32 v64, v14
.LBB14_1288:                            ;   in Loop: Header=BB14_17 Depth=1
	s_or_b64 exec, exec, s[62:63]
                                        ; implicit-def: $vgpr14_vgpr15
.LBB14_1289:                            ;   in Loop: Header=BB14_17 Depth=1
	s_andn2_saveexec_b64 s[60:61], s[60:61]
	s_cbranch_execz .LBB14_1299
; %bb.1290:                             ;   in Loop: Header=BB14_17 Depth=1
	v_cmp_gt_i16_sdwa s[62:63], v8, v50 src0_sel:BYTE_0 src1_sel:DWORD
                                        ; implicit-def: $vgpr64
	s_and_saveexec_b64 s[64:65], s[62:63]
	s_xor_b64 s[62:63], exec, s[64:65]
	s_cbranch_execz .LBB14_1296
; %bb.1291:                             ;   in Loop: Header=BB14_17 Depth=1
	v_cmp_gt_i16_sdwa s[64:65], v8, v51 src0_sel:BYTE_0 src1_sel:DWORD
                                        ; implicit-def: $vgpr64
	s_and_saveexec_b64 s[66:67], s[64:65]
	s_xor_b64 s[64:65], exec, s[66:67]
	s_cbranch_execz .LBB14_1293
; %bb.1292:                             ;   in Loop: Header=BB14_17 Depth=1
	flat_load_dwordx2 v[14:15], v[14:15]
	s_waitcnt vmcnt(0) lgkmcnt(0)
	v_cvt_f32_f64_e32 v64, v[14:15]
                                        ; implicit-def: $vgpr14_vgpr15
.LBB14_1293:                            ;   in Loop: Header=BB14_17 Depth=1
	s_andn2_saveexec_b64 s[64:65], s[64:65]
	s_cbranch_execz .LBB14_1295
; %bb.1294:                             ;   in Loop: Header=BB14_17 Depth=1
	s_waitcnt vmcnt(0) lgkmcnt(0)
	flat_load_dword v64, v[14:15]
.LBB14_1295:                            ;   in Loop: Header=BB14_17 Depth=1
	s_or_b64 exec, exec, s[64:65]
                                        ; implicit-def: $vgpr14_vgpr15
.LBB14_1296:                            ;   in Loop: Header=BB14_17 Depth=1
	s_andn2_saveexec_b64 s[62:63], s[62:63]
	s_cbranch_execz .LBB14_1298
; %bb.1297:                             ;   in Loop: Header=BB14_17 Depth=1
	flat_load_ushort v14, v[14:15]
	s_waitcnt vmcnt(0) lgkmcnt(0)
	v_cvt_f32_f16_e32 v64, v14
.LBB14_1298:                            ;   in Loop: Header=BB14_17 Depth=1
	s_or_b64 exec, exec, s[62:63]
.LBB14_1299:                            ;   in Loop: Header=BB14_17 Depth=1
	s_or_b64 exec, exec, s[60:61]
                                        ; implicit-def: $vgpr14_vgpr15
.LBB14_1300:                            ;   in Loop: Header=BB14_17 Depth=1
	s_andn2_saveexec_b64 s[58:59], s[58:59]
	s_cbranch_execz .LBB14_1318
; %bb.1301:                             ;   in Loop: Header=BB14_17 Depth=1
	v_cmp_gt_i16_sdwa s[60:61], v8, v52 src0_sel:BYTE_0 src1_sel:DWORD
                                        ; implicit-def: $vgpr64
	s_and_saveexec_b64 s[62:63], s[60:61]
	s_xor_b64 s[60:61], exec, s[62:63]
	s_cbranch_execz .LBB14_1311
; %bb.1302:                             ;   in Loop: Header=BB14_17 Depth=1
	v_cmp_gt_i16_sdwa s[62:63], v8, v53 src0_sel:BYTE_0 src1_sel:DWORD
                                        ; implicit-def: $vgpr64
	s_and_saveexec_b64 s[64:65], s[62:63]
	s_xor_b64 s[62:63], exec, s[64:65]
	;; [unrolled: 6-line block ×3, first 2 shown]
	s_cbranch_execz .LBB14_1305
; %bb.1304:                             ;   in Loop: Header=BB14_17 Depth=1
	flat_load_dwordx2 v[14:15], v[14:15]
	s_waitcnt vmcnt(0) lgkmcnt(0)
	v_xor_b32_e32 v66, v14, v15
	v_ffbh_i32_e32 v64, v15
	v_ashrrev_i32_e32 v66, 31, v66
	v_add_u32_e32 v64, -1, v64
	v_add_u32_e32 v66, 32, v66
	v_min_u32_e32 v64, v64, v66
	v_lshlrev_b64 v[14:15], v64, v[14:15]
	v_min_u32_e32 v14, 1, v14
	v_or_b32_e32 v14, v15, v14
	v_cvt_f32_i32_e32 v14, v14
	v_sub_u32_e32 v15, 32, v64
	v_ldexp_f32 v64, v14, v15
                                        ; implicit-def: $vgpr14_vgpr15
.LBB14_1305:                            ;   in Loop: Header=BB14_17 Depth=1
	s_andn2_saveexec_b64 s[64:65], s[64:65]
	s_cbranch_execz .LBB14_1307
; %bb.1306:                             ;   in Loop: Header=BB14_17 Depth=1
	flat_load_dword v14, v[14:15]
	s_waitcnt vmcnt(0) lgkmcnt(0)
	v_cvt_f32_i32_e32 v64, v14
.LBB14_1307:                            ;   in Loop: Header=BB14_17 Depth=1
	s_or_b64 exec, exec, s[64:65]
                                        ; implicit-def: $vgpr14_vgpr15
.LBB14_1308:                            ;   in Loop: Header=BB14_17 Depth=1
	s_andn2_saveexec_b64 s[62:63], s[62:63]
	s_cbranch_execz .LBB14_1310
; %bb.1309:                             ;   in Loop: Header=BB14_17 Depth=1
	flat_load_sshort v14, v[14:15]
	s_waitcnt vmcnt(0) lgkmcnt(0)
	v_cvt_f32_i32_e32 v64, v14
.LBB14_1310:                            ;   in Loop: Header=BB14_17 Depth=1
	s_or_b64 exec, exec, s[62:63]
                                        ; implicit-def: $vgpr14_vgpr15
.LBB14_1311:                            ;   in Loop: Header=BB14_17 Depth=1
	s_andn2_saveexec_b64 s[60:61], s[60:61]
	s_cbranch_execz .LBB14_1317
; %bb.1312:                             ;   in Loop: Header=BB14_17 Depth=1
	v_cmp_gt_i16_sdwa s[62:63], v8, v16 src0_sel:BYTE_0 src1_sel:DWORD
                                        ; implicit-def: $vgpr64
	s_and_saveexec_b64 s[64:65], s[62:63]
	s_xor_b64 s[62:63], exec, s[64:65]
	s_cbranch_execz .LBB14_1314
; %bb.1313:                             ;   in Loop: Header=BB14_17 Depth=1
	flat_load_sbyte v14, v[14:15]
	s_waitcnt vmcnt(0) lgkmcnt(0)
	v_cvt_f32_i32_e32 v64, v14
                                        ; implicit-def: $vgpr14_vgpr15
.LBB14_1314:                            ;   in Loop: Header=BB14_17 Depth=1
	s_andn2_saveexec_b64 s[62:63], s[62:63]
	s_cbranch_execz .LBB14_1316
; %bb.1315:                             ;   in Loop: Header=BB14_17 Depth=1
	flat_load_ubyte v14, v[14:15]
	s_waitcnt vmcnt(0) lgkmcnt(0)
	v_cvt_f32_ubyte0_e32 v64, v14
.LBB14_1316:                            ;   in Loop: Header=BB14_17 Depth=1
	s_or_b64 exec, exec, s[62:63]
.LBB14_1317:                            ;   in Loop: Header=BB14_17 Depth=1
	s_or_b64 exec, exec, s[60:61]
.LBB14_1318:                            ;   in Loop: Header=BB14_17 Depth=1
	s_or_b64 exec, exec, s[58:59]
	s_andn2_b64 s[54:55], s[54:55], exec
	s_andn2_b64 vcc, vcc, exec
	s_or_b64 s[56:57], s[56:57], exec
	s_or_b64 exec, exec, s[52:53]
	s_mov_b64 s[52:53], 0
	s_and_saveexec_b64 s[58:59], s[56:57]
	s_cbranch_execnz .LBB14_1195
	s_branch .LBB14_1196
.LBB14_1319:                            ;   in Loop: Header=BB14_17 Depth=1
	v_cmp_gt_i16_sdwa vcc, v7, v19 src0_sel:BYTE_0 src1_sel:DWORD
	s_mov_b64 s[58:59], 0
                                        ; implicit-def: $sgpr60_sgpr61
                                        ; implicit-def: $sgpr50_sgpr51
                                        ; implicit-def: $vgpr66
	s_and_saveexec_b64 s[48:49], vcc
	s_xor_b64 s[48:49], exec, s[48:49]
	s_cbranch_execz .LBB14_1351
; %bb.1320:                             ;   in Loop: Header=BB14_17 Depth=1
	v_cmp_gt_i16_sdwa vcc, v7, v20 src0_sel:BYTE_0 src1_sel:DWORD
                                        ; implicit-def: $sgpr60_sgpr61
                                        ; implicit-def: $sgpr62_sgpr63
                                        ; implicit-def: $vgpr66
	s_and_saveexec_b64 s[50:51], vcc
	s_xor_b64 s[50:51], exec, s[50:51]
	s_cbranch_execz .LBB14_1336
; %bb.1321:                             ;   in Loop: Header=BB14_17 Depth=1
	v_cmp_gt_i16_sdwa s[58:59], v7, v21 src0_sel:BYTE_0 src1_sel:DWORD
	s_mov_b64 s[64:65], 0
                                        ; implicit-def: $vcc
                                        ; implicit-def: $sgpr60_sgpr61
                                        ; implicit-def: $vgpr66
	s_and_saveexec_b64 s[62:63], s[58:59]
	s_xor_b64 s[58:59], exec, s[62:63]
	s_cbranch_execz .LBB14_1331
; %bb.1322:                             ;   in Loop: Header=BB14_17 Depth=1
	v_cmp_gt_i16_sdwa vcc, v7, v22 src0_sel:BYTE_0 src1_sel:DWORD
	s_mov_b64 s[62:63], 0
                                        ; implicit-def: $sgpr60_sgpr61
                                        ; implicit-def: $sgpr64_sgpr65
                                        ; implicit-def: $vgpr66
	s_and_saveexec_b64 s[66:67], vcc
	s_xor_b64 vcc, exec, s[66:67]
	s_cbranch_execz .LBB14_1326
; %bb.1323:                             ;   in Loop: Header=BB14_17 Depth=1
	v_cmp_eq_u16_sdwa s[66:67], v7, v23 src0_sel:BYTE_0 src1_sel:DWORD
	s_mov_b64 s[60:61], 0
                                        ; implicit-def: $vgpr66
	s_and_saveexec_b64 s[64:65], s[66:67]
	s_cbranch_execz .LBB14_1325
; %bb.1324:                             ;   in Loop: Header=BB14_17 Depth=1
	flat_load_dword v14, v[14:15]
	s_mov_b64 s[62:63], exec
	s_waitcnt vmcnt(0) lgkmcnt(0)
	v_lshlrev_b32_e32 v66, 16, v14
.LBB14_1325:                            ;   in Loop: Header=BB14_17 Depth=1
	s_or_b64 exec, exec, s[64:65]
	s_mov_b64 s[64:65], -1
	s_and_b64 s[62:63], s[62:63], exec
                                        ; implicit-def: $vgpr14_vgpr15
.LBB14_1326:                            ;   in Loop: Header=BB14_17 Depth=1
	s_andn2_saveexec_b64 s[66:67], vcc
	s_cbranch_execz .LBB14_1330
; %bb.1327:                             ;   in Loop: Header=BB14_17 Depth=1
	v_cmp_eq_u16_sdwa s[70:71], v7, v24 src0_sel:BYTE_0 src1_sel:DWORD
	s_mov_b64 vcc, s[62:63]
                                        ; implicit-def: $vgpr66
	s_and_saveexec_b64 s[68:69], s[70:71]
	s_cbranch_execz .LBB14_1329
; %bb.1328:                             ;   in Loop: Header=BB14_17 Depth=1
	flat_load_ubyte v14, v[14:15]
	s_movk_i32 vcc_lo, 0xff
	s_waitcnt vmcnt(0) lgkmcnt(0)
	v_lshlrev_b32_e32 v15, 23, v14
	v_cmp_ne_u32_e32 vcc, vcc_lo, v14
	v_cndmask_b32_e32 v15, v25, v15, vcc
	v_cmp_ne_u32_e32 vcc, 0, v14
	v_cndmask_b32_e32 v66, v26, v15, vcc
	s_or_b64 vcc, s[62:63], exec
.LBB14_1329:                            ;   in Loop: Header=BB14_17 Depth=1
	s_or_b64 exec, exec, s[68:69]
	s_andn2_b64 s[62:63], s[62:63], exec
	s_and_b64 vcc, vcc, exec
	s_andn2_b64 s[60:61], s[60:61], exec
	s_or_b64 s[64:65], s[64:65], exec
	s_or_b64 s[62:63], s[62:63], vcc
.LBB14_1330:                            ;   in Loop: Header=BB14_17 Depth=1
	s_or_b64 exec, exec, s[66:67]
	s_and_b64 s[60:61], s[60:61], exec
	s_and_b64 vcc, s[64:65], exec
	s_and_b64 s[64:65], s[62:63], exec
                                        ; implicit-def: $vgpr14_vgpr15
.LBB14_1331:                            ;   in Loop: Header=BB14_17 Depth=1
	s_andn2_saveexec_b64 s[58:59], s[58:59]
	s_cbranch_execz .LBB14_1335
; %bb.1332:                             ;   in Loop: Header=BB14_17 Depth=1
	v_cmp_eq_u16_sdwa s[68:69], v7, v27 src0_sel:BYTE_0 src1_sel:DWORD
	s_mov_b64 s[66:67], s[64:65]
                                        ; implicit-def: $vgpr66
	s_and_saveexec_b64 s[62:63], s[68:69]
	s_cbranch_execz .LBB14_1334
; %bb.1333:                             ;   in Loop: Header=BB14_17 Depth=1
	flat_load_dwordx2 v[14:15], v[14:15]
	s_or_b64 s[66:67], s[64:65], exec
	s_waitcnt vmcnt(0) lgkmcnt(0)
	v_ffbh_u32_e32 v65, v15
	v_min_u32_e32 v65, 32, v65
	v_lshlrev_b64 v[14:15], v65, v[14:15]
	v_min_u32_e32 v14, 1, v14
	v_or_b32_e32 v14, v15, v14
	v_cvt_f32_u32_e32 v14, v14
	v_sub_u32_e32 v15, 32, v65
	v_ldexp_f32 v66, v14, v15
.LBB14_1334:                            ;   in Loop: Header=BB14_17 Depth=1
	s_or_b64 exec, exec, s[62:63]
	s_andn2_b64 s[62:63], s[64:65], exec
	s_and_b64 s[64:65], s[66:67], exec
	s_andn2_b64 s[60:61], s[60:61], exec
	s_or_b64 vcc, vcc, exec
	s_or_b64 s[64:65], s[62:63], s[64:65]
.LBB14_1335:                            ;   in Loop: Header=BB14_17 Depth=1
	s_or_b64 exec, exec, s[58:59]
	s_and_b64 s[62:63], s[60:61], exec
	s_and_b64 s[60:61], vcc, exec
	s_and_b64 s[58:59], s[64:65], exec
                                        ; implicit-def: $vgpr14_vgpr15
.LBB14_1336:                            ;   in Loop: Header=BB14_17 Depth=1
	s_andn2_saveexec_b64 s[50:51], s[50:51]
	s_cbranch_execz .LBB14_1350
; %bb.1337:                             ;   in Loop: Header=BB14_17 Depth=1
	v_cmp_gt_i16_sdwa vcc, v7, v28 src0_sel:BYTE_0 src1_sel:DWORD
                                        ; implicit-def: $vgpr66
	s_and_saveexec_b64 s[64:65], vcc
	s_xor_b64 vcc, exec, s[64:65]
	s_cbranch_execz .LBB14_1343
; %bb.1338:                             ;   in Loop: Header=BB14_17 Depth=1
	v_cmp_gt_i16_sdwa s[64:65], v7, v29 src0_sel:BYTE_0 src1_sel:DWORD
                                        ; implicit-def: $vgpr66
	s_and_saveexec_b64 s[66:67], s[64:65]
	s_xor_b64 s[64:65], exec, s[66:67]
	s_cbranch_execz .LBB14_1340
; %bb.1339:                             ;   in Loop: Header=BB14_17 Depth=1
	flat_load_dword v14, v[14:15]
	s_waitcnt vmcnt(0) lgkmcnt(0)
	v_cvt_f32_u32_e32 v66, v14
                                        ; implicit-def: $vgpr14_vgpr15
.LBB14_1340:                            ;   in Loop: Header=BB14_17 Depth=1
	s_andn2_saveexec_b64 s[64:65], s[64:65]
	s_cbranch_execz .LBB14_1342
; %bb.1341:                             ;   in Loop: Header=BB14_17 Depth=1
	flat_load_ushort v14, v[14:15]
	s_waitcnt vmcnt(0) lgkmcnt(0)
	v_cvt_f32_u32_e32 v66, v14
.LBB14_1342:                            ;   in Loop: Header=BB14_17 Depth=1
	s_or_b64 exec, exec, s[64:65]
                                        ; implicit-def: $vgpr14_vgpr15
.LBB14_1343:                            ;   in Loop: Header=BB14_17 Depth=1
	s_andn2_saveexec_b64 s[64:65], vcc
	s_cbranch_execz .LBB14_1349
; %bb.1344:                             ;   in Loop: Header=BB14_17 Depth=1
	flat_load_ubyte v14, v[14:15]
	s_movk_i32 vcc_lo, 0x7f
	s_mov_b64 s[66:67], 0
                                        ; implicit-def: $sgpr72
	s_waitcnt vmcnt(0) lgkmcnt(0)
	v_cmp_lt_i16_e32 vcc, vcc_lo, v14
	s_and_saveexec_b64 s[68:69], vcc
	s_xor_b64 s[68:69], exec, s[68:69]
	s_cbranch_execnz .LBB14_2123
; %bb.1345:                             ;   in Loop: Header=BB14_17 Depth=1
	s_or_saveexec_b64 s[68:69], s[68:69]
	v_mov_b32_e32 v66, s72
	s_xor_b64 exec, exec, s[68:69]
	s_cbranch_execnz .LBB14_2126
.LBB14_1346:                            ;   in Loop: Header=BB14_17 Depth=1
	s_or_b64 exec, exec, s[68:69]
	s_and_saveexec_b64 s[68:69], s[66:67]
	s_cbranch_execz .LBB14_1348
.LBB14_1347:                            ;   in Loop: Header=BB14_17 Depth=1
	v_lshlrev_b32_e32 v15, 24, v14
	v_and_b32_e32 v14, 0xffff, v14
	v_and_b32_e32 v65, 7, v14
	v_ffbh_u32_e32 v67, v65
	v_min_u32_e32 v67, 32, v67
	v_subrev_u32_e32 v68, 28, v67
	v_bfe_u32 v66, v14, 3, 4
	v_lshlrev_b32_e32 v14, v68, v14
	v_sub_u32_e32 v67, 29, v67
	v_and_b32_e32 v14, 7, v14
	v_cmp_eq_u32_e32 vcc, 0, v66
	v_cndmask_b32_e32 v66, v66, v67, vcc
	v_cndmask_b32_e32 v14, v65, v14, vcc
	v_lshlrev_b32_e32 v14, 20, v14
	v_and_b32_e32 v15, 0x80000000, v15
	v_lshl_add_u32 v65, v66, 23, v30
	v_or3_b32 v66, v15, v65, v14
.LBB14_1348:                            ;   in Loop: Header=BB14_17 Depth=1
	s_or_b64 exec, exec, s[68:69]
.LBB14_1349:                            ;   in Loop: Header=BB14_17 Depth=1
	s_or_b64 exec, exec, s[64:65]
	s_andn2_b64 s[62:63], s[62:63], exec
	s_andn2_b64 s[60:61], s[60:61], exec
	s_or_b64 s[58:59], s[58:59], exec
.LBB14_1350:                            ;   in Loop: Header=BB14_17 Depth=1
	s_or_b64 exec, exec, s[50:51]
	s_and_b64 s[50:51], s[62:63], exec
	s_and_b64 s[60:61], s[60:61], exec
	;; [unrolled: 1-line block ×3, first 2 shown]
                                        ; implicit-def: $vgpr14_vgpr15
.LBB14_1351:                            ;   in Loop: Header=BB14_17 Depth=1
	s_andn2_saveexec_b64 s[48:49], s[48:49]
	s_cbranch_execz .LBB14_1377
; %bb.1352:                             ;   in Loop: Header=BB14_17 Depth=1
	v_cmp_gt_i16_sdwa vcc, v7, v31 src0_sel:BYTE_0 src1_sel:DWORD
	s_mov_b64 s[64:65], s[58:59]
                                        ; implicit-def: $vgpr66
	s_and_saveexec_b64 s[62:63], vcc
	s_xor_b64 s[62:63], exec, s[62:63]
	s_cbranch_execz .LBB14_1366
; %bb.1353:                             ;   in Loop: Header=BB14_17 Depth=1
	v_cmp_gt_i16_sdwa vcc, v7, v32 src0_sel:BYTE_0 src1_sel:DWORD
                                        ; implicit-def: $vgpr66
	s_and_saveexec_b64 s[64:65], vcc
	s_xor_b64 s[64:65], exec, s[64:65]
	s_cbranch_execz .LBB14_1363
; %bb.1354:                             ;   in Loop: Header=BB14_17 Depth=1
	v_cmp_gt_i16_sdwa vcc, v7, v33 src0_sel:BYTE_0 src1_sel:DWORD
                                        ; implicit-def: $vgpr66
	s_and_saveexec_b64 s[66:67], vcc
	s_xor_b64 s[66:67], exec, s[66:67]
	s_cbranch_execz .LBB14_1360
; %bb.1355:                             ;   in Loop: Header=BB14_17 Depth=1
	flat_load_ubyte v14, v[14:15]
	s_movk_i32 vcc_lo, 0x7f
	s_mov_b64 s[68:69], 0
                                        ; implicit-def: $sgpr74
	s_waitcnt vmcnt(0) lgkmcnt(0)
	v_cmp_lt_i16_e32 vcc, vcc_lo, v14
	s_and_saveexec_b64 s[70:71], vcc
	s_xor_b64 s[70:71], exec, s[70:71]
	s_cbranch_execnz .LBB14_2342
; %bb.1356:                             ;   in Loop: Header=BB14_17 Depth=1
	s_or_saveexec_b64 s[70:71], s[70:71]
	v_mov_b32_e32 v66, s74
	s_xor_b64 exec, exec, s[70:71]
	s_cbranch_execnz .LBB14_2345
.LBB14_1357:                            ;   in Loop: Header=BB14_17 Depth=1
	s_or_b64 exec, exec, s[70:71]
	s_and_saveexec_b64 s[70:71], s[68:69]
	s_cbranch_execz .LBB14_1359
.LBB14_1358:                            ;   in Loop: Header=BB14_17 Depth=1
	v_lshlrev_b32_e32 v15, 24, v14
	v_and_b32_e32 v14, 0xffff, v14
	v_and_b32_e32 v65, 3, v14
	v_ffbh_u32_e32 v67, v65
	v_min_u32_e32 v67, 32, v67
	v_subrev_u32_e32 v68, 29, v67
	v_bfe_u32 v66, v14, 2, 5
	v_lshlrev_b32_e32 v14, v68, v14
	v_sub_u32_e32 v67, 30, v67
	v_and_b32_e32 v14, 3, v14
	v_cmp_eq_u32_e32 vcc, 0, v66
	v_cndmask_b32_e32 v66, v66, v67, vcc
	v_cndmask_b32_e32 v14, v65, v14, vcc
	v_lshlrev_b32_e32 v14, 21, v14
	v_and_b32_e32 v15, 0x80000000, v15
	v_lshl_add_u32 v65, v66, 23, v34
	v_or3_b32 v66, v15, v65, v14
.LBB14_1359:                            ;   in Loop: Header=BB14_17 Depth=1
	s_or_b64 exec, exec, s[70:71]
                                        ; implicit-def: $vgpr14_vgpr15
.LBB14_1360:                            ;   in Loop: Header=BB14_17 Depth=1
	s_andn2_saveexec_b64 s[66:67], s[66:67]
	s_cbranch_execz .LBB14_1362
; %bb.1361:                             ;   in Loop: Header=BB14_17 Depth=1
	flat_load_ubyte v14, v[14:15]
	s_mov_b32 vcc_lo, 0x7f800000
	s_waitcnt vmcnt(0) lgkmcnt(0)
	v_lshlrev_b32_e32 v14, 24, v14
	v_and_b32_e32 v15, 0x7f000000, v14
	v_ffbh_u32_e32 v65, v15
	v_min_u32_e32 v65, 32, v65
	v_sub_u32_e64 v65, v65, 4 clamp
	v_lshlrev_b32_e32 v67, v65, v15
	v_lshlrev_b32_e32 v65, 23, v65
	v_lshrrev_b32_e32 v67, 4, v67
	v_add_u32_e32 v66, 0x1000000, v15
	v_sub_u32_e32 v65, v67, v65
	v_ashrrev_i32_e32 v66, 8, v66
	v_add_u32_e32 v65, 0x3c000000, v65
	v_and_or_b32 v65, v66, vcc_lo, v65
	v_cmp_ne_u32_e32 vcc, 0, v15
	v_cndmask_b32_e32 v15, 0, v65, vcc
	s_brev_b32 vcc_lo, 1
	v_and_or_b32 v66, v14, vcc_lo, v15
.LBB14_1362:                            ;   in Loop: Header=BB14_17 Depth=1
	s_or_b64 exec, exec, s[66:67]
                                        ; implicit-def: $vgpr14_vgpr15
.LBB14_1363:                            ;   in Loop: Header=BB14_17 Depth=1
	s_andn2_saveexec_b64 s[64:65], s[64:65]
	s_cbranch_execz .LBB14_1365
; %bb.1364:                             ;   in Loop: Header=BB14_17 Depth=1
	flat_load_ubyte v14, v[14:15]
	s_movk_i32 vcc_lo, 0x7f00
	s_waitcnt vmcnt(0) lgkmcnt(0)
	v_lshlrev_b16_e32 v15, 8, v14
	v_lshlrev_b32_e32 v14, 25, v14
	v_lshrrev_b32_e32 v65, 4, v14
	v_and_or_b32 v66, v15, vcc_lo, 0.5
	v_or_b32_e32 v65, 0x70000000, v65
	s_brev_b32 vcc_lo, 16
	v_add_f32_e32 v66, -0.5, v66
	v_mul_f32_e32 v65, 0x7800000, v65
	v_cmp_gt_u32_e32 vcc, vcc_lo, v14
	v_cndmask_b32_e32 v14, v65, v66, vcc
	v_bfe_i32 v15, v15, 0, 16
	s_brev_b32 vcc_lo, 1
	v_and_or_b32 v66, v15, vcc_lo, v14
.LBB14_1365:                            ;   in Loop: Header=BB14_17 Depth=1
	s_or_b64 exec, exec, s[64:65]
	s_or_b64 s[64:65], s[58:59], exec
                                        ; implicit-def: $vgpr14_vgpr15
.LBB14_1366:                            ;   in Loop: Header=BB14_17 Depth=1
	s_or_saveexec_b64 s[62:63], s[62:63]
                                        ; implicit-def: $vcc
                                        ; implicit-def: $sgpr70_sgpr71
	s_xor_b64 exec, exec, s[62:63]
	s_cbranch_execz .LBB14_1376
; %bb.1367:                             ;   in Loop: Header=BB14_17 Depth=1
	v_cmp_gt_i16_sdwa vcc, v7, v35 src0_sel:BYTE_0 src1_sel:DWORD
	s_mov_b64 s[68:69], s[64:65]
                                        ; implicit-def: $sgpr70_sgpr71
                                        ; implicit-def: $sgpr66_sgpr67
                                        ; implicit-def: $vgpr66
	s_and_saveexec_b64 s[72:73], vcc
	s_xor_b64 vcc, exec, s[72:73]
	s_cbranch_execz .LBB14_1371
; %bb.1368:                             ;   in Loop: Header=BB14_17 Depth=1
	v_cmp_eq_u16_sdwa s[70:71], v7, v36 src0_sel:BYTE_0 src1_sel:DWORD
	s_mov_b64 s[68:69], s[64:65]
                                        ; implicit-def: $vgpr66
	s_and_saveexec_b64 s[66:67], s[70:71]
	s_cbranch_execz .LBB14_1370
; %bb.1369:                             ;   in Loop: Header=BB14_17 Depth=1
	flat_load_ushort v14, v[14:15]
	s_or_b64 s[68:69], s[64:65], exec
	s_waitcnt vmcnt(0) lgkmcnt(0)
	v_lshlrev_b32_e32 v66, 16, v14
.LBB14_1370:                            ;   in Loop: Header=BB14_17 Depth=1
	s_or_b64 exec, exec, s[66:67]
	s_andn2_b64 s[72:73], s[64:65], exec
	s_and_b64 s[68:69], s[68:69], exec
	s_mov_b64 s[66:67], -1
	s_mov_b64 s[70:71], 0
	s_or_b64 s[68:69], s[72:73], s[68:69]
                                        ; implicit-def: $vgpr14_vgpr15
.LBB14_1371:                            ;   in Loop: Header=BB14_17 Depth=1
	s_andn2_saveexec_b64 s[72:73], vcc
	s_cbranch_execz .LBB14_1375
; %bb.1372:                             ;   in Loop: Header=BB14_17 Depth=1
	v_cmp_eq_u16_sdwa s[76:77], v7, v37 src0_sel:BYTE_0 src1_sel:DWORD
	s_mov_b64 vcc, s[68:69]
                                        ; implicit-def: $vgpr66
	s_and_saveexec_b64 s[74:75], s[76:77]
	s_cbranch_execz .LBB14_1374
; %bb.1373:                             ;   in Loop: Header=BB14_17 Depth=1
	flat_load_ubyte v14, v[14:15]
	s_waitcnt vmcnt(0) lgkmcnt(0)
	v_cmp_ne_u16_e32 vcc, 0, v14
	v_cndmask_b32_e64 v66, 0, 1.0, vcc
	s_or_b64 vcc, s[68:69], exec
.LBB14_1374:                            ;   in Loop: Header=BB14_17 Depth=1
	s_or_b64 exec, exec, s[74:75]
	s_andn2_b64 s[68:69], s[68:69], exec
	s_and_b64 vcc, vcc, exec
	s_andn2_b64 s[70:71], s[70:71], exec
	s_or_b64 s[66:67], s[66:67], exec
	s_or_b64 s[68:69], s[68:69], vcc
.LBB14_1375:                            ;   in Loop: Header=BB14_17 Depth=1
	s_or_b64 exec, exec, s[72:73]
	s_and_b64 vcc, s[66:67], exec
	s_andn2_b64 s[64:65], s[64:65], exec
	s_and_b64 s[66:67], s[68:69], exec
	s_and_b64 s[70:71], s[70:71], exec
	s_or_b64 s[64:65], s[64:65], s[66:67]
.LBB14_1376:                            ;   in Loop: Header=BB14_17 Depth=1
	s_or_b64 exec, exec, s[62:63]
	s_andn2_b64 s[60:61], s[60:61], exec
	s_and_b64 vcc, vcc, exec
	s_andn2_b64 s[50:51], s[50:51], exec
	s_and_b64 s[62:63], s[70:71], exec
	s_or_b64 s[60:61], s[60:61], vcc
	s_andn2_b64 vcc, s[58:59], exec
	s_and_b64 s[58:59], s[64:65], exec
	s_or_b64 s[50:51], s[50:51], s[62:63]
	s_or_b64 s[58:59], vcc, s[58:59]
.LBB14_1377:                            ;   in Loop: Header=BB14_17 Depth=1
	s_or_b64 exec, exec, s[48:49]
	s_and_b64 s[50:51], s[50:51], exec
	s_and_b64 s[48:49], s[60:61], exec
	s_and_b64 vcc, s[58:59], exec
                                        ; implicit-def: $vgpr14_vgpr15
	s_andn2_saveexec_b64 s[56:57], s[56:57]
	s_cbranch_execz .LBB14_1202
.LBB14_1378:                            ;   in Loop: Header=BB14_17 Depth=1
	v_cmp_gt_i16_sdwa s[58:59], v7, v38 src0_sel:BYTE_0 src1_sel:DWORD
                                        ; implicit-def: $vgpr66
	s_and_saveexec_b64 s[60:61], s[58:59]
	s_xor_b64 s[58:59], exec, s[60:61]
	s_cbranch_execz .LBB14_1400
; %bb.1379:                             ;   in Loop: Header=BB14_17 Depth=1
	v_cmp_gt_i16_sdwa s[60:61], v7, v39 src0_sel:BYTE_0 src1_sel:DWORD
                                        ; implicit-def: $vgpr66
	s_and_saveexec_b64 s[62:63], s[60:61]
	s_xor_b64 s[60:61], exec, s[62:63]
	s_cbranch_execz .LBB14_1389
; %bb.1380:                             ;   in Loop: Header=BB14_17 Depth=1
	;; [unrolled: 6-line block ×4, first 2 shown]
	flat_load_dwordx2 v[14:15], v[14:15]
	s_waitcnt vmcnt(0) lgkmcnt(0)
	v_cvt_f32_f64_e32 v66, v[14:15]
                                        ; implicit-def: $vgpr14_vgpr15
.LBB14_1383:                            ;   in Loop: Header=BB14_17 Depth=1
	s_andn2_saveexec_b64 s[64:65], s[64:65]
	s_cbranch_execz .LBB14_1385
; %bb.1384:                             ;   in Loop: Header=BB14_17 Depth=1
	flat_load_dword v66, v[14:15]
.LBB14_1385:                            ;   in Loop: Header=BB14_17 Depth=1
	s_or_b64 exec, exec, s[64:65]
                                        ; implicit-def: $vgpr14_vgpr15
.LBB14_1386:                            ;   in Loop: Header=BB14_17 Depth=1
	s_andn2_saveexec_b64 s[62:63], s[62:63]
	s_cbranch_execz .LBB14_1388
; %bb.1387:                             ;   in Loop: Header=BB14_17 Depth=1
	flat_load_dword v14, v[14:15]
	s_waitcnt vmcnt(0) lgkmcnt(0)
	v_cvt_f32_f16_e32 v66, v14
.LBB14_1388:                            ;   in Loop: Header=BB14_17 Depth=1
	s_or_b64 exec, exec, s[62:63]
                                        ; implicit-def: $vgpr14_vgpr15
.LBB14_1389:                            ;   in Loop: Header=BB14_17 Depth=1
	s_andn2_saveexec_b64 s[60:61], s[60:61]
	s_cbranch_execz .LBB14_1399
; %bb.1390:                             ;   in Loop: Header=BB14_17 Depth=1
	v_cmp_gt_i16_sdwa s[62:63], v7, v50 src0_sel:BYTE_0 src1_sel:DWORD
                                        ; implicit-def: $vgpr66
	s_and_saveexec_b64 s[64:65], s[62:63]
	s_xor_b64 s[62:63], exec, s[64:65]
	s_cbranch_execz .LBB14_1396
; %bb.1391:                             ;   in Loop: Header=BB14_17 Depth=1
	v_cmp_gt_i16_sdwa s[64:65], v7, v51 src0_sel:BYTE_0 src1_sel:DWORD
                                        ; implicit-def: $vgpr66
	s_and_saveexec_b64 s[66:67], s[64:65]
	s_xor_b64 s[64:65], exec, s[66:67]
	s_cbranch_execz .LBB14_1393
; %bb.1392:                             ;   in Loop: Header=BB14_17 Depth=1
	flat_load_dwordx2 v[14:15], v[14:15]
	s_waitcnt vmcnt(0) lgkmcnt(0)
	v_cvt_f32_f64_e32 v66, v[14:15]
                                        ; implicit-def: $vgpr14_vgpr15
.LBB14_1393:                            ;   in Loop: Header=BB14_17 Depth=1
	s_andn2_saveexec_b64 s[64:65], s[64:65]
	s_cbranch_execz .LBB14_1395
; %bb.1394:                             ;   in Loop: Header=BB14_17 Depth=1
	s_waitcnt vmcnt(0) lgkmcnt(0)
	flat_load_dword v66, v[14:15]
.LBB14_1395:                            ;   in Loop: Header=BB14_17 Depth=1
	s_or_b64 exec, exec, s[64:65]
                                        ; implicit-def: $vgpr14_vgpr15
.LBB14_1396:                            ;   in Loop: Header=BB14_17 Depth=1
	s_andn2_saveexec_b64 s[62:63], s[62:63]
	s_cbranch_execz .LBB14_1398
; %bb.1397:                             ;   in Loop: Header=BB14_17 Depth=1
	flat_load_ushort v14, v[14:15]
	s_waitcnt vmcnt(0) lgkmcnt(0)
	v_cvt_f32_f16_e32 v66, v14
.LBB14_1398:                            ;   in Loop: Header=BB14_17 Depth=1
	s_or_b64 exec, exec, s[62:63]
.LBB14_1399:                            ;   in Loop: Header=BB14_17 Depth=1
	s_or_b64 exec, exec, s[60:61]
                                        ; implicit-def: $vgpr14_vgpr15
.LBB14_1400:                            ;   in Loop: Header=BB14_17 Depth=1
	s_andn2_saveexec_b64 s[58:59], s[58:59]
	s_cbranch_execz .LBB14_1418
; %bb.1401:                             ;   in Loop: Header=BB14_17 Depth=1
	v_cmp_gt_i16_sdwa s[60:61], v7, v52 src0_sel:BYTE_0 src1_sel:DWORD
                                        ; implicit-def: $vgpr66
	s_and_saveexec_b64 s[62:63], s[60:61]
	s_xor_b64 s[60:61], exec, s[62:63]
	s_cbranch_execz .LBB14_1411
; %bb.1402:                             ;   in Loop: Header=BB14_17 Depth=1
	v_cmp_gt_i16_sdwa s[62:63], v7, v53 src0_sel:BYTE_0 src1_sel:DWORD
                                        ; implicit-def: $vgpr66
	s_and_saveexec_b64 s[64:65], s[62:63]
	s_xor_b64 s[62:63], exec, s[64:65]
	;; [unrolled: 6-line block ×3, first 2 shown]
	s_cbranch_execz .LBB14_1405
; %bb.1404:                             ;   in Loop: Header=BB14_17 Depth=1
	flat_load_dwordx2 v[14:15], v[14:15]
	s_waitcnt vmcnt(0) lgkmcnt(0)
	v_xor_b32_e32 v66, v14, v15
	v_ffbh_i32_e32 v65, v15
	v_ashrrev_i32_e32 v66, 31, v66
	v_add_u32_e32 v65, -1, v65
	v_add_u32_e32 v66, 32, v66
	v_min_u32_e32 v65, v65, v66
	v_lshlrev_b64 v[14:15], v65, v[14:15]
	v_min_u32_e32 v14, 1, v14
	v_or_b32_e32 v14, v15, v14
	v_cvt_f32_i32_e32 v14, v14
	v_sub_u32_e32 v15, 32, v65
	v_ldexp_f32 v66, v14, v15
                                        ; implicit-def: $vgpr14_vgpr15
.LBB14_1405:                            ;   in Loop: Header=BB14_17 Depth=1
	s_andn2_saveexec_b64 s[64:65], s[64:65]
	s_cbranch_execz .LBB14_1407
; %bb.1406:                             ;   in Loop: Header=BB14_17 Depth=1
	flat_load_dword v14, v[14:15]
	s_waitcnt vmcnt(0) lgkmcnt(0)
	v_cvt_f32_i32_e32 v66, v14
.LBB14_1407:                            ;   in Loop: Header=BB14_17 Depth=1
	s_or_b64 exec, exec, s[64:65]
                                        ; implicit-def: $vgpr14_vgpr15
.LBB14_1408:                            ;   in Loop: Header=BB14_17 Depth=1
	s_andn2_saveexec_b64 s[62:63], s[62:63]
	s_cbranch_execz .LBB14_1410
; %bb.1409:                             ;   in Loop: Header=BB14_17 Depth=1
	flat_load_sshort v14, v[14:15]
	s_waitcnt vmcnt(0) lgkmcnt(0)
	v_cvt_f32_i32_e32 v66, v14
.LBB14_1410:                            ;   in Loop: Header=BB14_17 Depth=1
	s_or_b64 exec, exec, s[62:63]
                                        ; implicit-def: $vgpr14_vgpr15
.LBB14_1411:                            ;   in Loop: Header=BB14_17 Depth=1
	s_andn2_saveexec_b64 s[60:61], s[60:61]
	s_cbranch_execz .LBB14_1417
; %bb.1412:                             ;   in Loop: Header=BB14_17 Depth=1
	v_cmp_gt_i16_sdwa s[62:63], v7, v16 src0_sel:BYTE_0 src1_sel:DWORD
                                        ; implicit-def: $vgpr66
	s_and_saveexec_b64 s[64:65], s[62:63]
	s_xor_b64 s[62:63], exec, s[64:65]
	s_cbranch_execz .LBB14_1414
; %bb.1413:                             ;   in Loop: Header=BB14_17 Depth=1
	flat_load_sbyte v14, v[14:15]
	s_waitcnt vmcnt(0) lgkmcnt(0)
	v_cvt_f32_i32_e32 v66, v14
                                        ; implicit-def: $vgpr14_vgpr15
.LBB14_1414:                            ;   in Loop: Header=BB14_17 Depth=1
	s_andn2_saveexec_b64 s[62:63], s[62:63]
	s_cbranch_execz .LBB14_1416
; %bb.1415:                             ;   in Loop: Header=BB14_17 Depth=1
	flat_load_ubyte v14, v[14:15]
	s_waitcnt vmcnt(0) lgkmcnt(0)
	v_cvt_f32_ubyte0_e32 v66, v14
.LBB14_1416:                            ;   in Loop: Header=BB14_17 Depth=1
	s_or_b64 exec, exec, s[62:63]
.LBB14_1417:                            ;   in Loop: Header=BB14_17 Depth=1
	s_or_b64 exec, exec, s[60:61]
.LBB14_1418:                            ;   in Loop: Header=BB14_17 Depth=1
	s_or_b64 exec, exec, s[58:59]
	s_andn2_b64 s[50:51], s[50:51], exec
	s_andn2_b64 s[48:49], s[48:49], exec
	s_or_b64 vcc, vcc, exec
	s_or_b64 exec, exec, s[56:57]
	s_mov_b64 s[58:59], 0
	s_and_saveexec_b64 s[56:57], vcc
	s_cbranch_execz .LBB14_1424
.LBB14_1419:                            ;   in Loop: Header=BB14_17 Depth=1
	v_mul_lo_u32 v14, v64, v10
	v_readlane_b32 s58, v44, 0
	v_add_co_u32_e32 v14, vcc, v4, v14
	v_add_u32_e32 v65, s58, v17
	v_addc_co_u32_e32 v15, vcc, 0, v5, vcc
	v_cmp_gt_i16_sdwa s[58:59], v8, v18 src0_sel:BYTE_0 src1_sel:DWORD
	s_mov_b64 s[62:63], 0
	s_waitcnt vmcnt(0) lgkmcnt(0)
	buffer_store_dword v66, v65, s[0:3], 0 offen offset:52
                                        ; implicit-def: $vcc
                                        ; implicit-def: $sgpr60_sgpr61
                                        ; implicit-def: $vgpr64
	s_and_saveexec_b64 s[64:65], s[58:59]
	s_xor_b64 s[58:59], exec, s[64:65]
	s_cbranch_execnz .LBB14_1446
; %bb.1420:                             ;   in Loop: Header=BB14_17 Depth=1
	s_andn2_saveexec_b64 s[58:59], s[58:59]
	s_cbranch_execnz .LBB14_1505
.LBB14_1421:                            ;   in Loop: Header=BB14_17 Depth=1
	s_or_b64 exec, exec, s[58:59]
	s_mov_b64 s[58:59], 0
	s_and_saveexec_b64 s[64:65], s[62:63]
	s_cbranch_execz .LBB14_1423
.LBB14_1422:                            ;   in Loop: Header=BB14_17 Depth=1
	s_mov_b64 s[58:59], exec
	v_add_u32_e32 v55, 0x200, v55
	s_andn2_b64 s[60:61], s[60:61], exec
	s_andn2_b64 vcc, vcc, exec
	s_waitcnt vmcnt(0) lgkmcnt(0)
	buffer_store_dword v64, v65, s[0:3], 0 offen offset:48
.LBB14_1423:                            ;   in Loop: Header=BB14_17 Depth=1
	s_or_b64 exec, exec, s[64:65]
	s_andn2_b64 s[50:51], s[50:51], exec
	s_and_b64 s[60:61], s[60:61], exec
	s_andn2_b64 s[48:49], s[48:49], exec
	s_and_b64 vcc, vcc, exec
	s_or_b64 s[50:51], s[50:51], s[60:61]
	s_or_b64 s[48:49], s[48:49], vcc
	s_and_b64 s[58:59], s[58:59], exec
.LBB14_1424:                            ;   in Loop: Header=BB14_17 Depth=1
	s_or_b64 exec, exec, s[56:57]
	s_and_b64 s[50:51], s[50:51], exec
	s_and_b64 s[48:49], s[48:49], exec
	s_orn2_b64 s[56:57], s[58:59], exec
.LBB14_1425:                            ;   in Loop: Header=BB14_17 Depth=1
	s_or_b64 exec, exec, s[52:53]
	s_and_saveexec_b64 s[52:53], s[56:57]
	s_cbranch_execz .LBB14_10
; %bb.1426:                             ;   in Loop: Header=BB14_17 Depth=1
	v_cmp_lt_i32_e32 vcc, v55, v6
	s_mov_b64 s[60:61], -1
	s_mov_b64 s[62:63], -1
                                        ; implicit-def: $sgpr54_sgpr55
                                        ; implicit-def: $sgpr56_sgpr57
	s_and_saveexec_b64 s[58:59], vcc
	s_cbranch_execz .LBB14_1652
; %bb.1427:                             ;   in Loop: Header=BB14_17 Depth=1
	v_readlane_b32 vcc_lo, v44, 1
	s_waitcnt vmcnt(0) lgkmcnt(0)
	v_add_u32_e32 v64, vcc_lo, v55
	v_mul_lo_u32 v14, v64, v9
	v_add_co_u32_e32 v14, vcc, v2, v14
	v_addc_co_u32_e32 v15, vcc, 0, v3, vcc
	v_cmp_gt_i16_sdwa s[62:63], v7, v18 src0_sel:BYTE_0 src1_sel:DWORD
	s_mov_b64 vcc, 0
                                        ; implicit-def: $sgpr54_sgpr55
                                        ; implicit-def: $sgpr56_sgpr57
                                        ; implicit-def: $vgpr66
	s_and_saveexec_b64 s[64:65], s[62:63]
	s_xor_b64 s[62:63], exec, s[64:65]
	s_cbranch_execnz .LBB14_1546
; %bb.1428:                             ;   in Loop: Header=BB14_17 Depth=1
	s_andn2_saveexec_b64 s[62:63], s[62:63]
	s_cbranch_execnz .LBB14_1605
.LBB14_1429:                            ;   in Loop: Header=BB14_17 Depth=1
	s_or_b64 exec, exec, s[62:63]
	s_mov_b64 s[64:65], 0
	s_and_saveexec_b64 s[62:63], vcc
	s_cbranch_execnz .LBB14_1646
	s_branch .LBB14_1651
.LBB14_1430:                            ;   in Loop: Header=BB14_17 Depth=1
	s_movk_i32 vcc_lo, 0x80
	v_cmp_eq_u16_e32 vcc, vcc_lo, v14
	s_mov_b64 s[44:45], -1
                                        ; implicit-def: $sgpr50
	s_and_saveexec_b64 s[48:49], vcc
; %bb.1431:                             ;   in Loop: Header=BB14_17 Depth=1
	s_mov_b32 s50, 0x7f800001
	s_xor_b64 s[44:45], exec, -1
; %bb.1432:                             ;   in Loop: Header=BB14_17 Depth=1
	s_or_b64 exec, exec, s[48:49]
	s_and_b64 s[44:45], s[44:45], exec
	s_or_saveexec_b64 s[46:47], s[46:47]
	v_mov_b32_e32 v64, s50
	s_xor_b64 exec, exec, s[46:47]
	s_cbranch_execz .LBB14_381
.LBB14_1433:                            ;   in Loop: Header=BB14_17 Depth=1
	v_cmp_ne_u16_e32 vcc, 0, v14
	s_andn2_b64 s[44:45], s[44:45], exec
	s_and_b64 vcc, vcc, exec
	v_mov_b32_e32 v64, 0
	s_or_b64 s[44:45], s[44:45], vcc
	s_or_b64 exec, exec, s[46:47]
	s_and_saveexec_b64 s[46:47], s[44:45]
	s_cbranch_execnz .LBB14_382
	s_branch .LBB14_383
.LBB14_1434:                            ;   in Loop: Header=BB14_17 Depth=1
	s_movk_i32 vcc_lo, 0x80
	v_cmp_eq_u16_e32 vcc, vcc_lo, v14
	s_mov_b64 s[44:45], -1
                                        ; implicit-def: $sgpr50
	s_and_saveexec_b64 s[48:49], vcc
; %bb.1435:                             ;   in Loop: Header=BB14_17 Depth=1
	s_mov_b32 s50, 0x7f800001
	s_xor_b64 s[44:45], exec, -1
; %bb.1436:                             ;   in Loop: Header=BB14_17 Depth=1
	s_or_b64 exec, exec, s[48:49]
	s_and_b64 s[44:45], s[44:45], exec
	s_or_saveexec_b64 s[46:47], s[46:47]
	v_mov_b32_e32 v66, s50
	s_xor_b64 exec, exec, s[46:47]
	s_cbranch_execz .LBB14_481
.LBB14_1437:                            ;   in Loop: Header=BB14_17 Depth=1
	v_cmp_ne_u16_e32 vcc, 0, v14
	s_andn2_b64 s[44:45], s[44:45], exec
	s_and_b64 vcc, vcc, exec
	v_mov_b32_e32 v66, 0
	s_or_b64 s[44:45], s[44:45], vcc
	s_or_b64 exec, exec, s[46:47]
	s_and_saveexec_b64 s[46:47], s[44:45]
	s_cbranch_execnz .LBB14_482
	s_branch .LBB14_483
.LBB14_1438:                            ;   in Loop: Header=BB14_17 Depth=1
	s_movk_i32 vcc_lo, 0x80
	v_cmp_eq_u16_e32 vcc, vcc_lo, v14
	s_mov_b64 s[48:49], -1
                                        ; implicit-def: $sgpr54
	s_and_saveexec_b64 s[52:53], vcc
; %bb.1439:                             ;   in Loop: Header=BB14_17 Depth=1
	s_mov_b32 s54, 0x7f800001
	s_xor_b64 s[48:49], exec, -1
; %bb.1440:                             ;   in Loop: Header=BB14_17 Depth=1
	s_or_b64 exec, exec, s[52:53]
	s_and_b64 s[48:49], s[48:49], exec
	s_or_saveexec_b64 s[50:51], s[50:51]
	v_mov_b32_e32 v64, s54
	s_xor_b64 exec, exec, s[50:51]
	s_cbranch_execz .LBB14_581
.LBB14_1441:                            ;   in Loop: Header=BB14_17 Depth=1
	v_cmp_ne_u16_e32 vcc, 0, v14
	s_andn2_b64 s[48:49], s[48:49], exec
	s_and_b64 vcc, vcc, exec
	v_mov_b32_e32 v64, 0
	s_or_b64 s[48:49], s[48:49], vcc
	s_or_b64 exec, exec, s[50:51]
	s_and_saveexec_b64 s[50:51], s[48:49]
	s_cbranch_execnz .LBB14_582
	s_branch .LBB14_583
.LBB14_1442:                            ;   in Loop: Header=BB14_17 Depth=1
	s_movk_i32 vcc_lo, 0x80
	v_cmp_eq_u16_e32 vcc, vcc_lo, v14
	s_mov_b64 s[48:49], -1
                                        ; implicit-def: $sgpr54
	s_and_saveexec_b64 s[52:53], vcc
; %bb.1443:                             ;   in Loop: Header=BB14_17 Depth=1
	s_mov_b32 s54, 0x7f800001
	s_xor_b64 s[48:49], exec, -1
; %bb.1444:                             ;   in Loop: Header=BB14_17 Depth=1
	s_or_b64 exec, exec, s[52:53]
	s_and_b64 s[48:49], s[48:49], exec
	s_or_saveexec_b64 s[50:51], s[50:51]
	v_mov_b32_e32 v66, s54
	s_xor_b64 exec, exec, s[50:51]
	s_cbranch_execz .LBB14_681
.LBB14_1445:                            ;   in Loop: Header=BB14_17 Depth=1
	v_cmp_ne_u16_e32 vcc, 0, v14
	s_andn2_b64 s[48:49], s[48:49], exec
	s_and_b64 vcc, vcc, exec
	v_mov_b32_e32 v66, 0
	s_or_b64 s[48:49], s[48:49], vcc
	s_or_b64 exec, exec, s[50:51]
	s_and_saveexec_b64 s[50:51], s[48:49]
	s_cbranch_execnz .LBB14_682
	s_branch .LBB14_683
.LBB14_1446:                            ;   in Loop: Header=BB14_17 Depth=1
	v_cmp_gt_i16_sdwa vcc, v8, v19 src0_sel:BYTE_0 src1_sel:DWORD
                                        ; implicit-def: $sgpr64_sgpr65
                                        ; implicit-def: $sgpr66_sgpr67
                                        ; implicit-def: $vgpr64
	s_and_saveexec_b64 s[60:61], vcc
	s_xor_b64 s[60:61], exec, s[60:61]
	s_cbranch_execz .LBB14_1478
; %bb.1447:                             ;   in Loop: Header=BB14_17 Depth=1
	v_cmp_gt_i16_sdwa vcc, v8, v20 src0_sel:BYTE_0 src1_sel:DWORD
                                        ; implicit-def: $sgpr64_sgpr65
                                        ; implicit-def: $sgpr68_sgpr69
                                        ; implicit-def: $vgpr64
	s_and_saveexec_b64 s[66:67], vcc
	s_xor_b64 s[66:67], exec, s[66:67]
	s_cbranch_execz .LBB14_1463
; %bb.1448:                             ;   in Loop: Header=BB14_17 Depth=1
	v_cmp_gt_i16_sdwa s[62:63], v8, v21 src0_sel:BYTE_0 src1_sel:DWORD
	s_mov_b64 s[70:71], 0
                                        ; implicit-def: $vcc
                                        ; implicit-def: $sgpr68_sgpr69
                                        ; implicit-def: $vgpr64
	s_and_saveexec_b64 s[64:65], s[62:63]
	s_xor_b64 s[62:63], exec, s[64:65]
	s_cbranch_execz .LBB14_1458
; %bb.1449:                             ;   in Loop: Header=BB14_17 Depth=1
	v_cmp_gt_i16_sdwa vcc, v8, v22 src0_sel:BYTE_0 src1_sel:DWORD
                                        ; implicit-def: $sgpr68_sgpr69
                                        ; implicit-def: $sgpr64_sgpr65
                                        ; implicit-def: $vgpr64
	s_and_saveexec_b64 s[72:73], vcc
	s_xor_b64 vcc, exec, s[72:73]
	s_cbranch_execz .LBB14_1453
; %bb.1450:                             ;   in Loop: Header=BB14_17 Depth=1
	v_cmp_eq_u16_sdwa s[72:73], v8, v23 src0_sel:BYTE_0 src1_sel:DWORD
	s_mov_b64 s[64:65], 0
                                        ; implicit-def: $vgpr64
	s_and_saveexec_b64 s[68:69], s[72:73]
	s_cbranch_execz .LBB14_1452
; %bb.1451:                             ;   in Loop: Header=BB14_17 Depth=1
	flat_load_dword v14, v[14:15]
	s_mov_b64 s[70:71], exec
	s_waitcnt vmcnt(0) lgkmcnt(0)
	v_lshlrev_b32_e32 v64, 16, v14
.LBB14_1452:                            ;   in Loop: Header=BB14_17 Depth=1
	s_or_b64 exec, exec, s[68:69]
	s_mov_b64 s[68:69], -1
	s_and_b64 s[70:71], s[70:71], exec
                                        ; implicit-def: $vgpr14_vgpr15
.LBB14_1453:                            ;   in Loop: Header=BB14_17 Depth=1
	s_andn2_saveexec_b64 s[72:73], vcc
	s_cbranch_execz .LBB14_1457
; %bb.1454:                             ;   in Loop: Header=BB14_17 Depth=1
	v_cmp_eq_u16_sdwa s[76:77], v8, v24 src0_sel:BYTE_0 src1_sel:DWORD
	s_mov_b64 vcc, s[70:71]
                                        ; implicit-def: $vgpr64
	s_and_saveexec_b64 s[74:75], s[76:77]
	s_cbranch_execz .LBB14_1456
; %bb.1455:                             ;   in Loop: Header=BB14_17 Depth=1
	flat_load_ubyte v14, v[14:15]
	s_movk_i32 vcc_lo, 0xff
	s_waitcnt vmcnt(0) lgkmcnt(0)
	v_lshlrev_b32_e32 v15, 23, v14
	v_cmp_ne_u32_e32 vcc, vcc_lo, v14
	v_cndmask_b32_e32 v15, v25, v15, vcc
	v_cmp_ne_u32_e32 vcc, 0, v14
	v_cndmask_b32_e32 v64, v26, v15, vcc
	s_or_b64 vcc, s[70:71], exec
.LBB14_1456:                            ;   in Loop: Header=BB14_17 Depth=1
	s_or_b64 exec, exec, s[74:75]
	s_andn2_b64 s[70:71], s[70:71], exec
	s_and_b64 vcc, vcc, exec
	s_or_b64 s[68:69], s[68:69], exec
	s_andn2_b64 s[64:65], s[64:65], exec
	s_or_b64 s[70:71], s[70:71], vcc
.LBB14_1457:                            ;   in Loop: Header=BB14_17 Depth=1
	s_or_b64 exec, exec, s[72:73]
	s_and_b64 s[68:69], s[68:69], exec
	s_and_b64 vcc, s[64:65], exec
	s_and_b64 s[70:71], s[70:71], exec
                                        ; implicit-def: $vgpr14_vgpr15
.LBB14_1458:                            ;   in Loop: Header=BB14_17 Depth=1
	s_andn2_saveexec_b64 s[62:63], s[62:63]
	s_cbranch_execz .LBB14_1462
; %bb.1459:                             ;   in Loop: Header=BB14_17 Depth=1
	v_cmp_eq_u16_sdwa s[74:75], v8, v27 src0_sel:BYTE_0 src1_sel:DWORD
	s_mov_b64 s[72:73], s[70:71]
                                        ; implicit-def: $vgpr64
	s_and_saveexec_b64 s[64:65], s[74:75]
	s_cbranch_execz .LBB14_1461
; %bb.1460:                             ;   in Loop: Header=BB14_17 Depth=1
	flat_load_dwordx2 v[14:15], v[14:15]
	s_or_b64 s[72:73], s[70:71], exec
	s_waitcnt vmcnt(0) lgkmcnt(0)
	v_ffbh_u32_e32 v64, v15
	v_min_u32_e32 v64, 32, v64
	v_lshlrev_b64 v[14:15], v64, v[14:15]
	v_min_u32_e32 v14, 1, v14
	v_or_b32_e32 v14, v15, v14
	v_cvt_f32_u32_e32 v14, v14
	v_sub_u32_e32 v15, 32, v64
	v_ldexp_f32 v64, v14, v15
.LBB14_1461:                            ;   in Loop: Header=BB14_17 Depth=1
	s_or_b64 exec, exec, s[64:65]
	s_andn2_b64 s[64:65], s[70:71], exec
	s_and_b64 s[70:71], s[72:73], exec
	s_or_b64 s[68:69], s[68:69], exec
	s_andn2_b64 vcc, vcc, exec
	s_or_b64 s[70:71], s[64:65], s[70:71]
.LBB14_1462:                            ;   in Loop: Header=BB14_17 Depth=1
	s_or_b64 exec, exec, s[62:63]
	s_and_b64 s[68:69], s[68:69], exec
	s_and_b64 s[64:65], vcc, exec
	s_and_b64 s[62:63], s[70:71], exec
                                        ; implicit-def: $vgpr14_vgpr15
.LBB14_1463:                            ;   in Loop: Header=BB14_17 Depth=1
	s_andn2_saveexec_b64 s[66:67], s[66:67]
	s_cbranch_execz .LBB14_1477
; %bb.1464:                             ;   in Loop: Header=BB14_17 Depth=1
	v_cmp_gt_i16_sdwa vcc, v8, v28 src0_sel:BYTE_0 src1_sel:DWORD
                                        ; implicit-def: $vgpr64
	s_and_saveexec_b64 s[70:71], vcc
	s_xor_b64 vcc, exec, s[70:71]
	s_cbranch_execz .LBB14_1470
; %bb.1465:                             ;   in Loop: Header=BB14_17 Depth=1
	v_cmp_gt_i16_sdwa s[70:71], v8, v29 src0_sel:BYTE_0 src1_sel:DWORD
                                        ; implicit-def: $vgpr64
	s_and_saveexec_b64 s[72:73], s[70:71]
	s_xor_b64 s[70:71], exec, s[72:73]
	s_cbranch_execz .LBB14_1467
; %bb.1466:                             ;   in Loop: Header=BB14_17 Depth=1
	flat_load_dword v14, v[14:15]
	s_waitcnt vmcnt(0) lgkmcnt(0)
	v_cvt_f32_u32_e32 v64, v14
                                        ; implicit-def: $vgpr14_vgpr15
.LBB14_1467:                            ;   in Loop: Header=BB14_17 Depth=1
	s_andn2_saveexec_b64 s[70:71], s[70:71]
	s_cbranch_execz .LBB14_1469
; %bb.1468:                             ;   in Loop: Header=BB14_17 Depth=1
	flat_load_ushort v14, v[14:15]
	s_waitcnt vmcnt(0) lgkmcnt(0)
	v_cvt_f32_u32_e32 v64, v14
.LBB14_1469:                            ;   in Loop: Header=BB14_17 Depth=1
	s_or_b64 exec, exec, s[70:71]
                                        ; implicit-def: $vgpr14_vgpr15
.LBB14_1470:                            ;   in Loop: Header=BB14_17 Depth=1
	s_andn2_saveexec_b64 s[70:71], vcc
	s_cbranch_execz .LBB14_1476
; %bb.1471:                             ;   in Loop: Header=BB14_17 Depth=1
	flat_load_ubyte v14, v[14:15]
	s_movk_i32 vcc_lo, 0x7f
	s_mov_b64 s[72:73], 0
                                        ; implicit-def: $sgpr78
	s_waitcnt vmcnt(0) lgkmcnt(0)
	v_cmp_lt_i16_e32 vcc, vcc_lo, v14
	s_and_saveexec_b64 s[74:75], vcc
	s_xor_b64 s[74:75], exec, s[74:75]
	s_cbranch_execnz .LBB14_2346
; %bb.1472:                             ;   in Loop: Header=BB14_17 Depth=1
	s_or_saveexec_b64 s[74:75], s[74:75]
	v_mov_b32_e32 v64, s78
	s_xor_b64 exec, exec, s[74:75]
	s_cbranch_execnz .LBB14_2349
.LBB14_1473:                            ;   in Loop: Header=BB14_17 Depth=1
	s_or_b64 exec, exec, s[74:75]
	s_and_saveexec_b64 s[74:75], s[72:73]
	s_cbranch_execz .LBB14_1475
.LBB14_1474:                            ;   in Loop: Header=BB14_17 Depth=1
	v_lshlrev_b32_e32 v15, 24, v14
	v_and_b32_e32 v14, 0xffff, v14
	v_and_b32_e32 v64, 7, v14
	v_ffbh_u32_e32 v67, v64
	v_min_u32_e32 v67, 32, v67
	v_subrev_u32_e32 v68, 28, v67
	v_bfe_u32 v66, v14, 3, 4
	v_lshlrev_b32_e32 v14, v68, v14
	v_sub_u32_e32 v67, 29, v67
	v_and_b32_e32 v14, 7, v14
	v_cmp_eq_u32_e32 vcc, 0, v66
	v_cndmask_b32_e32 v66, v66, v67, vcc
	v_cndmask_b32_e32 v14, v64, v14, vcc
	v_lshlrev_b32_e32 v14, 20, v14
	v_and_b32_e32 v15, 0x80000000, v15
	v_lshl_add_u32 v64, v66, 23, v30
	v_or3_b32 v64, v15, v64, v14
.LBB14_1475:                            ;   in Loop: Header=BB14_17 Depth=1
	s_or_b64 exec, exec, s[74:75]
.LBB14_1476:                            ;   in Loop: Header=BB14_17 Depth=1
	s_or_b64 exec, exec, s[70:71]
	s_andn2_b64 s[68:69], s[68:69], exec
	s_andn2_b64 s[64:65], s[64:65], exec
	s_or_b64 s[62:63], s[62:63], exec
.LBB14_1477:                            ;   in Loop: Header=BB14_17 Depth=1
	s_or_b64 exec, exec, s[66:67]
	s_and_b64 s[66:67], s[68:69], exec
	s_and_b64 s[64:65], s[64:65], exec
	s_and_b64 s[62:63], s[62:63], exec
                                        ; implicit-def: $vgpr14_vgpr15
.LBB14_1478:                            ;   in Loop: Header=BB14_17 Depth=1
	s_andn2_saveexec_b64 s[60:61], s[60:61]
	s_cbranch_execz .LBB14_1504
; %bb.1479:                             ;   in Loop: Header=BB14_17 Depth=1
	v_cmp_gt_i16_sdwa vcc, v8, v31 src0_sel:BYTE_0 src1_sel:DWORD
	s_mov_b64 s[70:71], s[62:63]
                                        ; implicit-def: $vgpr64
	s_and_saveexec_b64 s[68:69], vcc
	s_xor_b64 s[68:69], exec, s[68:69]
	s_cbranch_execz .LBB14_1493
; %bb.1480:                             ;   in Loop: Header=BB14_17 Depth=1
	v_cmp_gt_i16_sdwa vcc, v8, v32 src0_sel:BYTE_0 src1_sel:DWORD
                                        ; implicit-def: $vgpr64
	s_and_saveexec_b64 s[70:71], vcc
	s_xor_b64 s[70:71], exec, s[70:71]
	s_cbranch_execz .LBB14_1490
; %bb.1481:                             ;   in Loop: Header=BB14_17 Depth=1
	v_cmp_gt_i16_sdwa vcc, v8, v33 src0_sel:BYTE_0 src1_sel:DWORD
                                        ; implicit-def: $vgpr64
	s_and_saveexec_b64 s[72:73], vcc
	s_xor_b64 s[72:73], exec, s[72:73]
	s_cbranch_execz .LBB14_1487
; %bb.1482:                             ;   in Loop: Header=BB14_17 Depth=1
	flat_load_ubyte v14, v[14:15]
	s_movk_i32 vcc_lo, 0x7f
	s_mov_b64 s[74:75], 0
                                        ; implicit-def: $sgpr80
	s_waitcnt vmcnt(0) lgkmcnt(0)
	v_cmp_lt_i16_e32 vcc, vcc_lo, v14
	s_and_saveexec_b64 s[76:77], vcc
	s_xor_b64 s[76:77], exec, s[76:77]
	s_cbranch_execnz .LBB14_2565
; %bb.1483:                             ;   in Loop: Header=BB14_17 Depth=1
	s_or_saveexec_b64 s[76:77], s[76:77]
	v_mov_b32_e32 v64, s80
	s_xor_b64 exec, exec, s[76:77]
	s_cbranch_execnz .LBB14_2568
.LBB14_1484:                            ;   in Loop: Header=BB14_17 Depth=1
	s_or_b64 exec, exec, s[76:77]
	s_and_saveexec_b64 s[76:77], s[74:75]
	s_cbranch_execz .LBB14_1486
.LBB14_1485:                            ;   in Loop: Header=BB14_17 Depth=1
	v_lshlrev_b32_e32 v15, 24, v14
	v_and_b32_e32 v14, 0xffff, v14
	v_and_b32_e32 v64, 3, v14
	v_ffbh_u32_e32 v67, v64
	v_min_u32_e32 v67, 32, v67
	v_subrev_u32_e32 v68, 29, v67
	v_bfe_u32 v66, v14, 2, 5
	v_lshlrev_b32_e32 v14, v68, v14
	v_sub_u32_e32 v67, 30, v67
	v_and_b32_e32 v14, 3, v14
	v_cmp_eq_u32_e32 vcc, 0, v66
	v_cndmask_b32_e32 v66, v66, v67, vcc
	v_cndmask_b32_e32 v14, v64, v14, vcc
	v_lshlrev_b32_e32 v14, 21, v14
	v_and_b32_e32 v15, 0x80000000, v15
	v_lshl_add_u32 v64, v66, 23, v34
	v_or3_b32 v64, v15, v64, v14
.LBB14_1486:                            ;   in Loop: Header=BB14_17 Depth=1
	s_or_b64 exec, exec, s[76:77]
                                        ; implicit-def: $vgpr14_vgpr15
.LBB14_1487:                            ;   in Loop: Header=BB14_17 Depth=1
	s_andn2_saveexec_b64 s[72:73], s[72:73]
	s_cbranch_execz .LBB14_1489
; %bb.1488:                             ;   in Loop: Header=BB14_17 Depth=1
	flat_load_ubyte v14, v[14:15]
	s_mov_b32 vcc_lo, 0x7f800000
	s_waitcnt vmcnt(0) lgkmcnt(0)
	v_lshlrev_b32_e32 v14, 24, v14
	v_and_b32_e32 v15, 0x7f000000, v14
	v_ffbh_u32_e32 v64, v15
	v_min_u32_e32 v64, 32, v64
	v_sub_u32_e64 v64, v64, 4 clamp
	v_lshlrev_b32_e32 v67, v64, v15
	v_lshlrev_b32_e32 v64, 23, v64
	v_lshrrev_b32_e32 v67, 4, v67
	v_add_u32_e32 v66, 0x1000000, v15
	v_sub_u32_e32 v64, v67, v64
	v_ashrrev_i32_e32 v66, 8, v66
	v_add_u32_e32 v64, 0x3c000000, v64
	v_and_or_b32 v64, v66, vcc_lo, v64
	v_cmp_ne_u32_e32 vcc, 0, v15
	v_cndmask_b32_e32 v15, 0, v64, vcc
	s_brev_b32 vcc_lo, 1
	v_and_or_b32 v64, v14, vcc_lo, v15
.LBB14_1489:                            ;   in Loop: Header=BB14_17 Depth=1
	s_or_b64 exec, exec, s[72:73]
                                        ; implicit-def: $vgpr14_vgpr15
.LBB14_1490:                            ;   in Loop: Header=BB14_17 Depth=1
	s_andn2_saveexec_b64 s[70:71], s[70:71]
	s_cbranch_execz .LBB14_1492
; %bb.1491:                             ;   in Loop: Header=BB14_17 Depth=1
	flat_load_ubyte v14, v[14:15]
	s_movk_i32 vcc_lo, 0x7f00
	s_waitcnt vmcnt(0) lgkmcnt(0)
	v_lshlrev_b16_e32 v15, 8, v14
	v_lshlrev_b32_e32 v14, 25, v14
	v_lshrrev_b32_e32 v64, 4, v14
	v_and_or_b32 v66, v15, vcc_lo, 0.5
	v_or_b32_e32 v64, 0x70000000, v64
	s_brev_b32 vcc_lo, 16
	v_add_f32_e32 v66, -0.5, v66
	v_mul_f32_e32 v64, 0x7800000, v64
	v_cmp_gt_u32_e32 vcc, vcc_lo, v14
	v_cndmask_b32_e32 v14, v64, v66, vcc
	v_bfe_i32 v15, v15, 0, 16
	s_brev_b32 vcc_lo, 1
	v_and_or_b32 v64, v15, vcc_lo, v14
.LBB14_1492:                            ;   in Loop: Header=BB14_17 Depth=1
	s_or_b64 exec, exec, s[70:71]
	s_or_b64 s[70:71], s[62:63], exec
                                        ; implicit-def: $vgpr14_vgpr15
.LBB14_1493:                            ;   in Loop: Header=BB14_17 Depth=1
	s_or_saveexec_b64 s[68:69], s[68:69]
                                        ; implicit-def: $vcc
                                        ; implicit-def: $sgpr76_sgpr77
	s_xor_b64 exec, exec, s[68:69]
	s_cbranch_execz .LBB14_1503
; %bb.1494:                             ;   in Loop: Header=BB14_17 Depth=1
	v_cmp_gt_i16_sdwa vcc, v8, v35 src0_sel:BYTE_0 src1_sel:DWORD
	s_mov_b64 s[74:75], s[70:71]
                                        ; implicit-def: $sgpr76_sgpr77
                                        ; implicit-def: $sgpr72_sgpr73
                                        ; implicit-def: $vgpr64
	s_and_saveexec_b64 s[78:79], vcc
	s_xor_b64 vcc, exec, s[78:79]
	s_cbranch_execz .LBB14_1498
; %bb.1495:                             ;   in Loop: Header=BB14_17 Depth=1
	v_cmp_eq_u16_sdwa s[76:77], v8, v36 src0_sel:BYTE_0 src1_sel:DWORD
	s_mov_b64 s[74:75], s[70:71]
                                        ; implicit-def: $vgpr64
	s_and_saveexec_b64 s[72:73], s[76:77]
	s_cbranch_execz .LBB14_1497
; %bb.1496:                             ;   in Loop: Header=BB14_17 Depth=1
	flat_load_ushort v14, v[14:15]
	s_or_b64 s[74:75], s[70:71], exec
	s_waitcnt vmcnt(0) lgkmcnt(0)
	v_lshlrev_b32_e32 v64, 16, v14
.LBB14_1497:                            ;   in Loop: Header=BB14_17 Depth=1
	s_or_b64 exec, exec, s[72:73]
	s_andn2_b64 s[78:79], s[70:71], exec
	s_and_b64 s[74:75], s[74:75], exec
	s_mov_b64 s[72:73], 0
	s_mov_b64 s[76:77], -1
	s_or_b64 s[74:75], s[78:79], s[74:75]
                                        ; implicit-def: $vgpr14_vgpr15
.LBB14_1498:                            ;   in Loop: Header=BB14_17 Depth=1
	s_andn2_saveexec_b64 s[78:79], vcc
	s_cbranch_execz .LBB14_1502
; %bb.1499:                             ;   in Loop: Header=BB14_17 Depth=1
	v_cmp_eq_u16_sdwa s[82:83], v8, v37 src0_sel:BYTE_0 src1_sel:DWORD
	s_mov_b64 vcc, s[74:75]
                                        ; implicit-def: $vgpr64
	s_and_saveexec_b64 s[80:81], s[82:83]
	s_cbranch_execz .LBB14_1501
; %bb.1500:                             ;   in Loop: Header=BB14_17 Depth=1
	flat_load_ubyte v14, v[14:15]
	s_waitcnt vmcnt(0) lgkmcnt(0)
	v_cmp_ne_u16_e32 vcc, 0, v14
	v_cndmask_b32_e64 v64, 0, 1.0, vcc
	s_or_b64 vcc, s[74:75], exec
.LBB14_1501:                            ;   in Loop: Header=BB14_17 Depth=1
	s_or_b64 exec, exec, s[80:81]
	s_andn2_b64 s[74:75], s[74:75], exec
	s_and_b64 vcc, vcc, exec
	s_or_b64 s[76:77], s[76:77], exec
	s_andn2_b64 s[72:73], s[72:73], exec
	s_or_b64 s[74:75], s[74:75], vcc
.LBB14_1502:                            ;   in Loop: Header=BB14_17 Depth=1
	s_or_b64 exec, exec, s[78:79]
	s_and_b64 vcc, s[72:73], exec
	s_andn2_b64 s[70:71], s[70:71], exec
	s_and_b64 s[72:73], s[74:75], exec
	s_and_b64 s[76:77], s[76:77], exec
	s_or_b64 s[70:71], s[70:71], s[72:73]
.LBB14_1503:                            ;   in Loop: Header=BB14_17 Depth=1
	s_or_b64 exec, exec, s[68:69]
	s_andn2_b64 s[64:65], s[64:65], exec
	s_and_b64 vcc, vcc, exec
	s_andn2_b64 s[66:67], s[66:67], exec
	s_and_b64 s[68:69], s[76:77], exec
	s_or_b64 s[64:65], s[64:65], vcc
	s_andn2_b64 vcc, s[62:63], exec
	s_and_b64 s[62:63], s[70:71], exec
	s_or_b64 s[66:67], s[66:67], s[68:69]
	s_or_b64 s[62:63], vcc, s[62:63]
.LBB14_1504:                            ;   in Loop: Header=BB14_17 Depth=1
	s_or_b64 exec, exec, s[60:61]
	s_and_b64 s[60:61], s[66:67], exec
	s_and_b64 vcc, s[64:65], exec
	s_and_b64 s[62:63], s[62:63], exec
                                        ; implicit-def: $vgpr14_vgpr15
	s_andn2_saveexec_b64 s[58:59], s[58:59]
	s_cbranch_execz .LBB14_1421
.LBB14_1505:                            ;   in Loop: Header=BB14_17 Depth=1
	v_cmp_gt_i16_sdwa s[64:65], v8, v38 src0_sel:BYTE_0 src1_sel:DWORD
                                        ; implicit-def: $vgpr64
	s_and_saveexec_b64 s[66:67], s[64:65]
	s_xor_b64 s[64:65], exec, s[66:67]
	s_cbranch_execz .LBB14_1527
; %bb.1506:                             ;   in Loop: Header=BB14_17 Depth=1
	v_cmp_gt_i16_sdwa s[66:67], v8, v39 src0_sel:BYTE_0 src1_sel:DWORD
                                        ; implicit-def: $vgpr64
	s_and_saveexec_b64 s[68:69], s[66:67]
	s_xor_b64 s[66:67], exec, s[68:69]
	s_cbranch_execz .LBB14_1516
; %bb.1507:                             ;   in Loop: Header=BB14_17 Depth=1
	;; [unrolled: 6-line block ×4, first 2 shown]
	flat_load_dwordx2 v[14:15], v[14:15]
	s_waitcnt vmcnt(0) lgkmcnt(0)
	v_cvt_f32_f64_e32 v64, v[14:15]
                                        ; implicit-def: $vgpr14_vgpr15
.LBB14_1510:                            ;   in Loop: Header=BB14_17 Depth=1
	s_andn2_saveexec_b64 s[70:71], s[70:71]
	s_cbranch_execz .LBB14_1512
; %bb.1511:                             ;   in Loop: Header=BB14_17 Depth=1
	flat_load_dword v64, v[14:15]
.LBB14_1512:                            ;   in Loop: Header=BB14_17 Depth=1
	s_or_b64 exec, exec, s[70:71]
                                        ; implicit-def: $vgpr14_vgpr15
.LBB14_1513:                            ;   in Loop: Header=BB14_17 Depth=1
	s_andn2_saveexec_b64 s[68:69], s[68:69]
	s_cbranch_execz .LBB14_1515
; %bb.1514:                             ;   in Loop: Header=BB14_17 Depth=1
	flat_load_dword v14, v[14:15]
	s_waitcnt vmcnt(0) lgkmcnt(0)
	v_cvt_f32_f16_e32 v64, v14
.LBB14_1515:                            ;   in Loop: Header=BB14_17 Depth=1
	s_or_b64 exec, exec, s[68:69]
                                        ; implicit-def: $vgpr14_vgpr15
.LBB14_1516:                            ;   in Loop: Header=BB14_17 Depth=1
	s_andn2_saveexec_b64 s[66:67], s[66:67]
	s_cbranch_execz .LBB14_1526
; %bb.1517:                             ;   in Loop: Header=BB14_17 Depth=1
	v_cmp_gt_i16_sdwa s[68:69], v8, v50 src0_sel:BYTE_0 src1_sel:DWORD
                                        ; implicit-def: $vgpr64
	s_and_saveexec_b64 s[70:71], s[68:69]
	s_xor_b64 s[68:69], exec, s[70:71]
	s_cbranch_execz .LBB14_1523
; %bb.1518:                             ;   in Loop: Header=BB14_17 Depth=1
	v_cmp_gt_i16_sdwa s[70:71], v8, v51 src0_sel:BYTE_0 src1_sel:DWORD
                                        ; implicit-def: $vgpr64
	s_and_saveexec_b64 s[72:73], s[70:71]
	s_xor_b64 s[70:71], exec, s[72:73]
	s_cbranch_execz .LBB14_1520
; %bb.1519:                             ;   in Loop: Header=BB14_17 Depth=1
	flat_load_dwordx2 v[14:15], v[14:15]
	s_waitcnt vmcnt(0) lgkmcnt(0)
	v_cvt_f32_f64_e32 v64, v[14:15]
                                        ; implicit-def: $vgpr14_vgpr15
.LBB14_1520:                            ;   in Loop: Header=BB14_17 Depth=1
	s_andn2_saveexec_b64 s[70:71], s[70:71]
	s_cbranch_execz .LBB14_1522
; %bb.1521:                             ;   in Loop: Header=BB14_17 Depth=1
	s_waitcnt vmcnt(0) lgkmcnt(0)
	flat_load_dword v64, v[14:15]
.LBB14_1522:                            ;   in Loop: Header=BB14_17 Depth=1
	s_or_b64 exec, exec, s[70:71]
                                        ; implicit-def: $vgpr14_vgpr15
.LBB14_1523:                            ;   in Loop: Header=BB14_17 Depth=1
	s_andn2_saveexec_b64 s[68:69], s[68:69]
	s_cbranch_execz .LBB14_1525
; %bb.1524:                             ;   in Loop: Header=BB14_17 Depth=1
	flat_load_ushort v14, v[14:15]
	s_waitcnt vmcnt(0) lgkmcnt(0)
	v_cvt_f32_f16_e32 v64, v14
.LBB14_1525:                            ;   in Loop: Header=BB14_17 Depth=1
	s_or_b64 exec, exec, s[68:69]
.LBB14_1526:                            ;   in Loop: Header=BB14_17 Depth=1
	s_or_b64 exec, exec, s[66:67]
                                        ; implicit-def: $vgpr14_vgpr15
.LBB14_1527:                            ;   in Loop: Header=BB14_17 Depth=1
	s_andn2_saveexec_b64 s[64:65], s[64:65]
	s_cbranch_execz .LBB14_1545
; %bb.1528:                             ;   in Loop: Header=BB14_17 Depth=1
	v_cmp_gt_i16_sdwa s[66:67], v8, v52 src0_sel:BYTE_0 src1_sel:DWORD
                                        ; implicit-def: $vgpr64
	s_and_saveexec_b64 s[68:69], s[66:67]
	s_xor_b64 s[66:67], exec, s[68:69]
	s_cbranch_execz .LBB14_1538
; %bb.1529:                             ;   in Loop: Header=BB14_17 Depth=1
	v_cmp_gt_i16_sdwa s[68:69], v8, v53 src0_sel:BYTE_0 src1_sel:DWORD
                                        ; implicit-def: $vgpr64
	s_and_saveexec_b64 s[70:71], s[68:69]
	s_xor_b64 s[68:69], exec, s[70:71]
	;; [unrolled: 6-line block ×3, first 2 shown]
	s_cbranch_execz .LBB14_1532
; %bb.1531:                             ;   in Loop: Header=BB14_17 Depth=1
	flat_load_dwordx2 v[14:15], v[14:15]
	s_waitcnt vmcnt(0) lgkmcnt(0)
	v_xor_b32_e32 v66, v14, v15
	v_ffbh_i32_e32 v64, v15
	v_ashrrev_i32_e32 v66, 31, v66
	v_add_u32_e32 v64, -1, v64
	v_add_u32_e32 v66, 32, v66
	v_min_u32_e32 v64, v64, v66
	v_lshlrev_b64 v[14:15], v64, v[14:15]
	v_min_u32_e32 v14, 1, v14
	v_or_b32_e32 v14, v15, v14
	v_cvt_f32_i32_e32 v14, v14
	v_sub_u32_e32 v15, 32, v64
	v_ldexp_f32 v64, v14, v15
                                        ; implicit-def: $vgpr14_vgpr15
.LBB14_1532:                            ;   in Loop: Header=BB14_17 Depth=1
	s_andn2_saveexec_b64 s[70:71], s[70:71]
	s_cbranch_execz .LBB14_1534
; %bb.1533:                             ;   in Loop: Header=BB14_17 Depth=1
	flat_load_dword v14, v[14:15]
	s_waitcnt vmcnt(0) lgkmcnt(0)
	v_cvt_f32_i32_e32 v64, v14
.LBB14_1534:                            ;   in Loop: Header=BB14_17 Depth=1
	s_or_b64 exec, exec, s[70:71]
                                        ; implicit-def: $vgpr14_vgpr15
.LBB14_1535:                            ;   in Loop: Header=BB14_17 Depth=1
	s_andn2_saveexec_b64 s[68:69], s[68:69]
	s_cbranch_execz .LBB14_1537
; %bb.1536:                             ;   in Loop: Header=BB14_17 Depth=1
	flat_load_sshort v14, v[14:15]
	s_waitcnt vmcnt(0) lgkmcnt(0)
	v_cvt_f32_i32_e32 v64, v14
.LBB14_1537:                            ;   in Loop: Header=BB14_17 Depth=1
	s_or_b64 exec, exec, s[68:69]
                                        ; implicit-def: $vgpr14_vgpr15
.LBB14_1538:                            ;   in Loop: Header=BB14_17 Depth=1
	s_andn2_saveexec_b64 s[66:67], s[66:67]
	s_cbranch_execz .LBB14_1544
; %bb.1539:                             ;   in Loop: Header=BB14_17 Depth=1
	v_cmp_gt_i16_sdwa s[68:69], v8, v16 src0_sel:BYTE_0 src1_sel:DWORD
                                        ; implicit-def: $vgpr64
	s_and_saveexec_b64 s[70:71], s[68:69]
	s_xor_b64 s[68:69], exec, s[70:71]
	s_cbranch_execz .LBB14_1541
; %bb.1540:                             ;   in Loop: Header=BB14_17 Depth=1
	flat_load_sbyte v14, v[14:15]
	s_waitcnt vmcnt(0) lgkmcnt(0)
	v_cvt_f32_i32_e32 v64, v14
                                        ; implicit-def: $vgpr14_vgpr15
.LBB14_1541:                            ;   in Loop: Header=BB14_17 Depth=1
	s_andn2_saveexec_b64 s[68:69], s[68:69]
	s_cbranch_execz .LBB14_1543
; %bb.1542:                             ;   in Loop: Header=BB14_17 Depth=1
	flat_load_ubyte v14, v[14:15]
	s_waitcnt vmcnt(0) lgkmcnt(0)
	v_cvt_f32_ubyte0_e32 v64, v14
.LBB14_1543:                            ;   in Loop: Header=BB14_17 Depth=1
	s_or_b64 exec, exec, s[68:69]
.LBB14_1544:                            ;   in Loop: Header=BB14_17 Depth=1
	s_or_b64 exec, exec, s[66:67]
.LBB14_1545:                            ;   in Loop: Header=BB14_17 Depth=1
	s_or_b64 exec, exec, s[64:65]
	s_andn2_b64 s[60:61], s[60:61], exec
	s_andn2_b64 vcc, vcc, exec
	s_or_b64 s[62:63], s[62:63], exec
	s_or_b64 exec, exec, s[58:59]
	s_mov_b64 s[58:59], 0
	s_and_saveexec_b64 s[64:65], s[62:63]
	s_cbranch_execnz .LBB14_1422
	s_branch .LBB14_1423
.LBB14_1546:                            ;   in Loop: Header=BB14_17 Depth=1
	v_cmp_gt_i16_sdwa vcc, v7, v19 src0_sel:BYTE_0 src1_sel:DWORD
	s_mov_b64 s[64:65], 0
                                        ; implicit-def: $sgpr66_sgpr67
                                        ; implicit-def: $sgpr56_sgpr57
                                        ; implicit-def: $vgpr66
	s_and_saveexec_b64 s[54:55], vcc
	s_xor_b64 s[54:55], exec, s[54:55]
	s_cbranch_execz .LBB14_1578
; %bb.1547:                             ;   in Loop: Header=BB14_17 Depth=1
	v_cmp_gt_i16_sdwa vcc, v7, v20 src0_sel:BYTE_0 src1_sel:DWORD
                                        ; implicit-def: $sgpr66_sgpr67
                                        ; implicit-def: $sgpr68_sgpr69
                                        ; implicit-def: $vgpr66
	s_and_saveexec_b64 s[56:57], vcc
	s_xor_b64 s[56:57], exec, s[56:57]
	s_cbranch_execz .LBB14_1563
; %bb.1548:                             ;   in Loop: Header=BB14_17 Depth=1
	v_cmp_gt_i16_sdwa s[64:65], v7, v21 src0_sel:BYTE_0 src1_sel:DWORD
	s_mov_b64 s[70:71], 0
                                        ; implicit-def: $vcc
                                        ; implicit-def: $sgpr66_sgpr67
                                        ; implicit-def: $vgpr66
	s_and_saveexec_b64 s[68:69], s[64:65]
	s_xor_b64 s[64:65], exec, s[68:69]
	s_cbranch_execz .LBB14_1558
; %bb.1549:                             ;   in Loop: Header=BB14_17 Depth=1
	v_cmp_gt_i16_sdwa vcc, v7, v22 src0_sel:BYTE_0 src1_sel:DWORD
	s_mov_b64 s[68:69], 0
                                        ; implicit-def: $sgpr66_sgpr67
                                        ; implicit-def: $sgpr70_sgpr71
                                        ; implicit-def: $vgpr66
	s_and_saveexec_b64 s[72:73], vcc
	s_xor_b64 vcc, exec, s[72:73]
	s_cbranch_execz .LBB14_1553
; %bb.1550:                             ;   in Loop: Header=BB14_17 Depth=1
	v_cmp_eq_u16_sdwa s[72:73], v7, v23 src0_sel:BYTE_0 src1_sel:DWORD
	s_mov_b64 s[66:67], 0
                                        ; implicit-def: $vgpr66
	s_and_saveexec_b64 s[70:71], s[72:73]
	s_cbranch_execz .LBB14_1552
; %bb.1551:                             ;   in Loop: Header=BB14_17 Depth=1
	flat_load_dword v14, v[14:15]
	s_mov_b64 s[68:69], exec
	s_waitcnt vmcnt(0) lgkmcnt(0)
	v_lshlrev_b32_e32 v66, 16, v14
.LBB14_1552:                            ;   in Loop: Header=BB14_17 Depth=1
	s_or_b64 exec, exec, s[70:71]
	s_mov_b64 s[70:71], -1
	s_and_b64 s[68:69], s[68:69], exec
                                        ; implicit-def: $vgpr14_vgpr15
.LBB14_1553:                            ;   in Loop: Header=BB14_17 Depth=1
	s_andn2_saveexec_b64 s[72:73], vcc
	s_cbranch_execz .LBB14_1557
; %bb.1554:                             ;   in Loop: Header=BB14_17 Depth=1
	v_cmp_eq_u16_sdwa s[76:77], v7, v24 src0_sel:BYTE_0 src1_sel:DWORD
	s_mov_b64 vcc, s[68:69]
                                        ; implicit-def: $vgpr66
	s_and_saveexec_b64 s[74:75], s[76:77]
	s_cbranch_execz .LBB14_1556
; %bb.1555:                             ;   in Loop: Header=BB14_17 Depth=1
	flat_load_ubyte v14, v[14:15]
	s_movk_i32 vcc_lo, 0xff
	s_waitcnt vmcnt(0) lgkmcnt(0)
	v_lshlrev_b32_e32 v15, 23, v14
	v_cmp_ne_u32_e32 vcc, vcc_lo, v14
	v_cndmask_b32_e32 v15, v25, v15, vcc
	v_cmp_ne_u32_e32 vcc, 0, v14
	v_cndmask_b32_e32 v66, v26, v15, vcc
	s_or_b64 vcc, s[68:69], exec
.LBB14_1556:                            ;   in Loop: Header=BB14_17 Depth=1
	s_or_b64 exec, exec, s[74:75]
	s_andn2_b64 s[68:69], s[68:69], exec
	s_and_b64 vcc, vcc, exec
	s_andn2_b64 s[66:67], s[66:67], exec
	s_or_b64 s[70:71], s[70:71], exec
	s_or_b64 s[68:69], s[68:69], vcc
.LBB14_1557:                            ;   in Loop: Header=BB14_17 Depth=1
	s_or_b64 exec, exec, s[72:73]
	s_and_b64 s[66:67], s[66:67], exec
	s_and_b64 vcc, s[70:71], exec
	s_and_b64 s[70:71], s[68:69], exec
                                        ; implicit-def: $vgpr14_vgpr15
.LBB14_1558:                            ;   in Loop: Header=BB14_17 Depth=1
	s_andn2_saveexec_b64 s[64:65], s[64:65]
	s_cbranch_execz .LBB14_1562
; %bb.1559:                             ;   in Loop: Header=BB14_17 Depth=1
	v_cmp_eq_u16_sdwa s[74:75], v7, v27 src0_sel:BYTE_0 src1_sel:DWORD
	s_mov_b64 s[72:73], s[70:71]
                                        ; implicit-def: $vgpr66
	s_and_saveexec_b64 s[68:69], s[74:75]
	s_cbranch_execz .LBB14_1561
; %bb.1560:                             ;   in Loop: Header=BB14_17 Depth=1
	flat_load_dwordx2 v[14:15], v[14:15]
	s_or_b64 s[72:73], s[70:71], exec
	s_waitcnt vmcnt(0) lgkmcnt(0)
	v_ffbh_u32_e32 v65, v15
	v_min_u32_e32 v65, 32, v65
	v_lshlrev_b64 v[14:15], v65, v[14:15]
	v_min_u32_e32 v14, 1, v14
	v_or_b32_e32 v14, v15, v14
	v_cvt_f32_u32_e32 v14, v14
	v_sub_u32_e32 v15, 32, v65
	v_ldexp_f32 v66, v14, v15
.LBB14_1561:                            ;   in Loop: Header=BB14_17 Depth=1
	s_or_b64 exec, exec, s[68:69]
	s_andn2_b64 s[68:69], s[70:71], exec
	s_and_b64 s[70:71], s[72:73], exec
	s_andn2_b64 s[66:67], s[66:67], exec
	s_or_b64 vcc, vcc, exec
	s_or_b64 s[70:71], s[68:69], s[70:71]
.LBB14_1562:                            ;   in Loop: Header=BB14_17 Depth=1
	s_or_b64 exec, exec, s[64:65]
	s_and_b64 s[68:69], s[66:67], exec
	s_and_b64 s[66:67], vcc, exec
	s_and_b64 s[64:65], s[70:71], exec
                                        ; implicit-def: $vgpr14_vgpr15
.LBB14_1563:                            ;   in Loop: Header=BB14_17 Depth=1
	s_andn2_saveexec_b64 s[56:57], s[56:57]
	s_cbranch_execz .LBB14_1577
; %bb.1564:                             ;   in Loop: Header=BB14_17 Depth=1
	v_cmp_gt_i16_sdwa vcc, v7, v28 src0_sel:BYTE_0 src1_sel:DWORD
                                        ; implicit-def: $vgpr66
	s_and_saveexec_b64 s[70:71], vcc
	s_xor_b64 vcc, exec, s[70:71]
	s_cbranch_execz .LBB14_1570
; %bb.1565:                             ;   in Loop: Header=BB14_17 Depth=1
	v_cmp_gt_i16_sdwa s[70:71], v7, v29 src0_sel:BYTE_0 src1_sel:DWORD
                                        ; implicit-def: $vgpr66
	s_and_saveexec_b64 s[72:73], s[70:71]
	s_xor_b64 s[70:71], exec, s[72:73]
	s_cbranch_execz .LBB14_1567
; %bb.1566:                             ;   in Loop: Header=BB14_17 Depth=1
	flat_load_dword v14, v[14:15]
	s_waitcnt vmcnt(0) lgkmcnt(0)
	v_cvt_f32_u32_e32 v66, v14
                                        ; implicit-def: $vgpr14_vgpr15
.LBB14_1567:                            ;   in Loop: Header=BB14_17 Depth=1
	s_andn2_saveexec_b64 s[70:71], s[70:71]
	s_cbranch_execz .LBB14_1569
; %bb.1568:                             ;   in Loop: Header=BB14_17 Depth=1
	flat_load_ushort v14, v[14:15]
	s_waitcnt vmcnt(0) lgkmcnt(0)
	v_cvt_f32_u32_e32 v66, v14
.LBB14_1569:                            ;   in Loop: Header=BB14_17 Depth=1
	s_or_b64 exec, exec, s[70:71]
                                        ; implicit-def: $vgpr14_vgpr15
.LBB14_1570:                            ;   in Loop: Header=BB14_17 Depth=1
	s_andn2_saveexec_b64 s[70:71], vcc
	s_cbranch_execz .LBB14_1576
; %bb.1571:                             ;   in Loop: Header=BB14_17 Depth=1
	flat_load_ubyte v14, v[14:15]
	s_movk_i32 vcc_lo, 0x7f
	s_mov_b64 s[72:73], 0
                                        ; implicit-def: $sgpr78
	s_waitcnt vmcnt(0) lgkmcnt(0)
	v_cmp_lt_i16_e32 vcc, vcc_lo, v14
	s_and_saveexec_b64 s[74:75], vcc
	s_xor_b64 s[74:75], exec, s[74:75]
	s_cbranch_execnz .LBB14_2350
; %bb.1572:                             ;   in Loop: Header=BB14_17 Depth=1
	s_or_saveexec_b64 s[74:75], s[74:75]
	v_mov_b32_e32 v66, s78
	s_xor_b64 exec, exec, s[74:75]
	s_cbranch_execnz .LBB14_2353
.LBB14_1573:                            ;   in Loop: Header=BB14_17 Depth=1
	s_or_b64 exec, exec, s[74:75]
	s_and_saveexec_b64 s[74:75], s[72:73]
	s_cbranch_execz .LBB14_1575
.LBB14_1574:                            ;   in Loop: Header=BB14_17 Depth=1
	v_lshlrev_b32_e32 v15, 24, v14
	v_and_b32_e32 v14, 0xffff, v14
	v_and_b32_e32 v65, 7, v14
	v_ffbh_u32_e32 v67, v65
	v_min_u32_e32 v67, 32, v67
	v_subrev_u32_e32 v68, 28, v67
	v_bfe_u32 v66, v14, 3, 4
	v_lshlrev_b32_e32 v14, v68, v14
	v_sub_u32_e32 v67, 29, v67
	v_and_b32_e32 v14, 7, v14
	v_cmp_eq_u32_e32 vcc, 0, v66
	v_cndmask_b32_e32 v66, v66, v67, vcc
	v_cndmask_b32_e32 v14, v65, v14, vcc
	v_lshlrev_b32_e32 v14, 20, v14
	v_and_b32_e32 v15, 0x80000000, v15
	v_lshl_add_u32 v65, v66, 23, v30
	v_or3_b32 v66, v15, v65, v14
.LBB14_1575:                            ;   in Loop: Header=BB14_17 Depth=1
	s_or_b64 exec, exec, s[74:75]
.LBB14_1576:                            ;   in Loop: Header=BB14_17 Depth=1
	s_or_b64 exec, exec, s[70:71]
	s_andn2_b64 s[68:69], s[68:69], exec
	s_andn2_b64 s[66:67], s[66:67], exec
	s_or_b64 s[64:65], s[64:65], exec
.LBB14_1577:                            ;   in Loop: Header=BB14_17 Depth=1
	s_or_b64 exec, exec, s[56:57]
	s_and_b64 s[56:57], s[68:69], exec
	s_and_b64 s[66:67], s[66:67], exec
	;; [unrolled: 1-line block ×3, first 2 shown]
                                        ; implicit-def: $vgpr14_vgpr15
.LBB14_1578:                            ;   in Loop: Header=BB14_17 Depth=1
	s_andn2_saveexec_b64 s[54:55], s[54:55]
	s_cbranch_execz .LBB14_1604
; %bb.1579:                             ;   in Loop: Header=BB14_17 Depth=1
	v_cmp_gt_i16_sdwa vcc, v7, v31 src0_sel:BYTE_0 src1_sel:DWORD
	s_mov_b64 s[70:71], s[64:65]
                                        ; implicit-def: $vgpr66
	s_and_saveexec_b64 s[68:69], vcc
	s_xor_b64 s[68:69], exec, s[68:69]
	s_cbranch_execz .LBB14_1593
; %bb.1580:                             ;   in Loop: Header=BB14_17 Depth=1
	v_cmp_gt_i16_sdwa vcc, v7, v32 src0_sel:BYTE_0 src1_sel:DWORD
                                        ; implicit-def: $vgpr66
	s_and_saveexec_b64 s[70:71], vcc
	s_xor_b64 s[70:71], exec, s[70:71]
	s_cbranch_execz .LBB14_1590
; %bb.1581:                             ;   in Loop: Header=BB14_17 Depth=1
	v_cmp_gt_i16_sdwa vcc, v7, v33 src0_sel:BYTE_0 src1_sel:DWORD
                                        ; implicit-def: $vgpr66
	s_and_saveexec_b64 s[72:73], vcc
	s_xor_b64 s[72:73], exec, s[72:73]
	s_cbranch_execz .LBB14_1587
; %bb.1582:                             ;   in Loop: Header=BB14_17 Depth=1
	flat_load_ubyte v14, v[14:15]
	s_movk_i32 vcc_lo, 0x7f
	s_mov_b64 s[74:75], 0
                                        ; implicit-def: $sgpr80
	s_waitcnt vmcnt(0) lgkmcnt(0)
	v_cmp_lt_i16_e32 vcc, vcc_lo, v14
	s_and_saveexec_b64 s[76:77], vcc
	s_xor_b64 s[76:77], exec, s[76:77]
	s_cbranch_execnz .LBB14_2569
; %bb.1583:                             ;   in Loop: Header=BB14_17 Depth=1
	s_or_saveexec_b64 s[76:77], s[76:77]
	v_mov_b32_e32 v66, s80
	s_xor_b64 exec, exec, s[76:77]
	s_cbranch_execnz .LBB14_2572
.LBB14_1584:                            ;   in Loop: Header=BB14_17 Depth=1
	s_or_b64 exec, exec, s[76:77]
	s_and_saveexec_b64 s[76:77], s[74:75]
	s_cbranch_execz .LBB14_1586
.LBB14_1585:                            ;   in Loop: Header=BB14_17 Depth=1
	v_lshlrev_b32_e32 v15, 24, v14
	v_and_b32_e32 v14, 0xffff, v14
	v_and_b32_e32 v65, 3, v14
	v_ffbh_u32_e32 v67, v65
	v_min_u32_e32 v67, 32, v67
	v_subrev_u32_e32 v68, 29, v67
	v_bfe_u32 v66, v14, 2, 5
	v_lshlrev_b32_e32 v14, v68, v14
	v_sub_u32_e32 v67, 30, v67
	v_and_b32_e32 v14, 3, v14
	v_cmp_eq_u32_e32 vcc, 0, v66
	v_cndmask_b32_e32 v66, v66, v67, vcc
	v_cndmask_b32_e32 v14, v65, v14, vcc
	v_lshlrev_b32_e32 v14, 21, v14
	v_and_b32_e32 v15, 0x80000000, v15
	v_lshl_add_u32 v65, v66, 23, v34
	v_or3_b32 v66, v15, v65, v14
.LBB14_1586:                            ;   in Loop: Header=BB14_17 Depth=1
	s_or_b64 exec, exec, s[76:77]
                                        ; implicit-def: $vgpr14_vgpr15
.LBB14_1587:                            ;   in Loop: Header=BB14_17 Depth=1
	s_andn2_saveexec_b64 s[72:73], s[72:73]
	s_cbranch_execz .LBB14_1589
; %bb.1588:                             ;   in Loop: Header=BB14_17 Depth=1
	flat_load_ubyte v14, v[14:15]
	s_mov_b32 vcc_lo, 0x7f800000
	s_waitcnt vmcnt(0) lgkmcnt(0)
	v_lshlrev_b32_e32 v14, 24, v14
	v_and_b32_e32 v15, 0x7f000000, v14
	v_ffbh_u32_e32 v65, v15
	v_min_u32_e32 v65, 32, v65
	v_sub_u32_e64 v65, v65, 4 clamp
	v_lshlrev_b32_e32 v67, v65, v15
	v_lshlrev_b32_e32 v65, 23, v65
	v_lshrrev_b32_e32 v67, 4, v67
	v_add_u32_e32 v66, 0x1000000, v15
	v_sub_u32_e32 v65, v67, v65
	v_ashrrev_i32_e32 v66, 8, v66
	v_add_u32_e32 v65, 0x3c000000, v65
	v_and_or_b32 v65, v66, vcc_lo, v65
	v_cmp_ne_u32_e32 vcc, 0, v15
	v_cndmask_b32_e32 v15, 0, v65, vcc
	s_brev_b32 vcc_lo, 1
	v_and_or_b32 v66, v14, vcc_lo, v15
.LBB14_1589:                            ;   in Loop: Header=BB14_17 Depth=1
	s_or_b64 exec, exec, s[72:73]
                                        ; implicit-def: $vgpr14_vgpr15
.LBB14_1590:                            ;   in Loop: Header=BB14_17 Depth=1
	s_andn2_saveexec_b64 s[70:71], s[70:71]
	s_cbranch_execz .LBB14_1592
; %bb.1591:                             ;   in Loop: Header=BB14_17 Depth=1
	flat_load_ubyte v14, v[14:15]
	s_movk_i32 vcc_lo, 0x7f00
	s_waitcnt vmcnt(0) lgkmcnt(0)
	v_lshlrev_b16_e32 v15, 8, v14
	v_lshlrev_b32_e32 v14, 25, v14
	v_lshrrev_b32_e32 v65, 4, v14
	v_and_or_b32 v66, v15, vcc_lo, 0.5
	v_or_b32_e32 v65, 0x70000000, v65
	s_brev_b32 vcc_lo, 16
	v_add_f32_e32 v66, -0.5, v66
	v_mul_f32_e32 v65, 0x7800000, v65
	v_cmp_gt_u32_e32 vcc, vcc_lo, v14
	v_cndmask_b32_e32 v14, v65, v66, vcc
	v_bfe_i32 v15, v15, 0, 16
	s_brev_b32 vcc_lo, 1
	v_and_or_b32 v66, v15, vcc_lo, v14
.LBB14_1592:                            ;   in Loop: Header=BB14_17 Depth=1
	s_or_b64 exec, exec, s[70:71]
	s_or_b64 s[70:71], s[64:65], exec
                                        ; implicit-def: $vgpr14_vgpr15
.LBB14_1593:                            ;   in Loop: Header=BB14_17 Depth=1
	s_or_saveexec_b64 s[68:69], s[68:69]
                                        ; implicit-def: $vcc
                                        ; implicit-def: $sgpr76_sgpr77
	s_xor_b64 exec, exec, s[68:69]
	s_cbranch_execz .LBB14_1603
; %bb.1594:                             ;   in Loop: Header=BB14_17 Depth=1
	v_cmp_gt_i16_sdwa vcc, v7, v35 src0_sel:BYTE_0 src1_sel:DWORD
	s_mov_b64 s[74:75], s[70:71]
                                        ; implicit-def: $sgpr76_sgpr77
                                        ; implicit-def: $sgpr72_sgpr73
                                        ; implicit-def: $vgpr66
	s_and_saveexec_b64 s[78:79], vcc
	s_xor_b64 vcc, exec, s[78:79]
	s_cbranch_execz .LBB14_1598
; %bb.1595:                             ;   in Loop: Header=BB14_17 Depth=1
	v_cmp_eq_u16_sdwa s[76:77], v7, v36 src0_sel:BYTE_0 src1_sel:DWORD
	s_mov_b64 s[74:75], s[70:71]
                                        ; implicit-def: $vgpr66
	s_and_saveexec_b64 s[72:73], s[76:77]
	s_cbranch_execz .LBB14_1597
; %bb.1596:                             ;   in Loop: Header=BB14_17 Depth=1
	flat_load_ushort v14, v[14:15]
	s_or_b64 s[74:75], s[70:71], exec
	s_waitcnt vmcnt(0) lgkmcnt(0)
	v_lshlrev_b32_e32 v66, 16, v14
.LBB14_1597:                            ;   in Loop: Header=BB14_17 Depth=1
	s_or_b64 exec, exec, s[72:73]
	s_andn2_b64 s[78:79], s[70:71], exec
	s_and_b64 s[74:75], s[74:75], exec
	s_mov_b64 s[72:73], -1
	s_mov_b64 s[76:77], 0
	s_or_b64 s[74:75], s[78:79], s[74:75]
                                        ; implicit-def: $vgpr14_vgpr15
.LBB14_1598:                            ;   in Loop: Header=BB14_17 Depth=1
	s_andn2_saveexec_b64 s[78:79], vcc
	s_cbranch_execz .LBB14_1602
; %bb.1599:                             ;   in Loop: Header=BB14_17 Depth=1
	v_cmp_eq_u16_sdwa s[82:83], v7, v37 src0_sel:BYTE_0 src1_sel:DWORD
	s_mov_b64 vcc, s[74:75]
                                        ; implicit-def: $vgpr66
	s_and_saveexec_b64 s[80:81], s[82:83]
	s_cbranch_execz .LBB14_1601
; %bb.1600:                             ;   in Loop: Header=BB14_17 Depth=1
	flat_load_ubyte v14, v[14:15]
	s_waitcnt vmcnt(0) lgkmcnt(0)
	v_cmp_ne_u16_e32 vcc, 0, v14
	v_cndmask_b32_e64 v66, 0, 1.0, vcc
	s_or_b64 vcc, s[74:75], exec
.LBB14_1601:                            ;   in Loop: Header=BB14_17 Depth=1
	s_or_b64 exec, exec, s[80:81]
	s_andn2_b64 s[74:75], s[74:75], exec
	s_and_b64 vcc, vcc, exec
	s_andn2_b64 s[76:77], s[76:77], exec
	s_or_b64 s[72:73], s[72:73], exec
	s_or_b64 s[74:75], s[74:75], vcc
.LBB14_1602:                            ;   in Loop: Header=BB14_17 Depth=1
	s_or_b64 exec, exec, s[78:79]
	s_and_b64 vcc, s[72:73], exec
	s_andn2_b64 s[70:71], s[70:71], exec
	s_and_b64 s[72:73], s[74:75], exec
	s_and_b64 s[76:77], s[76:77], exec
	s_or_b64 s[70:71], s[70:71], s[72:73]
.LBB14_1603:                            ;   in Loop: Header=BB14_17 Depth=1
	s_or_b64 exec, exec, s[68:69]
	s_andn2_b64 s[66:67], s[66:67], exec
	s_and_b64 vcc, vcc, exec
	s_andn2_b64 s[56:57], s[56:57], exec
	s_and_b64 s[68:69], s[76:77], exec
	s_or_b64 s[66:67], s[66:67], vcc
	s_andn2_b64 vcc, s[64:65], exec
	s_and_b64 s[64:65], s[70:71], exec
	s_or_b64 s[56:57], s[56:57], s[68:69]
	s_or_b64 s[64:65], vcc, s[64:65]
.LBB14_1604:                            ;   in Loop: Header=BB14_17 Depth=1
	s_or_b64 exec, exec, s[54:55]
	s_and_b64 s[56:57], s[56:57], exec
	s_and_b64 s[54:55], s[66:67], exec
	s_and_b64 vcc, s[64:65], exec
                                        ; implicit-def: $vgpr14_vgpr15
	s_andn2_saveexec_b64 s[62:63], s[62:63]
	s_cbranch_execz .LBB14_1429
.LBB14_1605:                            ;   in Loop: Header=BB14_17 Depth=1
	v_cmp_gt_i16_sdwa s[64:65], v7, v38 src0_sel:BYTE_0 src1_sel:DWORD
                                        ; implicit-def: $vgpr66
	s_and_saveexec_b64 s[66:67], s[64:65]
	s_xor_b64 s[64:65], exec, s[66:67]
	s_cbranch_execz .LBB14_1627
; %bb.1606:                             ;   in Loop: Header=BB14_17 Depth=1
	v_cmp_gt_i16_sdwa s[66:67], v7, v39 src0_sel:BYTE_0 src1_sel:DWORD
                                        ; implicit-def: $vgpr66
	s_and_saveexec_b64 s[68:69], s[66:67]
	s_xor_b64 s[66:67], exec, s[68:69]
	s_cbranch_execz .LBB14_1616
; %bb.1607:                             ;   in Loop: Header=BB14_17 Depth=1
	;; [unrolled: 6-line block ×4, first 2 shown]
	flat_load_dwordx2 v[14:15], v[14:15]
	s_waitcnt vmcnt(0) lgkmcnt(0)
	v_cvt_f32_f64_e32 v66, v[14:15]
                                        ; implicit-def: $vgpr14_vgpr15
.LBB14_1610:                            ;   in Loop: Header=BB14_17 Depth=1
	s_andn2_saveexec_b64 s[70:71], s[70:71]
	s_cbranch_execz .LBB14_1612
; %bb.1611:                             ;   in Loop: Header=BB14_17 Depth=1
	flat_load_dword v66, v[14:15]
.LBB14_1612:                            ;   in Loop: Header=BB14_17 Depth=1
	s_or_b64 exec, exec, s[70:71]
                                        ; implicit-def: $vgpr14_vgpr15
.LBB14_1613:                            ;   in Loop: Header=BB14_17 Depth=1
	s_andn2_saveexec_b64 s[68:69], s[68:69]
	s_cbranch_execz .LBB14_1615
; %bb.1614:                             ;   in Loop: Header=BB14_17 Depth=1
	flat_load_dword v14, v[14:15]
	s_waitcnt vmcnt(0) lgkmcnt(0)
	v_cvt_f32_f16_e32 v66, v14
.LBB14_1615:                            ;   in Loop: Header=BB14_17 Depth=1
	s_or_b64 exec, exec, s[68:69]
                                        ; implicit-def: $vgpr14_vgpr15
.LBB14_1616:                            ;   in Loop: Header=BB14_17 Depth=1
	s_andn2_saveexec_b64 s[66:67], s[66:67]
	s_cbranch_execz .LBB14_1626
; %bb.1617:                             ;   in Loop: Header=BB14_17 Depth=1
	v_cmp_gt_i16_sdwa s[68:69], v7, v50 src0_sel:BYTE_0 src1_sel:DWORD
                                        ; implicit-def: $vgpr66
	s_and_saveexec_b64 s[70:71], s[68:69]
	s_xor_b64 s[68:69], exec, s[70:71]
	s_cbranch_execz .LBB14_1623
; %bb.1618:                             ;   in Loop: Header=BB14_17 Depth=1
	v_cmp_gt_i16_sdwa s[70:71], v7, v51 src0_sel:BYTE_0 src1_sel:DWORD
                                        ; implicit-def: $vgpr66
	s_and_saveexec_b64 s[72:73], s[70:71]
	s_xor_b64 s[70:71], exec, s[72:73]
	s_cbranch_execz .LBB14_1620
; %bb.1619:                             ;   in Loop: Header=BB14_17 Depth=1
	flat_load_dwordx2 v[14:15], v[14:15]
	s_waitcnt vmcnt(0) lgkmcnt(0)
	v_cvt_f32_f64_e32 v66, v[14:15]
                                        ; implicit-def: $vgpr14_vgpr15
.LBB14_1620:                            ;   in Loop: Header=BB14_17 Depth=1
	s_andn2_saveexec_b64 s[70:71], s[70:71]
	s_cbranch_execz .LBB14_1622
; %bb.1621:                             ;   in Loop: Header=BB14_17 Depth=1
	s_waitcnt vmcnt(0) lgkmcnt(0)
	flat_load_dword v66, v[14:15]
.LBB14_1622:                            ;   in Loop: Header=BB14_17 Depth=1
	s_or_b64 exec, exec, s[70:71]
                                        ; implicit-def: $vgpr14_vgpr15
.LBB14_1623:                            ;   in Loop: Header=BB14_17 Depth=1
	s_andn2_saveexec_b64 s[68:69], s[68:69]
	s_cbranch_execz .LBB14_1625
; %bb.1624:                             ;   in Loop: Header=BB14_17 Depth=1
	flat_load_ushort v14, v[14:15]
	s_waitcnt vmcnt(0) lgkmcnt(0)
	v_cvt_f32_f16_e32 v66, v14
.LBB14_1625:                            ;   in Loop: Header=BB14_17 Depth=1
	s_or_b64 exec, exec, s[68:69]
.LBB14_1626:                            ;   in Loop: Header=BB14_17 Depth=1
	s_or_b64 exec, exec, s[66:67]
                                        ; implicit-def: $vgpr14_vgpr15
.LBB14_1627:                            ;   in Loop: Header=BB14_17 Depth=1
	s_andn2_saveexec_b64 s[64:65], s[64:65]
	s_cbranch_execz .LBB14_1645
; %bb.1628:                             ;   in Loop: Header=BB14_17 Depth=1
	v_cmp_gt_i16_sdwa s[66:67], v7, v52 src0_sel:BYTE_0 src1_sel:DWORD
                                        ; implicit-def: $vgpr66
	s_and_saveexec_b64 s[68:69], s[66:67]
	s_xor_b64 s[66:67], exec, s[68:69]
	s_cbranch_execz .LBB14_1638
; %bb.1629:                             ;   in Loop: Header=BB14_17 Depth=1
	v_cmp_gt_i16_sdwa s[68:69], v7, v53 src0_sel:BYTE_0 src1_sel:DWORD
                                        ; implicit-def: $vgpr66
	s_and_saveexec_b64 s[70:71], s[68:69]
	s_xor_b64 s[68:69], exec, s[70:71]
	;; [unrolled: 6-line block ×3, first 2 shown]
	s_cbranch_execz .LBB14_1632
; %bb.1631:                             ;   in Loop: Header=BB14_17 Depth=1
	flat_load_dwordx2 v[14:15], v[14:15]
	s_waitcnt vmcnt(0) lgkmcnt(0)
	v_xor_b32_e32 v66, v14, v15
	v_ffbh_i32_e32 v65, v15
	v_ashrrev_i32_e32 v66, 31, v66
	v_add_u32_e32 v65, -1, v65
	v_add_u32_e32 v66, 32, v66
	v_min_u32_e32 v65, v65, v66
	v_lshlrev_b64 v[14:15], v65, v[14:15]
	v_min_u32_e32 v14, 1, v14
	v_or_b32_e32 v14, v15, v14
	v_cvt_f32_i32_e32 v14, v14
	v_sub_u32_e32 v15, 32, v65
	v_ldexp_f32 v66, v14, v15
                                        ; implicit-def: $vgpr14_vgpr15
.LBB14_1632:                            ;   in Loop: Header=BB14_17 Depth=1
	s_andn2_saveexec_b64 s[70:71], s[70:71]
	s_cbranch_execz .LBB14_1634
; %bb.1633:                             ;   in Loop: Header=BB14_17 Depth=1
	flat_load_dword v14, v[14:15]
	s_waitcnt vmcnt(0) lgkmcnt(0)
	v_cvt_f32_i32_e32 v66, v14
.LBB14_1634:                            ;   in Loop: Header=BB14_17 Depth=1
	s_or_b64 exec, exec, s[70:71]
                                        ; implicit-def: $vgpr14_vgpr15
.LBB14_1635:                            ;   in Loop: Header=BB14_17 Depth=1
	s_andn2_saveexec_b64 s[68:69], s[68:69]
	s_cbranch_execz .LBB14_1637
; %bb.1636:                             ;   in Loop: Header=BB14_17 Depth=1
	flat_load_sshort v14, v[14:15]
	s_waitcnt vmcnt(0) lgkmcnt(0)
	v_cvt_f32_i32_e32 v66, v14
.LBB14_1637:                            ;   in Loop: Header=BB14_17 Depth=1
	s_or_b64 exec, exec, s[68:69]
                                        ; implicit-def: $vgpr14_vgpr15
.LBB14_1638:                            ;   in Loop: Header=BB14_17 Depth=1
	s_andn2_saveexec_b64 s[66:67], s[66:67]
	s_cbranch_execz .LBB14_1644
; %bb.1639:                             ;   in Loop: Header=BB14_17 Depth=1
	v_cmp_gt_i16_sdwa s[68:69], v7, v16 src0_sel:BYTE_0 src1_sel:DWORD
                                        ; implicit-def: $vgpr66
	s_and_saveexec_b64 s[70:71], s[68:69]
	s_xor_b64 s[68:69], exec, s[70:71]
	s_cbranch_execz .LBB14_1641
; %bb.1640:                             ;   in Loop: Header=BB14_17 Depth=1
	flat_load_sbyte v14, v[14:15]
	s_waitcnt vmcnt(0) lgkmcnt(0)
	v_cvt_f32_i32_e32 v66, v14
                                        ; implicit-def: $vgpr14_vgpr15
.LBB14_1641:                            ;   in Loop: Header=BB14_17 Depth=1
	s_andn2_saveexec_b64 s[68:69], s[68:69]
	s_cbranch_execz .LBB14_1643
; %bb.1642:                             ;   in Loop: Header=BB14_17 Depth=1
	flat_load_ubyte v14, v[14:15]
	s_waitcnt vmcnt(0) lgkmcnt(0)
	v_cvt_f32_ubyte0_e32 v66, v14
.LBB14_1643:                            ;   in Loop: Header=BB14_17 Depth=1
	s_or_b64 exec, exec, s[68:69]
.LBB14_1644:                            ;   in Loop: Header=BB14_17 Depth=1
	s_or_b64 exec, exec, s[66:67]
.LBB14_1645:                            ;   in Loop: Header=BB14_17 Depth=1
	s_or_b64 exec, exec, s[64:65]
	s_andn2_b64 s[56:57], s[56:57], exec
	s_andn2_b64 s[54:55], s[54:55], exec
	s_or_b64 vcc, vcc, exec
	s_or_b64 exec, exec, s[62:63]
	s_mov_b64 s[64:65], 0
	s_and_saveexec_b64 s[62:63], vcc
	s_cbranch_execz .LBB14_1651
.LBB14_1646:                            ;   in Loop: Header=BB14_17 Depth=1
	v_mul_lo_u32 v14, v64, v10
	v_readlane_b32 s64, v44, 0
	v_add_co_u32_e32 v14, vcc, v4, v14
	v_add_u32_e32 v65, s64, v17
	v_addc_co_u32_e32 v15, vcc, 0, v5, vcc
	v_cmp_gt_i16_sdwa s[64:65], v8, v18 src0_sel:BYTE_0 src1_sel:DWORD
	s_mov_b64 s[68:69], 0
	s_waitcnt vmcnt(0) lgkmcnt(0)
	buffer_store_dword v66, v65, s[0:3], 0 offen offset:60
                                        ; implicit-def: $vcc
                                        ; implicit-def: $sgpr66_sgpr67
                                        ; implicit-def: $vgpr64
	s_and_saveexec_b64 s[70:71], s[64:65]
	s_xor_b64 s[64:65], exec, s[70:71]
	s_cbranch_execnz .LBB14_1673
; %bb.1647:                             ;   in Loop: Header=BB14_17 Depth=1
	s_andn2_saveexec_b64 s[64:65], s[64:65]
	s_cbranch_execnz .LBB14_1732
.LBB14_1648:                            ;   in Loop: Header=BB14_17 Depth=1
	s_or_b64 exec, exec, s[64:65]
	s_mov_b64 s[64:65], 0
	s_and_saveexec_b64 s[70:71], s[68:69]
	s_cbranch_execz .LBB14_1650
.LBB14_1649:                            ;   in Loop: Header=BB14_17 Depth=1
	s_mov_b64 s[64:65], exec
	v_add_u32_e32 v55, 0x200, v55
	s_andn2_b64 s[66:67], s[66:67], exec
	s_andn2_b64 vcc, vcc, exec
	s_waitcnt vmcnt(0) lgkmcnt(0)
	buffer_store_dword v64, v65, s[0:3], 0 offen offset:56
.LBB14_1650:                            ;   in Loop: Header=BB14_17 Depth=1
	s_or_b64 exec, exec, s[70:71]
	s_andn2_b64 s[56:57], s[56:57], exec
	s_and_b64 s[66:67], s[66:67], exec
	s_andn2_b64 s[54:55], s[54:55], exec
	s_and_b64 vcc, vcc, exec
	s_or_b64 s[56:57], s[56:57], s[66:67]
	s_or_b64 s[54:55], s[54:55], vcc
	s_and_b64 s[64:65], s[64:65], exec
.LBB14_1651:                            ;   in Loop: Header=BB14_17 Depth=1
	s_or_b64 exec, exec, s[62:63]
	s_and_b64 s[56:57], s[56:57], exec
	s_and_b64 s[54:55], s[54:55], exec
	s_orn2_b64 s[62:63], s[64:65], exec
.LBB14_1652:                            ;   in Loop: Header=BB14_17 Depth=1
	s_or_b64 exec, exec, s[58:59]
	s_and_saveexec_b64 s[58:59], s[62:63]
	s_cbranch_execz .LBB14_9
; %bb.1653:                             ;   in Loop: Header=BB14_17 Depth=1
	v_cmp_lt_i32_e32 vcc, v55, v6
	s_mov_b64 s[66:67], -1
	s_mov_b64 s[68:69], -1
                                        ; implicit-def: $sgpr60_sgpr61
                                        ; implicit-def: $sgpr62_sgpr63
                                        ; kill: killed $sgpr62_sgpr63
	s_and_saveexec_b64 s[64:65], vcc
	s_cbranch_execz .LBB14_1879
; %bb.1654:                             ;   in Loop: Header=BB14_17 Depth=1
	v_readlane_b32 vcc_lo, v44, 1
	s_waitcnt vmcnt(0) lgkmcnt(0)
	v_add_u32_e32 v64, vcc_lo, v55
	v_mul_lo_u32 v14, v64, v9
	v_add_co_u32_e32 v14, vcc, v2, v14
	v_addc_co_u32_e32 v15, vcc, 0, v3, vcc
	v_cmp_gt_i16_sdwa s[68:69], v7, v18 src0_sel:BYTE_0 src1_sel:DWORD
	s_mov_b64 vcc, 0
                                        ; implicit-def: $sgpr60_sgpr61
                                        ; implicit-def: $sgpr62_sgpr63
                                        ; implicit-def: $vgpr66
	s_and_saveexec_b64 s[70:71], s[68:69]
	s_xor_b64 s[68:69], exec, s[70:71]
	s_cbranch_execnz .LBB14_1773
; %bb.1655:                             ;   in Loop: Header=BB14_17 Depth=1
	s_andn2_saveexec_b64 s[68:69], s[68:69]
	s_cbranch_execnz .LBB14_1832
.LBB14_1656:                            ;   in Loop: Header=BB14_17 Depth=1
	s_or_b64 exec, exec, s[68:69]
	s_mov_b64 s[70:71], 0
	s_and_saveexec_b64 s[68:69], vcc
	s_cbranch_execnz .LBB14_1873
	s_branch .LBB14_1878
.LBB14_1657:                            ;   in Loop: Header=BB14_17 Depth=1
	s_movk_i32 vcc_lo, 0x80
	v_cmp_eq_u16_e32 vcc, vcc_lo, v14
	s_mov_b64 s[50:51], -1
                                        ; implicit-def: $sgpr56
	s_and_saveexec_b64 s[54:55], vcc
; %bb.1658:                             ;   in Loop: Header=BB14_17 Depth=1
	s_mov_b32 s56, 0x7f800001
	s_xor_b64 s[50:51], exec, -1
; %bb.1659:                             ;   in Loop: Header=BB14_17 Depth=1
	s_or_b64 exec, exec, s[54:55]
	s_and_b64 s[50:51], s[50:51], exec
	s_or_saveexec_b64 s[52:53], s[52:53]
	v_mov_b32_e32 v64, s56
	s_xor_b64 exec, exec, s[52:53]
	s_cbranch_execz .LBB14_592
.LBB14_1660:                            ;   in Loop: Header=BB14_17 Depth=1
	v_cmp_ne_u16_e32 vcc, 0, v14
	s_andn2_b64 s[50:51], s[50:51], exec
	s_and_b64 vcc, vcc, exec
	v_mov_b32_e32 v64, 0
	s_or_b64 s[50:51], s[50:51], vcc
	s_or_b64 exec, exec, s[52:53]
	s_and_saveexec_b64 s[52:53], s[50:51]
	s_cbranch_execnz .LBB14_593
	s_branch .LBB14_594
.LBB14_1661:                            ;   in Loop: Header=BB14_17 Depth=1
	s_movk_i32 vcc_lo, 0x80
	v_cmp_eq_u16_e32 vcc, vcc_lo, v14
	s_mov_b64 s[50:51], -1
                                        ; implicit-def: $sgpr56
	s_and_saveexec_b64 s[54:55], vcc
; %bb.1662:                             ;   in Loop: Header=BB14_17 Depth=1
	s_mov_b32 s56, 0x7f800001
	s_xor_b64 s[50:51], exec, -1
; %bb.1663:                             ;   in Loop: Header=BB14_17 Depth=1
	s_or_b64 exec, exec, s[54:55]
	s_and_b64 s[50:51], s[50:51], exec
	s_or_saveexec_b64 s[52:53], s[52:53]
	v_mov_b32_e32 v66, s56
	s_xor_b64 exec, exec, s[52:53]
	s_cbranch_execz .LBB14_692
.LBB14_1664:                            ;   in Loop: Header=BB14_17 Depth=1
	v_cmp_ne_u16_e32 vcc, 0, v14
	s_andn2_b64 s[50:51], s[50:51], exec
	s_and_b64 vcc, vcc, exec
	v_mov_b32_e32 v66, 0
	s_or_b64 s[50:51], s[50:51], vcc
	s_or_b64 exec, exec, s[52:53]
	s_and_saveexec_b64 s[52:53], s[50:51]
	s_cbranch_execnz .LBB14_693
	s_branch .LBB14_694
.LBB14_1665:                            ;   in Loop: Header=BB14_17 Depth=1
	s_movk_i32 vcc_lo, 0x80
	v_cmp_eq_u16_e32 vcc, vcc_lo, v14
	s_mov_b64 s[54:55], -1
                                        ; implicit-def: $sgpr60
	s_and_saveexec_b64 s[58:59], vcc
; %bb.1666:                             ;   in Loop: Header=BB14_17 Depth=1
	s_mov_b32 s60, 0x7f800001
	s_xor_b64 s[54:55], exec, -1
; %bb.1667:                             ;   in Loop: Header=BB14_17 Depth=1
	s_or_b64 exec, exec, s[58:59]
	s_and_b64 s[54:55], s[54:55], exec
	s_or_saveexec_b64 s[56:57], s[56:57]
	v_mov_b32_e32 v64, s60
	s_xor_b64 exec, exec, s[56:57]
	s_cbranch_execz .LBB14_796
.LBB14_1668:                            ;   in Loop: Header=BB14_17 Depth=1
	v_cmp_ne_u16_e32 vcc, 0, v14
	s_andn2_b64 s[54:55], s[54:55], exec
	s_and_b64 vcc, vcc, exec
	v_mov_b32_e32 v64, 0
	s_or_b64 s[54:55], s[54:55], vcc
	s_or_b64 exec, exec, s[56:57]
	s_and_saveexec_b64 s[56:57], s[54:55]
	s_cbranch_execnz .LBB14_797
	s_branch .LBB14_798
.LBB14_1669:                            ;   in Loop: Header=BB14_17 Depth=1
	s_movk_i32 vcc_lo, 0x80
	v_cmp_eq_u16_e32 vcc, vcc_lo, v14
	s_mov_b64 s[54:55], -1
                                        ; implicit-def: $sgpr60
	s_and_saveexec_b64 s[58:59], vcc
; %bb.1670:                             ;   in Loop: Header=BB14_17 Depth=1
	s_mov_b32 s60, 0x7f800001
	s_xor_b64 s[54:55], exec, -1
; %bb.1671:                             ;   in Loop: Header=BB14_17 Depth=1
	s_or_b64 exec, exec, s[58:59]
	s_and_b64 s[54:55], s[54:55], exec
	s_or_saveexec_b64 s[56:57], s[56:57]
	v_mov_b32_e32 v66, s60
	s_xor_b64 exec, exec, s[56:57]
	s_cbranch_execz .LBB14_896
.LBB14_1672:                            ;   in Loop: Header=BB14_17 Depth=1
	v_cmp_ne_u16_e32 vcc, 0, v14
	s_andn2_b64 s[54:55], s[54:55], exec
	s_and_b64 vcc, vcc, exec
	v_mov_b32_e32 v66, 0
	s_or_b64 s[54:55], s[54:55], vcc
	s_or_b64 exec, exec, s[56:57]
	s_and_saveexec_b64 s[56:57], s[54:55]
	s_cbranch_execnz .LBB14_897
	s_branch .LBB14_898
.LBB14_1673:                            ;   in Loop: Header=BB14_17 Depth=1
	v_cmp_gt_i16_sdwa vcc, v8, v19 src0_sel:BYTE_0 src1_sel:DWORD
                                        ; implicit-def: $sgpr70_sgpr71
                                        ; implicit-def: $sgpr72_sgpr73
                                        ; implicit-def: $vgpr64
	s_and_saveexec_b64 s[66:67], vcc
	s_xor_b64 s[66:67], exec, s[66:67]
	s_cbranch_execz .LBB14_1705
; %bb.1674:                             ;   in Loop: Header=BB14_17 Depth=1
	v_cmp_gt_i16_sdwa vcc, v8, v20 src0_sel:BYTE_0 src1_sel:DWORD
                                        ; implicit-def: $sgpr70_sgpr71
                                        ; implicit-def: $sgpr74_sgpr75
                                        ; implicit-def: $vgpr64
	s_and_saveexec_b64 s[72:73], vcc
	s_xor_b64 s[72:73], exec, s[72:73]
	s_cbranch_execz .LBB14_1690
; %bb.1675:                             ;   in Loop: Header=BB14_17 Depth=1
	v_cmp_gt_i16_sdwa s[68:69], v8, v21 src0_sel:BYTE_0 src1_sel:DWORD
	s_mov_b64 s[76:77], 0
                                        ; implicit-def: $vcc
                                        ; implicit-def: $sgpr74_sgpr75
                                        ; implicit-def: $vgpr64
	s_and_saveexec_b64 s[70:71], s[68:69]
	s_xor_b64 s[68:69], exec, s[70:71]
	s_cbranch_execz .LBB14_1685
; %bb.1676:                             ;   in Loop: Header=BB14_17 Depth=1
	v_cmp_gt_i16_sdwa vcc, v8, v22 src0_sel:BYTE_0 src1_sel:DWORD
                                        ; implicit-def: $sgpr74_sgpr75
                                        ; implicit-def: $sgpr70_sgpr71
                                        ; implicit-def: $vgpr64
	s_and_saveexec_b64 s[78:79], vcc
	s_xor_b64 vcc, exec, s[78:79]
	s_cbranch_execz .LBB14_1680
; %bb.1677:                             ;   in Loop: Header=BB14_17 Depth=1
	v_cmp_eq_u16_sdwa s[78:79], v8, v23 src0_sel:BYTE_0 src1_sel:DWORD
	s_mov_b64 s[70:71], 0
                                        ; implicit-def: $vgpr64
	s_and_saveexec_b64 s[74:75], s[78:79]
	s_cbranch_execz .LBB14_1679
; %bb.1678:                             ;   in Loop: Header=BB14_17 Depth=1
	flat_load_dword v14, v[14:15]
	s_mov_b64 s[76:77], exec
	s_waitcnt vmcnt(0) lgkmcnt(0)
	v_lshlrev_b32_e32 v64, 16, v14
.LBB14_1679:                            ;   in Loop: Header=BB14_17 Depth=1
	s_or_b64 exec, exec, s[74:75]
	s_mov_b64 s[74:75], -1
	s_and_b64 s[76:77], s[76:77], exec
                                        ; implicit-def: $vgpr14_vgpr15
.LBB14_1680:                            ;   in Loop: Header=BB14_17 Depth=1
	s_andn2_saveexec_b64 s[78:79], vcc
	s_cbranch_execz .LBB14_1684
; %bb.1681:                             ;   in Loop: Header=BB14_17 Depth=1
	v_cmp_eq_u16_sdwa s[82:83], v8, v24 src0_sel:BYTE_0 src1_sel:DWORD
	s_mov_b64 vcc, s[76:77]
                                        ; implicit-def: $vgpr64
	s_and_saveexec_b64 s[80:81], s[82:83]
	s_cbranch_execz .LBB14_1683
; %bb.1682:                             ;   in Loop: Header=BB14_17 Depth=1
	flat_load_ubyte v14, v[14:15]
	s_movk_i32 vcc_lo, 0xff
	s_waitcnt vmcnt(0) lgkmcnt(0)
	v_lshlrev_b32_e32 v15, 23, v14
	v_cmp_ne_u32_e32 vcc, vcc_lo, v14
	v_cndmask_b32_e32 v15, v25, v15, vcc
	v_cmp_ne_u32_e32 vcc, 0, v14
	v_cndmask_b32_e32 v64, v26, v15, vcc
	s_or_b64 vcc, s[76:77], exec
.LBB14_1683:                            ;   in Loop: Header=BB14_17 Depth=1
	s_or_b64 exec, exec, s[80:81]
	s_andn2_b64 s[76:77], s[76:77], exec
	s_and_b64 vcc, vcc, exec
	s_or_b64 s[74:75], s[74:75], exec
	s_andn2_b64 s[70:71], s[70:71], exec
	s_or_b64 s[76:77], s[76:77], vcc
.LBB14_1684:                            ;   in Loop: Header=BB14_17 Depth=1
	s_or_b64 exec, exec, s[78:79]
	s_and_b64 s[74:75], s[74:75], exec
	s_and_b64 vcc, s[70:71], exec
	s_and_b64 s[76:77], s[76:77], exec
                                        ; implicit-def: $vgpr14_vgpr15
.LBB14_1685:                            ;   in Loop: Header=BB14_17 Depth=1
	s_andn2_saveexec_b64 s[68:69], s[68:69]
	s_cbranch_execz .LBB14_1689
; %bb.1686:                             ;   in Loop: Header=BB14_17 Depth=1
	v_cmp_eq_u16_sdwa s[80:81], v8, v27 src0_sel:BYTE_0 src1_sel:DWORD
	s_mov_b64 s[78:79], s[76:77]
                                        ; implicit-def: $vgpr64
	s_and_saveexec_b64 s[70:71], s[80:81]
	s_cbranch_execz .LBB14_1688
; %bb.1687:                             ;   in Loop: Header=BB14_17 Depth=1
	flat_load_dwordx2 v[14:15], v[14:15]
	s_or_b64 s[78:79], s[76:77], exec
	s_waitcnt vmcnt(0) lgkmcnt(0)
	v_ffbh_u32_e32 v64, v15
	v_min_u32_e32 v64, 32, v64
	v_lshlrev_b64 v[14:15], v64, v[14:15]
	v_min_u32_e32 v14, 1, v14
	v_or_b32_e32 v14, v15, v14
	v_cvt_f32_u32_e32 v14, v14
	v_sub_u32_e32 v15, 32, v64
	v_ldexp_f32 v64, v14, v15
.LBB14_1688:                            ;   in Loop: Header=BB14_17 Depth=1
	s_or_b64 exec, exec, s[70:71]
	s_andn2_b64 s[70:71], s[76:77], exec
	s_and_b64 s[76:77], s[78:79], exec
	s_or_b64 s[74:75], s[74:75], exec
	s_andn2_b64 vcc, vcc, exec
	s_or_b64 s[76:77], s[70:71], s[76:77]
.LBB14_1689:                            ;   in Loop: Header=BB14_17 Depth=1
	s_or_b64 exec, exec, s[68:69]
	s_and_b64 s[74:75], s[74:75], exec
	s_and_b64 s[70:71], vcc, exec
	s_and_b64 s[68:69], s[76:77], exec
                                        ; implicit-def: $vgpr14_vgpr15
.LBB14_1690:                            ;   in Loop: Header=BB14_17 Depth=1
	s_andn2_saveexec_b64 s[72:73], s[72:73]
	s_cbranch_execz .LBB14_1704
; %bb.1691:                             ;   in Loop: Header=BB14_17 Depth=1
	v_cmp_gt_i16_sdwa vcc, v8, v28 src0_sel:BYTE_0 src1_sel:DWORD
                                        ; implicit-def: $vgpr64
	s_and_saveexec_b64 s[76:77], vcc
	s_xor_b64 vcc, exec, s[76:77]
	s_cbranch_execz .LBB14_1697
; %bb.1692:                             ;   in Loop: Header=BB14_17 Depth=1
	v_cmp_gt_i16_sdwa s[76:77], v8, v29 src0_sel:BYTE_0 src1_sel:DWORD
                                        ; implicit-def: $vgpr64
	s_and_saveexec_b64 s[78:79], s[76:77]
	s_xor_b64 s[76:77], exec, s[78:79]
	s_cbranch_execz .LBB14_1694
; %bb.1693:                             ;   in Loop: Header=BB14_17 Depth=1
	flat_load_dword v14, v[14:15]
	s_waitcnt vmcnt(0) lgkmcnt(0)
	v_cvt_f32_u32_e32 v64, v14
                                        ; implicit-def: $vgpr14_vgpr15
.LBB14_1694:                            ;   in Loop: Header=BB14_17 Depth=1
	s_andn2_saveexec_b64 s[76:77], s[76:77]
	s_cbranch_execz .LBB14_1696
; %bb.1695:                             ;   in Loop: Header=BB14_17 Depth=1
	flat_load_ushort v14, v[14:15]
	s_waitcnt vmcnt(0) lgkmcnt(0)
	v_cvt_f32_u32_e32 v64, v14
.LBB14_1696:                            ;   in Loop: Header=BB14_17 Depth=1
	s_or_b64 exec, exec, s[76:77]
                                        ; implicit-def: $vgpr14_vgpr15
.LBB14_1697:                            ;   in Loop: Header=BB14_17 Depth=1
	s_andn2_saveexec_b64 s[76:77], vcc
	s_cbranch_execz .LBB14_1703
; %bb.1698:                             ;   in Loop: Header=BB14_17 Depth=1
	flat_load_ubyte v14, v[14:15]
	s_movk_i32 vcc_lo, 0x7f
	s_mov_b64 s[78:79], 0
                                        ; implicit-def: $sgpr84
	s_waitcnt vmcnt(0) lgkmcnt(0)
	v_cmp_lt_i16_e32 vcc, vcc_lo, v14
	s_and_saveexec_b64 s[80:81], vcc
	s_xor_b64 s[80:81], exec, s[80:81]
	s_cbranch_execnz .LBB14_2573
; %bb.1699:                             ;   in Loop: Header=BB14_17 Depth=1
	s_or_saveexec_b64 s[80:81], s[80:81]
	v_mov_b32_e32 v64, s84
	s_xor_b64 exec, exec, s[80:81]
	s_cbranch_execnz .LBB14_2576
.LBB14_1700:                            ;   in Loop: Header=BB14_17 Depth=1
	s_or_b64 exec, exec, s[80:81]
	s_and_saveexec_b64 s[80:81], s[78:79]
	s_cbranch_execz .LBB14_1702
.LBB14_1701:                            ;   in Loop: Header=BB14_17 Depth=1
	v_lshlrev_b32_e32 v15, 24, v14
	v_and_b32_e32 v14, 0xffff, v14
	v_and_b32_e32 v64, 7, v14
	v_ffbh_u32_e32 v67, v64
	v_min_u32_e32 v67, 32, v67
	v_subrev_u32_e32 v68, 28, v67
	v_bfe_u32 v66, v14, 3, 4
	v_lshlrev_b32_e32 v14, v68, v14
	v_sub_u32_e32 v67, 29, v67
	v_and_b32_e32 v14, 7, v14
	v_cmp_eq_u32_e32 vcc, 0, v66
	v_cndmask_b32_e32 v66, v66, v67, vcc
	v_cndmask_b32_e32 v14, v64, v14, vcc
	v_lshlrev_b32_e32 v14, 20, v14
	v_and_b32_e32 v15, 0x80000000, v15
	v_lshl_add_u32 v64, v66, 23, v30
	v_or3_b32 v64, v15, v64, v14
.LBB14_1702:                            ;   in Loop: Header=BB14_17 Depth=1
	s_or_b64 exec, exec, s[80:81]
.LBB14_1703:                            ;   in Loop: Header=BB14_17 Depth=1
	s_or_b64 exec, exec, s[76:77]
	s_andn2_b64 s[74:75], s[74:75], exec
	s_andn2_b64 s[70:71], s[70:71], exec
	s_or_b64 s[68:69], s[68:69], exec
.LBB14_1704:                            ;   in Loop: Header=BB14_17 Depth=1
	s_or_b64 exec, exec, s[72:73]
	s_and_b64 s[72:73], s[74:75], exec
	s_and_b64 s[70:71], s[70:71], exec
	;; [unrolled: 1-line block ×3, first 2 shown]
                                        ; implicit-def: $vgpr14_vgpr15
.LBB14_1705:                            ;   in Loop: Header=BB14_17 Depth=1
	s_andn2_saveexec_b64 s[66:67], s[66:67]
	s_cbranch_execz .LBB14_1731
; %bb.1706:                             ;   in Loop: Header=BB14_17 Depth=1
	v_cmp_gt_i16_sdwa vcc, v8, v31 src0_sel:BYTE_0 src1_sel:DWORD
	s_mov_b64 s[76:77], s[68:69]
                                        ; implicit-def: $vgpr64
	s_and_saveexec_b64 s[74:75], vcc
	s_xor_b64 s[74:75], exec, s[74:75]
	s_cbranch_execz .LBB14_1720
; %bb.1707:                             ;   in Loop: Header=BB14_17 Depth=1
	v_cmp_gt_i16_sdwa vcc, v8, v32 src0_sel:BYTE_0 src1_sel:DWORD
                                        ; implicit-def: $vgpr64
	s_and_saveexec_b64 s[76:77], vcc
	s_xor_b64 s[76:77], exec, s[76:77]
	s_cbranch_execz .LBB14_1717
; %bb.1708:                             ;   in Loop: Header=BB14_17 Depth=1
	v_cmp_gt_i16_sdwa vcc, v8, v33 src0_sel:BYTE_0 src1_sel:DWORD
                                        ; implicit-def: $vgpr64
	s_and_saveexec_b64 s[78:79], vcc
	s_xor_b64 s[78:79], exec, s[78:79]
	s_cbranch_execz .LBB14_1714
; %bb.1709:                             ;   in Loop: Header=BB14_17 Depth=1
	flat_load_ubyte v14, v[14:15]
	s_movk_i32 vcc_lo, 0x7f
	s_mov_b64 s[80:81], 0
                                        ; implicit-def: $sgpr86
	s_waitcnt vmcnt(0) lgkmcnt(0)
	v_cmp_lt_i16_e32 vcc, vcc_lo, v14
	s_and_saveexec_b64 s[82:83], vcc
	s_xor_b64 s[82:83], exec, s[82:83]
	s_cbranch_execnz .LBB14_2892
; %bb.1710:                             ;   in Loop: Header=BB14_17 Depth=1
	s_or_saveexec_b64 s[82:83], s[82:83]
	v_mov_b32_e32 v64, s86
	s_xor_b64 exec, exec, s[82:83]
	s_cbranch_execnz .LBB14_2895
.LBB14_1711:                            ;   in Loop: Header=BB14_17 Depth=1
	s_or_b64 exec, exec, s[82:83]
	s_and_saveexec_b64 s[82:83], s[80:81]
	s_cbranch_execz .LBB14_1713
.LBB14_1712:                            ;   in Loop: Header=BB14_17 Depth=1
	v_lshlrev_b32_e32 v15, 24, v14
	v_and_b32_e32 v14, 0xffff, v14
	v_and_b32_e32 v64, 3, v14
	v_ffbh_u32_e32 v67, v64
	v_min_u32_e32 v67, 32, v67
	v_subrev_u32_e32 v68, 29, v67
	v_bfe_u32 v66, v14, 2, 5
	v_lshlrev_b32_e32 v14, v68, v14
	v_sub_u32_e32 v67, 30, v67
	v_and_b32_e32 v14, 3, v14
	v_cmp_eq_u32_e32 vcc, 0, v66
	v_cndmask_b32_e32 v66, v66, v67, vcc
	v_cndmask_b32_e32 v14, v64, v14, vcc
	v_lshlrev_b32_e32 v14, 21, v14
	v_and_b32_e32 v15, 0x80000000, v15
	v_lshl_add_u32 v64, v66, 23, v34
	v_or3_b32 v64, v15, v64, v14
.LBB14_1713:                            ;   in Loop: Header=BB14_17 Depth=1
	s_or_b64 exec, exec, s[82:83]
                                        ; implicit-def: $vgpr14_vgpr15
.LBB14_1714:                            ;   in Loop: Header=BB14_17 Depth=1
	s_andn2_saveexec_b64 s[78:79], s[78:79]
	s_cbranch_execz .LBB14_1716
; %bb.1715:                             ;   in Loop: Header=BB14_17 Depth=1
	flat_load_ubyte v14, v[14:15]
	s_mov_b32 vcc_lo, 0x7f800000
	s_waitcnt vmcnt(0) lgkmcnt(0)
	v_lshlrev_b32_e32 v14, 24, v14
	v_and_b32_e32 v15, 0x7f000000, v14
	v_ffbh_u32_e32 v64, v15
	v_min_u32_e32 v64, 32, v64
	v_sub_u32_e64 v64, v64, 4 clamp
	v_lshlrev_b32_e32 v67, v64, v15
	v_lshlrev_b32_e32 v64, 23, v64
	v_lshrrev_b32_e32 v67, 4, v67
	v_add_u32_e32 v66, 0x1000000, v15
	v_sub_u32_e32 v64, v67, v64
	v_ashrrev_i32_e32 v66, 8, v66
	v_add_u32_e32 v64, 0x3c000000, v64
	v_and_or_b32 v64, v66, vcc_lo, v64
	v_cmp_ne_u32_e32 vcc, 0, v15
	v_cndmask_b32_e32 v15, 0, v64, vcc
	s_brev_b32 vcc_lo, 1
	v_and_or_b32 v64, v14, vcc_lo, v15
.LBB14_1716:                            ;   in Loop: Header=BB14_17 Depth=1
	s_or_b64 exec, exec, s[78:79]
                                        ; implicit-def: $vgpr14_vgpr15
.LBB14_1717:                            ;   in Loop: Header=BB14_17 Depth=1
	s_andn2_saveexec_b64 s[76:77], s[76:77]
	s_cbranch_execz .LBB14_1719
; %bb.1718:                             ;   in Loop: Header=BB14_17 Depth=1
	flat_load_ubyte v14, v[14:15]
	s_movk_i32 vcc_lo, 0x7f00
	s_waitcnt vmcnt(0) lgkmcnt(0)
	v_lshlrev_b16_e32 v15, 8, v14
	v_lshlrev_b32_e32 v14, 25, v14
	v_lshrrev_b32_e32 v64, 4, v14
	v_and_or_b32 v66, v15, vcc_lo, 0.5
	v_or_b32_e32 v64, 0x70000000, v64
	s_brev_b32 vcc_lo, 16
	v_add_f32_e32 v66, -0.5, v66
	v_mul_f32_e32 v64, 0x7800000, v64
	v_cmp_gt_u32_e32 vcc, vcc_lo, v14
	v_cndmask_b32_e32 v14, v64, v66, vcc
	v_bfe_i32 v15, v15, 0, 16
	s_brev_b32 vcc_lo, 1
	v_and_or_b32 v64, v15, vcc_lo, v14
.LBB14_1719:                            ;   in Loop: Header=BB14_17 Depth=1
	s_or_b64 exec, exec, s[76:77]
	s_or_b64 s[76:77], s[68:69], exec
                                        ; implicit-def: $vgpr14_vgpr15
.LBB14_1720:                            ;   in Loop: Header=BB14_17 Depth=1
	s_or_saveexec_b64 s[74:75], s[74:75]
                                        ; implicit-def: $vcc
                                        ; implicit-def: $sgpr82_sgpr83
	s_xor_b64 exec, exec, s[74:75]
	s_cbranch_execz .LBB14_1730
; %bb.1721:                             ;   in Loop: Header=BB14_17 Depth=1
	v_cmp_gt_i16_sdwa vcc, v8, v35 src0_sel:BYTE_0 src1_sel:DWORD
	s_mov_b64 s[80:81], s[76:77]
                                        ; implicit-def: $sgpr82_sgpr83
                                        ; implicit-def: $sgpr78_sgpr79
                                        ; implicit-def: $vgpr64
	s_and_saveexec_b64 s[84:85], vcc
	s_xor_b64 vcc, exec, s[84:85]
	s_cbranch_execz .LBB14_1725
; %bb.1722:                             ;   in Loop: Header=BB14_17 Depth=1
	v_cmp_eq_u16_sdwa s[82:83], v8, v36 src0_sel:BYTE_0 src1_sel:DWORD
	s_mov_b64 s[80:81], s[76:77]
                                        ; implicit-def: $vgpr64
	s_and_saveexec_b64 s[78:79], s[82:83]
	s_cbranch_execz .LBB14_1724
; %bb.1723:                             ;   in Loop: Header=BB14_17 Depth=1
	flat_load_ushort v14, v[14:15]
	s_or_b64 s[80:81], s[76:77], exec
	s_waitcnt vmcnt(0) lgkmcnt(0)
	v_lshlrev_b32_e32 v64, 16, v14
.LBB14_1724:                            ;   in Loop: Header=BB14_17 Depth=1
	s_or_b64 exec, exec, s[78:79]
	s_andn2_b64 s[84:85], s[76:77], exec
	s_and_b64 s[80:81], s[80:81], exec
	s_mov_b64 s[78:79], 0
	s_mov_b64 s[82:83], -1
	s_or_b64 s[80:81], s[84:85], s[80:81]
                                        ; implicit-def: $vgpr14_vgpr15
.LBB14_1725:                            ;   in Loop: Header=BB14_17 Depth=1
	s_andn2_saveexec_b64 s[84:85], vcc
	s_cbranch_execz .LBB14_1729
; %bb.1726:                             ;   in Loop: Header=BB14_17 Depth=1
	v_cmp_eq_u16_sdwa s[88:89], v8, v37 src0_sel:BYTE_0 src1_sel:DWORD
	s_mov_b64 vcc, s[80:81]
                                        ; implicit-def: $vgpr64
	s_and_saveexec_b64 s[86:87], s[88:89]
	s_cbranch_execz .LBB14_1728
; %bb.1727:                             ;   in Loop: Header=BB14_17 Depth=1
	flat_load_ubyte v14, v[14:15]
	s_waitcnt vmcnt(0) lgkmcnt(0)
	v_cmp_ne_u16_e32 vcc, 0, v14
	v_cndmask_b32_e64 v64, 0, 1.0, vcc
	s_or_b64 vcc, s[80:81], exec
.LBB14_1728:                            ;   in Loop: Header=BB14_17 Depth=1
	s_or_b64 exec, exec, s[86:87]
	s_andn2_b64 s[80:81], s[80:81], exec
	s_and_b64 vcc, vcc, exec
	s_or_b64 s[82:83], s[82:83], exec
	s_andn2_b64 s[78:79], s[78:79], exec
	s_or_b64 s[80:81], s[80:81], vcc
.LBB14_1729:                            ;   in Loop: Header=BB14_17 Depth=1
	s_or_b64 exec, exec, s[84:85]
	s_and_b64 vcc, s[78:79], exec
	s_andn2_b64 s[76:77], s[76:77], exec
	s_and_b64 s[78:79], s[80:81], exec
	s_and_b64 s[82:83], s[82:83], exec
	s_or_b64 s[76:77], s[76:77], s[78:79]
.LBB14_1730:                            ;   in Loop: Header=BB14_17 Depth=1
	s_or_b64 exec, exec, s[74:75]
	s_andn2_b64 s[70:71], s[70:71], exec
	s_and_b64 vcc, vcc, exec
	s_andn2_b64 s[72:73], s[72:73], exec
	s_and_b64 s[74:75], s[82:83], exec
	s_or_b64 s[70:71], s[70:71], vcc
	s_andn2_b64 vcc, s[68:69], exec
	s_and_b64 s[68:69], s[76:77], exec
	s_or_b64 s[72:73], s[72:73], s[74:75]
	s_or_b64 s[68:69], vcc, s[68:69]
.LBB14_1731:                            ;   in Loop: Header=BB14_17 Depth=1
	s_or_b64 exec, exec, s[66:67]
	s_and_b64 s[66:67], s[72:73], exec
	s_and_b64 vcc, s[70:71], exec
	s_and_b64 s[68:69], s[68:69], exec
                                        ; implicit-def: $vgpr14_vgpr15
	s_andn2_saveexec_b64 s[64:65], s[64:65]
	s_cbranch_execz .LBB14_1648
.LBB14_1732:                            ;   in Loop: Header=BB14_17 Depth=1
	v_cmp_gt_i16_sdwa s[70:71], v8, v38 src0_sel:BYTE_0 src1_sel:DWORD
                                        ; implicit-def: $vgpr64
	s_and_saveexec_b64 s[72:73], s[70:71]
	s_xor_b64 s[70:71], exec, s[72:73]
	s_cbranch_execz .LBB14_1754
; %bb.1733:                             ;   in Loop: Header=BB14_17 Depth=1
	v_cmp_gt_i16_sdwa s[72:73], v8, v39 src0_sel:BYTE_0 src1_sel:DWORD
                                        ; implicit-def: $vgpr64
	s_and_saveexec_b64 s[74:75], s[72:73]
	s_xor_b64 s[72:73], exec, s[74:75]
	s_cbranch_execz .LBB14_1743
; %bb.1734:                             ;   in Loop: Header=BB14_17 Depth=1
	;; [unrolled: 6-line block ×4, first 2 shown]
	flat_load_dwordx2 v[14:15], v[14:15]
	s_waitcnt vmcnt(0) lgkmcnt(0)
	v_cvt_f32_f64_e32 v64, v[14:15]
                                        ; implicit-def: $vgpr14_vgpr15
.LBB14_1737:                            ;   in Loop: Header=BB14_17 Depth=1
	s_andn2_saveexec_b64 s[76:77], s[76:77]
	s_cbranch_execz .LBB14_1739
; %bb.1738:                             ;   in Loop: Header=BB14_17 Depth=1
	flat_load_dword v64, v[14:15]
.LBB14_1739:                            ;   in Loop: Header=BB14_17 Depth=1
	s_or_b64 exec, exec, s[76:77]
                                        ; implicit-def: $vgpr14_vgpr15
.LBB14_1740:                            ;   in Loop: Header=BB14_17 Depth=1
	s_andn2_saveexec_b64 s[74:75], s[74:75]
	s_cbranch_execz .LBB14_1742
; %bb.1741:                             ;   in Loop: Header=BB14_17 Depth=1
	flat_load_dword v14, v[14:15]
	s_waitcnt vmcnt(0) lgkmcnt(0)
	v_cvt_f32_f16_e32 v64, v14
.LBB14_1742:                            ;   in Loop: Header=BB14_17 Depth=1
	s_or_b64 exec, exec, s[74:75]
                                        ; implicit-def: $vgpr14_vgpr15
.LBB14_1743:                            ;   in Loop: Header=BB14_17 Depth=1
	s_andn2_saveexec_b64 s[72:73], s[72:73]
	s_cbranch_execz .LBB14_1753
; %bb.1744:                             ;   in Loop: Header=BB14_17 Depth=1
	v_cmp_gt_i16_sdwa s[74:75], v8, v50 src0_sel:BYTE_0 src1_sel:DWORD
                                        ; implicit-def: $vgpr64
	s_and_saveexec_b64 s[76:77], s[74:75]
	s_xor_b64 s[74:75], exec, s[76:77]
	s_cbranch_execz .LBB14_1750
; %bb.1745:                             ;   in Loop: Header=BB14_17 Depth=1
	v_cmp_gt_i16_sdwa s[76:77], v8, v51 src0_sel:BYTE_0 src1_sel:DWORD
                                        ; implicit-def: $vgpr64
	s_and_saveexec_b64 s[78:79], s[76:77]
	s_xor_b64 s[76:77], exec, s[78:79]
	s_cbranch_execz .LBB14_1747
; %bb.1746:                             ;   in Loop: Header=BB14_17 Depth=1
	flat_load_dwordx2 v[14:15], v[14:15]
	s_waitcnt vmcnt(0) lgkmcnt(0)
	v_cvt_f32_f64_e32 v64, v[14:15]
                                        ; implicit-def: $vgpr14_vgpr15
.LBB14_1747:                            ;   in Loop: Header=BB14_17 Depth=1
	s_andn2_saveexec_b64 s[76:77], s[76:77]
	s_cbranch_execz .LBB14_1749
; %bb.1748:                             ;   in Loop: Header=BB14_17 Depth=1
	s_waitcnt vmcnt(0) lgkmcnt(0)
	flat_load_dword v64, v[14:15]
.LBB14_1749:                            ;   in Loop: Header=BB14_17 Depth=1
	s_or_b64 exec, exec, s[76:77]
                                        ; implicit-def: $vgpr14_vgpr15
.LBB14_1750:                            ;   in Loop: Header=BB14_17 Depth=1
	s_andn2_saveexec_b64 s[74:75], s[74:75]
	s_cbranch_execz .LBB14_1752
; %bb.1751:                             ;   in Loop: Header=BB14_17 Depth=1
	flat_load_ushort v14, v[14:15]
	s_waitcnt vmcnt(0) lgkmcnt(0)
	v_cvt_f32_f16_e32 v64, v14
.LBB14_1752:                            ;   in Loop: Header=BB14_17 Depth=1
	s_or_b64 exec, exec, s[74:75]
.LBB14_1753:                            ;   in Loop: Header=BB14_17 Depth=1
	s_or_b64 exec, exec, s[72:73]
                                        ; implicit-def: $vgpr14_vgpr15
.LBB14_1754:                            ;   in Loop: Header=BB14_17 Depth=1
	s_andn2_saveexec_b64 s[70:71], s[70:71]
	s_cbranch_execz .LBB14_1772
; %bb.1755:                             ;   in Loop: Header=BB14_17 Depth=1
	v_cmp_gt_i16_sdwa s[72:73], v8, v52 src0_sel:BYTE_0 src1_sel:DWORD
                                        ; implicit-def: $vgpr64
	s_and_saveexec_b64 s[74:75], s[72:73]
	s_xor_b64 s[72:73], exec, s[74:75]
	s_cbranch_execz .LBB14_1765
; %bb.1756:                             ;   in Loop: Header=BB14_17 Depth=1
	v_cmp_gt_i16_sdwa s[74:75], v8, v53 src0_sel:BYTE_0 src1_sel:DWORD
                                        ; implicit-def: $vgpr64
	s_and_saveexec_b64 s[76:77], s[74:75]
	s_xor_b64 s[74:75], exec, s[76:77]
	;; [unrolled: 6-line block ×3, first 2 shown]
	s_cbranch_execz .LBB14_1759
; %bb.1758:                             ;   in Loop: Header=BB14_17 Depth=1
	flat_load_dwordx2 v[14:15], v[14:15]
	s_waitcnt vmcnt(0) lgkmcnt(0)
	v_xor_b32_e32 v66, v14, v15
	v_ffbh_i32_e32 v64, v15
	v_ashrrev_i32_e32 v66, 31, v66
	v_add_u32_e32 v64, -1, v64
	v_add_u32_e32 v66, 32, v66
	v_min_u32_e32 v64, v64, v66
	v_lshlrev_b64 v[14:15], v64, v[14:15]
	v_min_u32_e32 v14, 1, v14
	v_or_b32_e32 v14, v15, v14
	v_cvt_f32_i32_e32 v14, v14
	v_sub_u32_e32 v15, 32, v64
	v_ldexp_f32 v64, v14, v15
                                        ; implicit-def: $vgpr14_vgpr15
.LBB14_1759:                            ;   in Loop: Header=BB14_17 Depth=1
	s_andn2_saveexec_b64 s[76:77], s[76:77]
	s_cbranch_execz .LBB14_1761
; %bb.1760:                             ;   in Loop: Header=BB14_17 Depth=1
	flat_load_dword v14, v[14:15]
	s_waitcnt vmcnt(0) lgkmcnt(0)
	v_cvt_f32_i32_e32 v64, v14
.LBB14_1761:                            ;   in Loop: Header=BB14_17 Depth=1
	s_or_b64 exec, exec, s[76:77]
                                        ; implicit-def: $vgpr14_vgpr15
.LBB14_1762:                            ;   in Loop: Header=BB14_17 Depth=1
	s_andn2_saveexec_b64 s[74:75], s[74:75]
	s_cbranch_execz .LBB14_1764
; %bb.1763:                             ;   in Loop: Header=BB14_17 Depth=1
	flat_load_sshort v14, v[14:15]
	s_waitcnt vmcnt(0) lgkmcnt(0)
	v_cvt_f32_i32_e32 v64, v14
.LBB14_1764:                            ;   in Loop: Header=BB14_17 Depth=1
	s_or_b64 exec, exec, s[74:75]
                                        ; implicit-def: $vgpr14_vgpr15
.LBB14_1765:                            ;   in Loop: Header=BB14_17 Depth=1
	s_andn2_saveexec_b64 s[72:73], s[72:73]
	s_cbranch_execz .LBB14_1771
; %bb.1766:                             ;   in Loop: Header=BB14_17 Depth=1
	v_cmp_gt_i16_sdwa s[74:75], v8, v16 src0_sel:BYTE_0 src1_sel:DWORD
                                        ; implicit-def: $vgpr64
	s_and_saveexec_b64 s[76:77], s[74:75]
	s_xor_b64 s[74:75], exec, s[76:77]
	s_cbranch_execz .LBB14_1768
; %bb.1767:                             ;   in Loop: Header=BB14_17 Depth=1
	flat_load_sbyte v14, v[14:15]
	s_waitcnt vmcnt(0) lgkmcnt(0)
	v_cvt_f32_i32_e32 v64, v14
                                        ; implicit-def: $vgpr14_vgpr15
.LBB14_1768:                            ;   in Loop: Header=BB14_17 Depth=1
	s_andn2_saveexec_b64 s[74:75], s[74:75]
	s_cbranch_execz .LBB14_1770
; %bb.1769:                             ;   in Loop: Header=BB14_17 Depth=1
	flat_load_ubyte v14, v[14:15]
	s_waitcnt vmcnt(0) lgkmcnt(0)
	v_cvt_f32_ubyte0_e32 v64, v14
.LBB14_1770:                            ;   in Loop: Header=BB14_17 Depth=1
	s_or_b64 exec, exec, s[74:75]
.LBB14_1771:                            ;   in Loop: Header=BB14_17 Depth=1
	s_or_b64 exec, exec, s[72:73]
.LBB14_1772:                            ;   in Loop: Header=BB14_17 Depth=1
	s_or_b64 exec, exec, s[70:71]
	s_andn2_b64 s[66:67], s[66:67], exec
	s_andn2_b64 vcc, vcc, exec
	s_or_b64 s[68:69], s[68:69], exec
	s_or_b64 exec, exec, s[64:65]
	s_mov_b64 s[64:65], 0
	s_and_saveexec_b64 s[70:71], s[68:69]
	s_cbranch_execnz .LBB14_1649
	s_branch .LBB14_1650
.LBB14_1773:                            ;   in Loop: Header=BB14_17 Depth=1
	v_cmp_gt_i16_sdwa vcc, v7, v19 src0_sel:BYTE_0 src1_sel:DWORD
	s_mov_b64 s[70:71], 0
                                        ; implicit-def: $sgpr72_sgpr73
                                        ; implicit-def: $sgpr62_sgpr63
                                        ; implicit-def: $vgpr66
	s_and_saveexec_b64 s[60:61], vcc
	s_xor_b64 s[60:61], exec, s[60:61]
	s_cbranch_execz .LBB14_1805
; %bb.1774:                             ;   in Loop: Header=BB14_17 Depth=1
	v_cmp_gt_i16_sdwa vcc, v7, v20 src0_sel:BYTE_0 src1_sel:DWORD
                                        ; implicit-def: $sgpr72_sgpr73
                                        ; implicit-def: $sgpr74_sgpr75
                                        ; implicit-def: $vgpr66
	s_and_saveexec_b64 s[62:63], vcc
	s_xor_b64 s[62:63], exec, s[62:63]
	s_cbranch_execz .LBB14_1790
; %bb.1775:                             ;   in Loop: Header=BB14_17 Depth=1
	v_cmp_gt_i16_sdwa s[70:71], v7, v21 src0_sel:BYTE_0 src1_sel:DWORD
	s_mov_b64 s[76:77], 0
                                        ; implicit-def: $vcc
                                        ; implicit-def: $sgpr72_sgpr73
                                        ; implicit-def: $vgpr66
	s_and_saveexec_b64 s[74:75], s[70:71]
	s_xor_b64 s[70:71], exec, s[74:75]
	s_cbranch_execz .LBB14_1785
; %bb.1776:                             ;   in Loop: Header=BB14_17 Depth=1
	v_cmp_gt_i16_sdwa vcc, v7, v22 src0_sel:BYTE_0 src1_sel:DWORD
	s_mov_b64 s[74:75], 0
                                        ; implicit-def: $sgpr72_sgpr73
                                        ; implicit-def: $sgpr76_sgpr77
                                        ; implicit-def: $vgpr66
	s_and_saveexec_b64 s[78:79], vcc
	s_xor_b64 vcc, exec, s[78:79]
	s_cbranch_execz .LBB14_1780
; %bb.1777:                             ;   in Loop: Header=BB14_17 Depth=1
	v_cmp_eq_u16_sdwa s[78:79], v7, v23 src0_sel:BYTE_0 src1_sel:DWORD
	s_mov_b64 s[72:73], 0
                                        ; implicit-def: $vgpr66
	s_and_saveexec_b64 s[76:77], s[78:79]
	s_cbranch_execz .LBB14_1779
; %bb.1778:                             ;   in Loop: Header=BB14_17 Depth=1
	flat_load_dword v14, v[14:15]
	s_mov_b64 s[74:75], exec
	s_waitcnt vmcnt(0) lgkmcnt(0)
	v_lshlrev_b32_e32 v66, 16, v14
.LBB14_1779:                            ;   in Loop: Header=BB14_17 Depth=1
	s_or_b64 exec, exec, s[76:77]
	s_mov_b64 s[76:77], -1
	s_and_b64 s[74:75], s[74:75], exec
                                        ; implicit-def: $vgpr14_vgpr15
.LBB14_1780:                            ;   in Loop: Header=BB14_17 Depth=1
	s_andn2_saveexec_b64 s[78:79], vcc
	s_cbranch_execz .LBB14_1784
; %bb.1781:                             ;   in Loop: Header=BB14_17 Depth=1
	v_cmp_eq_u16_sdwa s[82:83], v7, v24 src0_sel:BYTE_0 src1_sel:DWORD
	s_mov_b64 vcc, s[74:75]
                                        ; implicit-def: $vgpr66
	s_and_saveexec_b64 s[80:81], s[82:83]
	s_cbranch_execz .LBB14_1783
; %bb.1782:                             ;   in Loop: Header=BB14_17 Depth=1
	flat_load_ubyte v14, v[14:15]
	s_movk_i32 vcc_lo, 0xff
	s_waitcnt vmcnt(0) lgkmcnt(0)
	v_lshlrev_b32_e32 v15, 23, v14
	v_cmp_ne_u32_e32 vcc, vcc_lo, v14
	v_cndmask_b32_e32 v15, v25, v15, vcc
	v_cmp_ne_u32_e32 vcc, 0, v14
	v_cndmask_b32_e32 v66, v26, v15, vcc
	s_or_b64 vcc, s[74:75], exec
.LBB14_1783:                            ;   in Loop: Header=BB14_17 Depth=1
	s_or_b64 exec, exec, s[80:81]
	s_andn2_b64 s[74:75], s[74:75], exec
	s_and_b64 vcc, vcc, exec
	s_andn2_b64 s[72:73], s[72:73], exec
	s_or_b64 s[76:77], s[76:77], exec
	s_or_b64 s[74:75], s[74:75], vcc
.LBB14_1784:                            ;   in Loop: Header=BB14_17 Depth=1
	s_or_b64 exec, exec, s[78:79]
	s_and_b64 s[72:73], s[72:73], exec
	s_and_b64 vcc, s[76:77], exec
	s_and_b64 s[76:77], s[74:75], exec
                                        ; implicit-def: $vgpr14_vgpr15
.LBB14_1785:                            ;   in Loop: Header=BB14_17 Depth=1
	s_andn2_saveexec_b64 s[70:71], s[70:71]
	s_cbranch_execz .LBB14_1789
; %bb.1786:                             ;   in Loop: Header=BB14_17 Depth=1
	v_cmp_eq_u16_sdwa s[80:81], v7, v27 src0_sel:BYTE_0 src1_sel:DWORD
	s_mov_b64 s[78:79], s[76:77]
                                        ; implicit-def: $vgpr66
	s_and_saveexec_b64 s[74:75], s[80:81]
	s_cbranch_execz .LBB14_1788
; %bb.1787:                             ;   in Loop: Header=BB14_17 Depth=1
	flat_load_dwordx2 v[14:15], v[14:15]
	s_or_b64 s[78:79], s[76:77], exec
	s_waitcnt vmcnt(0) lgkmcnt(0)
	v_ffbh_u32_e32 v65, v15
	v_min_u32_e32 v65, 32, v65
	v_lshlrev_b64 v[14:15], v65, v[14:15]
	v_min_u32_e32 v14, 1, v14
	v_or_b32_e32 v14, v15, v14
	v_cvt_f32_u32_e32 v14, v14
	v_sub_u32_e32 v15, 32, v65
	v_ldexp_f32 v66, v14, v15
.LBB14_1788:                            ;   in Loop: Header=BB14_17 Depth=1
	s_or_b64 exec, exec, s[74:75]
	s_andn2_b64 s[74:75], s[76:77], exec
	s_and_b64 s[76:77], s[78:79], exec
	s_andn2_b64 s[72:73], s[72:73], exec
	s_or_b64 vcc, vcc, exec
	s_or_b64 s[76:77], s[74:75], s[76:77]
.LBB14_1789:                            ;   in Loop: Header=BB14_17 Depth=1
	s_or_b64 exec, exec, s[70:71]
	s_and_b64 s[74:75], s[72:73], exec
	s_and_b64 s[72:73], vcc, exec
	s_and_b64 s[70:71], s[76:77], exec
                                        ; implicit-def: $vgpr14_vgpr15
.LBB14_1790:                            ;   in Loop: Header=BB14_17 Depth=1
	s_andn2_saveexec_b64 s[62:63], s[62:63]
	s_cbranch_execz .LBB14_1804
; %bb.1791:                             ;   in Loop: Header=BB14_17 Depth=1
	v_cmp_gt_i16_sdwa vcc, v7, v28 src0_sel:BYTE_0 src1_sel:DWORD
                                        ; implicit-def: $vgpr66
	s_and_saveexec_b64 s[76:77], vcc
	s_xor_b64 vcc, exec, s[76:77]
	s_cbranch_execz .LBB14_1797
; %bb.1792:                             ;   in Loop: Header=BB14_17 Depth=1
	v_cmp_gt_i16_sdwa s[76:77], v7, v29 src0_sel:BYTE_0 src1_sel:DWORD
                                        ; implicit-def: $vgpr66
	s_and_saveexec_b64 s[78:79], s[76:77]
	s_xor_b64 s[76:77], exec, s[78:79]
	s_cbranch_execz .LBB14_1794
; %bb.1793:                             ;   in Loop: Header=BB14_17 Depth=1
	flat_load_dword v14, v[14:15]
	s_waitcnt vmcnt(0) lgkmcnt(0)
	v_cvt_f32_u32_e32 v66, v14
                                        ; implicit-def: $vgpr14_vgpr15
.LBB14_1794:                            ;   in Loop: Header=BB14_17 Depth=1
	s_andn2_saveexec_b64 s[76:77], s[76:77]
	s_cbranch_execz .LBB14_1796
; %bb.1795:                             ;   in Loop: Header=BB14_17 Depth=1
	flat_load_ushort v14, v[14:15]
	s_waitcnt vmcnt(0) lgkmcnt(0)
	v_cvt_f32_u32_e32 v66, v14
.LBB14_1796:                            ;   in Loop: Header=BB14_17 Depth=1
	s_or_b64 exec, exec, s[76:77]
                                        ; implicit-def: $vgpr14_vgpr15
.LBB14_1797:                            ;   in Loop: Header=BB14_17 Depth=1
	s_andn2_saveexec_b64 s[76:77], vcc
	s_cbranch_execz .LBB14_1803
; %bb.1798:                             ;   in Loop: Header=BB14_17 Depth=1
	flat_load_ubyte v14, v[14:15]
	s_movk_i32 vcc_lo, 0x7f
	s_mov_b64 s[78:79], 0
                                        ; implicit-def: $sgpr84
	s_waitcnt vmcnt(0) lgkmcnt(0)
	v_cmp_lt_i16_e32 vcc, vcc_lo, v14
	s_and_saveexec_b64 s[80:81], vcc
	s_xor_b64 s[80:81], exec, s[80:81]
	s_cbranch_execnz .LBB14_2577
; %bb.1799:                             ;   in Loop: Header=BB14_17 Depth=1
	s_or_saveexec_b64 s[80:81], s[80:81]
	v_mov_b32_e32 v66, s84
	s_xor_b64 exec, exec, s[80:81]
	s_cbranch_execnz .LBB14_2580
.LBB14_1800:                            ;   in Loop: Header=BB14_17 Depth=1
	s_or_b64 exec, exec, s[80:81]
	s_and_saveexec_b64 s[80:81], s[78:79]
	s_cbranch_execz .LBB14_1802
.LBB14_1801:                            ;   in Loop: Header=BB14_17 Depth=1
	v_lshlrev_b32_e32 v15, 24, v14
	v_and_b32_e32 v14, 0xffff, v14
	v_and_b32_e32 v65, 7, v14
	v_ffbh_u32_e32 v67, v65
	v_min_u32_e32 v67, 32, v67
	v_subrev_u32_e32 v68, 28, v67
	v_bfe_u32 v66, v14, 3, 4
	v_lshlrev_b32_e32 v14, v68, v14
	v_sub_u32_e32 v67, 29, v67
	v_and_b32_e32 v14, 7, v14
	v_cmp_eq_u32_e32 vcc, 0, v66
	v_cndmask_b32_e32 v66, v66, v67, vcc
	v_cndmask_b32_e32 v14, v65, v14, vcc
	v_lshlrev_b32_e32 v14, 20, v14
	v_and_b32_e32 v15, 0x80000000, v15
	v_lshl_add_u32 v65, v66, 23, v30
	v_or3_b32 v66, v15, v65, v14
.LBB14_1802:                            ;   in Loop: Header=BB14_17 Depth=1
	s_or_b64 exec, exec, s[80:81]
.LBB14_1803:                            ;   in Loop: Header=BB14_17 Depth=1
	s_or_b64 exec, exec, s[76:77]
	s_andn2_b64 s[74:75], s[74:75], exec
	s_andn2_b64 s[72:73], s[72:73], exec
	s_or_b64 s[70:71], s[70:71], exec
.LBB14_1804:                            ;   in Loop: Header=BB14_17 Depth=1
	s_or_b64 exec, exec, s[62:63]
	s_and_b64 s[62:63], s[74:75], exec
	s_and_b64 s[72:73], s[72:73], exec
	s_and_b64 s[70:71], s[70:71], exec
                                        ; implicit-def: $vgpr14_vgpr15
.LBB14_1805:                            ;   in Loop: Header=BB14_17 Depth=1
	s_andn2_saveexec_b64 s[60:61], s[60:61]
	s_cbranch_execz .LBB14_1831
; %bb.1806:                             ;   in Loop: Header=BB14_17 Depth=1
	v_cmp_gt_i16_sdwa vcc, v7, v31 src0_sel:BYTE_0 src1_sel:DWORD
	s_mov_b64 s[76:77], s[70:71]
                                        ; implicit-def: $vgpr66
	s_and_saveexec_b64 s[74:75], vcc
	s_xor_b64 s[74:75], exec, s[74:75]
	s_cbranch_execz .LBB14_1820
; %bb.1807:                             ;   in Loop: Header=BB14_17 Depth=1
	v_cmp_gt_i16_sdwa vcc, v7, v32 src0_sel:BYTE_0 src1_sel:DWORD
                                        ; implicit-def: $vgpr66
	s_and_saveexec_b64 s[76:77], vcc
	s_xor_b64 s[76:77], exec, s[76:77]
	s_cbranch_execz .LBB14_1817
; %bb.1808:                             ;   in Loop: Header=BB14_17 Depth=1
	v_cmp_gt_i16_sdwa vcc, v7, v33 src0_sel:BYTE_0 src1_sel:DWORD
                                        ; implicit-def: $vgpr66
	s_and_saveexec_b64 s[78:79], vcc
	s_xor_b64 s[78:79], exec, s[78:79]
	s_cbranch_execz .LBB14_1814
; %bb.1809:                             ;   in Loop: Header=BB14_17 Depth=1
	flat_load_ubyte v14, v[14:15]
	s_movk_i32 vcc_lo, 0x7f
	s_mov_b64 s[80:81], 0
                                        ; implicit-def: $sgpr86
	s_waitcnt vmcnt(0) lgkmcnt(0)
	v_cmp_lt_i16_e32 vcc, vcc_lo, v14
	s_and_saveexec_b64 s[82:83], vcc
	s_xor_b64 s[82:83], exec, s[82:83]
	s_cbranch_execnz .LBB14_2896
; %bb.1810:                             ;   in Loop: Header=BB14_17 Depth=1
	s_or_saveexec_b64 s[82:83], s[82:83]
	v_mov_b32_e32 v66, s86
	s_xor_b64 exec, exec, s[82:83]
	s_cbranch_execnz .LBB14_2899
.LBB14_1811:                            ;   in Loop: Header=BB14_17 Depth=1
	s_or_b64 exec, exec, s[82:83]
	s_and_saveexec_b64 s[82:83], s[80:81]
	s_cbranch_execz .LBB14_1813
.LBB14_1812:                            ;   in Loop: Header=BB14_17 Depth=1
	v_lshlrev_b32_e32 v15, 24, v14
	v_and_b32_e32 v14, 0xffff, v14
	v_and_b32_e32 v65, 3, v14
	v_ffbh_u32_e32 v67, v65
	v_min_u32_e32 v67, 32, v67
	v_subrev_u32_e32 v68, 29, v67
	v_bfe_u32 v66, v14, 2, 5
	v_lshlrev_b32_e32 v14, v68, v14
	v_sub_u32_e32 v67, 30, v67
	v_and_b32_e32 v14, 3, v14
	v_cmp_eq_u32_e32 vcc, 0, v66
	v_cndmask_b32_e32 v66, v66, v67, vcc
	v_cndmask_b32_e32 v14, v65, v14, vcc
	v_lshlrev_b32_e32 v14, 21, v14
	v_and_b32_e32 v15, 0x80000000, v15
	v_lshl_add_u32 v65, v66, 23, v34
	v_or3_b32 v66, v15, v65, v14
.LBB14_1813:                            ;   in Loop: Header=BB14_17 Depth=1
	s_or_b64 exec, exec, s[82:83]
                                        ; implicit-def: $vgpr14_vgpr15
.LBB14_1814:                            ;   in Loop: Header=BB14_17 Depth=1
	s_andn2_saveexec_b64 s[78:79], s[78:79]
	s_cbranch_execz .LBB14_1816
; %bb.1815:                             ;   in Loop: Header=BB14_17 Depth=1
	flat_load_ubyte v14, v[14:15]
	s_mov_b32 vcc_lo, 0x7f800000
	s_waitcnt vmcnt(0) lgkmcnt(0)
	v_lshlrev_b32_e32 v14, 24, v14
	v_and_b32_e32 v15, 0x7f000000, v14
	v_ffbh_u32_e32 v65, v15
	v_min_u32_e32 v65, 32, v65
	v_sub_u32_e64 v65, v65, 4 clamp
	v_lshlrev_b32_e32 v67, v65, v15
	v_lshlrev_b32_e32 v65, 23, v65
	v_lshrrev_b32_e32 v67, 4, v67
	v_add_u32_e32 v66, 0x1000000, v15
	v_sub_u32_e32 v65, v67, v65
	v_ashrrev_i32_e32 v66, 8, v66
	v_add_u32_e32 v65, 0x3c000000, v65
	v_and_or_b32 v65, v66, vcc_lo, v65
	v_cmp_ne_u32_e32 vcc, 0, v15
	v_cndmask_b32_e32 v15, 0, v65, vcc
	s_brev_b32 vcc_lo, 1
	v_and_or_b32 v66, v14, vcc_lo, v15
.LBB14_1816:                            ;   in Loop: Header=BB14_17 Depth=1
	s_or_b64 exec, exec, s[78:79]
                                        ; implicit-def: $vgpr14_vgpr15
.LBB14_1817:                            ;   in Loop: Header=BB14_17 Depth=1
	s_andn2_saveexec_b64 s[76:77], s[76:77]
	s_cbranch_execz .LBB14_1819
; %bb.1818:                             ;   in Loop: Header=BB14_17 Depth=1
	flat_load_ubyte v14, v[14:15]
	s_movk_i32 vcc_lo, 0x7f00
	s_waitcnt vmcnt(0) lgkmcnt(0)
	v_lshlrev_b16_e32 v15, 8, v14
	v_lshlrev_b32_e32 v14, 25, v14
	v_lshrrev_b32_e32 v65, 4, v14
	v_and_or_b32 v66, v15, vcc_lo, 0.5
	v_or_b32_e32 v65, 0x70000000, v65
	s_brev_b32 vcc_lo, 16
	v_add_f32_e32 v66, -0.5, v66
	v_mul_f32_e32 v65, 0x7800000, v65
	v_cmp_gt_u32_e32 vcc, vcc_lo, v14
	v_cndmask_b32_e32 v14, v65, v66, vcc
	v_bfe_i32 v15, v15, 0, 16
	s_brev_b32 vcc_lo, 1
	v_and_or_b32 v66, v15, vcc_lo, v14
.LBB14_1819:                            ;   in Loop: Header=BB14_17 Depth=1
	s_or_b64 exec, exec, s[76:77]
	s_or_b64 s[76:77], s[70:71], exec
                                        ; implicit-def: $vgpr14_vgpr15
.LBB14_1820:                            ;   in Loop: Header=BB14_17 Depth=1
	s_or_saveexec_b64 s[74:75], s[74:75]
                                        ; implicit-def: $vcc
                                        ; implicit-def: $sgpr82_sgpr83
	s_xor_b64 exec, exec, s[74:75]
	s_cbranch_execz .LBB14_1830
; %bb.1821:                             ;   in Loop: Header=BB14_17 Depth=1
	v_cmp_gt_i16_sdwa vcc, v7, v35 src0_sel:BYTE_0 src1_sel:DWORD
	s_mov_b64 s[80:81], s[76:77]
                                        ; implicit-def: $sgpr82_sgpr83
                                        ; implicit-def: $sgpr78_sgpr79
                                        ; implicit-def: $vgpr66
	s_and_saveexec_b64 s[84:85], vcc
	s_xor_b64 vcc, exec, s[84:85]
	s_cbranch_execz .LBB14_1825
; %bb.1822:                             ;   in Loop: Header=BB14_17 Depth=1
	v_cmp_eq_u16_sdwa s[82:83], v7, v36 src0_sel:BYTE_0 src1_sel:DWORD
	s_mov_b64 s[80:81], s[76:77]
                                        ; implicit-def: $vgpr66
	s_and_saveexec_b64 s[78:79], s[82:83]
	s_cbranch_execz .LBB14_1824
; %bb.1823:                             ;   in Loop: Header=BB14_17 Depth=1
	flat_load_ushort v14, v[14:15]
	s_or_b64 s[80:81], s[76:77], exec
	s_waitcnt vmcnt(0) lgkmcnt(0)
	v_lshlrev_b32_e32 v66, 16, v14
.LBB14_1824:                            ;   in Loop: Header=BB14_17 Depth=1
	s_or_b64 exec, exec, s[78:79]
	s_andn2_b64 s[84:85], s[76:77], exec
	s_and_b64 s[80:81], s[80:81], exec
	s_mov_b64 s[78:79], -1
	s_mov_b64 s[82:83], 0
	s_or_b64 s[80:81], s[84:85], s[80:81]
                                        ; implicit-def: $vgpr14_vgpr15
.LBB14_1825:                            ;   in Loop: Header=BB14_17 Depth=1
	s_andn2_saveexec_b64 s[84:85], vcc
	s_cbranch_execz .LBB14_1829
; %bb.1826:                             ;   in Loop: Header=BB14_17 Depth=1
	v_cmp_eq_u16_sdwa s[88:89], v7, v37 src0_sel:BYTE_0 src1_sel:DWORD
	s_mov_b64 vcc, s[80:81]
                                        ; implicit-def: $vgpr66
	s_and_saveexec_b64 s[86:87], s[88:89]
	s_cbranch_execz .LBB14_1828
; %bb.1827:                             ;   in Loop: Header=BB14_17 Depth=1
	flat_load_ubyte v14, v[14:15]
	s_waitcnt vmcnt(0) lgkmcnt(0)
	v_cmp_ne_u16_e32 vcc, 0, v14
	v_cndmask_b32_e64 v66, 0, 1.0, vcc
	s_or_b64 vcc, s[80:81], exec
.LBB14_1828:                            ;   in Loop: Header=BB14_17 Depth=1
	s_or_b64 exec, exec, s[86:87]
	s_andn2_b64 s[80:81], s[80:81], exec
	s_and_b64 vcc, vcc, exec
	s_andn2_b64 s[82:83], s[82:83], exec
	s_or_b64 s[78:79], s[78:79], exec
	s_or_b64 s[80:81], s[80:81], vcc
.LBB14_1829:                            ;   in Loop: Header=BB14_17 Depth=1
	s_or_b64 exec, exec, s[84:85]
	s_and_b64 vcc, s[78:79], exec
	s_andn2_b64 s[76:77], s[76:77], exec
	s_and_b64 s[78:79], s[80:81], exec
	s_and_b64 s[82:83], s[82:83], exec
	s_or_b64 s[76:77], s[76:77], s[78:79]
.LBB14_1830:                            ;   in Loop: Header=BB14_17 Depth=1
	s_or_b64 exec, exec, s[74:75]
	s_andn2_b64 s[72:73], s[72:73], exec
	s_and_b64 vcc, vcc, exec
	s_andn2_b64 s[62:63], s[62:63], exec
	s_and_b64 s[74:75], s[82:83], exec
	s_or_b64 s[72:73], s[72:73], vcc
	s_andn2_b64 vcc, s[70:71], exec
	s_and_b64 s[70:71], s[76:77], exec
	s_or_b64 s[62:63], s[62:63], s[74:75]
	s_or_b64 s[70:71], vcc, s[70:71]
.LBB14_1831:                            ;   in Loop: Header=BB14_17 Depth=1
	s_or_b64 exec, exec, s[60:61]
	s_and_b64 s[62:63], s[62:63], exec
	s_and_b64 s[60:61], s[72:73], exec
	s_and_b64 vcc, s[70:71], exec
                                        ; implicit-def: $vgpr14_vgpr15
	s_andn2_saveexec_b64 s[68:69], s[68:69]
	s_cbranch_execz .LBB14_1656
.LBB14_1832:                            ;   in Loop: Header=BB14_17 Depth=1
	v_cmp_gt_i16_sdwa s[70:71], v7, v38 src0_sel:BYTE_0 src1_sel:DWORD
                                        ; implicit-def: $vgpr66
	s_and_saveexec_b64 s[72:73], s[70:71]
	s_xor_b64 s[70:71], exec, s[72:73]
	s_cbranch_execz .LBB14_1854
; %bb.1833:                             ;   in Loop: Header=BB14_17 Depth=1
	v_cmp_gt_i16_sdwa s[72:73], v7, v39 src0_sel:BYTE_0 src1_sel:DWORD
                                        ; implicit-def: $vgpr66
	s_and_saveexec_b64 s[74:75], s[72:73]
	s_xor_b64 s[72:73], exec, s[74:75]
	s_cbranch_execz .LBB14_1843
; %bb.1834:                             ;   in Loop: Header=BB14_17 Depth=1
	;; [unrolled: 6-line block ×4, first 2 shown]
	flat_load_dwordx2 v[14:15], v[14:15]
	s_waitcnt vmcnt(0) lgkmcnt(0)
	v_cvt_f32_f64_e32 v66, v[14:15]
                                        ; implicit-def: $vgpr14_vgpr15
.LBB14_1837:                            ;   in Loop: Header=BB14_17 Depth=1
	s_andn2_saveexec_b64 s[76:77], s[76:77]
	s_cbranch_execz .LBB14_1839
; %bb.1838:                             ;   in Loop: Header=BB14_17 Depth=1
	flat_load_dword v66, v[14:15]
.LBB14_1839:                            ;   in Loop: Header=BB14_17 Depth=1
	s_or_b64 exec, exec, s[76:77]
                                        ; implicit-def: $vgpr14_vgpr15
.LBB14_1840:                            ;   in Loop: Header=BB14_17 Depth=1
	s_andn2_saveexec_b64 s[74:75], s[74:75]
	s_cbranch_execz .LBB14_1842
; %bb.1841:                             ;   in Loop: Header=BB14_17 Depth=1
	flat_load_dword v14, v[14:15]
	s_waitcnt vmcnt(0) lgkmcnt(0)
	v_cvt_f32_f16_e32 v66, v14
.LBB14_1842:                            ;   in Loop: Header=BB14_17 Depth=1
	s_or_b64 exec, exec, s[74:75]
                                        ; implicit-def: $vgpr14_vgpr15
.LBB14_1843:                            ;   in Loop: Header=BB14_17 Depth=1
	s_andn2_saveexec_b64 s[72:73], s[72:73]
	s_cbranch_execz .LBB14_1853
; %bb.1844:                             ;   in Loop: Header=BB14_17 Depth=1
	v_cmp_gt_i16_sdwa s[74:75], v7, v50 src0_sel:BYTE_0 src1_sel:DWORD
                                        ; implicit-def: $vgpr66
	s_and_saveexec_b64 s[76:77], s[74:75]
	s_xor_b64 s[74:75], exec, s[76:77]
	s_cbranch_execz .LBB14_1850
; %bb.1845:                             ;   in Loop: Header=BB14_17 Depth=1
	v_cmp_gt_i16_sdwa s[76:77], v7, v51 src0_sel:BYTE_0 src1_sel:DWORD
                                        ; implicit-def: $vgpr66
	s_and_saveexec_b64 s[78:79], s[76:77]
	s_xor_b64 s[76:77], exec, s[78:79]
	s_cbranch_execz .LBB14_1847
; %bb.1846:                             ;   in Loop: Header=BB14_17 Depth=1
	flat_load_dwordx2 v[14:15], v[14:15]
	s_waitcnt vmcnt(0) lgkmcnt(0)
	v_cvt_f32_f64_e32 v66, v[14:15]
                                        ; implicit-def: $vgpr14_vgpr15
.LBB14_1847:                            ;   in Loop: Header=BB14_17 Depth=1
	s_andn2_saveexec_b64 s[76:77], s[76:77]
	s_cbranch_execz .LBB14_1849
; %bb.1848:                             ;   in Loop: Header=BB14_17 Depth=1
	s_waitcnt vmcnt(0) lgkmcnt(0)
	flat_load_dword v66, v[14:15]
.LBB14_1849:                            ;   in Loop: Header=BB14_17 Depth=1
	s_or_b64 exec, exec, s[76:77]
                                        ; implicit-def: $vgpr14_vgpr15
.LBB14_1850:                            ;   in Loop: Header=BB14_17 Depth=1
	s_andn2_saveexec_b64 s[74:75], s[74:75]
	s_cbranch_execz .LBB14_1852
; %bb.1851:                             ;   in Loop: Header=BB14_17 Depth=1
	flat_load_ushort v14, v[14:15]
	s_waitcnt vmcnt(0) lgkmcnt(0)
	v_cvt_f32_f16_e32 v66, v14
.LBB14_1852:                            ;   in Loop: Header=BB14_17 Depth=1
	s_or_b64 exec, exec, s[74:75]
.LBB14_1853:                            ;   in Loop: Header=BB14_17 Depth=1
	s_or_b64 exec, exec, s[72:73]
                                        ; implicit-def: $vgpr14_vgpr15
.LBB14_1854:                            ;   in Loop: Header=BB14_17 Depth=1
	s_andn2_saveexec_b64 s[70:71], s[70:71]
	s_cbranch_execz .LBB14_1872
; %bb.1855:                             ;   in Loop: Header=BB14_17 Depth=1
	v_cmp_gt_i16_sdwa s[72:73], v7, v52 src0_sel:BYTE_0 src1_sel:DWORD
                                        ; implicit-def: $vgpr66
	s_and_saveexec_b64 s[74:75], s[72:73]
	s_xor_b64 s[72:73], exec, s[74:75]
	s_cbranch_execz .LBB14_1865
; %bb.1856:                             ;   in Loop: Header=BB14_17 Depth=1
	v_cmp_gt_i16_sdwa s[74:75], v7, v53 src0_sel:BYTE_0 src1_sel:DWORD
                                        ; implicit-def: $vgpr66
	s_and_saveexec_b64 s[76:77], s[74:75]
	s_xor_b64 s[74:75], exec, s[76:77]
	;; [unrolled: 6-line block ×3, first 2 shown]
	s_cbranch_execz .LBB14_1859
; %bb.1858:                             ;   in Loop: Header=BB14_17 Depth=1
	flat_load_dwordx2 v[14:15], v[14:15]
	s_waitcnt vmcnt(0) lgkmcnt(0)
	v_xor_b32_e32 v66, v14, v15
	v_ffbh_i32_e32 v65, v15
	v_ashrrev_i32_e32 v66, 31, v66
	v_add_u32_e32 v65, -1, v65
	v_add_u32_e32 v66, 32, v66
	v_min_u32_e32 v65, v65, v66
	v_lshlrev_b64 v[14:15], v65, v[14:15]
	v_min_u32_e32 v14, 1, v14
	v_or_b32_e32 v14, v15, v14
	v_cvt_f32_i32_e32 v14, v14
	v_sub_u32_e32 v15, 32, v65
	v_ldexp_f32 v66, v14, v15
                                        ; implicit-def: $vgpr14_vgpr15
.LBB14_1859:                            ;   in Loop: Header=BB14_17 Depth=1
	s_andn2_saveexec_b64 s[76:77], s[76:77]
	s_cbranch_execz .LBB14_1861
; %bb.1860:                             ;   in Loop: Header=BB14_17 Depth=1
	flat_load_dword v14, v[14:15]
	s_waitcnt vmcnt(0) lgkmcnt(0)
	v_cvt_f32_i32_e32 v66, v14
.LBB14_1861:                            ;   in Loop: Header=BB14_17 Depth=1
	s_or_b64 exec, exec, s[76:77]
                                        ; implicit-def: $vgpr14_vgpr15
.LBB14_1862:                            ;   in Loop: Header=BB14_17 Depth=1
	s_andn2_saveexec_b64 s[74:75], s[74:75]
	s_cbranch_execz .LBB14_1864
; %bb.1863:                             ;   in Loop: Header=BB14_17 Depth=1
	flat_load_sshort v14, v[14:15]
	s_waitcnt vmcnt(0) lgkmcnt(0)
	v_cvt_f32_i32_e32 v66, v14
.LBB14_1864:                            ;   in Loop: Header=BB14_17 Depth=1
	s_or_b64 exec, exec, s[74:75]
                                        ; implicit-def: $vgpr14_vgpr15
.LBB14_1865:                            ;   in Loop: Header=BB14_17 Depth=1
	s_andn2_saveexec_b64 s[72:73], s[72:73]
	s_cbranch_execz .LBB14_1871
; %bb.1866:                             ;   in Loop: Header=BB14_17 Depth=1
	v_cmp_gt_i16_sdwa s[74:75], v7, v16 src0_sel:BYTE_0 src1_sel:DWORD
                                        ; implicit-def: $vgpr66
	s_and_saveexec_b64 s[76:77], s[74:75]
	s_xor_b64 s[74:75], exec, s[76:77]
	s_cbranch_execz .LBB14_1868
; %bb.1867:                             ;   in Loop: Header=BB14_17 Depth=1
	flat_load_sbyte v14, v[14:15]
	s_waitcnt vmcnt(0) lgkmcnt(0)
	v_cvt_f32_i32_e32 v66, v14
                                        ; implicit-def: $vgpr14_vgpr15
.LBB14_1868:                            ;   in Loop: Header=BB14_17 Depth=1
	s_andn2_saveexec_b64 s[74:75], s[74:75]
	s_cbranch_execz .LBB14_1870
; %bb.1869:                             ;   in Loop: Header=BB14_17 Depth=1
	flat_load_ubyte v14, v[14:15]
	s_waitcnt vmcnt(0) lgkmcnt(0)
	v_cvt_f32_ubyte0_e32 v66, v14
.LBB14_1870:                            ;   in Loop: Header=BB14_17 Depth=1
	s_or_b64 exec, exec, s[74:75]
.LBB14_1871:                            ;   in Loop: Header=BB14_17 Depth=1
	s_or_b64 exec, exec, s[72:73]
.LBB14_1872:                            ;   in Loop: Header=BB14_17 Depth=1
	s_or_b64 exec, exec, s[70:71]
	s_andn2_b64 s[62:63], s[62:63], exec
	s_andn2_b64 s[60:61], s[60:61], exec
	s_or_b64 vcc, vcc, exec
	s_or_b64 exec, exec, s[68:69]
	s_mov_b64 s[70:71], 0
	s_and_saveexec_b64 s[68:69], vcc
	s_cbranch_execz .LBB14_1878
.LBB14_1873:                            ;   in Loop: Header=BB14_17 Depth=1
	v_mul_lo_u32 v14, v64, v10
	v_readlane_b32 s70, v44, 0
	v_add_co_u32_e32 v14, vcc, v4, v14
	v_add_u32_e32 v65, s70, v17
	v_addc_co_u32_e32 v15, vcc, 0, v5, vcc
	v_cmp_gt_i16_sdwa s[70:71], v8, v18 src0_sel:BYTE_0 src1_sel:DWORD
	s_mov_b64 s[74:75], 0
	s_waitcnt vmcnt(0) lgkmcnt(0)
	buffer_store_dword v66, v65, s[0:3], 0 offen offset:68
                                        ; implicit-def: $vcc
                                        ; implicit-def: $sgpr72_sgpr73
                                        ; implicit-def: $vgpr64
	s_and_saveexec_b64 s[76:77], s[70:71]
	s_xor_b64 s[70:71], exec, s[76:77]
	s_cbranch_execnz .LBB14_1900
; %bb.1874:                             ;   in Loop: Header=BB14_17 Depth=1
	s_andn2_saveexec_b64 s[70:71], s[70:71]
	s_cbranch_execnz .LBB14_1959
.LBB14_1875:                            ;   in Loop: Header=BB14_17 Depth=1
	s_or_b64 exec, exec, s[70:71]
	s_mov_b64 s[70:71], 0
	s_and_saveexec_b64 s[76:77], s[74:75]
	s_cbranch_execz .LBB14_1877
.LBB14_1876:                            ;   in Loop: Header=BB14_17 Depth=1
	s_mov_b64 s[70:71], exec
	v_add_u32_e32 v55, 0x200, v55
	s_andn2_b64 s[72:73], s[72:73], exec
	s_andn2_b64 vcc, vcc, exec
	s_waitcnt vmcnt(0) lgkmcnt(0)
	buffer_store_dword v64, v65, s[0:3], 0 offen offset:64
.LBB14_1877:                            ;   in Loop: Header=BB14_17 Depth=1
	s_or_b64 exec, exec, s[76:77]
	s_andn2_b64 s[62:63], s[62:63], exec
	s_and_b64 s[72:73], s[72:73], exec
	s_andn2_b64 s[60:61], s[60:61], exec
	s_and_b64 vcc, vcc, exec
	s_or_b64 s[62:63], s[62:63], s[72:73]
	s_or_b64 s[60:61], s[60:61], vcc
	s_and_b64 s[70:71], s[70:71], exec
.LBB14_1878:                            ;   in Loop: Header=BB14_17 Depth=1
	s_or_b64 exec, exec, s[68:69]
	s_and_b64 vcc, s[62:63], exec
	v_writelane_b32 v44, vcc_lo, 2
	v_writelane_b32 v44, vcc_hi, 3
	s_and_b64 s[60:61], s[60:61], exec
	s_orn2_b64 s[68:69], s[70:71], exec
.LBB14_1879:                            ;   in Loop: Header=BB14_17 Depth=1
	s_or_b64 exec, exec, s[64:65]
	s_and_saveexec_b64 s[64:65], s[68:69]
	s_cbranch_execz .LBB14_8
; %bb.1880:                             ;   in Loop: Header=BB14_17 Depth=1
	v_writelane_b32 v44, s60, 4
	v_cmp_lt_i32_e32 vcc, v55, v6
	s_mov_b64 s[72:73], -1
	v_writelane_b32 v44, s61, 5
                                        ; implicit-def: $sgpr62_sgpr63
                                        ; implicit-def: $sgpr60_sgpr61
                                        ; kill: killed $sgpr60_sgpr61
	s_and_saveexec_b64 s[70:71], vcc
	s_cbranch_execz .LBB14_2106
; %bb.1881:                             ;   in Loop: Header=BB14_17 Depth=1
	v_readlane_b32 vcc_lo, v44, 1
	s_waitcnt vmcnt(0) lgkmcnt(0)
	v_add_u32_e32 v64, vcc_lo, v55
	v_mul_lo_u32 v14, v64, v9
	v_add_co_u32_e32 v14, vcc, v2, v14
	v_addc_co_u32_e32 v15, vcc, 0, v3, vcc
	v_cmp_gt_i16_sdwa s[60:61], v7, v18 src0_sel:BYTE_0 src1_sel:DWORD
	s_mov_b64 vcc, 0
                                        ; implicit-def: $sgpr66_sgpr67
                                        ; implicit-def: $sgpr68_sgpr69
                                        ; implicit-def: $vgpr66
	s_and_saveexec_b64 s[74:75], s[60:61]
	s_xor_b64 s[74:75], exec, s[74:75]
	s_cbranch_execnz .LBB14_2000
; %bb.1882:                             ;   in Loop: Header=BB14_17 Depth=1
	s_andn2_saveexec_b64 s[74:75], s[74:75]
	s_cbranch_execnz .LBB14_2059
.LBB14_1883:                            ;   in Loop: Header=BB14_17 Depth=1
	s_or_b64 exec, exec, s[74:75]
	s_mov_b64 s[76:77], 0
	s_and_saveexec_b64 s[74:75], vcc
	s_cbranch_execnz .LBB14_2100
	s_branch .LBB14_2105
.LBB14_1884:                            ;   in Loop: Header=BB14_17 Depth=1
	s_movk_i32 vcc_lo, 0x80
	v_cmp_eq_u16_e32 vcc, vcc_lo, v14
	s_mov_b64 s[56:57], -1
                                        ; implicit-def: $sgpr62
	s_and_saveexec_b64 s[60:61], vcc
; %bb.1885:                             ;   in Loop: Header=BB14_17 Depth=1
	s_mov_b32 s62, 0x7f800001
	s_xor_b64 s[56:57], exec, -1
; %bb.1886:                             ;   in Loop: Header=BB14_17 Depth=1
	s_or_b64 exec, exec, s[60:61]
	s_and_b64 s[56:57], s[56:57], exec
	s_or_saveexec_b64 s[58:59], s[58:59]
	v_mov_b32_e32 v64, s62
	s_xor_b64 exec, exec, s[58:59]
	s_cbranch_execz .LBB14_807
.LBB14_1887:                            ;   in Loop: Header=BB14_17 Depth=1
	v_cmp_ne_u16_e32 vcc, 0, v14
	s_andn2_b64 s[56:57], s[56:57], exec
	s_and_b64 vcc, vcc, exec
	v_mov_b32_e32 v64, 0
	s_or_b64 s[56:57], s[56:57], vcc
	s_or_b64 exec, exec, s[58:59]
	s_and_saveexec_b64 s[58:59], s[56:57]
	s_cbranch_execnz .LBB14_808
	s_branch .LBB14_809
.LBB14_1888:                            ;   in Loop: Header=BB14_17 Depth=1
	s_movk_i32 vcc_lo, 0x80
	v_cmp_eq_u16_e32 vcc, vcc_lo, v14
	s_mov_b64 s[56:57], -1
                                        ; implicit-def: $sgpr62
	s_and_saveexec_b64 s[60:61], vcc
; %bb.1889:                             ;   in Loop: Header=BB14_17 Depth=1
	s_mov_b32 s62, 0x7f800001
	s_xor_b64 s[56:57], exec, -1
; %bb.1890:                             ;   in Loop: Header=BB14_17 Depth=1
	s_or_b64 exec, exec, s[60:61]
	s_and_b64 s[56:57], s[56:57], exec
	s_or_saveexec_b64 s[58:59], s[58:59]
	v_mov_b32_e32 v66, s62
	s_xor_b64 exec, exec, s[58:59]
	s_cbranch_execz .LBB14_907
.LBB14_1891:                            ;   in Loop: Header=BB14_17 Depth=1
	v_cmp_ne_u16_e32 vcc, 0, v14
	s_andn2_b64 s[56:57], s[56:57], exec
	s_and_b64 vcc, vcc, exec
	v_mov_b32_e32 v66, 0
	s_or_b64 s[56:57], s[56:57], vcc
	s_or_b64 exec, exec, s[58:59]
	s_and_saveexec_b64 s[58:59], s[56:57]
	s_cbranch_execnz .LBB14_908
	s_branch .LBB14_909
.LBB14_1892:                            ;   in Loop: Header=BB14_17 Depth=1
	s_movk_i32 vcc_lo, 0x80
	v_cmp_eq_u16_e32 vcc, vcc_lo, v14
	s_mov_b64 s[60:61], -1
                                        ; implicit-def: $sgpr66
	s_and_saveexec_b64 s[64:65], vcc
; %bb.1893:                             ;   in Loop: Header=BB14_17 Depth=1
	s_mov_b32 s66, 0x7f800001
	s_xor_b64 s[60:61], exec, -1
; %bb.1894:                             ;   in Loop: Header=BB14_17 Depth=1
	s_or_b64 exec, exec, s[64:65]
	s_and_b64 s[60:61], s[60:61], exec
	s_or_saveexec_b64 s[62:63], s[62:63]
	v_mov_b32_e32 v64, s66
	s_xor_b64 exec, exec, s[62:63]
	s_cbranch_execz .LBB14_1019
.LBB14_1895:                            ;   in Loop: Header=BB14_17 Depth=1
	v_cmp_ne_u16_e32 vcc, 0, v14
	s_andn2_b64 s[60:61], s[60:61], exec
	s_and_b64 vcc, vcc, exec
	v_mov_b32_e32 v64, 0
	s_or_b64 s[60:61], s[60:61], vcc
	s_or_b64 exec, exec, s[62:63]
	s_and_saveexec_b64 s[62:63], s[60:61]
	s_cbranch_execnz .LBB14_1020
	s_branch .LBB14_1021
.LBB14_1896:                            ;   in Loop: Header=BB14_17 Depth=1
	s_movk_i32 vcc_lo, 0x80
	v_cmp_eq_u16_e32 vcc, vcc_lo, v14
	s_mov_b64 s[60:61], -1
                                        ; implicit-def: $sgpr66
	s_and_saveexec_b64 s[64:65], vcc
; %bb.1897:                             ;   in Loop: Header=BB14_17 Depth=1
	s_mov_b32 s66, 0x7f800001
	s_xor_b64 s[60:61], exec, -1
; %bb.1898:                             ;   in Loop: Header=BB14_17 Depth=1
	s_or_b64 exec, exec, s[64:65]
	s_and_b64 s[60:61], s[60:61], exec
	s_or_saveexec_b64 s[62:63], s[62:63]
	v_mov_b32_e32 v66, s66
	s_xor_b64 exec, exec, s[62:63]
	s_cbranch_execz .LBB14_1119
.LBB14_1899:                            ;   in Loop: Header=BB14_17 Depth=1
	v_cmp_ne_u16_e32 vcc, 0, v14
	s_andn2_b64 s[60:61], s[60:61], exec
	s_and_b64 vcc, vcc, exec
	v_mov_b32_e32 v66, 0
	s_or_b64 s[60:61], s[60:61], vcc
	s_or_b64 exec, exec, s[62:63]
	s_and_saveexec_b64 s[62:63], s[60:61]
	s_cbranch_execnz .LBB14_1120
	s_branch .LBB14_1121
.LBB14_1900:                            ;   in Loop: Header=BB14_17 Depth=1
	v_cmp_gt_i16_sdwa vcc, v8, v19 src0_sel:BYTE_0 src1_sel:DWORD
                                        ; implicit-def: $sgpr76_sgpr77
                                        ; implicit-def: $sgpr78_sgpr79
                                        ; implicit-def: $vgpr64
	s_and_saveexec_b64 s[72:73], vcc
	s_xor_b64 s[72:73], exec, s[72:73]
	s_cbranch_execz .LBB14_1932
; %bb.1901:                             ;   in Loop: Header=BB14_17 Depth=1
	v_cmp_gt_i16_sdwa vcc, v8, v20 src0_sel:BYTE_0 src1_sel:DWORD
                                        ; implicit-def: $sgpr76_sgpr77
                                        ; implicit-def: $sgpr80_sgpr81
                                        ; implicit-def: $vgpr64
	s_and_saveexec_b64 s[78:79], vcc
	s_xor_b64 s[78:79], exec, s[78:79]
	s_cbranch_execz .LBB14_1917
; %bb.1902:                             ;   in Loop: Header=BB14_17 Depth=1
	v_cmp_gt_i16_sdwa s[74:75], v8, v21 src0_sel:BYTE_0 src1_sel:DWORD
	s_mov_b64 s[82:83], 0
                                        ; implicit-def: $vcc
                                        ; implicit-def: $sgpr80_sgpr81
                                        ; implicit-def: $vgpr64
	s_and_saveexec_b64 s[76:77], s[74:75]
	s_xor_b64 s[74:75], exec, s[76:77]
	s_cbranch_execz .LBB14_1912
; %bb.1903:                             ;   in Loop: Header=BB14_17 Depth=1
	v_cmp_gt_i16_sdwa vcc, v8, v22 src0_sel:BYTE_0 src1_sel:DWORD
                                        ; implicit-def: $sgpr80_sgpr81
                                        ; implicit-def: $sgpr76_sgpr77
                                        ; implicit-def: $vgpr64
	s_and_saveexec_b64 s[84:85], vcc
	s_xor_b64 vcc, exec, s[84:85]
	s_cbranch_execz .LBB14_1907
; %bb.1904:                             ;   in Loop: Header=BB14_17 Depth=1
	v_cmp_eq_u16_sdwa s[84:85], v8, v23 src0_sel:BYTE_0 src1_sel:DWORD
	s_mov_b64 s[76:77], 0
                                        ; implicit-def: $vgpr64
	s_and_saveexec_b64 s[80:81], s[84:85]
	s_cbranch_execz .LBB14_1906
; %bb.1905:                             ;   in Loop: Header=BB14_17 Depth=1
	flat_load_dword v14, v[14:15]
	s_mov_b64 s[82:83], exec
	s_waitcnt vmcnt(0) lgkmcnt(0)
	v_lshlrev_b32_e32 v64, 16, v14
.LBB14_1906:                            ;   in Loop: Header=BB14_17 Depth=1
	s_or_b64 exec, exec, s[80:81]
	s_mov_b64 s[80:81], -1
	s_and_b64 s[82:83], s[82:83], exec
                                        ; implicit-def: $vgpr14_vgpr15
.LBB14_1907:                            ;   in Loop: Header=BB14_17 Depth=1
	s_andn2_saveexec_b64 s[84:85], vcc
	s_cbranch_execz .LBB14_1911
; %bb.1908:                             ;   in Loop: Header=BB14_17 Depth=1
	v_cmp_eq_u16_sdwa s[88:89], v8, v24 src0_sel:BYTE_0 src1_sel:DWORD
	s_mov_b64 vcc, s[82:83]
                                        ; implicit-def: $vgpr64
	s_and_saveexec_b64 s[86:87], s[88:89]
	s_cbranch_execz .LBB14_1910
; %bb.1909:                             ;   in Loop: Header=BB14_17 Depth=1
	flat_load_ubyte v14, v[14:15]
	s_movk_i32 vcc_lo, 0xff
	s_waitcnt vmcnt(0) lgkmcnt(0)
	v_lshlrev_b32_e32 v15, 23, v14
	v_cmp_ne_u32_e32 vcc, vcc_lo, v14
	v_cndmask_b32_e32 v15, v25, v15, vcc
	v_cmp_ne_u32_e32 vcc, 0, v14
	v_cndmask_b32_e32 v64, v26, v15, vcc
	s_or_b64 vcc, s[82:83], exec
.LBB14_1910:                            ;   in Loop: Header=BB14_17 Depth=1
	s_or_b64 exec, exec, s[86:87]
	s_andn2_b64 s[82:83], s[82:83], exec
	s_and_b64 vcc, vcc, exec
	s_or_b64 s[80:81], s[80:81], exec
	s_andn2_b64 s[76:77], s[76:77], exec
	s_or_b64 s[82:83], s[82:83], vcc
.LBB14_1911:                            ;   in Loop: Header=BB14_17 Depth=1
	s_or_b64 exec, exec, s[84:85]
	s_and_b64 s[80:81], s[80:81], exec
	s_and_b64 vcc, s[76:77], exec
	s_and_b64 s[82:83], s[82:83], exec
                                        ; implicit-def: $vgpr14_vgpr15
.LBB14_1912:                            ;   in Loop: Header=BB14_17 Depth=1
	s_andn2_saveexec_b64 s[74:75], s[74:75]
	s_cbranch_execz .LBB14_1916
; %bb.1913:                             ;   in Loop: Header=BB14_17 Depth=1
	v_cmp_eq_u16_sdwa s[86:87], v8, v27 src0_sel:BYTE_0 src1_sel:DWORD
	s_mov_b64 s[84:85], s[82:83]
                                        ; implicit-def: $vgpr64
	s_and_saveexec_b64 s[76:77], s[86:87]
	s_cbranch_execz .LBB14_1915
; %bb.1914:                             ;   in Loop: Header=BB14_17 Depth=1
	flat_load_dwordx2 v[14:15], v[14:15]
	s_or_b64 s[84:85], s[82:83], exec
	s_waitcnt vmcnt(0) lgkmcnt(0)
	v_ffbh_u32_e32 v64, v15
	v_min_u32_e32 v64, 32, v64
	v_lshlrev_b64 v[14:15], v64, v[14:15]
	v_min_u32_e32 v14, 1, v14
	v_or_b32_e32 v14, v15, v14
	v_cvt_f32_u32_e32 v14, v14
	v_sub_u32_e32 v15, 32, v64
	v_ldexp_f32 v64, v14, v15
.LBB14_1915:                            ;   in Loop: Header=BB14_17 Depth=1
	s_or_b64 exec, exec, s[76:77]
	s_andn2_b64 s[76:77], s[82:83], exec
	s_and_b64 s[82:83], s[84:85], exec
	s_or_b64 s[80:81], s[80:81], exec
	s_andn2_b64 vcc, vcc, exec
	s_or_b64 s[82:83], s[76:77], s[82:83]
.LBB14_1916:                            ;   in Loop: Header=BB14_17 Depth=1
	s_or_b64 exec, exec, s[74:75]
	s_and_b64 s[80:81], s[80:81], exec
	s_and_b64 s[76:77], vcc, exec
	s_and_b64 s[74:75], s[82:83], exec
                                        ; implicit-def: $vgpr14_vgpr15
.LBB14_1917:                            ;   in Loop: Header=BB14_17 Depth=1
	s_andn2_saveexec_b64 s[78:79], s[78:79]
	s_cbranch_execz .LBB14_1931
; %bb.1918:                             ;   in Loop: Header=BB14_17 Depth=1
	v_cmp_gt_i16_sdwa vcc, v8, v28 src0_sel:BYTE_0 src1_sel:DWORD
                                        ; implicit-def: $vgpr64
	s_and_saveexec_b64 s[82:83], vcc
	s_xor_b64 vcc, exec, s[82:83]
	s_cbranch_execz .LBB14_1924
; %bb.1919:                             ;   in Loop: Header=BB14_17 Depth=1
	v_cmp_gt_i16_sdwa s[82:83], v8, v29 src0_sel:BYTE_0 src1_sel:DWORD
                                        ; implicit-def: $vgpr64
	s_and_saveexec_b64 s[84:85], s[82:83]
	s_xor_b64 s[82:83], exec, s[84:85]
	s_cbranch_execz .LBB14_1921
; %bb.1920:                             ;   in Loop: Header=BB14_17 Depth=1
	flat_load_dword v14, v[14:15]
	s_waitcnt vmcnt(0) lgkmcnt(0)
	v_cvt_f32_u32_e32 v64, v14
                                        ; implicit-def: $vgpr14_vgpr15
.LBB14_1921:                            ;   in Loop: Header=BB14_17 Depth=1
	s_andn2_saveexec_b64 s[82:83], s[82:83]
	s_cbranch_execz .LBB14_1923
; %bb.1922:                             ;   in Loop: Header=BB14_17 Depth=1
	flat_load_ushort v14, v[14:15]
	s_waitcnt vmcnt(0) lgkmcnt(0)
	v_cvt_f32_u32_e32 v64, v14
.LBB14_1923:                            ;   in Loop: Header=BB14_17 Depth=1
	s_or_b64 exec, exec, s[82:83]
                                        ; implicit-def: $vgpr14_vgpr15
.LBB14_1924:                            ;   in Loop: Header=BB14_17 Depth=1
	s_andn2_saveexec_b64 s[82:83], vcc
	s_cbranch_execz .LBB14_1930
; %bb.1925:                             ;   in Loop: Header=BB14_17 Depth=1
	flat_load_ubyte v14, v[14:15]
	s_movk_i32 vcc_lo, 0x7f
	s_mov_b64 s[84:85], 0
                                        ; implicit-def: $sgpr90
	s_waitcnt vmcnt(0) lgkmcnt(0)
	v_cmp_lt_i16_e32 vcc, vcc_lo, v14
	s_and_saveexec_b64 s[86:87], vcc
	s_xor_b64 s[86:87], exec, s[86:87]
	s_cbranch_execnz .LBB14_2900
; %bb.1926:                             ;   in Loop: Header=BB14_17 Depth=1
	s_or_saveexec_b64 s[86:87], s[86:87]
	v_mov_b32_e32 v64, s90
	s_xor_b64 exec, exec, s[86:87]
	s_cbranch_execnz .LBB14_2903
.LBB14_1927:                            ;   in Loop: Header=BB14_17 Depth=1
	s_or_b64 exec, exec, s[86:87]
	s_and_saveexec_b64 s[86:87], s[84:85]
	s_cbranch_execz .LBB14_1929
.LBB14_1928:                            ;   in Loop: Header=BB14_17 Depth=1
	v_lshlrev_b32_e32 v15, 24, v14
	v_and_b32_e32 v14, 0xffff, v14
	v_and_b32_e32 v64, 7, v14
	v_ffbh_u32_e32 v67, v64
	v_min_u32_e32 v67, 32, v67
	v_subrev_u32_e32 v68, 28, v67
	v_bfe_u32 v66, v14, 3, 4
	v_lshlrev_b32_e32 v14, v68, v14
	v_sub_u32_e32 v67, 29, v67
	v_and_b32_e32 v14, 7, v14
	v_cmp_eq_u32_e32 vcc, 0, v66
	v_cndmask_b32_e32 v66, v66, v67, vcc
	v_cndmask_b32_e32 v14, v64, v14, vcc
	v_lshlrev_b32_e32 v14, 20, v14
	v_and_b32_e32 v15, 0x80000000, v15
	v_lshl_add_u32 v64, v66, 23, v30
	v_or3_b32 v64, v15, v64, v14
.LBB14_1929:                            ;   in Loop: Header=BB14_17 Depth=1
	s_or_b64 exec, exec, s[86:87]
.LBB14_1930:                            ;   in Loop: Header=BB14_17 Depth=1
	s_or_b64 exec, exec, s[82:83]
	s_andn2_b64 s[80:81], s[80:81], exec
	s_andn2_b64 s[76:77], s[76:77], exec
	s_or_b64 s[74:75], s[74:75], exec
.LBB14_1931:                            ;   in Loop: Header=BB14_17 Depth=1
	s_or_b64 exec, exec, s[78:79]
	s_and_b64 s[78:79], s[80:81], exec
	s_and_b64 s[76:77], s[76:77], exec
	;; [unrolled: 1-line block ×3, first 2 shown]
                                        ; implicit-def: $vgpr14_vgpr15
.LBB14_1932:                            ;   in Loop: Header=BB14_17 Depth=1
	s_andn2_saveexec_b64 s[72:73], s[72:73]
	s_cbranch_execz .LBB14_1958
; %bb.1933:                             ;   in Loop: Header=BB14_17 Depth=1
	v_cmp_gt_i16_sdwa vcc, v8, v31 src0_sel:BYTE_0 src1_sel:DWORD
	s_mov_b64 s[82:83], s[74:75]
                                        ; implicit-def: $vgpr64
	s_and_saveexec_b64 s[80:81], vcc
	s_xor_b64 s[80:81], exec, s[80:81]
	s_cbranch_execz .LBB14_1947
; %bb.1934:                             ;   in Loop: Header=BB14_17 Depth=1
	v_cmp_gt_i16_sdwa vcc, v8, v32 src0_sel:BYTE_0 src1_sel:DWORD
                                        ; implicit-def: $vgpr64
	s_and_saveexec_b64 s[82:83], vcc
	s_xor_b64 s[82:83], exec, s[82:83]
	s_cbranch_execz .LBB14_1944
; %bb.1935:                             ;   in Loop: Header=BB14_17 Depth=1
	v_cmp_gt_i16_sdwa vcc, v8, v33 src0_sel:BYTE_0 src1_sel:DWORD
                                        ; implicit-def: $vgpr64
	s_and_saveexec_b64 s[84:85], vcc
	s_xor_b64 s[84:85], exec, s[84:85]
	s_cbranch_execz .LBB14_1941
; %bb.1936:                             ;   in Loop: Header=BB14_17 Depth=1
	flat_load_ubyte v14, v[14:15]
	s_movk_i32 vcc_lo, 0x7f
	s_mov_b64 s[86:87], 0
                                        ; implicit-def: $sgpr92
	s_waitcnt vmcnt(0) lgkmcnt(0)
	v_cmp_lt_i16_e32 vcc, vcc_lo, v14
	s_and_saveexec_b64 s[88:89], vcc
	s_xor_b64 s[88:89], exec, s[88:89]
	s_cbranch_execnz .LBB14_3119
; %bb.1937:                             ;   in Loop: Header=BB14_17 Depth=1
	s_or_saveexec_b64 s[88:89], s[88:89]
	v_mov_b32_e32 v64, s92
	s_xor_b64 exec, exec, s[88:89]
	s_cbranch_execnz .LBB14_3122
.LBB14_1938:                            ;   in Loop: Header=BB14_17 Depth=1
	s_or_b64 exec, exec, s[88:89]
	s_and_saveexec_b64 s[88:89], s[86:87]
	s_cbranch_execz .LBB14_1940
.LBB14_1939:                            ;   in Loop: Header=BB14_17 Depth=1
	v_lshlrev_b32_e32 v15, 24, v14
	v_and_b32_e32 v14, 0xffff, v14
	v_and_b32_e32 v64, 3, v14
	v_ffbh_u32_e32 v67, v64
	v_min_u32_e32 v67, 32, v67
	v_subrev_u32_e32 v68, 29, v67
	v_bfe_u32 v66, v14, 2, 5
	v_lshlrev_b32_e32 v14, v68, v14
	v_sub_u32_e32 v67, 30, v67
	v_and_b32_e32 v14, 3, v14
	v_cmp_eq_u32_e32 vcc, 0, v66
	v_cndmask_b32_e32 v66, v66, v67, vcc
	v_cndmask_b32_e32 v14, v64, v14, vcc
	v_lshlrev_b32_e32 v14, 21, v14
	v_and_b32_e32 v15, 0x80000000, v15
	v_lshl_add_u32 v64, v66, 23, v34
	v_or3_b32 v64, v15, v64, v14
.LBB14_1940:                            ;   in Loop: Header=BB14_17 Depth=1
	s_or_b64 exec, exec, s[88:89]
                                        ; implicit-def: $vgpr14_vgpr15
.LBB14_1941:                            ;   in Loop: Header=BB14_17 Depth=1
	s_andn2_saveexec_b64 s[84:85], s[84:85]
	s_cbranch_execz .LBB14_1943
; %bb.1942:                             ;   in Loop: Header=BB14_17 Depth=1
	flat_load_ubyte v14, v[14:15]
	s_mov_b32 vcc_lo, 0x7f800000
	s_waitcnt vmcnt(0) lgkmcnt(0)
	v_lshlrev_b32_e32 v14, 24, v14
	v_and_b32_e32 v15, 0x7f000000, v14
	v_ffbh_u32_e32 v64, v15
	v_min_u32_e32 v64, 32, v64
	v_sub_u32_e64 v64, v64, 4 clamp
	v_lshlrev_b32_e32 v67, v64, v15
	v_lshlrev_b32_e32 v64, 23, v64
	v_lshrrev_b32_e32 v67, 4, v67
	v_add_u32_e32 v66, 0x1000000, v15
	v_sub_u32_e32 v64, v67, v64
	v_ashrrev_i32_e32 v66, 8, v66
	v_add_u32_e32 v64, 0x3c000000, v64
	v_and_or_b32 v64, v66, vcc_lo, v64
	v_cmp_ne_u32_e32 vcc, 0, v15
	v_cndmask_b32_e32 v15, 0, v64, vcc
	s_brev_b32 vcc_lo, 1
	v_and_or_b32 v64, v14, vcc_lo, v15
.LBB14_1943:                            ;   in Loop: Header=BB14_17 Depth=1
	s_or_b64 exec, exec, s[84:85]
                                        ; implicit-def: $vgpr14_vgpr15
.LBB14_1944:                            ;   in Loop: Header=BB14_17 Depth=1
	s_andn2_saveexec_b64 s[82:83], s[82:83]
	s_cbranch_execz .LBB14_1946
; %bb.1945:                             ;   in Loop: Header=BB14_17 Depth=1
	flat_load_ubyte v14, v[14:15]
	s_movk_i32 vcc_lo, 0x7f00
	s_waitcnt vmcnt(0) lgkmcnt(0)
	v_lshlrev_b16_e32 v15, 8, v14
	v_lshlrev_b32_e32 v14, 25, v14
	v_lshrrev_b32_e32 v64, 4, v14
	v_and_or_b32 v66, v15, vcc_lo, 0.5
	v_or_b32_e32 v64, 0x70000000, v64
	s_brev_b32 vcc_lo, 16
	v_add_f32_e32 v66, -0.5, v66
	v_mul_f32_e32 v64, 0x7800000, v64
	v_cmp_gt_u32_e32 vcc, vcc_lo, v14
	v_cndmask_b32_e32 v14, v64, v66, vcc
	v_bfe_i32 v15, v15, 0, 16
	s_brev_b32 vcc_lo, 1
	v_and_or_b32 v64, v15, vcc_lo, v14
.LBB14_1946:                            ;   in Loop: Header=BB14_17 Depth=1
	s_or_b64 exec, exec, s[82:83]
	s_or_b64 s[82:83], s[74:75], exec
                                        ; implicit-def: $vgpr14_vgpr15
.LBB14_1947:                            ;   in Loop: Header=BB14_17 Depth=1
	s_or_saveexec_b64 s[80:81], s[80:81]
                                        ; implicit-def: $vcc
                                        ; implicit-def: $sgpr88_sgpr89
	s_xor_b64 exec, exec, s[80:81]
	s_cbranch_execz .LBB14_1957
; %bb.1948:                             ;   in Loop: Header=BB14_17 Depth=1
	v_cmp_gt_i16_sdwa vcc, v8, v35 src0_sel:BYTE_0 src1_sel:DWORD
	s_mov_b64 s[86:87], s[82:83]
                                        ; implicit-def: $sgpr88_sgpr89
                                        ; implicit-def: $sgpr84_sgpr85
                                        ; implicit-def: $vgpr64
	s_and_saveexec_b64 s[90:91], vcc
	s_xor_b64 vcc, exec, s[90:91]
	s_cbranch_execz .LBB14_1952
; %bb.1949:                             ;   in Loop: Header=BB14_17 Depth=1
	v_cmp_eq_u16_sdwa s[88:89], v8, v36 src0_sel:BYTE_0 src1_sel:DWORD
	s_mov_b64 s[86:87], s[82:83]
                                        ; implicit-def: $vgpr64
	s_and_saveexec_b64 s[84:85], s[88:89]
	s_cbranch_execz .LBB14_1951
; %bb.1950:                             ;   in Loop: Header=BB14_17 Depth=1
	flat_load_ushort v14, v[14:15]
	s_or_b64 s[86:87], s[82:83], exec
	s_waitcnt vmcnt(0) lgkmcnt(0)
	v_lshlrev_b32_e32 v64, 16, v14
.LBB14_1951:                            ;   in Loop: Header=BB14_17 Depth=1
	s_or_b64 exec, exec, s[84:85]
	s_andn2_b64 s[90:91], s[82:83], exec
	s_and_b64 s[86:87], s[86:87], exec
	s_mov_b64 s[84:85], 0
	s_mov_b64 s[88:89], -1
	s_or_b64 s[86:87], s[90:91], s[86:87]
                                        ; implicit-def: $vgpr14_vgpr15
.LBB14_1952:                            ;   in Loop: Header=BB14_17 Depth=1
	s_andn2_saveexec_b64 s[90:91], vcc
	s_cbranch_execz .LBB14_1956
; %bb.1953:                             ;   in Loop: Header=BB14_17 Depth=1
	v_cmp_eq_u16_sdwa s[94:95], v8, v37 src0_sel:BYTE_0 src1_sel:DWORD
	s_mov_b64 vcc, s[86:87]
                                        ; implicit-def: $vgpr64
	s_and_saveexec_b64 s[92:93], s[94:95]
	s_cbranch_execz .LBB14_1955
; %bb.1954:                             ;   in Loop: Header=BB14_17 Depth=1
	flat_load_ubyte v14, v[14:15]
	s_waitcnt vmcnt(0) lgkmcnt(0)
	v_cmp_ne_u16_e32 vcc, 0, v14
	v_cndmask_b32_e64 v64, 0, 1.0, vcc
	s_or_b64 vcc, s[86:87], exec
.LBB14_1955:                            ;   in Loop: Header=BB14_17 Depth=1
	s_or_b64 exec, exec, s[92:93]
	s_andn2_b64 s[86:87], s[86:87], exec
	s_and_b64 vcc, vcc, exec
	s_or_b64 s[88:89], s[88:89], exec
	s_andn2_b64 s[84:85], s[84:85], exec
	s_or_b64 s[86:87], s[86:87], vcc
.LBB14_1956:                            ;   in Loop: Header=BB14_17 Depth=1
	s_or_b64 exec, exec, s[90:91]
	s_and_b64 vcc, s[84:85], exec
	s_andn2_b64 s[82:83], s[82:83], exec
	s_and_b64 s[84:85], s[86:87], exec
	s_and_b64 s[88:89], s[88:89], exec
	s_or_b64 s[82:83], s[82:83], s[84:85]
.LBB14_1957:                            ;   in Loop: Header=BB14_17 Depth=1
	s_or_b64 exec, exec, s[80:81]
	s_andn2_b64 s[76:77], s[76:77], exec
	s_and_b64 vcc, vcc, exec
	s_andn2_b64 s[78:79], s[78:79], exec
	s_and_b64 s[80:81], s[88:89], exec
	s_or_b64 s[76:77], s[76:77], vcc
	s_andn2_b64 vcc, s[74:75], exec
	s_and_b64 s[74:75], s[82:83], exec
	s_or_b64 s[78:79], s[78:79], s[80:81]
	s_or_b64 s[74:75], vcc, s[74:75]
.LBB14_1958:                            ;   in Loop: Header=BB14_17 Depth=1
	s_or_b64 exec, exec, s[72:73]
	s_and_b64 s[72:73], s[78:79], exec
	s_and_b64 vcc, s[76:77], exec
	s_and_b64 s[74:75], s[74:75], exec
                                        ; implicit-def: $vgpr14_vgpr15
	s_andn2_saveexec_b64 s[70:71], s[70:71]
	s_cbranch_execz .LBB14_1875
.LBB14_1959:                            ;   in Loop: Header=BB14_17 Depth=1
	v_cmp_gt_i16_sdwa s[76:77], v8, v38 src0_sel:BYTE_0 src1_sel:DWORD
                                        ; implicit-def: $vgpr64
	s_and_saveexec_b64 s[78:79], s[76:77]
	s_xor_b64 s[76:77], exec, s[78:79]
	s_cbranch_execz .LBB14_1981
; %bb.1960:                             ;   in Loop: Header=BB14_17 Depth=1
	v_cmp_gt_i16_sdwa s[78:79], v8, v39 src0_sel:BYTE_0 src1_sel:DWORD
                                        ; implicit-def: $vgpr64
	s_and_saveexec_b64 s[80:81], s[78:79]
	s_xor_b64 s[78:79], exec, s[80:81]
	s_cbranch_execz .LBB14_1970
; %bb.1961:                             ;   in Loop: Header=BB14_17 Depth=1
	;; [unrolled: 6-line block ×4, first 2 shown]
	flat_load_dwordx2 v[14:15], v[14:15]
	s_waitcnt vmcnt(0) lgkmcnt(0)
	v_cvt_f32_f64_e32 v64, v[14:15]
                                        ; implicit-def: $vgpr14_vgpr15
.LBB14_1964:                            ;   in Loop: Header=BB14_17 Depth=1
	s_andn2_saveexec_b64 s[82:83], s[82:83]
	s_cbranch_execz .LBB14_1966
; %bb.1965:                             ;   in Loop: Header=BB14_17 Depth=1
	flat_load_dword v64, v[14:15]
.LBB14_1966:                            ;   in Loop: Header=BB14_17 Depth=1
	s_or_b64 exec, exec, s[82:83]
                                        ; implicit-def: $vgpr14_vgpr15
.LBB14_1967:                            ;   in Loop: Header=BB14_17 Depth=1
	s_andn2_saveexec_b64 s[80:81], s[80:81]
	s_cbranch_execz .LBB14_1969
; %bb.1968:                             ;   in Loop: Header=BB14_17 Depth=1
	flat_load_dword v14, v[14:15]
	s_waitcnt vmcnt(0) lgkmcnt(0)
	v_cvt_f32_f16_e32 v64, v14
.LBB14_1969:                            ;   in Loop: Header=BB14_17 Depth=1
	s_or_b64 exec, exec, s[80:81]
                                        ; implicit-def: $vgpr14_vgpr15
.LBB14_1970:                            ;   in Loop: Header=BB14_17 Depth=1
	s_andn2_saveexec_b64 s[78:79], s[78:79]
	s_cbranch_execz .LBB14_1980
; %bb.1971:                             ;   in Loop: Header=BB14_17 Depth=1
	v_cmp_gt_i16_sdwa s[80:81], v8, v50 src0_sel:BYTE_0 src1_sel:DWORD
                                        ; implicit-def: $vgpr64
	s_and_saveexec_b64 s[82:83], s[80:81]
	s_xor_b64 s[80:81], exec, s[82:83]
	s_cbranch_execz .LBB14_1977
; %bb.1972:                             ;   in Loop: Header=BB14_17 Depth=1
	v_cmp_gt_i16_sdwa s[82:83], v8, v51 src0_sel:BYTE_0 src1_sel:DWORD
                                        ; implicit-def: $vgpr64
	s_and_saveexec_b64 s[84:85], s[82:83]
	s_xor_b64 s[82:83], exec, s[84:85]
	s_cbranch_execz .LBB14_1974
; %bb.1973:                             ;   in Loop: Header=BB14_17 Depth=1
	flat_load_dwordx2 v[14:15], v[14:15]
	s_waitcnt vmcnt(0) lgkmcnt(0)
	v_cvt_f32_f64_e32 v64, v[14:15]
                                        ; implicit-def: $vgpr14_vgpr15
.LBB14_1974:                            ;   in Loop: Header=BB14_17 Depth=1
	s_andn2_saveexec_b64 s[82:83], s[82:83]
	s_cbranch_execz .LBB14_1976
; %bb.1975:                             ;   in Loop: Header=BB14_17 Depth=1
	s_waitcnt vmcnt(0) lgkmcnt(0)
	flat_load_dword v64, v[14:15]
.LBB14_1976:                            ;   in Loop: Header=BB14_17 Depth=1
	s_or_b64 exec, exec, s[82:83]
                                        ; implicit-def: $vgpr14_vgpr15
.LBB14_1977:                            ;   in Loop: Header=BB14_17 Depth=1
	s_andn2_saveexec_b64 s[80:81], s[80:81]
	s_cbranch_execz .LBB14_1979
; %bb.1978:                             ;   in Loop: Header=BB14_17 Depth=1
	flat_load_ushort v14, v[14:15]
	s_waitcnt vmcnt(0) lgkmcnt(0)
	v_cvt_f32_f16_e32 v64, v14
.LBB14_1979:                            ;   in Loop: Header=BB14_17 Depth=1
	s_or_b64 exec, exec, s[80:81]
.LBB14_1980:                            ;   in Loop: Header=BB14_17 Depth=1
	s_or_b64 exec, exec, s[78:79]
                                        ; implicit-def: $vgpr14_vgpr15
.LBB14_1981:                            ;   in Loop: Header=BB14_17 Depth=1
	s_andn2_saveexec_b64 s[76:77], s[76:77]
	s_cbranch_execz .LBB14_1999
; %bb.1982:                             ;   in Loop: Header=BB14_17 Depth=1
	v_cmp_gt_i16_sdwa s[78:79], v8, v52 src0_sel:BYTE_0 src1_sel:DWORD
                                        ; implicit-def: $vgpr64
	s_and_saveexec_b64 s[80:81], s[78:79]
	s_xor_b64 s[78:79], exec, s[80:81]
	s_cbranch_execz .LBB14_1992
; %bb.1983:                             ;   in Loop: Header=BB14_17 Depth=1
	v_cmp_gt_i16_sdwa s[80:81], v8, v53 src0_sel:BYTE_0 src1_sel:DWORD
                                        ; implicit-def: $vgpr64
	s_and_saveexec_b64 s[82:83], s[80:81]
	s_xor_b64 s[80:81], exec, s[82:83]
	;; [unrolled: 6-line block ×3, first 2 shown]
	s_cbranch_execz .LBB14_1986
; %bb.1985:                             ;   in Loop: Header=BB14_17 Depth=1
	flat_load_dwordx2 v[14:15], v[14:15]
	s_waitcnt vmcnt(0) lgkmcnt(0)
	v_xor_b32_e32 v66, v14, v15
	v_ffbh_i32_e32 v64, v15
	v_ashrrev_i32_e32 v66, 31, v66
	v_add_u32_e32 v64, -1, v64
	v_add_u32_e32 v66, 32, v66
	v_min_u32_e32 v64, v64, v66
	v_lshlrev_b64 v[14:15], v64, v[14:15]
	v_min_u32_e32 v14, 1, v14
	v_or_b32_e32 v14, v15, v14
	v_cvt_f32_i32_e32 v14, v14
	v_sub_u32_e32 v15, 32, v64
	v_ldexp_f32 v64, v14, v15
                                        ; implicit-def: $vgpr14_vgpr15
.LBB14_1986:                            ;   in Loop: Header=BB14_17 Depth=1
	s_andn2_saveexec_b64 s[82:83], s[82:83]
	s_cbranch_execz .LBB14_1988
; %bb.1987:                             ;   in Loop: Header=BB14_17 Depth=1
	flat_load_dword v14, v[14:15]
	s_waitcnt vmcnt(0) lgkmcnt(0)
	v_cvt_f32_i32_e32 v64, v14
.LBB14_1988:                            ;   in Loop: Header=BB14_17 Depth=1
	s_or_b64 exec, exec, s[82:83]
                                        ; implicit-def: $vgpr14_vgpr15
.LBB14_1989:                            ;   in Loop: Header=BB14_17 Depth=1
	s_andn2_saveexec_b64 s[80:81], s[80:81]
	s_cbranch_execz .LBB14_1991
; %bb.1990:                             ;   in Loop: Header=BB14_17 Depth=1
	flat_load_sshort v14, v[14:15]
	s_waitcnt vmcnt(0) lgkmcnt(0)
	v_cvt_f32_i32_e32 v64, v14
.LBB14_1991:                            ;   in Loop: Header=BB14_17 Depth=1
	s_or_b64 exec, exec, s[80:81]
                                        ; implicit-def: $vgpr14_vgpr15
.LBB14_1992:                            ;   in Loop: Header=BB14_17 Depth=1
	s_andn2_saveexec_b64 s[78:79], s[78:79]
	s_cbranch_execz .LBB14_1998
; %bb.1993:                             ;   in Loop: Header=BB14_17 Depth=1
	v_cmp_gt_i16_sdwa s[80:81], v8, v16 src0_sel:BYTE_0 src1_sel:DWORD
                                        ; implicit-def: $vgpr64
	s_and_saveexec_b64 s[82:83], s[80:81]
	s_xor_b64 s[80:81], exec, s[82:83]
	s_cbranch_execz .LBB14_1995
; %bb.1994:                             ;   in Loop: Header=BB14_17 Depth=1
	flat_load_sbyte v14, v[14:15]
	s_waitcnt vmcnt(0) lgkmcnt(0)
	v_cvt_f32_i32_e32 v64, v14
                                        ; implicit-def: $vgpr14_vgpr15
.LBB14_1995:                            ;   in Loop: Header=BB14_17 Depth=1
	s_andn2_saveexec_b64 s[80:81], s[80:81]
	s_cbranch_execz .LBB14_1997
; %bb.1996:                             ;   in Loop: Header=BB14_17 Depth=1
	flat_load_ubyte v14, v[14:15]
	s_waitcnt vmcnt(0) lgkmcnt(0)
	v_cvt_f32_ubyte0_e32 v64, v14
.LBB14_1997:                            ;   in Loop: Header=BB14_17 Depth=1
	s_or_b64 exec, exec, s[80:81]
.LBB14_1998:                            ;   in Loop: Header=BB14_17 Depth=1
	s_or_b64 exec, exec, s[78:79]
.LBB14_1999:                            ;   in Loop: Header=BB14_17 Depth=1
	s_or_b64 exec, exec, s[76:77]
	s_andn2_b64 s[72:73], s[72:73], exec
	s_andn2_b64 vcc, vcc, exec
	s_or_b64 s[74:75], s[74:75], exec
	s_or_b64 exec, exec, s[70:71]
	s_mov_b64 s[70:71], 0
	s_and_saveexec_b64 s[76:77], s[74:75]
	s_cbranch_execnz .LBB14_1876
	s_branch .LBB14_1877
.LBB14_2000:                            ;   in Loop: Header=BB14_17 Depth=1
	v_cmp_gt_i16_sdwa vcc, v7, v19 src0_sel:BYTE_0 src1_sel:DWORD
	s_mov_b64 s[76:77], 0
                                        ; implicit-def: $sgpr78_sgpr79
                                        ; implicit-def: $sgpr68_sgpr69
                                        ; implicit-def: $vgpr66
	s_and_saveexec_b64 s[60:61], vcc
	s_xor_b64 s[66:67], exec, s[60:61]
	s_cbranch_execz .LBB14_2032
; %bb.2001:                             ;   in Loop: Header=BB14_17 Depth=1
	v_cmp_gt_i16_sdwa vcc, v7, v20 src0_sel:BYTE_0 src1_sel:DWORD
                                        ; implicit-def: $sgpr78_sgpr79
                                        ; implicit-def: $sgpr80_sgpr81
                                        ; implicit-def: $vgpr66
	s_and_saveexec_b64 s[60:61], vcc
	s_xor_b64 s[68:69], exec, s[60:61]
	s_cbranch_execz .LBB14_2017
; %bb.2002:                             ;   in Loop: Header=BB14_17 Depth=1
	v_cmp_gt_i16_sdwa s[60:61], v7, v21 src0_sel:BYTE_0 src1_sel:DWORD
	s_mov_b64 s[82:83], 0
                                        ; implicit-def: $vcc
                                        ; implicit-def: $sgpr78_sgpr79
                                        ; implicit-def: $vgpr66
	s_and_saveexec_b64 s[76:77], s[60:61]
	s_xor_b64 s[76:77], exec, s[76:77]
	s_cbranch_execz .LBB14_2012
; %bb.2003:                             ;   in Loop: Header=BB14_17 Depth=1
	v_cmp_gt_i16_sdwa vcc, v7, v22 src0_sel:BYTE_0 src1_sel:DWORD
	s_mov_b64 s[80:81], 0
                                        ; implicit-def: $sgpr78_sgpr79
                                        ; implicit-def: $sgpr82_sgpr83
                                        ; implicit-def: $vgpr66
	s_and_saveexec_b64 s[60:61], vcc
	s_xor_b64 vcc, exec, s[60:61]
	s_cbranch_execz .LBB14_2007
; %bb.2004:                             ;   in Loop: Header=BB14_17 Depth=1
	v_cmp_eq_u16_sdwa s[60:61], v7, v23 src0_sel:BYTE_0 src1_sel:DWORD
	s_mov_b64 s[78:79], 0
                                        ; implicit-def: $vgpr66
	s_and_saveexec_b64 s[82:83], s[60:61]
	s_cbranch_execz .LBB14_2006
; %bb.2005:                             ;   in Loop: Header=BB14_17 Depth=1
	flat_load_dword v14, v[14:15]
	s_mov_b64 s[80:81], exec
	s_waitcnt vmcnt(0) lgkmcnt(0)
	v_lshlrev_b32_e32 v66, 16, v14
.LBB14_2006:                            ;   in Loop: Header=BB14_17 Depth=1
	s_or_b64 exec, exec, s[82:83]
	s_mov_b64 s[82:83], -1
	s_and_b64 s[80:81], s[80:81], exec
                                        ; implicit-def: $vgpr14_vgpr15
.LBB14_2007:                            ;   in Loop: Header=BB14_17 Depth=1
	s_andn2_saveexec_b64 s[84:85], vcc
	s_cbranch_execz .LBB14_2011
; %bb.2008:                             ;   in Loop: Header=BB14_17 Depth=1
	v_cmp_eq_u16_sdwa s[60:61], v7, v24 src0_sel:BYTE_0 src1_sel:DWORD
	s_mov_b64 vcc, s[80:81]
                                        ; implicit-def: $vgpr66
	s_and_saveexec_b64 s[86:87], s[60:61]
	s_cbranch_execz .LBB14_2010
; %bb.2009:                             ;   in Loop: Header=BB14_17 Depth=1
	flat_load_ubyte v14, v[14:15]
	s_movk_i32 vcc_lo, 0xff
	s_waitcnt vmcnt(0) lgkmcnt(0)
	v_lshlrev_b32_e32 v15, 23, v14
	v_cmp_ne_u32_e32 vcc, vcc_lo, v14
	v_cndmask_b32_e32 v15, v25, v15, vcc
	v_cmp_ne_u32_e32 vcc, 0, v14
	v_cndmask_b32_e32 v66, v26, v15, vcc
	s_or_b64 vcc, s[80:81], exec
.LBB14_2010:                            ;   in Loop: Header=BB14_17 Depth=1
	s_or_b64 exec, exec, s[86:87]
	s_andn2_b64 s[60:61], s[80:81], exec
	s_and_b64 vcc, vcc, exec
	s_andn2_b64 s[78:79], s[78:79], exec
	s_or_b64 s[82:83], s[82:83], exec
	s_or_b64 s[80:81], s[60:61], vcc
.LBB14_2011:                            ;   in Loop: Header=BB14_17 Depth=1
	s_or_b64 exec, exec, s[84:85]
	s_and_b64 s[78:79], s[78:79], exec
	s_and_b64 vcc, s[82:83], exec
	s_and_b64 s[82:83], s[80:81], exec
                                        ; implicit-def: $vgpr14_vgpr15
.LBB14_2012:                            ;   in Loop: Header=BB14_17 Depth=1
	s_andn2_saveexec_b64 s[76:77], s[76:77]
	s_cbranch_execz .LBB14_2016
; %bb.2013:                             ;   in Loop: Header=BB14_17 Depth=1
	v_cmp_eq_u16_sdwa s[60:61], v7, v27 src0_sel:BYTE_0 src1_sel:DWORD
	s_mov_b64 s[84:85], s[82:83]
                                        ; implicit-def: $vgpr66
	s_and_saveexec_b64 s[80:81], s[60:61]
	s_cbranch_execz .LBB14_2015
; %bb.2014:                             ;   in Loop: Header=BB14_17 Depth=1
	flat_load_dwordx2 v[14:15], v[14:15]
	s_or_b64 s[84:85], s[82:83], exec
	s_waitcnt vmcnt(0) lgkmcnt(0)
	v_ffbh_u32_e32 v65, v15
	v_min_u32_e32 v65, 32, v65
	v_lshlrev_b64 v[14:15], v65, v[14:15]
	v_min_u32_e32 v14, 1, v14
	v_or_b32_e32 v14, v15, v14
	v_cvt_f32_u32_e32 v14, v14
	v_sub_u32_e32 v15, 32, v65
	v_ldexp_f32 v66, v14, v15
.LBB14_2015:                            ;   in Loop: Header=BB14_17 Depth=1
	s_or_b64 exec, exec, s[80:81]
	s_andn2_b64 s[60:61], s[82:83], exec
	s_and_b64 s[80:81], s[84:85], exec
	s_andn2_b64 s[78:79], s[78:79], exec
	s_or_b64 vcc, vcc, exec
	s_or_b64 s[82:83], s[60:61], s[80:81]
.LBB14_2016:                            ;   in Loop: Header=BB14_17 Depth=1
	s_or_b64 exec, exec, s[76:77]
	s_and_b64 s[80:81], s[78:79], exec
	s_and_b64 s[78:79], vcc, exec
	s_and_b64 s[76:77], s[82:83], exec
                                        ; implicit-def: $vgpr14_vgpr15
.LBB14_2017:                            ;   in Loop: Header=BB14_17 Depth=1
	s_andn2_saveexec_b64 s[68:69], s[68:69]
	s_cbranch_execz .LBB14_2031
; %bb.2018:                             ;   in Loop: Header=BB14_17 Depth=1
	v_cmp_gt_i16_sdwa vcc, v7, v28 src0_sel:BYTE_0 src1_sel:DWORD
                                        ; implicit-def: $vgpr66
	s_and_saveexec_b64 s[60:61], vcc
	s_xor_b64 vcc, exec, s[60:61]
	s_cbranch_execz .LBB14_2024
; %bb.2019:                             ;   in Loop: Header=BB14_17 Depth=1
	v_cmp_gt_i16_sdwa s[60:61], v7, v29 src0_sel:BYTE_0 src1_sel:DWORD
                                        ; implicit-def: $vgpr66
	s_and_saveexec_b64 s[82:83], s[60:61]
	s_xor_b64 s[60:61], exec, s[82:83]
	s_cbranch_execz .LBB14_2021
; %bb.2020:                             ;   in Loop: Header=BB14_17 Depth=1
	flat_load_dword v14, v[14:15]
	s_waitcnt vmcnt(0) lgkmcnt(0)
	v_cvt_f32_u32_e32 v66, v14
                                        ; implicit-def: $vgpr14_vgpr15
.LBB14_2021:                            ;   in Loop: Header=BB14_17 Depth=1
	s_andn2_saveexec_b64 s[82:83], s[60:61]
	s_cbranch_execz .LBB14_2023
; %bb.2022:                             ;   in Loop: Header=BB14_17 Depth=1
	flat_load_ushort v14, v[14:15]
	s_waitcnt vmcnt(0) lgkmcnt(0)
	v_cvt_f32_u32_e32 v66, v14
.LBB14_2023:                            ;   in Loop: Header=BB14_17 Depth=1
	s_or_b64 exec, exec, s[82:83]
                                        ; implicit-def: $vgpr14_vgpr15
.LBB14_2024:                            ;   in Loop: Header=BB14_17 Depth=1
	s_andn2_saveexec_b64 s[82:83], vcc
	s_cbranch_execz .LBB14_2030
; %bb.2025:                             ;   in Loop: Header=BB14_17 Depth=1
	flat_load_ubyte v14, v[14:15]
	s_movk_i32 vcc_lo, 0x7f
	s_mov_b64 s[84:85], 0
                                        ; implicit-def: $sgpr88
	s_waitcnt vmcnt(0) lgkmcnt(0)
	v_cmp_lt_i16_e32 vcc, vcc_lo, v14
	s_and_saveexec_b64 s[60:61], vcc
	s_xor_b64 s[86:87], exec, s[60:61]
	s_cbranch_execnz .LBB14_2904
; %bb.2026:                             ;   in Loop: Header=BB14_17 Depth=1
	s_or_saveexec_b64 s[86:87], s[86:87]
	v_mov_b32_e32 v66, s88
	s_xor_b64 exec, exec, s[86:87]
	s_cbranch_execnz .LBB14_2907
.LBB14_2027:                            ;   in Loop: Header=BB14_17 Depth=1
	s_or_b64 exec, exec, s[86:87]
	s_and_saveexec_b64 s[86:87], s[84:85]
	s_cbranch_execz .LBB14_2029
.LBB14_2028:                            ;   in Loop: Header=BB14_17 Depth=1
	v_lshlrev_b32_e32 v15, 24, v14
	v_and_b32_e32 v14, 0xffff, v14
	v_and_b32_e32 v65, 7, v14
	v_ffbh_u32_e32 v67, v65
	v_min_u32_e32 v67, 32, v67
	v_subrev_u32_e32 v68, 28, v67
	v_bfe_u32 v66, v14, 3, 4
	v_lshlrev_b32_e32 v14, v68, v14
	v_sub_u32_e32 v67, 29, v67
	v_and_b32_e32 v14, 7, v14
	v_cmp_eq_u32_e32 vcc, 0, v66
	v_cndmask_b32_e32 v66, v66, v67, vcc
	v_cndmask_b32_e32 v14, v65, v14, vcc
	v_lshlrev_b32_e32 v14, 20, v14
	v_and_b32_e32 v15, 0x80000000, v15
	v_lshl_add_u32 v65, v66, 23, v30
	v_or3_b32 v66, v15, v65, v14
.LBB14_2029:                            ;   in Loop: Header=BB14_17 Depth=1
	s_or_b64 exec, exec, s[86:87]
.LBB14_2030:                            ;   in Loop: Header=BB14_17 Depth=1
	s_or_b64 exec, exec, s[82:83]
	s_andn2_b64 s[80:81], s[80:81], exec
	s_andn2_b64 s[78:79], s[78:79], exec
	s_or_b64 s[76:77], s[76:77], exec
.LBB14_2031:                            ;   in Loop: Header=BB14_17 Depth=1
	s_or_b64 exec, exec, s[68:69]
	s_and_b64 s[68:69], s[80:81], exec
	s_and_b64 s[78:79], s[78:79], exec
	;; [unrolled: 1-line block ×3, first 2 shown]
                                        ; implicit-def: $vgpr14_vgpr15
.LBB14_2032:                            ;   in Loop: Header=BB14_17 Depth=1
	s_andn2_saveexec_b64 s[66:67], s[66:67]
	s_cbranch_execz .LBB14_2058
; %bb.2033:                             ;   in Loop: Header=BB14_17 Depth=1
	v_cmp_gt_i16_sdwa vcc, v7, v31 src0_sel:BYTE_0 src1_sel:DWORD
	s_mov_b64 s[82:83], s[76:77]
                                        ; implicit-def: $vgpr66
	s_and_saveexec_b64 s[60:61], vcc
	s_xor_b64 s[80:81], exec, s[60:61]
	s_cbranch_execz .LBB14_2047
; %bb.2034:                             ;   in Loop: Header=BB14_17 Depth=1
	v_cmp_gt_i16_sdwa vcc, v7, v32 src0_sel:BYTE_0 src1_sel:DWORD
                                        ; implicit-def: $vgpr66
	s_and_saveexec_b64 s[60:61], vcc
	s_xor_b64 s[82:83], exec, s[60:61]
	s_cbranch_execz .LBB14_2044
; %bb.2035:                             ;   in Loop: Header=BB14_17 Depth=1
	v_cmp_gt_i16_sdwa vcc, v7, v33 src0_sel:BYTE_0 src1_sel:DWORD
                                        ; implicit-def: $vgpr66
	s_and_saveexec_b64 s[60:61], vcc
	s_xor_b64 s[84:85], exec, s[60:61]
	s_cbranch_execz .LBB14_2041
; %bb.2036:                             ;   in Loop: Header=BB14_17 Depth=1
	flat_load_ubyte v14, v[14:15]
	s_movk_i32 vcc_lo, 0x7f
	s_mov_b64 s[86:87], 0
                                        ; implicit-def: $sgpr90
	s_waitcnt vmcnt(0) lgkmcnt(0)
	v_cmp_lt_i16_e32 vcc, vcc_lo, v14
	s_and_saveexec_b64 s[60:61], vcc
	s_xor_b64 s[88:89], exec, s[60:61]
	s_cbranch_execnz .LBB14_3123
; %bb.2037:                             ;   in Loop: Header=BB14_17 Depth=1
	s_or_saveexec_b64 s[88:89], s[88:89]
	v_mov_b32_e32 v66, s90
	s_xor_b64 exec, exec, s[88:89]
	s_cbranch_execnz .LBB14_3126
.LBB14_2038:                            ;   in Loop: Header=BB14_17 Depth=1
	s_or_b64 exec, exec, s[88:89]
	s_and_saveexec_b64 s[88:89], s[86:87]
	s_cbranch_execz .LBB14_2040
.LBB14_2039:                            ;   in Loop: Header=BB14_17 Depth=1
	v_lshlrev_b32_e32 v15, 24, v14
	v_and_b32_e32 v14, 0xffff, v14
	v_and_b32_e32 v65, 3, v14
	v_ffbh_u32_e32 v67, v65
	v_min_u32_e32 v67, 32, v67
	v_subrev_u32_e32 v68, 29, v67
	v_bfe_u32 v66, v14, 2, 5
	v_lshlrev_b32_e32 v14, v68, v14
	v_sub_u32_e32 v67, 30, v67
	v_and_b32_e32 v14, 3, v14
	v_cmp_eq_u32_e32 vcc, 0, v66
	v_cndmask_b32_e32 v66, v66, v67, vcc
	v_cndmask_b32_e32 v14, v65, v14, vcc
	v_lshlrev_b32_e32 v14, 21, v14
	v_and_b32_e32 v15, 0x80000000, v15
	v_lshl_add_u32 v65, v66, 23, v34
	v_or3_b32 v66, v15, v65, v14
.LBB14_2040:                            ;   in Loop: Header=BB14_17 Depth=1
	s_or_b64 exec, exec, s[88:89]
                                        ; implicit-def: $vgpr14_vgpr15
.LBB14_2041:                            ;   in Loop: Header=BB14_17 Depth=1
	s_andn2_saveexec_b64 s[84:85], s[84:85]
	s_cbranch_execz .LBB14_2043
; %bb.2042:                             ;   in Loop: Header=BB14_17 Depth=1
	flat_load_ubyte v14, v[14:15]
	s_mov_b32 vcc_lo, 0x7f800000
	s_waitcnt vmcnt(0) lgkmcnt(0)
	v_lshlrev_b32_e32 v14, 24, v14
	v_and_b32_e32 v15, 0x7f000000, v14
	v_ffbh_u32_e32 v65, v15
	v_min_u32_e32 v65, 32, v65
	v_sub_u32_e64 v65, v65, 4 clamp
	v_lshlrev_b32_e32 v67, v65, v15
	v_lshlrev_b32_e32 v65, 23, v65
	v_lshrrev_b32_e32 v67, 4, v67
	v_add_u32_e32 v66, 0x1000000, v15
	v_sub_u32_e32 v65, v67, v65
	v_ashrrev_i32_e32 v66, 8, v66
	v_add_u32_e32 v65, 0x3c000000, v65
	v_and_or_b32 v65, v66, vcc_lo, v65
	v_cmp_ne_u32_e32 vcc, 0, v15
	v_cndmask_b32_e32 v15, 0, v65, vcc
	s_brev_b32 vcc_lo, 1
	v_and_or_b32 v66, v14, vcc_lo, v15
.LBB14_2043:                            ;   in Loop: Header=BB14_17 Depth=1
	s_or_b64 exec, exec, s[84:85]
                                        ; implicit-def: $vgpr14_vgpr15
.LBB14_2044:                            ;   in Loop: Header=BB14_17 Depth=1
	s_andn2_saveexec_b64 s[82:83], s[82:83]
	s_cbranch_execz .LBB14_2046
; %bb.2045:                             ;   in Loop: Header=BB14_17 Depth=1
	flat_load_ubyte v14, v[14:15]
	s_movk_i32 vcc_lo, 0x7f00
	s_waitcnt vmcnt(0) lgkmcnt(0)
	v_lshlrev_b16_e32 v15, 8, v14
	v_lshlrev_b32_e32 v14, 25, v14
	v_lshrrev_b32_e32 v65, 4, v14
	v_and_or_b32 v66, v15, vcc_lo, 0.5
	v_or_b32_e32 v65, 0x70000000, v65
	s_brev_b32 vcc_lo, 16
	v_add_f32_e32 v66, -0.5, v66
	v_mul_f32_e32 v65, 0x7800000, v65
	v_cmp_gt_u32_e32 vcc, vcc_lo, v14
	v_cndmask_b32_e32 v14, v65, v66, vcc
	v_bfe_i32 v15, v15, 0, 16
	s_brev_b32 vcc_lo, 1
	v_and_or_b32 v66, v15, vcc_lo, v14
.LBB14_2046:                            ;   in Loop: Header=BB14_17 Depth=1
	s_or_b64 exec, exec, s[82:83]
	s_or_b64 s[82:83], s[76:77], exec
                                        ; implicit-def: $vgpr14_vgpr15
.LBB14_2047:                            ;   in Loop: Header=BB14_17 Depth=1
	s_or_saveexec_b64 s[80:81], s[80:81]
                                        ; implicit-def: $vcc
                                        ; implicit-def: $sgpr88_sgpr89
	s_xor_b64 exec, exec, s[80:81]
	s_cbranch_execz .LBB14_2057
; %bb.2048:                             ;   in Loop: Header=BB14_17 Depth=1
	v_cmp_gt_i16_sdwa vcc, v7, v35 src0_sel:BYTE_0 src1_sel:DWORD
	s_mov_b64 s[86:87], s[82:83]
                                        ; implicit-def: $sgpr88_sgpr89
                                        ; implicit-def: $sgpr84_sgpr85
                                        ; implicit-def: $vgpr66
	s_and_saveexec_b64 s[60:61], vcc
	s_xor_b64 vcc, exec, s[60:61]
	s_cbranch_execz .LBB14_2052
; %bb.2049:                             ;   in Loop: Header=BB14_17 Depth=1
	v_cmp_eq_u16_sdwa s[84:85], v7, v36 src0_sel:BYTE_0 src1_sel:DWORD
	s_mov_b64 s[86:87], s[82:83]
                                        ; implicit-def: $vgpr66
	s_and_saveexec_b64 s[60:61], s[84:85]
	s_cbranch_execz .LBB14_2051
; %bb.2050:                             ;   in Loop: Header=BB14_17 Depth=1
	flat_load_ushort v14, v[14:15]
	s_or_b64 s[86:87], s[82:83], exec
	s_waitcnt vmcnt(0) lgkmcnt(0)
	v_lshlrev_b32_e32 v66, 16, v14
.LBB14_2051:                            ;   in Loop: Header=BB14_17 Depth=1
	s_or_b64 exec, exec, s[60:61]
	s_andn2_b64 s[60:61], s[82:83], exec
	s_and_b64 s[86:87], s[86:87], exec
	s_mov_b64 s[84:85], -1
	s_mov_b64 s[88:89], 0
	s_or_b64 s[86:87], s[60:61], s[86:87]
                                        ; implicit-def: $vgpr14_vgpr15
.LBB14_2052:                            ;   in Loop: Header=BB14_17 Depth=1
	s_andn2_saveexec_b64 s[90:91], vcc
	s_cbranch_execz .LBB14_2056
; %bb.2053:                             ;   in Loop: Header=BB14_17 Depth=1
	v_cmp_eq_u16_sdwa s[60:61], v7, v37 src0_sel:BYTE_0 src1_sel:DWORD
	s_mov_b64 vcc, s[86:87]
                                        ; implicit-def: $vgpr66
	s_and_saveexec_b64 s[92:93], s[60:61]
	s_cbranch_execz .LBB14_2055
; %bb.2054:                             ;   in Loop: Header=BB14_17 Depth=1
	flat_load_ubyte v14, v[14:15]
	s_waitcnt vmcnt(0) lgkmcnt(0)
	v_cmp_ne_u16_e32 vcc, 0, v14
	v_cndmask_b32_e64 v66, 0, 1.0, vcc
	s_or_b64 vcc, s[86:87], exec
.LBB14_2055:                            ;   in Loop: Header=BB14_17 Depth=1
	s_or_b64 exec, exec, s[92:93]
	s_andn2_b64 s[60:61], s[86:87], exec
	s_and_b64 vcc, vcc, exec
	s_andn2_b64 s[88:89], s[88:89], exec
	s_or_b64 s[84:85], s[84:85], exec
	s_or_b64 s[86:87], s[60:61], vcc
.LBB14_2056:                            ;   in Loop: Header=BB14_17 Depth=1
	s_or_b64 exec, exec, s[90:91]
	s_andn2_b64 s[60:61], s[82:83], exec
	s_and_b64 s[82:83], s[86:87], exec
	s_and_b64 s[88:89], s[88:89], exec
	s_and_b64 vcc, s[84:85], exec
	s_or_b64 s[82:83], s[60:61], s[82:83]
.LBB14_2057:                            ;   in Loop: Header=BB14_17 Depth=1
	s_or_b64 exec, exec, s[80:81]
	s_andn2_b64 s[60:61], s[68:69], exec
	s_and_b64 s[68:69], s[88:89], exec
	s_or_b64 s[68:69], s[60:61], s[68:69]
	s_andn2_b64 s[60:61], s[78:79], exec
	s_and_b64 vcc, vcc, exec
	s_or_b64 s[78:79], s[60:61], vcc
	s_andn2_b64 vcc, s[76:77], exec
	s_and_b64 s[60:61], s[82:83], exec
	s_or_b64 s[76:77], vcc, s[60:61]
.LBB14_2058:                            ;   in Loop: Header=BB14_17 Depth=1
	s_or_b64 exec, exec, s[66:67]
	s_and_b64 s[68:69], s[68:69], exec
	s_and_b64 s[66:67], s[78:79], exec
	s_and_b64 vcc, s[76:77], exec
                                        ; implicit-def: $vgpr14_vgpr15
	s_andn2_saveexec_b64 s[74:75], s[74:75]
	s_cbranch_execz .LBB14_1883
.LBB14_2059:                            ;   in Loop: Header=BB14_17 Depth=1
	v_cmp_gt_i16_sdwa s[60:61], v7, v38 src0_sel:BYTE_0 src1_sel:DWORD
                                        ; implicit-def: $vgpr66
	s_and_saveexec_b64 s[76:77], s[60:61]
	s_xor_b64 s[76:77], exec, s[76:77]
	s_cbranch_execz .LBB14_2081
; %bb.2060:                             ;   in Loop: Header=BB14_17 Depth=1
	v_cmp_gt_i16_sdwa s[60:61], v7, v39 src0_sel:BYTE_0 src1_sel:DWORD
                                        ; implicit-def: $vgpr66
	s_and_saveexec_b64 s[78:79], s[60:61]
	s_xor_b64 s[78:79], exec, s[78:79]
	s_cbranch_execz .LBB14_2070
; %bb.2061:                             ;   in Loop: Header=BB14_17 Depth=1
	;; [unrolled: 6-line block ×4, first 2 shown]
	flat_load_dwordx2 v[14:15], v[14:15]
	s_waitcnt vmcnt(0) lgkmcnt(0)
	v_cvt_f32_f64_e32 v66, v[14:15]
                                        ; implicit-def: $vgpr14_vgpr15
.LBB14_2064:                            ;   in Loop: Header=BB14_17 Depth=1
	s_andn2_saveexec_b64 s[60:61], s[60:61]
	s_cbranch_execz .LBB14_2066
; %bb.2065:                             ;   in Loop: Header=BB14_17 Depth=1
	flat_load_dword v66, v[14:15]
.LBB14_2066:                            ;   in Loop: Header=BB14_17 Depth=1
	s_or_b64 exec, exec, s[60:61]
                                        ; implicit-def: $vgpr14_vgpr15
.LBB14_2067:                            ;   in Loop: Header=BB14_17 Depth=1
	s_andn2_saveexec_b64 s[80:81], s[80:81]
	s_cbranch_execz .LBB14_2069
; %bb.2068:                             ;   in Loop: Header=BB14_17 Depth=1
	flat_load_dword v14, v[14:15]
	s_waitcnt vmcnt(0) lgkmcnt(0)
	v_cvt_f32_f16_e32 v66, v14
.LBB14_2069:                            ;   in Loop: Header=BB14_17 Depth=1
	s_or_b64 exec, exec, s[80:81]
                                        ; implicit-def: $vgpr14_vgpr15
.LBB14_2070:                            ;   in Loop: Header=BB14_17 Depth=1
	s_andn2_saveexec_b64 s[78:79], s[78:79]
	s_cbranch_execz .LBB14_2080
; %bb.2071:                             ;   in Loop: Header=BB14_17 Depth=1
	v_cmp_gt_i16_sdwa s[60:61], v7, v50 src0_sel:BYTE_0 src1_sel:DWORD
                                        ; implicit-def: $vgpr66
	s_and_saveexec_b64 s[80:81], s[60:61]
	s_xor_b64 s[80:81], exec, s[80:81]
	s_cbranch_execz .LBB14_2077
; %bb.2072:                             ;   in Loop: Header=BB14_17 Depth=1
	v_cmp_gt_i16_sdwa s[60:61], v7, v51 src0_sel:BYTE_0 src1_sel:DWORD
                                        ; implicit-def: $vgpr66
	s_and_saveexec_b64 s[82:83], s[60:61]
	s_xor_b64 s[60:61], exec, s[82:83]
	s_cbranch_execz .LBB14_2074
; %bb.2073:                             ;   in Loop: Header=BB14_17 Depth=1
	flat_load_dwordx2 v[14:15], v[14:15]
	s_waitcnt vmcnt(0) lgkmcnt(0)
	v_cvt_f32_f64_e32 v66, v[14:15]
                                        ; implicit-def: $vgpr14_vgpr15
.LBB14_2074:                            ;   in Loop: Header=BB14_17 Depth=1
	s_andn2_saveexec_b64 s[60:61], s[60:61]
	s_cbranch_execz .LBB14_2076
; %bb.2075:                             ;   in Loop: Header=BB14_17 Depth=1
	s_waitcnt vmcnt(0) lgkmcnt(0)
	flat_load_dword v66, v[14:15]
.LBB14_2076:                            ;   in Loop: Header=BB14_17 Depth=1
	s_or_b64 exec, exec, s[60:61]
                                        ; implicit-def: $vgpr14_vgpr15
.LBB14_2077:                            ;   in Loop: Header=BB14_17 Depth=1
	s_andn2_saveexec_b64 s[80:81], s[80:81]
	s_cbranch_execz .LBB14_2079
; %bb.2078:                             ;   in Loop: Header=BB14_17 Depth=1
	flat_load_ushort v14, v[14:15]
	s_waitcnt vmcnt(0) lgkmcnt(0)
	v_cvt_f32_f16_e32 v66, v14
.LBB14_2079:                            ;   in Loop: Header=BB14_17 Depth=1
	s_or_b64 exec, exec, s[80:81]
.LBB14_2080:                            ;   in Loop: Header=BB14_17 Depth=1
	s_or_b64 exec, exec, s[78:79]
                                        ; implicit-def: $vgpr14_vgpr15
.LBB14_2081:                            ;   in Loop: Header=BB14_17 Depth=1
	s_andn2_saveexec_b64 s[76:77], s[76:77]
	s_cbranch_execz .LBB14_2099
; %bb.2082:                             ;   in Loop: Header=BB14_17 Depth=1
	v_cmp_gt_i16_sdwa s[60:61], v7, v52 src0_sel:BYTE_0 src1_sel:DWORD
                                        ; implicit-def: $vgpr66
	s_and_saveexec_b64 s[78:79], s[60:61]
	s_xor_b64 s[78:79], exec, s[78:79]
	s_cbranch_execz .LBB14_2092
; %bb.2083:                             ;   in Loop: Header=BB14_17 Depth=1
	v_cmp_gt_i16_sdwa s[60:61], v7, v53 src0_sel:BYTE_0 src1_sel:DWORD
                                        ; implicit-def: $vgpr66
	s_and_saveexec_b64 s[80:81], s[60:61]
	s_xor_b64 s[80:81], exec, s[80:81]
	s_cbranch_execz .LBB14_2089
; %bb.2084:                             ;   in Loop: Header=BB14_17 Depth=1
	v_cmp_gt_i16_sdwa s[60:61], v7, v54 src0_sel:BYTE_0 src1_sel:DWORD
                                        ; implicit-def: $vgpr66
	s_and_saveexec_b64 s[82:83], s[60:61]
	s_xor_b64 s[82:83], exec, s[82:83]
	s_cbranch_execz .LBB14_2086
; %bb.2085:                             ;   in Loop: Header=BB14_17 Depth=1
	flat_load_dwordx2 v[14:15], v[14:15]
	s_waitcnt vmcnt(0) lgkmcnt(0)
	v_xor_b32_e32 v66, v14, v15
	v_ffbh_i32_e32 v65, v15
	v_ashrrev_i32_e32 v66, 31, v66
	v_add_u32_e32 v65, -1, v65
	v_add_u32_e32 v66, 32, v66
	v_min_u32_e32 v65, v65, v66
	v_lshlrev_b64 v[14:15], v65, v[14:15]
	v_min_u32_e32 v14, 1, v14
	v_or_b32_e32 v14, v15, v14
	v_cvt_f32_i32_e32 v14, v14
	v_sub_u32_e32 v15, 32, v65
	v_ldexp_f32 v66, v14, v15
                                        ; implicit-def: $vgpr14_vgpr15
.LBB14_2086:                            ;   in Loop: Header=BB14_17 Depth=1
	s_andn2_saveexec_b64 s[82:83], s[82:83]
	s_cbranch_execz .LBB14_2088
; %bb.2087:                             ;   in Loop: Header=BB14_17 Depth=1
	flat_load_dword v14, v[14:15]
	s_waitcnt vmcnt(0) lgkmcnt(0)
	v_cvt_f32_i32_e32 v66, v14
.LBB14_2088:                            ;   in Loop: Header=BB14_17 Depth=1
	s_or_b64 exec, exec, s[82:83]
                                        ; implicit-def: $vgpr14_vgpr15
.LBB14_2089:                            ;   in Loop: Header=BB14_17 Depth=1
	s_andn2_saveexec_b64 s[80:81], s[80:81]
	s_cbranch_execz .LBB14_2091
; %bb.2090:                             ;   in Loop: Header=BB14_17 Depth=1
	flat_load_sshort v14, v[14:15]
	s_waitcnt vmcnt(0) lgkmcnt(0)
	v_cvt_f32_i32_e32 v66, v14
.LBB14_2091:                            ;   in Loop: Header=BB14_17 Depth=1
	s_or_b64 exec, exec, s[80:81]
                                        ; implicit-def: $vgpr14_vgpr15
.LBB14_2092:                            ;   in Loop: Header=BB14_17 Depth=1
	s_andn2_saveexec_b64 s[78:79], s[78:79]
	s_cbranch_execz .LBB14_2098
; %bb.2093:                             ;   in Loop: Header=BB14_17 Depth=1
	v_cmp_gt_i16_sdwa s[60:61], v7, v16 src0_sel:BYTE_0 src1_sel:DWORD
                                        ; implicit-def: $vgpr66
	s_and_saveexec_b64 s[80:81], s[60:61]
	s_xor_b64 s[60:61], exec, s[80:81]
	s_cbranch_execz .LBB14_2095
; %bb.2094:                             ;   in Loop: Header=BB14_17 Depth=1
	flat_load_sbyte v14, v[14:15]
	s_waitcnt vmcnt(0) lgkmcnt(0)
	v_cvt_f32_i32_e32 v66, v14
                                        ; implicit-def: $vgpr14_vgpr15
.LBB14_2095:                            ;   in Loop: Header=BB14_17 Depth=1
	s_andn2_saveexec_b64 s[80:81], s[60:61]
	s_cbranch_execz .LBB14_2097
; %bb.2096:                             ;   in Loop: Header=BB14_17 Depth=1
	flat_load_ubyte v14, v[14:15]
	s_waitcnt vmcnt(0) lgkmcnt(0)
	v_cvt_f32_ubyte0_e32 v66, v14
.LBB14_2097:                            ;   in Loop: Header=BB14_17 Depth=1
	s_or_b64 exec, exec, s[80:81]
.LBB14_2098:                            ;   in Loop: Header=BB14_17 Depth=1
	s_or_b64 exec, exec, s[78:79]
.LBB14_2099:                            ;   in Loop: Header=BB14_17 Depth=1
	s_or_b64 exec, exec, s[76:77]
	s_andn2_b64 s[68:69], s[68:69], exec
	s_andn2_b64 s[66:67], s[66:67], exec
	s_or_b64 vcc, vcc, exec
	s_or_b64 exec, exec, s[74:75]
	s_mov_b64 s[76:77], 0
	s_and_saveexec_b64 s[74:75], vcc
	s_cbranch_execz .LBB14_2105
.LBB14_2100:                            ;   in Loop: Header=BB14_17 Depth=1
	v_mul_lo_u32 v14, v64, v10
	v_readlane_b32 s60, v44, 0
	v_add_co_u32_e32 v14, vcc, v4, v14
	v_add_u32_e32 v65, s60, v17
	v_addc_co_u32_e32 v15, vcc, 0, v5, vcc
	v_cmp_gt_i16_sdwa s[60:61], v8, v18 src0_sel:BYTE_0 src1_sel:DWORD
	s_mov_b64 s[80:81], 0
	s_waitcnt vmcnt(0) lgkmcnt(0)
	buffer_store_dword v66, v65, s[0:3], 0 offen offset:76
                                        ; implicit-def: $vcc
                                        ; implicit-def: $sgpr78_sgpr79
                                        ; implicit-def: $vgpr64
	s_and_saveexec_b64 s[76:77], s[60:61]
	s_xor_b64 s[76:77], exec, s[76:77]
	s_cbranch_execnz .LBB14_2127
; %bb.2101:                             ;   in Loop: Header=BB14_17 Depth=1
	s_andn2_saveexec_b64 s[76:77], s[76:77]
	s_cbranch_execnz .LBB14_2186
.LBB14_2102:                            ;   in Loop: Header=BB14_17 Depth=1
	s_or_b64 exec, exec, s[76:77]
	s_mov_b64 s[76:77], 0
	s_and_saveexec_b64 s[82:83], s[80:81]
	s_cbranch_execz .LBB14_2104
.LBB14_2103:                            ;   in Loop: Header=BB14_17 Depth=1
	s_mov_b64 s[76:77], exec
	v_add_u32_e32 v55, 0x200, v55
	s_andn2_b64 s[78:79], s[78:79], exec
	s_andn2_b64 vcc, vcc, exec
	s_waitcnt vmcnt(0) lgkmcnt(0)
	buffer_store_dword v64, v65, s[0:3], 0 offen offset:72
.LBB14_2104:                            ;   in Loop: Header=BB14_17 Depth=1
	s_or_b64 exec, exec, s[82:83]
	s_andn2_b64 s[60:61], s[68:69], exec
	s_and_b64 s[62:63], s[78:79], exec
	s_or_b64 s[68:69], s[60:61], s[62:63]
	s_andn2_b64 s[60:61], s[66:67], exec
	s_and_b64 vcc, vcc, exec
	s_or_b64 s[66:67], s[60:61], vcc
	s_and_b64 s[76:77], s[76:77], exec
.LBB14_2105:                            ;   in Loop: Header=BB14_17 Depth=1
	s_or_b64 exec, exec, s[74:75]
	s_and_b64 vcc, s[68:69], exec
	v_writelane_b32 v44, vcc_lo, 8
	v_writelane_b32 v44, vcc_hi, 9
	s_and_b64 s[62:63], s[66:67], exec
	s_orn2_b64 s[66:67], s[76:77], exec
.LBB14_2106:                            ;   in Loop: Header=BB14_17 Depth=1
	s_or_b64 exec, exec, s[70:71]
	s_mov_b64 vcc, exec
	v_writelane_b32 v44, vcc_lo, 6
	v_writelane_b32 v44, vcc_hi, 7
	s_and_b64 vcc, vcc, s[66:67]
	s_mov_b64 exec, vcc
	s_cbranch_execz .LBB14_7
; %bb.2107:                             ;   in Loop: Header=BB14_17 Depth=1
	v_writelane_b32 v44, s62, 10
	v_cmp_lt_i32_e32 vcc, v55, v6
	s_mov_b64 s[78:79], -1
	s_mov_b64 s[66:67], -1
	v_writelane_b32 v44, s63, 11
                                        ; implicit-def: $sgpr62_sgpr63
                                        ; implicit-def: $sgpr60_sgpr61
                                        ; kill: killed $sgpr60_sgpr61
	s_and_saveexec_b64 s[76:77], vcc
	s_cbranch_execz .LBB14_2333
; %bb.2108:                             ;   in Loop: Header=BB14_17 Depth=1
	v_readlane_b32 vcc_lo, v44, 1
	s_waitcnt vmcnt(0) lgkmcnt(0)
	v_add_u32_e32 v65, vcc_lo, v55
	v_mul_lo_u32 v14, v65, v9
	v_add_co_u32_e32 v14, vcc, v2, v14
	v_addc_co_u32_e32 v15, vcc, 0, v3, vcc
	v_cmp_gt_i16_sdwa s[60:61], v7, v18 src0_sel:BYTE_0 src1_sel:DWORD
	s_mov_b64 vcc, 0
                                        ; implicit-def: $sgpr72_sgpr73
                                        ; implicit-def: $sgpr74_sgpr75
                                        ; implicit-def: $vgpr66
	s_and_saveexec_b64 s[62:63], s[60:61]
	s_xor_b64 s[80:81], exec, s[62:63]
	s_cbranch_execnz .LBB14_2227
; %bb.2109:                             ;   in Loop: Header=BB14_17 Depth=1
	s_andn2_saveexec_b64 s[80:81], s[80:81]
	s_cbranch_execnz .LBB14_2286
.LBB14_2110:                            ;   in Loop: Header=BB14_17 Depth=1
	s_or_b64 exec, exec, s[80:81]
	s_mov_b64 s[66:67], 0
	s_and_saveexec_b64 s[80:81], vcc
	s_cbranch_execnz .LBB14_2327
	s_branch .LBB14_2332
.LBB14_2111:                            ;   in Loop: Header=BB14_17 Depth=1
	s_movk_i32 vcc_lo, 0x80
	v_cmp_eq_u16_e32 vcc, vcc_lo, v14
	s_mov_b64 s[62:63], -1
                                        ; implicit-def: $sgpr68
	s_and_saveexec_b64 s[66:67], vcc
; %bb.2112:                             ;   in Loop: Header=BB14_17 Depth=1
	s_mov_b32 s68, 0x7f800001
	s_xor_b64 s[62:63], exec, -1
; %bb.2113:                             ;   in Loop: Header=BB14_17 Depth=1
	s_or_b64 exec, exec, s[66:67]
	s_and_b64 s[62:63], s[62:63], exec
	s_or_saveexec_b64 s[64:65], s[64:65]
	v_mov_b32_e32 v64, s68
	s_xor_b64 exec, exec, s[64:65]
	s_cbranch_execz .LBB14_1030
.LBB14_2114:                            ;   in Loop: Header=BB14_17 Depth=1
	v_cmp_ne_u16_e32 vcc, 0, v14
	s_andn2_b64 s[62:63], s[62:63], exec
	s_and_b64 vcc, vcc, exec
	v_mov_b32_e32 v64, 0
	s_or_b64 s[62:63], s[62:63], vcc
	s_or_b64 exec, exec, s[64:65]
	s_and_saveexec_b64 s[64:65], s[62:63]
	s_cbranch_execnz .LBB14_1031
	s_branch .LBB14_1032
.LBB14_2115:                            ;   in Loop: Header=BB14_17 Depth=1
	s_movk_i32 vcc_lo, 0x80
	v_cmp_eq_u16_e32 vcc, vcc_lo, v14
	s_mov_b64 s[62:63], -1
                                        ; implicit-def: $sgpr68
	s_and_saveexec_b64 s[66:67], vcc
; %bb.2116:                             ;   in Loop: Header=BB14_17 Depth=1
	s_mov_b32 s68, 0x7f800001
	s_xor_b64 s[62:63], exec, -1
; %bb.2117:                             ;   in Loop: Header=BB14_17 Depth=1
	s_or_b64 exec, exec, s[66:67]
	s_and_b64 s[62:63], s[62:63], exec
	s_or_saveexec_b64 s[64:65], s[64:65]
	v_mov_b32_e32 v66, s68
	s_xor_b64 exec, exec, s[64:65]
	s_cbranch_execz .LBB14_1130
.LBB14_2118:                            ;   in Loop: Header=BB14_17 Depth=1
	v_cmp_ne_u16_e32 vcc, 0, v14
	s_andn2_b64 s[62:63], s[62:63], exec
	s_and_b64 vcc, vcc, exec
	v_mov_b32_e32 v66, 0
	s_or_b64 s[62:63], s[62:63], vcc
	s_or_b64 exec, exec, s[64:65]
	s_and_saveexec_b64 s[64:65], s[62:63]
	s_cbranch_execnz .LBB14_1131
	s_branch .LBB14_1132
.LBB14_2119:                            ;   in Loop: Header=BB14_17 Depth=1
	s_movk_i32 vcc_lo, 0x80
	v_cmp_eq_u16_e32 vcc, vcc_lo, v14
	s_mov_b64 s[66:67], -1
                                        ; implicit-def: $sgpr72
	s_and_saveexec_b64 s[70:71], vcc
; %bb.2120:                             ;   in Loop: Header=BB14_17 Depth=1
	s_mov_b32 s72, 0x7f800001
	s_xor_b64 s[66:67], exec, -1
; %bb.2121:                             ;   in Loop: Header=BB14_17 Depth=1
	s_or_b64 exec, exec, s[70:71]
	s_and_b64 s[66:67], s[66:67], exec
	s_or_saveexec_b64 s[68:69], s[68:69]
	v_mov_b32_e32 v64, s72
	s_xor_b64 exec, exec, s[68:69]
	s_cbranch_execz .LBB14_1246
.LBB14_2122:                            ;   in Loop: Header=BB14_17 Depth=1
	v_cmp_ne_u16_e32 vcc, 0, v14
	s_andn2_b64 s[66:67], s[66:67], exec
	s_and_b64 vcc, vcc, exec
	v_mov_b32_e32 v64, 0
	s_or_b64 s[66:67], s[66:67], vcc
	s_or_b64 exec, exec, s[68:69]
	s_and_saveexec_b64 s[68:69], s[66:67]
	s_cbranch_execnz .LBB14_1247
	s_branch .LBB14_1248
.LBB14_2123:                            ;   in Loop: Header=BB14_17 Depth=1
	s_movk_i32 vcc_lo, 0x80
	v_cmp_eq_u16_e32 vcc, vcc_lo, v14
	s_mov_b64 s[66:67], -1
                                        ; implicit-def: $sgpr72
	s_and_saveexec_b64 s[70:71], vcc
; %bb.2124:                             ;   in Loop: Header=BB14_17 Depth=1
	s_mov_b32 s72, 0x7f800001
	s_xor_b64 s[66:67], exec, -1
; %bb.2125:                             ;   in Loop: Header=BB14_17 Depth=1
	s_or_b64 exec, exec, s[70:71]
	s_and_b64 s[66:67], s[66:67], exec
	s_or_saveexec_b64 s[68:69], s[68:69]
	v_mov_b32_e32 v66, s72
	s_xor_b64 exec, exec, s[68:69]
	s_cbranch_execz .LBB14_1346
.LBB14_2126:                            ;   in Loop: Header=BB14_17 Depth=1
	v_cmp_ne_u16_e32 vcc, 0, v14
	s_andn2_b64 s[66:67], s[66:67], exec
	s_and_b64 vcc, vcc, exec
	v_mov_b32_e32 v66, 0
	s_or_b64 s[66:67], s[66:67], vcc
	s_or_b64 exec, exec, s[68:69]
	s_and_saveexec_b64 s[68:69], s[66:67]
	s_cbranch_execnz .LBB14_1347
	s_branch .LBB14_1348
.LBB14_2127:                            ;   in Loop: Header=BB14_17 Depth=1
	v_cmp_gt_i16_sdwa vcc, v8, v19 src0_sel:BYTE_0 src1_sel:DWORD
                                        ; implicit-def: $sgpr82_sgpr83
                                        ; implicit-def: $sgpr84_sgpr85
                                        ; implicit-def: $vgpr64
	s_and_saveexec_b64 s[60:61], vcc
	s_xor_b64 s[78:79], exec, s[60:61]
	s_cbranch_execz .LBB14_2159
; %bb.2128:                             ;   in Loop: Header=BB14_17 Depth=1
	v_cmp_gt_i16_sdwa vcc, v8, v20 src0_sel:BYTE_0 src1_sel:DWORD
                                        ; implicit-def: $sgpr82_sgpr83
                                        ; implicit-def: $sgpr86_sgpr87
                                        ; implicit-def: $vgpr64
	s_and_saveexec_b64 s[60:61], vcc
	s_xor_b64 s[84:85], exec, s[60:61]
	s_cbranch_execz .LBB14_2144
; %bb.2129:                             ;   in Loop: Header=BB14_17 Depth=1
	v_cmp_gt_i16_sdwa s[60:61], v8, v21 src0_sel:BYTE_0 src1_sel:DWORD
	s_mov_b64 s[88:89], 0
                                        ; implicit-def: $vcc
                                        ; implicit-def: $sgpr86_sgpr87
                                        ; implicit-def: $vgpr64
	s_and_saveexec_b64 s[80:81], s[60:61]
	s_xor_b64 s[80:81], exec, s[80:81]
	s_cbranch_execz .LBB14_2139
; %bb.2130:                             ;   in Loop: Header=BB14_17 Depth=1
	v_cmp_gt_i16_sdwa vcc, v8, v22 src0_sel:BYTE_0 src1_sel:DWORD
                                        ; implicit-def: $sgpr86_sgpr87
                                        ; implicit-def: $sgpr82_sgpr83
                                        ; implicit-def: $vgpr64
	s_and_saveexec_b64 s[60:61], vcc
	s_xor_b64 vcc, exec, s[60:61]
	s_cbranch_execz .LBB14_2134
; %bb.2131:                             ;   in Loop: Header=BB14_17 Depth=1
	v_cmp_eq_u16_sdwa s[60:61], v8, v23 src0_sel:BYTE_0 src1_sel:DWORD
	s_mov_b64 s[82:83], 0
                                        ; implicit-def: $vgpr64
	s_and_saveexec_b64 s[86:87], s[60:61]
	s_cbranch_execz .LBB14_2133
; %bb.2132:                             ;   in Loop: Header=BB14_17 Depth=1
	flat_load_dword v14, v[14:15]
	s_mov_b64 s[88:89], exec
	s_waitcnt vmcnt(0) lgkmcnt(0)
	v_lshlrev_b32_e32 v64, 16, v14
.LBB14_2133:                            ;   in Loop: Header=BB14_17 Depth=1
	s_or_b64 exec, exec, s[86:87]
	s_mov_b64 s[86:87], -1
	s_and_b64 s[88:89], s[88:89], exec
                                        ; implicit-def: $vgpr14_vgpr15
.LBB14_2134:                            ;   in Loop: Header=BB14_17 Depth=1
	s_andn2_saveexec_b64 s[90:91], vcc
	s_cbranch_execz .LBB14_2138
; %bb.2135:                             ;   in Loop: Header=BB14_17 Depth=1
	v_cmp_eq_u16_sdwa s[60:61], v8, v24 src0_sel:BYTE_0 src1_sel:DWORD
	s_mov_b64 vcc, s[88:89]
                                        ; implicit-def: $vgpr64
	s_and_saveexec_b64 s[92:93], s[60:61]
	s_cbranch_execz .LBB14_2137
; %bb.2136:                             ;   in Loop: Header=BB14_17 Depth=1
	flat_load_ubyte v14, v[14:15]
	s_movk_i32 vcc_lo, 0xff
	s_waitcnt vmcnt(0) lgkmcnt(0)
	v_lshlrev_b32_e32 v15, 23, v14
	v_cmp_ne_u32_e32 vcc, vcc_lo, v14
	v_cndmask_b32_e32 v15, v25, v15, vcc
	v_cmp_ne_u32_e32 vcc, 0, v14
	v_cndmask_b32_e32 v64, v26, v15, vcc
	s_or_b64 vcc, s[88:89], exec
.LBB14_2137:                            ;   in Loop: Header=BB14_17 Depth=1
	s_or_b64 exec, exec, s[92:93]
	s_andn2_b64 s[60:61], s[88:89], exec
	s_and_b64 vcc, vcc, exec
	s_or_b64 s[86:87], s[86:87], exec
	s_andn2_b64 s[82:83], s[82:83], exec
	s_or_b64 s[88:89], s[60:61], vcc
.LBB14_2138:                            ;   in Loop: Header=BB14_17 Depth=1
	s_or_b64 exec, exec, s[90:91]
	s_and_b64 s[86:87], s[86:87], exec
	s_and_b64 vcc, s[82:83], exec
	s_and_b64 s[88:89], s[88:89], exec
                                        ; implicit-def: $vgpr14_vgpr15
.LBB14_2139:                            ;   in Loop: Header=BB14_17 Depth=1
	s_andn2_saveexec_b64 s[80:81], s[80:81]
	s_cbranch_execz .LBB14_2143
; %bb.2140:                             ;   in Loop: Header=BB14_17 Depth=1
	v_cmp_eq_u16_sdwa s[60:61], v8, v27 src0_sel:BYTE_0 src1_sel:DWORD
	s_mov_b64 s[90:91], s[88:89]
                                        ; implicit-def: $vgpr64
	s_and_saveexec_b64 s[82:83], s[60:61]
	s_cbranch_execz .LBB14_2142
; %bb.2141:                             ;   in Loop: Header=BB14_17 Depth=1
	flat_load_dwordx2 v[14:15], v[14:15]
	s_or_b64 s[90:91], s[88:89], exec
	s_waitcnt vmcnt(0) lgkmcnt(0)
	v_ffbh_u32_e32 v64, v15
	v_min_u32_e32 v64, 32, v64
	v_lshlrev_b64 v[14:15], v64, v[14:15]
	v_min_u32_e32 v14, 1, v14
	v_or_b32_e32 v14, v15, v14
	v_cvt_f32_u32_e32 v14, v14
	v_sub_u32_e32 v15, 32, v64
	v_ldexp_f32 v64, v14, v15
.LBB14_2142:                            ;   in Loop: Header=BB14_17 Depth=1
	s_or_b64 exec, exec, s[82:83]
	s_andn2_b64 s[60:61], s[88:89], exec
	s_and_b64 s[82:83], s[90:91], exec
	s_or_b64 s[86:87], s[86:87], exec
	s_andn2_b64 vcc, vcc, exec
	s_or_b64 s[88:89], s[60:61], s[82:83]
.LBB14_2143:                            ;   in Loop: Header=BB14_17 Depth=1
	s_or_b64 exec, exec, s[80:81]
	s_and_b64 s[86:87], s[86:87], exec
	s_and_b64 s[82:83], vcc, exec
	s_and_b64 s[80:81], s[88:89], exec
                                        ; implicit-def: $vgpr14_vgpr15
.LBB14_2144:                            ;   in Loop: Header=BB14_17 Depth=1
	s_andn2_saveexec_b64 s[84:85], s[84:85]
	s_cbranch_execz .LBB14_2158
; %bb.2145:                             ;   in Loop: Header=BB14_17 Depth=1
	v_cmp_gt_i16_sdwa vcc, v8, v28 src0_sel:BYTE_0 src1_sel:DWORD
                                        ; implicit-def: $vgpr64
	s_and_saveexec_b64 s[60:61], vcc
	s_xor_b64 vcc, exec, s[60:61]
	s_cbranch_execz .LBB14_2151
; %bb.2146:                             ;   in Loop: Header=BB14_17 Depth=1
	v_cmp_gt_i16_sdwa s[60:61], v8, v29 src0_sel:BYTE_0 src1_sel:DWORD
                                        ; implicit-def: $vgpr64
	s_and_saveexec_b64 s[88:89], s[60:61]
	s_xor_b64 s[60:61], exec, s[88:89]
	s_cbranch_execz .LBB14_2148
; %bb.2147:                             ;   in Loop: Header=BB14_17 Depth=1
	flat_load_dword v14, v[14:15]
	s_waitcnt vmcnt(0) lgkmcnt(0)
	v_cvt_f32_u32_e32 v64, v14
                                        ; implicit-def: $vgpr14_vgpr15
.LBB14_2148:                            ;   in Loop: Header=BB14_17 Depth=1
	s_andn2_saveexec_b64 s[60:61], s[60:61]
	s_cbranch_execz .LBB14_2150
; %bb.2149:                             ;   in Loop: Header=BB14_17 Depth=1
	flat_load_ushort v14, v[14:15]
	s_waitcnt vmcnt(0) lgkmcnt(0)
	v_cvt_f32_u32_e32 v64, v14
.LBB14_2150:                            ;   in Loop: Header=BB14_17 Depth=1
	s_or_b64 exec, exec, s[60:61]
                                        ; implicit-def: $vgpr14_vgpr15
.LBB14_2151:                            ;   in Loop: Header=BB14_17 Depth=1
	s_andn2_saveexec_b64 s[88:89], vcc
	s_cbranch_execz .LBB14_2157
; %bb.2152:                             ;   in Loop: Header=BB14_17 Depth=1
	flat_load_ubyte v14, v[14:15]
	s_movk_i32 vcc_lo, 0x7f
	s_mov_b64 s[90:91], 0
                                        ; implicit-def: $sgpr94
	s_waitcnt vmcnt(0) lgkmcnt(0)
	v_cmp_lt_i16_e32 vcc, vcc_lo, v14
	s_and_saveexec_b64 s[60:61], vcc
	s_xor_b64 s[92:93], exec, s[60:61]
	s_cbranch_execnz .LBB14_3127
; %bb.2153:                             ;   in Loop: Header=BB14_17 Depth=1
	s_or_saveexec_b64 s[92:93], s[92:93]
	v_mov_b32_e32 v64, s94
	s_xor_b64 exec, exec, s[92:93]
	s_cbranch_execnz .LBB14_3130
.LBB14_2154:                            ;   in Loop: Header=BB14_17 Depth=1
	s_or_b64 exec, exec, s[92:93]
	s_and_saveexec_b64 s[92:93], s[90:91]
	s_cbranch_execz .LBB14_2156
.LBB14_2155:                            ;   in Loop: Header=BB14_17 Depth=1
	v_lshlrev_b32_e32 v15, 24, v14
	v_and_b32_e32 v14, 0xffff, v14
	v_and_b32_e32 v64, 7, v14
	v_ffbh_u32_e32 v67, v64
	v_min_u32_e32 v67, 32, v67
	v_subrev_u32_e32 v68, 28, v67
	v_bfe_u32 v66, v14, 3, 4
	v_lshlrev_b32_e32 v14, v68, v14
	v_sub_u32_e32 v67, 29, v67
	v_and_b32_e32 v14, 7, v14
	v_cmp_eq_u32_e32 vcc, 0, v66
	v_cndmask_b32_e32 v66, v66, v67, vcc
	v_cndmask_b32_e32 v14, v64, v14, vcc
	v_lshlrev_b32_e32 v14, 20, v14
	v_and_b32_e32 v15, 0x80000000, v15
	v_lshl_add_u32 v64, v66, 23, v30
	v_or3_b32 v64, v15, v64, v14
.LBB14_2156:                            ;   in Loop: Header=BB14_17 Depth=1
	s_or_b64 exec, exec, s[92:93]
.LBB14_2157:                            ;   in Loop: Header=BB14_17 Depth=1
	s_or_b64 exec, exec, s[88:89]
	s_andn2_b64 s[86:87], s[86:87], exec
	s_andn2_b64 s[82:83], s[82:83], exec
	s_or_b64 s[80:81], s[80:81], exec
.LBB14_2158:                            ;   in Loop: Header=BB14_17 Depth=1
	s_or_b64 exec, exec, s[84:85]
	s_and_b64 s[84:85], s[86:87], exec
	s_and_b64 s[82:83], s[82:83], exec
	;; [unrolled: 1-line block ×3, first 2 shown]
                                        ; implicit-def: $vgpr14_vgpr15
.LBB14_2159:                            ;   in Loop: Header=BB14_17 Depth=1
	s_andn2_saveexec_b64 s[78:79], s[78:79]
	s_cbranch_execz .LBB14_2185
; %bb.2160:                             ;   in Loop: Header=BB14_17 Depth=1
	v_cmp_gt_i16_sdwa vcc, v8, v31 src0_sel:BYTE_0 src1_sel:DWORD
	s_mov_b64 s[88:89], s[80:81]
                                        ; implicit-def: $vgpr64
	s_and_saveexec_b64 s[60:61], vcc
	s_xor_b64 s[86:87], exec, s[60:61]
	s_cbranch_execz .LBB14_2174
; %bb.2161:                             ;   in Loop: Header=BB14_17 Depth=1
	v_cmp_gt_i16_sdwa vcc, v8, v32 src0_sel:BYTE_0 src1_sel:DWORD
                                        ; implicit-def: $vgpr64
	s_and_saveexec_b64 s[60:61], vcc
	s_xor_b64 s[88:89], exec, s[60:61]
	s_cbranch_execz .LBB14_2171
; %bb.2162:                             ;   in Loop: Header=BB14_17 Depth=1
	v_cmp_gt_i16_sdwa vcc, v8, v33 src0_sel:BYTE_0 src1_sel:DWORD
                                        ; implicit-def: $vgpr64
	s_and_saveexec_b64 s[60:61], vcc
	s_xor_b64 s[90:91], exec, s[60:61]
	s_cbranch_execz .LBB14_2168
; %bb.2163:                             ;   in Loop: Header=BB14_17 Depth=1
	flat_load_ubyte v14, v[14:15]
	s_movk_i32 vcc_lo, 0x7f
	s_mov_b64 s[92:93], 0
                                        ; implicit-def: $sgpr96
	s_waitcnt vmcnt(0) lgkmcnt(0)
	v_cmp_lt_i16_e32 vcc, vcc_lo, v14
	s_and_saveexec_b64 s[60:61], vcc
	s_xor_b64 s[94:95], exec, s[60:61]
	s_cbranch_execnz .LBB14_3346
; %bb.2164:                             ;   in Loop: Header=BB14_17 Depth=1
	s_or_saveexec_b64 s[94:95], s[94:95]
	v_mov_b32_e32 v64, s96
	s_xor_b64 exec, exec, s[94:95]
	s_cbranch_execnz .LBB14_3349
.LBB14_2165:                            ;   in Loop: Header=BB14_17 Depth=1
	s_or_b64 exec, exec, s[94:95]
	s_and_saveexec_b64 s[94:95], s[92:93]
	s_cbranch_execz .LBB14_2167
.LBB14_2166:                            ;   in Loop: Header=BB14_17 Depth=1
	v_lshlrev_b32_e32 v15, 24, v14
	v_and_b32_e32 v14, 0xffff, v14
	v_and_b32_e32 v64, 3, v14
	v_ffbh_u32_e32 v67, v64
	v_min_u32_e32 v67, 32, v67
	v_subrev_u32_e32 v68, 29, v67
	v_bfe_u32 v66, v14, 2, 5
	v_lshlrev_b32_e32 v14, v68, v14
	v_sub_u32_e32 v67, 30, v67
	v_and_b32_e32 v14, 3, v14
	v_cmp_eq_u32_e32 vcc, 0, v66
	v_cndmask_b32_e32 v66, v66, v67, vcc
	v_cndmask_b32_e32 v14, v64, v14, vcc
	v_lshlrev_b32_e32 v14, 21, v14
	v_and_b32_e32 v15, 0x80000000, v15
	v_lshl_add_u32 v64, v66, 23, v34
	v_or3_b32 v64, v15, v64, v14
.LBB14_2167:                            ;   in Loop: Header=BB14_17 Depth=1
	s_or_b64 exec, exec, s[94:95]
                                        ; implicit-def: $vgpr14_vgpr15
.LBB14_2168:                            ;   in Loop: Header=BB14_17 Depth=1
	s_andn2_saveexec_b64 s[90:91], s[90:91]
	s_cbranch_execz .LBB14_2170
; %bb.2169:                             ;   in Loop: Header=BB14_17 Depth=1
	flat_load_ubyte v14, v[14:15]
	s_mov_b32 vcc_lo, 0x7f800000
	s_waitcnt vmcnt(0) lgkmcnt(0)
	v_lshlrev_b32_e32 v14, 24, v14
	v_and_b32_e32 v15, 0x7f000000, v14
	v_ffbh_u32_e32 v64, v15
	v_min_u32_e32 v64, 32, v64
	v_sub_u32_e64 v64, v64, 4 clamp
	v_lshlrev_b32_e32 v67, v64, v15
	v_lshlrev_b32_e32 v64, 23, v64
	v_lshrrev_b32_e32 v67, 4, v67
	v_add_u32_e32 v66, 0x1000000, v15
	v_sub_u32_e32 v64, v67, v64
	v_ashrrev_i32_e32 v66, 8, v66
	v_add_u32_e32 v64, 0x3c000000, v64
	v_and_or_b32 v64, v66, vcc_lo, v64
	v_cmp_ne_u32_e32 vcc, 0, v15
	v_cndmask_b32_e32 v15, 0, v64, vcc
	s_brev_b32 vcc_lo, 1
	v_and_or_b32 v64, v14, vcc_lo, v15
.LBB14_2170:                            ;   in Loop: Header=BB14_17 Depth=1
	s_or_b64 exec, exec, s[90:91]
                                        ; implicit-def: $vgpr14_vgpr15
.LBB14_2171:                            ;   in Loop: Header=BB14_17 Depth=1
	s_andn2_saveexec_b64 s[88:89], s[88:89]
	s_cbranch_execz .LBB14_2173
; %bb.2172:                             ;   in Loop: Header=BB14_17 Depth=1
	flat_load_ubyte v14, v[14:15]
	s_movk_i32 vcc_lo, 0x7f00
	s_waitcnt vmcnt(0) lgkmcnt(0)
	v_lshlrev_b16_e32 v15, 8, v14
	v_lshlrev_b32_e32 v14, 25, v14
	v_lshrrev_b32_e32 v64, 4, v14
	v_and_or_b32 v66, v15, vcc_lo, 0.5
	v_or_b32_e32 v64, 0x70000000, v64
	s_brev_b32 vcc_lo, 16
	v_add_f32_e32 v66, -0.5, v66
	v_mul_f32_e32 v64, 0x7800000, v64
	v_cmp_gt_u32_e32 vcc, vcc_lo, v14
	v_cndmask_b32_e32 v14, v64, v66, vcc
	v_bfe_i32 v15, v15, 0, 16
	s_brev_b32 vcc_lo, 1
	v_and_or_b32 v64, v15, vcc_lo, v14
.LBB14_2173:                            ;   in Loop: Header=BB14_17 Depth=1
	s_or_b64 exec, exec, s[88:89]
	s_or_b64 s[88:89], s[80:81], exec
                                        ; implicit-def: $vgpr14_vgpr15
.LBB14_2174:                            ;   in Loop: Header=BB14_17 Depth=1
	s_or_saveexec_b64 s[86:87], s[86:87]
                                        ; implicit-def: $vcc
                                        ; implicit-def: $sgpr94_sgpr95
	s_xor_b64 exec, exec, s[86:87]
	s_cbranch_execz .LBB14_2184
; %bb.2175:                             ;   in Loop: Header=BB14_17 Depth=1
	v_cmp_gt_i16_sdwa vcc, v8, v35 src0_sel:BYTE_0 src1_sel:DWORD
	s_mov_b64 s[92:93], s[88:89]
                                        ; implicit-def: $sgpr94_sgpr95
                                        ; implicit-def: $sgpr90_sgpr91
                                        ; implicit-def: $vgpr64
	s_and_saveexec_b64 s[60:61], vcc
	s_xor_b64 vcc, exec, s[60:61]
	s_cbranch_execz .LBB14_2179
; %bb.2176:                             ;   in Loop: Header=BB14_17 Depth=1
	v_cmp_eq_u16_sdwa s[90:91], v8, v36 src0_sel:BYTE_0 src1_sel:DWORD
	s_mov_b64 s[92:93], s[88:89]
                                        ; implicit-def: $vgpr64
	s_and_saveexec_b64 s[60:61], s[90:91]
	s_cbranch_execz .LBB14_2178
; %bb.2177:                             ;   in Loop: Header=BB14_17 Depth=1
	flat_load_ushort v14, v[14:15]
	s_or_b64 s[92:93], s[88:89], exec
	s_waitcnt vmcnt(0) lgkmcnt(0)
	v_lshlrev_b32_e32 v64, 16, v14
.LBB14_2178:                            ;   in Loop: Header=BB14_17 Depth=1
	s_or_b64 exec, exec, s[60:61]
	s_andn2_b64 s[60:61], s[88:89], exec
	s_and_b64 s[92:93], s[92:93], exec
	s_mov_b64 s[90:91], 0
	s_mov_b64 s[94:95], -1
	s_or_b64 s[92:93], s[60:61], s[92:93]
                                        ; implicit-def: $vgpr14_vgpr15
.LBB14_2179:                            ;   in Loop: Header=BB14_17 Depth=1
	s_andn2_saveexec_b64 s[96:97], vcc
	s_cbranch_execz .LBB14_2183
; %bb.2180:                             ;   in Loop: Header=BB14_17 Depth=1
	v_cmp_eq_u16_sdwa s[62:63], v8, v37 src0_sel:BYTE_0 src1_sel:DWORD
	s_mov_b64 vcc, s[92:93]
                                        ; implicit-def: $vgpr64
	s_and_saveexec_b64 s[60:61], s[62:63]
	s_cbranch_execz .LBB14_2182
; %bb.2181:                             ;   in Loop: Header=BB14_17 Depth=1
	flat_load_ubyte v14, v[14:15]
	s_waitcnt vmcnt(0) lgkmcnt(0)
	v_cmp_ne_u16_e32 vcc, 0, v14
	v_cndmask_b32_e64 v64, 0, 1.0, vcc
	s_or_b64 vcc, s[92:93], exec
.LBB14_2182:                            ;   in Loop: Header=BB14_17 Depth=1
	s_or_b64 exec, exec, s[60:61]
	s_andn2_b64 s[60:61], s[92:93], exec
	s_and_b64 vcc, vcc, exec
	s_or_b64 s[94:95], s[94:95], exec
	s_andn2_b64 s[90:91], s[90:91], exec
	s_or_b64 s[92:93], s[60:61], vcc
.LBB14_2183:                            ;   in Loop: Header=BB14_17 Depth=1
	s_or_b64 exec, exec, s[96:97]
	s_andn2_b64 s[60:61], s[88:89], exec
	s_and_b64 s[62:63], s[92:93], exec
	s_and_b64 s[94:95], s[94:95], exec
	s_and_b64 vcc, s[90:91], exec
	s_or_b64 s[88:89], s[60:61], s[62:63]
.LBB14_2184:                            ;   in Loop: Header=BB14_17 Depth=1
	s_or_b64 exec, exec, s[86:87]
	s_andn2_b64 s[60:61], s[84:85], exec
	s_and_b64 s[84:85], s[94:95], exec
	s_or_b64 s[84:85], s[60:61], s[84:85]
	s_andn2_b64 s[60:61], s[82:83], exec
	s_and_b64 vcc, vcc, exec
	s_or_b64 s[82:83], s[60:61], vcc
	s_andn2_b64 vcc, s[80:81], exec
	s_and_b64 s[60:61], s[88:89], exec
	s_or_b64 s[80:81], vcc, s[60:61]
.LBB14_2185:                            ;   in Loop: Header=BB14_17 Depth=1
	s_or_b64 exec, exec, s[78:79]
	s_and_b64 s[78:79], s[84:85], exec
	s_and_b64 vcc, s[82:83], exec
	s_and_b64 s[80:81], s[80:81], exec
                                        ; implicit-def: $vgpr14_vgpr15
	s_andn2_saveexec_b64 s[76:77], s[76:77]
	s_cbranch_execz .LBB14_2102
.LBB14_2186:                            ;   in Loop: Header=BB14_17 Depth=1
	v_cmp_gt_i16_sdwa s[60:61], v8, v38 src0_sel:BYTE_0 src1_sel:DWORD
                                        ; implicit-def: $vgpr64
	s_and_saveexec_b64 s[62:63], s[60:61]
	s_xor_b64 s[82:83], exec, s[62:63]
	s_cbranch_execz .LBB14_2208
; %bb.2187:                             ;   in Loop: Header=BB14_17 Depth=1
	v_cmp_gt_i16_sdwa s[60:61], v8, v39 src0_sel:BYTE_0 src1_sel:DWORD
                                        ; implicit-def: $vgpr64
	s_and_saveexec_b64 s[62:63], s[60:61]
	s_xor_b64 s[84:85], exec, s[62:63]
	s_cbranch_execz .LBB14_2197
; %bb.2188:                             ;   in Loop: Header=BB14_17 Depth=1
	;; [unrolled: 6-line block ×4, first 2 shown]
	flat_load_dwordx2 v[14:15], v[14:15]
	s_waitcnt vmcnt(0) lgkmcnt(0)
	v_cvt_f32_f64_e32 v64, v[14:15]
                                        ; implicit-def: $vgpr14_vgpr15
.LBB14_2191:                            ;   in Loop: Header=BB14_17 Depth=1
	s_andn2_saveexec_b64 s[60:61], s[60:61]
	s_cbranch_execz .LBB14_2193
; %bb.2192:                             ;   in Loop: Header=BB14_17 Depth=1
	flat_load_dword v64, v[14:15]
.LBB14_2193:                            ;   in Loop: Header=BB14_17 Depth=1
	s_or_b64 exec, exec, s[60:61]
                                        ; implicit-def: $vgpr14_vgpr15
.LBB14_2194:                            ;   in Loop: Header=BB14_17 Depth=1
	s_andn2_saveexec_b64 s[60:61], s[86:87]
	s_cbranch_execz .LBB14_2196
; %bb.2195:                             ;   in Loop: Header=BB14_17 Depth=1
	flat_load_dword v14, v[14:15]
	s_waitcnt vmcnt(0) lgkmcnt(0)
	v_cvt_f32_f16_e32 v64, v14
.LBB14_2196:                            ;   in Loop: Header=BB14_17 Depth=1
	s_or_b64 exec, exec, s[60:61]
                                        ; implicit-def: $vgpr14_vgpr15
.LBB14_2197:                            ;   in Loop: Header=BB14_17 Depth=1
	s_andn2_saveexec_b64 s[84:85], s[84:85]
	s_cbranch_execz .LBB14_2207
; %bb.2198:                             ;   in Loop: Header=BB14_17 Depth=1
	v_cmp_gt_i16_sdwa s[60:61], v8, v50 src0_sel:BYTE_0 src1_sel:DWORD
                                        ; implicit-def: $vgpr64
	s_and_saveexec_b64 s[62:63], s[60:61]
	s_xor_b64 s[86:87], exec, s[62:63]
	s_cbranch_execz .LBB14_2204
; %bb.2199:                             ;   in Loop: Header=BB14_17 Depth=1
	v_cmp_gt_i16_sdwa s[60:61], v8, v51 src0_sel:BYTE_0 src1_sel:DWORD
                                        ; implicit-def: $vgpr64
	s_and_saveexec_b64 s[62:63], s[60:61]
	s_xor_b64 s[60:61], exec, s[62:63]
	s_cbranch_execz .LBB14_2201
; %bb.2200:                             ;   in Loop: Header=BB14_17 Depth=1
	flat_load_dwordx2 v[14:15], v[14:15]
	s_waitcnt vmcnt(0) lgkmcnt(0)
	v_cvt_f32_f64_e32 v64, v[14:15]
                                        ; implicit-def: $vgpr14_vgpr15
.LBB14_2201:                            ;   in Loop: Header=BB14_17 Depth=1
	s_andn2_saveexec_b64 s[60:61], s[60:61]
	s_cbranch_execz .LBB14_2203
; %bb.2202:                             ;   in Loop: Header=BB14_17 Depth=1
	s_waitcnt vmcnt(0) lgkmcnt(0)
	flat_load_dword v64, v[14:15]
.LBB14_2203:                            ;   in Loop: Header=BB14_17 Depth=1
	s_or_b64 exec, exec, s[60:61]
                                        ; implicit-def: $vgpr14_vgpr15
.LBB14_2204:                            ;   in Loop: Header=BB14_17 Depth=1
	s_andn2_saveexec_b64 s[60:61], s[86:87]
	s_cbranch_execz .LBB14_2206
; %bb.2205:                             ;   in Loop: Header=BB14_17 Depth=1
	flat_load_ushort v14, v[14:15]
	s_waitcnt vmcnt(0) lgkmcnt(0)
	v_cvt_f32_f16_e32 v64, v14
.LBB14_2206:                            ;   in Loop: Header=BB14_17 Depth=1
	s_or_b64 exec, exec, s[60:61]
.LBB14_2207:                            ;   in Loop: Header=BB14_17 Depth=1
	s_or_b64 exec, exec, s[84:85]
                                        ; implicit-def: $vgpr14_vgpr15
.LBB14_2208:                            ;   in Loop: Header=BB14_17 Depth=1
	s_andn2_saveexec_b64 s[82:83], s[82:83]
	s_cbranch_execz .LBB14_2226
; %bb.2209:                             ;   in Loop: Header=BB14_17 Depth=1
	v_cmp_gt_i16_sdwa s[60:61], v8, v52 src0_sel:BYTE_0 src1_sel:DWORD
                                        ; implicit-def: $vgpr64
	s_and_saveexec_b64 s[62:63], s[60:61]
	s_xor_b64 s[84:85], exec, s[62:63]
	s_cbranch_execz .LBB14_2219
; %bb.2210:                             ;   in Loop: Header=BB14_17 Depth=1
	v_cmp_gt_i16_sdwa s[60:61], v8, v53 src0_sel:BYTE_0 src1_sel:DWORD
                                        ; implicit-def: $vgpr64
	s_and_saveexec_b64 s[62:63], s[60:61]
	s_xor_b64 s[86:87], exec, s[62:63]
	;; [unrolled: 6-line block ×3, first 2 shown]
	s_cbranch_execz .LBB14_2213
; %bb.2212:                             ;   in Loop: Header=BB14_17 Depth=1
	flat_load_dwordx2 v[14:15], v[14:15]
	s_waitcnt vmcnt(0) lgkmcnt(0)
	v_xor_b32_e32 v66, v14, v15
	v_ffbh_i32_e32 v64, v15
	v_ashrrev_i32_e32 v66, 31, v66
	v_add_u32_e32 v64, -1, v64
	v_add_u32_e32 v66, 32, v66
	v_min_u32_e32 v64, v64, v66
	v_lshlrev_b64 v[14:15], v64, v[14:15]
	v_min_u32_e32 v14, 1, v14
	v_or_b32_e32 v14, v15, v14
	v_cvt_f32_i32_e32 v14, v14
	v_sub_u32_e32 v15, 32, v64
	v_ldexp_f32 v64, v14, v15
                                        ; implicit-def: $vgpr14_vgpr15
.LBB14_2213:                            ;   in Loop: Header=BB14_17 Depth=1
	s_andn2_saveexec_b64 s[60:61], s[88:89]
	s_cbranch_execz .LBB14_2215
; %bb.2214:                             ;   in Loop: Header=BB14_17 Depth=1
	flat_load_dword v14, v[14:15]
	s_waitcnt vmcnt(0) lgkmcnt(0)
	v_cvt_f32_i32_e32 v64, v14
.LBB14_2215:                            ;   in Loop: Header=BB14_17 Depth=1
	s_or_b64 exec, exec, s[60:61]
                                        ; implicit-def: $vgpr14_vgpr15
.LBB14_2216:                            ;   in Loop: Header=BB14_17 Depth=1
	s_andn2_saveexec_b64 s[60:61], s[86:87]
	s_cbranch_execz .LBB14_2218
; %bb.2217:                             ;   in Loop: Header=BB14_17 Depth=1
	flat_load_sshort v14, v[14:15]
	s_waitcnt vmcnt(0) lgkmcnt(0)
	v_cvt_f32_i32_e32 v64, v14
.LBB14_2218:                            ;   in Loop: Header=BB14_17 Depth=1
	s_or_b64 exec, exec, s[60:61]
                                        ; implicit-def: $vgpr14_vgpr15
.LBB14_2219:                            ;   in Loop: Header=BB14_17 Depth=1
	s_andn2_saveexec_b64 s[84:85], s[84:85]
	s_cbranch_execz .LBB14_2225
; %bb.2220:                             ;   in Loop: Header=BB14_17 Depth=1
	v_cmp_gt_i16_sdwa s[60:61], v8, v16 src0_sel:BYTE_0 src1_sel:DWORD
                                        ; implicit-def: $vgpr64
	s_and_saveexec_b64 s[62:63], s[60:61]
	s_xor_b64 s[60:61], exec, s[62:63]
	s_cbranch_execz .LBB14_2222
; %bb.2221:                             ;   in Loop: Header=BB14_17 Depth=1
	flat_load_sbyte v14, v[14:15]
	s_waitcnt vmcnt(0) lgkmcnt(0)
	v_cvt_f32_i32_e32 v64, v14
                                        ; implicit-def: $vgpr14_vgpr15
.LBB14_2222:                            ;   in Loop: Header=BB14_17 Depth=1
	s_andn2_saveexec_b64 s[60:61], s[60:61]
	s_cbranch_execz .LBB14_2224
; %bb.2223:                             ;   in Loop: Header=BB14_17 Depth=1
	flat_load_ubyte v14, v[14:15]
	s_waitcnt vmcnt(0) lgkmcnt(0)
	v_cvt_f32_ubyte0_e32 v64, v14
.LBB14_2224:                            ;   in Loop: Header=BB14_17 Depth=1
	s_or_b64 exec, exec, s[60:61]
.LBB14_2225:                            ;   in Loop: Header=BB14_17 Depth=1
	s_or_b64 exec, exec, s[84:85]
.LBB14_2226:                            ;   in Loop: Header=BB14_17 Depth=1
	s_or_b64 exec, exec, s[82:83]
	s_andn2_b64 s[78:79], s[78:79], exec
	s_andn2_b64 vcc, vcc, exec
	s_or_b64 s[80:81], s[80:81], exec
	s_or_b64 exec, exec, s[76:77]
	s_mov_b64 s[76:77], 0
	s_and_saveexec_b64 s[82:83], s[80:81]
	s_cbranch_execnz .LBB14_2103
	s_branch .LBB14_2104
.LBB14_2227:                            ;   in Loop: Header=BB14_17 Depth=1
	v_cmp_gt_i16_sdwa vcc, v7, v19 src0_sel:BYTE_0 src1_sel:DWORD
	s_mov_b64 s[82:83], 0
                                        ; implicit-def: $sgpr84_sgpr85
                                        ; implicit-def: $sgpr74_sgpr75
                                        ; implicit-def: $vgpr66
	s_and_saveexec_b64 s[60:61], vcc
	s_xor_b64 s[72:73], exec, s[60:61]
	s_cbranch_execz .LBB14_2259
; %bb.2228:                             ;   in Loop: Header=BB14_17 Depth=1
	v_cmp_gt_i16_sdwa vcc, v7, v20 src0_sel:BYTE_0 src1_sel:DWORD
                                        ; implicit-def: $sgpr84_sgpr85
                                        ; implicit-def: $sgpr86_sgpr87
                                        ; implicit-def: $vgpr66
	s_and_saveexec_b64 s[60:61], vcc
	s_xor_b64 s[74:75], exec, s[60:61]
	s_cbranch_execz .LBB14_2244
; %bb.2229:                             ;   in Loop: Header=BB14_17 Depth=1
	v_cmp_gt_i16_sdwa s[60:61], v7, v21 src0_sel:BYTE_0 src1_sel:DWORD
	s_mov_b64 s[88:89], 0
                                        ; implicit-def: $vcc
                                        ; implicit-def: $sgpr84_sgpr85
                                        ; implicit-def: $vgpr66
	s_and_saveexec_b64 s[62:63], s[60:61]
	s_xor_b64 s[82:83], exec, s[62:63]
	s_cbranch_execz .LBB14_2239
; %bb.2230:                             ;   in Loop: Header=BB14_17 Depth=1
	v_cmp_gt_i16_sdwa vcc, v7, v22 src0_sel:BYTE_0 src1_sel:DWORD
	s_mov_b64 s[86:87], 0
                                        ; implicit-def: $sgpr84_sgpr85
                                        ; implicit-def: $sgpr88_sgpr89
                                        ; implicit-def: $vgpr66
	s_and_saveexec_b64 s[60:61], vcc
	s_xor_b64 vcc, exec, s[60:61]
	s_cbranch_execz .LBB14_2234
; %bb.2231:                             ;   in Loop: Header=BB14_17 Depth=1
	v_cmp_eq_u16_sdwa s[62:63], v7, v23 src0_sel:BYTE_0 src1_sel:DWORD
	s_mov_b64 s[84:85], 0
	s_mov_b64 s[66:67], 0
                                        ; implicit-def: $vgpr66
	s_and_saveexec_b64 s[60:61], s[62:63]
	s_cbranch_execz .LBB14_2233
; %bb.2232:                             ;   in Loop: Header=BB14_17 Depth=1
	flat_load_dword v14, v[14:15]
	s_mov_b64 s[66:67], exec
	s_waitcnt vmcnt(0) lgkmcnt(0)
	v_lshlrev_b32_e32 v66, 16, v14
.LBB14_2233:                            ;   in Loop: Header=BB14_17 Depth=1
	s_or_b64 exec, exec, s[60:61]
	s_mov_b64 s[88:89], -1
	s_and_b64 s[86:87], s[66:67], exec
                                        ; implicit-def: $vgpr14_vgpr15
.LBB14_2234:                            ;   in Loop: Header=BB14_17 Depth=1
	s_andn2_saveexec_b64 s[66:67], vcc
	s_cbranch_execz .LBB14_2238
; %bb.2235:                             ;   in Loop: Header=BB14_17 Depth=1
	v_cmp_eq_u16_sdwa s[60:61], v7, v24 src0_sel:BYTE_0 src1_sel:DWORD
	s_mov_b64 vcc, s[86:87]
                                        ; implicit-def: $vgpr66
	s_and_saveexec_b64 s[68:69], s[60:61]
	s_cbranch_execz .LBB14_2237
; %bb.2236:                             ;   in Loop: Header=BB14_17 Depth=1
	flat_load_ubyte v14, v[14:15]
	s_movk_i32 vcc_lo, 0xff
	s_waitcnt vmcnt(0) lgkmcnt(0)
	v_lshlrev_b32_e32 v15, 23, v14
	v_cmp_ne_u32_e32 vcc, vcc_lo, v14
	v_cndmask_b32_e32 v15, v25, v15, vcc
	v_cmp_ne_u32_e32 vcc, 0, v14
	v_cndmask_b32_e32 v66, v26, v15, vcc
	s_or_b64 vcc, s[86:87], exec
.LBB14_2237:                            ;   in Loop: Header=BB14_17 Depth=1
	s_or_b64 exec, exec, s[68:69]
	s_andn2_b64 s[60:61], s[86:87], exec
	s_and_b64 vcc, vcc, exec
	s_andn2_b64 s[84:85], s[84:85], exec
	s_or_b64 s[88:89], s[88:89], exec
	s_or_b64 s[86:87], s[60:61], vcc
.LBB14_2238:                            ;   in Loop: Header=BB14_17 Depth=1
	s_or_b64 exec, exec, s[66:67]
	s_and_b64 s[84:85], s[84:85], exec
	s_and_b64 vcc, s[88:89], exec
	s_and_b64 s[88:89], s[86:87], exec
                                        ; implicit-def: $vgpr14_vgpr15
.LBB14_2239:                            ;   in Loop: Header=BB14_17 Depth=1
	s_andn2_saveexec_b64 s[66:67], s[82:83]
	s_cbranch_execz .LBB14_2243
; %bb.2240:                             ;   in Loop: Header=BB14_17 Depth=1
	v_cmp_eq_u16_sdwa s[60:61], v7, v27 src0_sel:BYTE_0 src1_sel:DWORD
	s_mov_b64 s[70:71], s[88:89]
                                        ; implicit-def: $vgpr66
	s_and_saveexec_b64 s[68:69], s[60:61]
	s_cbranch_execz .LBB14_2242
; %bb.2241:                             ;   in Loop: Header=BB14_17 Depth=1
	flat_load_dwordx2 v[14:15], v[14:15]
	s_or_b64 s[70:71], s[88:89], exec
	s_waitcnt vmcnt(0) lgkmcnt(0)
	v_ffbh_u32_e32 v64, v15
	v_min_u32_e32 v64, 32, v64
	v_lshlrev_b64 v[14:15], v64, v[14:15]
	v_min_u32_e32 v14, 1, v14
	v_or_b32_e32 v14, v15, v14
	v_cvt_f32_u32_e32 v14, v14
	v_sub_u32_e32 v15, 32, v64
	v_ldexp_f32 v66, v14, v15
.LBB14_2242:                            ;   in Loop: Header=BB14_17 Depth=1
	s_or_b64 exec, exec, s[68:69]
	s_andn2_b64 s[60:61], s[88:89], exec
	s_and_b64 s[62:63], s[70:71], exec
	s_andn2_b64 s[84:85], s[84:85], exec
	s_or_b64 vcc, vcc, exec
	s_or_b64 s[88:89], s[60:61], s[62:63]
.LBB14_2243:                            ;   in Loop: Header=BB14_17 Depth=1
	s_or_b64 exec, exec, s[66:67]
	s_and_b64 s[86:87], s[84:85], exec
	s_and_b64 s[84:85], vcc, exec
	s_and_b64 s[82:83], s[88:89], exec
                                        ; implicit-def: $vgpr14_vgpr15
.LBB14_2244:                            ;   in Loop: Header=BB14_17 Depth=1
	s_andn2_saveexec_b64 s[74:75], s[74:75]
	s_cbranch_execz .LBB14_2258
; %bb.2245:                             ;   in Loop: Header=BB14_17 Depth=1
	v_cmp_gt_i16_sdwa vcc, v7, v28 src0_sel:BYTE_0 src1_sel:DWORD
                                        ; implicit-def: $vgpr66
	s_and_saveexec_b64 s[60:61], vcc
	s_xor_b64 vcc, exec, s[60:61]
	s_cbranch_execz .LBB14_2251
; %bb.2246:                             ;   in Loop: Header=BB14_17 Depth=1
	v_cmp_gt_i16_sdwa s[60:61], v7, v29 src0_sel:BYTE_0 src1_sel:DWORD
                                        ; implicit-def: $vgpr66
	s_and_saveexec_b64 s[62:63], s[60:61]
	s_xor_b64 s[60:61], exec, s[62:63]
	s_cbranch_execz .LBB14_2248
; %bb.2247:                             ;   in Loop: Header=BB14_17 Depth=1
	flat_load_dword v14, v[14:15]
	s_waitcnt vmcnt(0) lgkmcnt(0)
	v_cvt_f32_u32_e32 v66, v14
                                        ; implicit-def: $vgpr14_vgpr15
.LBB14_2248:                            ;   in Loop: Header=BB14_17 Depth=1
	s_andn2_saveexec_b64 s[60:61], s[60:61]
	s_cbranch_execz .LBB14_2250
; %bb.2249:                             ;   in Loop: Header=BB14_17 Depth=1
	flat_load_ushort v14, v[14:15]
	s_waitcnt vmcnt(0) lgkmcnt(0)
	v_cvt_f32_u32_e32 v66, v14
.LBB14_2250:                            ;   in Loop: Header=BB14_17 Depth=1
	s_or_b64 exec, exec, s[60:61]
                                        ; implicit-def: $vgpr14_vgpr15
.LBB14_2251:                            ;   in Loop: Header=BB14_17 Depth=1
	s_andn2_saveexec_b64 s[88:89], vcc
	s_cbranch_execz .LBB14_2257
; %bb.2252:                             ;   in Loop: Header=BB14_17 Depth=1
	flat_load_ubyte v14, v[14:15]
	s_movk_i32 vcc_lo, 0x7f
	s_mov_b64 s[66:67], 0
                                        ; implicit-def: $sgpr70
	s_waitcnt vmcnt(0) lgkmcnt(0)
	v_cmp_lt_i16_e32 vcc, vcc_lo, v14
	s_and_saveexec_b64 s[60:61], vcc
	s_xor_b64 s[68:69], exec, s[60:61]
	s_cbranch_execnz .LBB14_3131
; %bb.2253:                             ;   in Loop: Header=BB14_17 Depth=1
	s_or_saveexec_b64 s[68:69], s[68:69]
	v_mov_b32_e32 v66, s70
	s_xor_b64 exec, exec, s[68:69]
	s_cbranch_execnz .LBB14_3134
.LBB14_2254:                            ;   in Loop: Header=BB14_17 Depth=1
	s_or_b64 exec, exec, s[68:69]
	s_and_saveexec_b64 s[68:69], s[66:67]
	s_cbranch_execz .LBB14_2256
.LBB14_2255:                            ;   in Loop: Header=BB14_17 Depth=1
	v_lshlrev_b32_e32 v15, 24, v14
	v_and_b32_e32 v14, 0xffff, v14
	v_and_b32_e32 v64, 7, v14
	v_ffbh_u32_e32 v67, v64
	v_min_u32_e32 v67, 32, v67
	v_subrev_u32_e32 v68, 28, v67
	v_bfe_u32 v66, v14, 3, 4
	v_lshlrev_b32_e32 v14, v68, v14
	v_sub_u32_e32 v67, 29, v67
	v_and_b32_e32 v14, 7, v14
	v_cmp_eq_u32_e32 vcc, 0, v66
	v_cndmask_b32_e32 v66, v66, v67, vcc
	v_cndmask_b32_e32 v14, v64, v14, vcc
	v_lshlrev_b32_e32 v14, 20, v14
	v_and_b32_e32 v15, 0x80000000, v15
	v_lshl_add_u32 v64, v66, 23, v30
	v_or3_b32 v66, v15, v64, v14
.LBB14_2256:                            ;   in Loop: Header=BB14_17 Depth=1
	s_or_b64 exec, exec, s[68:69]
.LBB14_2257:                            ;   in Loop: Header=BB14_17 Depth=1
	s_or_b64 exec, exec, s[88:89]
	s_andn2_b64 s[86:87], s[86:87], exec
	s_andn2_b64 s[84:85], s[84:85], exec
	s_or_b64 s[82:83], s[82:83], exec
.LBB14_2258:                            ;   in Loop: Header=BB14_17 Depth=1
	s_or_b64 exec, exec, s[74:75]
	s_and_b64 s[74:75], s[86:87], exec
	s_and_b64 s[84:85], s[84:85], exec
	;; [unrolled: 1-line block ×3, first 2 shown]
                                        ; implicit-def: $vgpr14_vgpr15
.LBB14_2259:                            ;   in Loop: Header=BB14_17 Depth=1
	s_andn2_saveexec_b64 s[72:73], s[72:73]
	s_cbranch_execz .LBB14_2285
; %bb.2260:                             ;   in Loop: Header=BB14_17 Depth=1
	v_cmp_gt_i16_sdwa vcc, v7, v31 src0_sel:BYTE_0 src1_sel:DWORD
	s_mov_b64 s[88:89], s[82:83]
                                        ; implicit-def: $vgpr66
	s_and_saveexec_b64 s[60:61], vcc
	s_xor_b64 s[86:87], exec, s[60:61]
	s_cbranch_execz .LBB14_2274
; %bb.2261:                             ;   in Loop: Header=BB14_17 Depth=1
	v_cmp_gt_i16_sdwa vcc, v7, v32 src0_sel:BYTE_0 src1_sel:DWORD
                                        ; implicit-def: $vgpr66
	s_and_saveexec_b64 s[60:61], vcc
	s_xor_b64 s[88:89], exec, s[60:61]
	s_cbranch_execz .LBB14_2271
; %bb.2262:                             ;   in Loop: Header=BB14_17 Depth=1
	v_cmp_gt_i16_sdwa vcc, v7, v33 src0_sel:BYTE_0 src1_sel:DWORD
                                        ; implicit-def: $vgpr66
	s_and_saveexec_b64 s[60:61], vcc
	s_xor_b64 s[90:91], exec, s[60:61]
	s_cbranch_execz .LBB14_2268
; %bb.2263:                             ;   in Loop: Header=BB14_17 Depth=1
	flat_load_ubyte v14, v[14:15]
	s_movk_i32 vcc_lo, 0x7f
	s_mov_b64 s[66:67], 0
                                        ; implicit-def: $sgpr70
	s_waitcnt vmcnt(0) lgkmcnt(0)
	v_cmp_lt_i16_e32 vcc, vcc_lo, v14
	s_and_saveexec_b64 s[60:61], vcc
	s_xor_b64 s[68:69], exec, s[60:61]
	s_cbranch_execnz .LBB14_3350
; %bb.2264:                             ;   in Loop: Header=BB14_17 Depth=1
	s_or_saveexec_b64 s[68:69], s[68:69]
	v_mov_b32_e32 v66, s70
	s_xor_b64 exec, exec, s[68:69]
	s_cbranch_execnz .LBB14_3353
.LBB14_2265:                            ;   in Loop: Header=BB14_17 Depth=1
	s_or_b64 exec, exec, s[68:69]
	s_and_saveexec_b64 s[68:69], s[66:67]
	s_cbranch_execz .LBB14_2267
.LBB14_2266:                            ;   in Loop: Header=BB14_17 Depth=1
	v_lshlrev_b32_e32 v15, 24, v14
	v_and_b32_e32 v14, 0xffff, v14
	v_and_b32_e32 v64, 3, v14
	v_ffbh_u32_e32 v67, v64
	v_min_u32_e32 v67, 32, v67
	v_subrev_u32_e32 v68, 29, v67
	v_bfe_u32 v66, v14, 2, 5
	v_lshlrev_b32_e32 v14, v68, v14
	v_sub_u32_e32 v67, 30, v67
	v_and_b32_e32 v14, 3, v14
	v_cmp_eq_u32_e32 vcc, 0, v66
	v_cndmask_b32_e32 v66, v66, v67, vcc
	v_cndmask_b32_e32 v14, v64, v14, vcc
	v_lshlrev_b32_e32 v14, 21, v14
	v_and_b32_e32 v15, 0x80000000, v15
	v_lshl_add_u32 v64, v66, 23, v34
	v_or3_b32 v66, v15, v64, v14
.LBB14_2267:                            ;   in Loop: Header=BB14_17 Depth=1
	s_or_b64 exec, exec, s[68:69]
                                        ; implicit-def: $vgpr14_vgpr15
.LBB14_2268:                            ;   in Loop: Header=BB14_17 Depth=1
	s_andn2_saveexec_b64 s[66:67], s[90:91]
	s_cbranch_execz .LBB14_2270
; %bb.2269:                             ;   in Loop: Header=BB14_17 Depth=1
	flat_load_ubyte v14, v[14:15]
	s_mov_b32 vcc_lo, 0x7f800000
	s_waitcnt vmcnt(0) lgkmcnt(0)
	v_lshlrev_b32_e32 v14, 24, v14
	v_and_b32_e32 v15, 0x7f000000, v14
	v_ffbh_u32_e32 v64, v15
	v_min_u32_e32 v64, 32, v64
	v_sub_u32_e64 v64, v64, 4 clamp
	v_lshlrev_b32_e32 v67, v64, v15
	v_lshlrev_b32_e32 v64, 23, v64
	v_lshrrev_b32_e32 v67, 4, v67
	v_add_u32_e32 v66, 0x1000000, v15
	v_sub_u32_e32 v64, v67, v64
	v_ashrrev_i32_e32 v66, 8, v66
	v_add_u32_e32 v64, 0x3c000000, v64
	v_and_or_b32 v64, v66, vcc_lo, v64
	v_cmp_ne_u32_e32 vcc, 0, v15
	v_cndmask_b32_e32 v15, 0, v64, vcc
	s_brev_b32 vcc_lo, 1
	v_and_or_b32 v66, v14, vcc_lo, v15
.LBB14_2270:                            ;   in Loop: Header=BB14_17 Depth=1
	s_or_b64 exec, exec, s[66:67]
                                        ; implicit-def: $vgpr14_vgpr15
.LBB14_2271:                            ;   in Loop: Header=BB14_17 Depth=1
	s_andn2_saveexec_b64 s[66:67], s[88:89]
	s_cbranch_execz .LBB14_2273
; %bb.2272:                             ;   in Loop: Header=BB14_17 Depth=1
	flat_load_ubyte v14, v[14:15]
	s_movk_i32 vcc_lo, 0x7f00
	s_waitcnt vmcnt(0) lgkmcnt(0)
	v_lshlrev_b16_e32 v15, 8, v14
	v_lshlrev_b32_e32 v14, 25, v14
	v_lshrrev_b32_e32 v64, 4, v14
	v_and_or_b32 v66, v15, vcc_lo, 0.5
	v_or_b32_e32 v64, 0x70000000, v64
	s_brev_b32 vcc_lo, 16
	v_add_f32_e32 v66, -0.5, v66
	v_mul_f32_e32 v64, 0x7800000, v64
	v_cmp_gt_u32_e32 vcc, vcc_lo, v14
	v_cndmask_b32_e32 v14, v64, v66, vcc
	v_bfe_i32 v15, v15, 0, 16
	s_brev_b32 vcc_lo, 1
	v_and_or_b32 v66, v15, vcc_lo, v14
.LBB14_2273:                            ;   in Loop: Header=BB14_17 Depth=1
	s_or_b64 exec, exec, s[66:67]
	s_or_b64 s[88:89], s[82:83], exec
                                        ; implicit-def: $vgpr14_vgpr15
.LBB14_2274:                            ;   in Loop: Header=BB14_17 Depth=1
	s_or_saveexec_b64 s[86:87], s[86:87]
                                        ; implicit-def: $vcc
                                        ; implicit-def: $sgpr66_sgpr67
	s_xor_b64 exec, exec, s[86:87]
	s_cbranch_execz .LBB14_2284
; %bb.2275:                             ;   in Loop: Header=BB14_17 Depth=1
	v_cmp_gt_i16_sdwa vcc, v7, v35 src0_sel:BYTE_0 src1_sel:DWORD
	s_mov_b64 s[92:93], s[88:89]
                                        ; implicit-def: $sgpr66_sgpr67
                                        ; implicit-def: $sgpr90_sgpr91
                                        ; implicit-def: $vgpr66
	s_and_saveexec_b64 s[60:61], vcc
	s_xor_b64 vcc, exec, s[60:61]
	s_cbranch_execz .LBB14_2279
; %bb.2276:                             ;   in Loop: Header=BB14_17 Depth=1
	v_cmp_eq_u16_sdwa s[62:63], v7, v36 src0_sel:BYTE_0 src1_sel:DWORD
	s_mov_b64 s[68:69], s[88:89]
                                        ; implicit-def: $vgpr66
	s_and_saveexec_b64 s[60:61], s[62:63]
	s_cbranch_execz .LBB14_2278
; %bb.2277:                             ;   in Loop: Header=BB14_17 Depth=1
	flat_load_ushort v14, v[14:15]
	s_or_b64 s[68:69], s[88:89], exec
	s_waitcnt vmcnt(0) lgkmcnt(0)
	v_lshlrev_b32_e32 v66, 16, v14
.LBB14_2278:                            ;   in Loop: Header=BB14_17 Depth=1
	s_or_b64 exec, exec, s[60:61]
	s_andn2_b64 s[60:61], s[88:89], exec
	s_and_b64 s[62:63], s[68:69], exec
	s_mov_b64 s[90:91], -1
	s_mov_b64 s[66:67], 0
	s_or_b64 s[92:93], s[60:61], s[62:63]
                                        ; implicit-def: $vgpr14_vgpr15
.LBB14_2279:                            ;   in Loop: Header=BB14_17 Depth=1
	s_andn2_saveexec_b64 s[68:69], vcc
	s_cbranch_execz .LBB14_2283
; %bb.2280:                             ;   in Loop: Header=BB14_17 Depth=1
	v_cmp_eq_u16_sdwa s[62:63], v7, v37 src0_sel:BYTE_0 src1_sel:DWORD
	s_mov_b64 vcc, s[92:93]
                                        ; implicit-def: $vgpr66
	s_and_saveexec_b64 s[60:61], s[62:63]
	s_cbranch_execz .LBB14_2282
; %bb.2281:                             ;   in Loop: Header=BB14_17 Depth=1
	flat_load_ubyte v14, v[14:15]
	s_waitcnt vmcnt(0) lgkmcnt(0)
	v_cmp_ne_u16_e32 vcc, 0, v14
	v_cndmask_b32_e64 v66, 0, 1.0, vcc
	s_or_b64 vcc, s[92:93], exec
.LBB14_2282:                            ;   in Loop: Header=BB14_17 Depth=1
	s_or_b64 exec, exec, s[60:61]
	s_andn2_b64 s[60:61], s[92:93], exec
	s_and_b64 vcc, vcc, exec
	s_andn2_b64 s[66:67], s[66:67], exec
	s_or_b64 s[90:91], s[90:91], exec
	s_or_b64 s[92:93], s[60:61], vcc
.LBB14_2283:                            ;   in Loop: Header=BB14_17 Depth=1
	s_or_b64 exec, exec, s[68:69]
	s_andn2_b64 s[60:61], s[88:89], exec
	s_and_b64 s[62:63], s[92:93], exec
	s_and_b64 s[66:67], s[66:67], exec
	s_and_b64 vcc, s[90:91], exec
	s_or_b64 s[88:89], s[60:61], s[62:63]
.LBB14_2284:                            ;   in Loop: Header=BB14_17 Depth=1
	s_or_b64 exec, exec, s[86:87]
	s_andn2_b64 s[60:61], s[74:75], exec
	s_and_b64 s[62:63], s[66:67], exec
	s_or_b64 s[74:75], s[60:61], s[62:63]
	s_andn2_b64 s[60:61], s[84:85], exec
	s_and_b64 vcc, vcc, exec
	s_or_b64 s[84:85], s[60:61], vcc
	s_andn2_b64 vcc, s[82:83], exec
	s_and_b64 s[60:61], s[88:89], exec
	s_or_b64 s[82:83], vcc, s[60:61]
.LBB14_2285:                            ;   in Loop: Header=BB14_17 Depth=1
	s_or_b64 exec, exec, s[72:73]
	s_and_b64 s[74:75], s[74:75], exec
	s_and_b64 s[72:73], s[84:85], exec
	s_and_b64 vcc, s[82:83], exec
                                        ; implicit-def: $vgpr14_vgpr15
	s_andn2_saveexec_b64 s[80:81], s[80:81]
	s_cbranch_execz .LBB14_2110
.LBB14_2286:                            ;   in Loop: Header=BB14_17 Depth=1
	v_cmp_gt_i16_sdwa s[60:61], v7, v38 src0_sel:BYTE_0 src1_sel:DWORD
                                        ; implicit-def: $vgpr66
	s_and_saveexec_b64 s[62:63], s[60:61]
	s_xor_b64 s[82:83], exec, s[62:63]
	s_cbranch_execz .LBB14_2308
; %bb.2287:                             ;   in Loop: Header=BB14_17 Depth=1
	v_cmp_gt_i16_sdwa s[60:61], v7, v39 src0_sel:BYTE_0 src1_sel:DWORD
                                        ; implicit-def: $vgpr66
	s_and_saveexec_b64 s[62:63], s[60:61]
	s_xor_b64 s[66:67], exec, s[62:63]
	s_cbranch_execz .LBB14_2297
; %bb.2288:                             ;   in Loop: Header=BB14_17 Depth=1
	v_cmp_gt_i16_sdwa s[60:61], v7, v48 src0_sel:BYTE_0 src1_sel:DWORD
                                        ; implicit-def: $vgpr66
	s_and_saveexec_b64 s[62:63], s[60:61]
	s_xor_b64 s[68:69], exec, s[62:63]
	s_cbranch_execz .LBB14_2294
; %bb.2289:                             ;   in Loop: Header=BB14_17 Depth=1
	v_cmp_gt_i16_sdwa s[60:61], v7, v49 src0_sel:BYTE_0 src1_sel:DWORD
                                        ; implicit-def: $vgpr66
	s_and_saveexec_b64 s[62:63], s[60:61]
	s_xor_b64 s[60:61], exec, s[62:63]
	s_cbranch_execz .LBB14_2291
; %bb.2290:                             ;   in Loop: Header=BB14_17 Depth=1
	flat_load_dwordx2 v[14:15], v[14:15]
	s_waitcnt vmcnt(0) lgkmcnt(0)
	v_cvt_f32_f64_e32 v66, v[14:15]
                                        ; implicit-def: $vgpr14_vgpr15
.LBB14_2291:                            ;   in Loop: Header=BB14_17 Depth=1
	s_andn2_saveexec_b64 s[60:61], s[60:61]
	s_cbranch_execz .LBB14_2293
; %bb.2292:                             ;   in Loop: Header=BB14_17 Depth=1
	s_waitcnt vmcnt(0) lgkmcnt(0)
	flat_load_dword v66, v[14:15]
.LBB14_2293:                            ;   in Loop: Header=BB14_17 Depth=1
	s_or_b64 exec, exec, s[60:61]
                                        ; implicit-def: $vgpr14_vgpr15
.LBB14_2294:                            ;   in Loop: Header=BB14_17 Depth=1
	s_andn2_saveexec_b64 s[60:61], s[68:69]
	s_cbranch_execz .LBB14_2296
; %bb.2295:                             ;   in Loop: Header=BB14_17 Depth=1
	flat_load_dword v14, v[14:15]
	s_waitcnt vmcnt(0) lgkmcnt(0)
	v_cvt_f32_f16_e32 v66, v14
.LBB14_2296:                            ;   in Loop: Header=BB14_17 Depth=1
	s_or_b64 exec, exec, s[60:61]
                                        ; implicit-def: $vgpr14_vgpr15
.LBB14_2297:                            ;   in Loop: Header=BB14_17 Depth=1
	s_andn2_saveexec_b64 s[66:67], s[66:67]
	s_cbranch_execz .LBB14_2307
; %bb.2298:                             ;   in Loop: Header=BB14_17 Depth=1
	v_cmp_gt_i16_sdwa s[60:61], v7, v50 src0_sel:BYTE_0 src1_sel:DWORD
                                        ; implicit-def: $vgpr66
	s_and_saveexec_b64 s[62:63], s[60:61]
	s_xor_b64 s[68:69], exec, s[62:63]
	s_cbranch_execz .LBB14_2304
; %bb.2299:                             ;   in Loop: Header=BB14_17 Depth=1
	v_cmp_gt_i16_sdwa s[60:61], v7, v51 src0_sel:BYTE_0 src1_sel:DWORD
                                        ; implicit-def: $vgpr66
	s_and_saveexec_b64 s[62:63], s[60:61]
	s_xor_b64 s[60:61], exec, s[62:63]
	s_cbranch_execz .LBB14_2301
; %bb.2300:                             ;   in Loop: Header=BB14_17 Depth=1
	flat_load_dwordx2 v[14:15], v[14:15]
	s_waitcnt vmcnt(0) lgkmcnt(0)
	v_cvt_f32_f64_e32 v66, v[14:15]
                                        ; implicit-def: $vgpr14_vgpr15
.LBB14_2301:                            ;   in Loop: Header=BB14_17 Depth=1
	s_andn2_saveexec_b64 s[60:61], s[60:61]
	s_cbranch_execz .LBB14_2303
; %bb.2302:                             ;   in Loop: Header=BB14_17 Depth=1
	s_waitcnt vmcnt(0) lgkmcnt(0)
	flat_load_dword v66, v[14:15]
.LBB14_2303:                            ;   in Loop: Header=BB14_17 Depth=1
	s_or_b64 exec, exec, s[60:61]
                                        ; implicit-def: $vgpr14_vgpr15
.LBB14_2304:                            ;   in Loop: Header=BB14_17 Depth=1
	s_andn2_saveexec_b64 s[60:61], s[68:69]
	s_cbranch_execz .LBB14_2306
; %bb.2305:                             ;   in Loop: Header=BB14_17 Depth=1
	flat_load_ushort v14, v[14:15]
	s_waitcnt vmcnt(0) lgkmcnt(0)
	v_cvt_f32_f16_e32 v66, v14
.LBB14_2306:                            ;   in Loop: Header=BB14_17 Depth=1
	s_or_b64 exec, exec, s[60:61]
.LBB14_2307:                            ;   in Loop: Header=BB14_17 Depth=1
	s_or_b64 exec, exec, s[66:67]
                                        ; implicit-def: $vgpr14_vgpr15
.LBB14_2308:                            ;   in Loop: Header=BB14_17 Depth=1
	s_andn2_saveexec_b64 s[82:83], s[82:83]
	s_cbranch_execz .LBB14_2326
; %bb.2309:                             ;   in Loop: Header=BB14_17 Depth=1
	v_cmp_gt_i16_sdwa s[60:61], v7, v52 src0_sel:BYTE_0 src1_sel:DWORD
                                        ; implicit-def: $vgpr66
	s_and_saveexec_b64 s[62:63], s[60:61]
	s_xor_b64 s[84:85], exec, s[62:63]
	s_cbranch_execz .LBB14_2319
; %bb.2310:                             ;   in Loop: Header=BB14_17 Depth=1
	v_cmp_gt_i16_sdwa s[60:61], v7, v53 src0_sel:BYTE_0 src1_sel:DWORD
                                        ; implicit-def: $vgpr66
	s_and_saveexec_b64 s[62:63], s[60:61]
	s_xor_b64 s[66:67], exec, s[62:63]
	;; [unrolled: 6-line block ×3, first 2 shown]
	s_cbranch_execz .LBB14_2313
; %bb.2312:                             ;   in Loop: Header=BB14_17 Depth=1
	flat_load_dwordx2 v[14:15], v[14:15]
	s_waitcnt vmcnt(0) lgkmcnt(0)
	v_xor_b32_e32 v66, v14, v15
	v_ffbh_i32_e32 v64, v15
	v_ashrrev_i32_e32 v66, 31, v66
	v_add_u32_e32 v64, -1, v64
	v_add_u32_e32 v66, 32, v66
	v_min_u32_e32 v64, v64, v66
	v_lshlrev_b64 v[14:15], v64, v[14:15]
	v_min_u32_e32 v14, 1, v14
	v_or_b32_e32 v14, v15, v14
	v_cvt_f32_i32_e32 v14, v14
	v_sub_u32_e32 v15, 32, v64
	v_ldexp_f32 v66, v14, v15
                                        ; implicit-def: $vgpr14_vgpr15
.LBB14_2313:                            ;   in Loop: Header=BB14_17 Depth=1
	s_andn2_saveexec_b64 s[60:61], s[68:69]
	s_cbranch_execz .LBB14_2315
; %bb.2314:                             ;   in Loop: Header=BB14_17 Depth=1
	flat_load_dword v14, v[14:15]
	s_waitcnt vmcnt(0) lgkmcnt(0)
	v_cvt_f32_i32_e32 v66, v14
.LBB14_2315:                            ;   in Loop: Header=BB14_17 Depth=1
	s_or_b64 exec, exec, s[60:61]
                                        ; implicit-def: $vgpr14_vgpr15
.LBB14_2316:                            ;   in Loop: Header=BB14_17 Depth=1
	s_andn2_saveexec_b64 s[60:61], s[66:67]
	s_cbranch_execz .LBB14_2318
; %bb.2317:                             ;   in Loop: Header=BB14_17 Depth=1
	flat_load_sshort v14, v[14:15]
	s_waitcnt vmcnt(0) lgkmcnt(0)
	v_cvt_f32_i32_e32 v66, v14
.LBB14_2318:                            ;   in Loop: Header=BB14_17 Depth=1
	s_or_b64 exec, exec, s[60:61]
                                        ; implicit-def: $vgpr14_vgpr15
.LBB14_2319:                            ;   in Loop: Header=BB14_17 Depth=1
	s_andn2_saveexec_b64 s[66:67], s[84:85]
	s_cbranch_execz .LBB14_2325
; %bb.2320:                             ;   in Loop: Header=BB14_17 Depth=1
	v_cmp_gt_i16_sdwa s[60:61], v7, v16 src0_sel:BYTE_0 src1_sel:DWORD
                                        ; implicit-def: $vgpr66
	s_and_saveexec_b64 s[62:63], s[60:61]
	s_xor_b64 s[60:61], exec, s[62:63]
	s_cbranch_execz .LBB14_2322
; %bb.2321:                             ;   in Loop: Header=BB14_17 Depth=1
	flat_load_sbyte v14, v[14:15]
	s_waitcnt vmcnt(0) lgkmcnt(0)
	v_cvt_f32_i32_e32 v66, v14
                                        ; implicit-def: $vgpr14_vgpr15
.LBB14_2322:                            ;   in Loop: Header=BB14_17 Depth=1
	s_andn2_saveexec_b64 s[60:61], s[60:61]
	s_cbranch_execz .LBB14_2324
; %bb.2323:                             ;   in Loop: Header=BB14_17 Depth=1
	flat_load_ubyte v14, v[14:15]
	s_waitcnt vmcnt(0) lgkmcnt(0)
	v_cvt_f32_ubyte0_e32 v66, v14
.LBB14_2324:                            ;   in Loop: Header=BB14_17 Depth=1
	s_or_b64 exec, exec, s[60:61]
.LBB14_2325:                            ;   in Loop: Header=BB14_17 Depth=1
	s_or_b64 exec, exec, s[66:67]
.LBB14_2326:                            ;   in Loop: Header=BB14_17 Depth=1
	s_or_b64 exec, exec, s[82:83]
	s_andn2_b64 s[74:75], s[74:75], exec
	s_andn2_b64 s[72:73], s[72:73], exec
	s_or_b64 vcc, vcc, exec
	s_or_b64 exec, exec, s[80:81]
	s_mov_b64 s[66:67], 0
	s_and_saveexec_b64 s[80:81], vcc
	s_cbranch_execz .LBB14_2332
.LBB14_2327:                            ;   in Loop: Header=BB14_17 Depth=1
	v_mul_lo_u32 v14, v65, v10
	v_readlane_b32 s60, v44, 0
	v_add_co_u32_e32 v14, vcc, v4, v14
	s_waitcnt vmcnt(0) lgkmcnt(0)
	v_add_u32_e32 v64, s60, v17
	v_addc_co_u32_e32 v15, vcc, 0, v5, vcc
	v_cmp_gt_i16_sdwa s[60:61], v8, v18 src0_sel:BYTE_0 src1_sel:DWORD
	s_mov_b64 s[86:87], 0
	buffer_store_dword v66, v64, s[0:3], 0 offen offset:84
                                        ; implicit-def: $vcc
                                        ; implicit-def: $sgpr84_sgpr85
                                        ; implicit-def: $vgpr65
	s_and_saveexec_b64 s[62:63], s[60:61]
	s_xor_b64 s[82:83], exec, s[62:63]
	s_cbranch_execnz .LBB14_2354
; %bb.2328:                             ;   in Loop: Header=BB14_17 Depth=1
	s_andn2_saveexec_b64 s[82:83], s[82:83]
	s_cbranch_execnz .LBB14_2413
.LBB14_2329:                            ;   in Loop: Header=BB14_17 Depth=1
	s_or_b64 exec, exec, s[82:83]
	s_mov_b64 s[66:67], 0
	s_and_saveexec_b64 s[68:69], s[86:87]
	s_cbranch_execz .LBB14_2331
.LBB14_2330:                            ;   in Loop: Header=BB14_17 Depth=1
	s_mov_b64 s[66:67], exec
	v_add_u32_e32 v55, 0x200, v55
	s_andn2_b64 s[84:85], s[84:85], exec
	s_andn2_b64 vcc, vcc, exec
	s_waitcnt vmcnt(0) lgkmcnt(0)
	buffer_store_dword v65, v64, s[0:3], 0 offen offset:80
.LBB14_2331:                            ;   in Loop: Header=BB14_17 Depth=1
	s_or_b64 exec, exec, s[68:69]
	s_andn2_b64 s[60:61], s[74:75], exec
	s_and_b64 s[62:63], s[84:85], exec
	s_or_b64 s[74:75], s[60:61], s[62:63]
	s_andn2_b64 s[60:61], s[72:73], exec
	s_and_b64 vcc, vcc, exec
	s_or_b64 s[72:73], s[60:61], vcc
	s_and_b64 s[66:67], s[66:67], exec
.LBB14_2332:                            ;   in Loop: Header=BB14_17 Depth=1
	s_or_b64 exec, exec, s[80:81]
	s_and_b64 vcc, s[74:75], exec
	v_writelane_b32 v44, vcc_lo, 14
	v_writelane_b32 v44, vcc_hi, 15
	s_and_b64 s[62:63], s[72:73], exec
	s_orn2_b64 s[66:67], s[66:67], exec
.LBB14_2333:                            ;   in Loop: Header=BB14_17 Depth=1
	s_or_b64 exec, exec, s[76:77]
	s_mov_b64 vcc, exec
	v_writelane_b32 v44, vcc_lo, 12
	v_writelane_b32 v44, vcc_hi, 13
	s_and_b64 vcc, vcc, s[66:67]
	s_mov_b64 exec, vcc
	s_cbranch_execz .LBB14_6
; %bb.2334:                             ;   in Loop: Header=BB14_17 Depth=1
	v_writelane_b32 v44, s62, 16
	v_cmp_lt_i32_e32 vcc, v55, v6
	s_mov_b64 s[84:85], -1
	s_mov_b64 s[66:67], -1
	v_writelane_b32 v44, s63, 17
                                        ; implicit-def: $sgpr62_sgpr63
                                        ; implicit-def: $sgpr60_sgpr61
                                        ; kill: killed $sgpr60_sgpr61
	s_and_saveexec_b64 s[82:83], vcc
	s_cbranch_execz .LBB14_2560
; %bb.2335:                             ;   in Loop: Header=BB14_17 Depth=1
	v_readlane_b32 vcc_lo, v44, 1
	s_waitcnt vmcnt(0) lgkmcnt(0)
	v_add_u32_e32 v65, vcc_lo, v55
	v_mul_lo_u32 v14, v65, v9
	v_add_co_u32_e32 v14, vcc, v2, v14
	v_addc_co_u32_e32 v15, vcc, 0, v3, vcc
	v_cmp_gt_i16_sdwa s[60:61], v7, v18 src0_sel:BYTE_0 src1_sel:DWORD
	s_mov_b64 vcc, 0
                                        ; implicit-def: $sgpr78_sgpr79
                                        ; implicit-def: $sgpr80_sgpr81
                                        ; implicit-def: $vgpr66
	s_and_saveexec_b64 s[62:63], s[60:61]
	s_xor_b64 s[86:87], exec, s[62:63]
	s_cbranch_execnz .LBB14_2454
; %bb.2336:                             ;   in Loop: Header=BB14_17 Depth=1
	s_andn2_saveexec_b64 s[86:87], s[86:87]
	s_cbranch_execnz .LBB14_2513
.LBB14_2337:                            ;   in Loop: Header=BB14_17 Depth=1
	s_or_b64 exec, exec, s[86:87]
	s_mov_b64 s[66:67], 0
	s_and_saveexec_b64 s[86:87], vcc
	s_cbranch_execnz .LBB14_2554
	s_branch .LBB14_2559
.LBB14_2338:                            ;   in Loop: Header=BB14_17 Depth=1
	s_movk_i32 vcc_lo, 0x80
	v_cmp_eq_u16_e32 vcc, vcc_lo, v14
	s_mov_b64 s[68:69], -1
                                        ; implicit-def: $sgpr74
	s_and_saveexec_b64 s[72:73], vcc
; %bb.2339:                             ;   in Loop: Header=BB14_17 Depth=1
	s_mov_b32 s74, 0x7f800001
	s_xor_b64 s[68:69], exec, -1
; %bb.2340:                             ;   in Loop: Header=BB14_17 Depth=1
	s_or_b64 exec, exec, s[72:73]
	s_and_b64 s[68:69], s[68:69], exec
	s_or_saveexec_b64 s[70:71], s[70:71]
	v_mov_b32_e32 v64, s74
	s_xor_b64 exec, exec, s[70:71]
	s_cbranch_execz .LBB14_1257
.LBB14_2341:                            ;   in Loop: Header=BB14_17 Depth=1
	v_cmp_ne_u16_e32 vcc, 0, v14
	s_andn2_b64 s[68:69], s[68:69], exec
	s_and_b64 vcc, vcc, exec
	v_mov_b32_e32 v64, 0
	s_or_b64 s[68:69], s[68:69], vcc
	s_or_b64 exec, exec, s[70:71]
	s_and_saveexec_b64 s[70:71], s[68:69]
	s_cbranch_execnz .LBB14_1258
	s_branch .LBB14_1259
.LBB14_2342:                            ;   in Loop: Header=BB14_17 Depth=1
	s_movk_i32 vcc_lo, 0x80
	v_cmp_eq_u16_e32 vcc, vcc_lo, v14
	s_mov_b64 s[68:69], -1
                                        ; implicit-def: $sgpr74
	s_and_saveexec_b64 s[72:73], vcc
; %bb.2343:                             ;   in Loop: Header=BB14_17 Depth=1
	s_mov_b32 s74, 0x7f800001
	s_xor_b64 s[68:69], exec, -1
; %bb.2344:                             ;   in Loop: Header=BB14_17 Depth=1
	s_or_b64 exec, exec, s[72:73]
	s_and_b64 s[68:69], s[68:69], exec
	s_or_saveexec_b64 s[70:71], s[70:71]
	v_mov_b32_e32 v66, s74
	s_xor_b64 exec, exec, s[70:71]
	s_cbranch_execz .LBB14_1357
.LBB14_2345:                            ;   in Loop: Header=BB14_17 Depth=1
	v_cmp_ne_u16_e32 vcc, 0, v14
	s_andn2_b64 s[68:69], s[68:69], exec
	s_and_b64 vcc, vcc, exec
	v_mov_b32_e32 v66, 0
	s_or_b64 s[68:69], s[68:69], vcc
	s_or_b64 exec, exec, s[70:71]
	s_and_saveexec_b64 s[70:71], s[68:69]
	s_cbranch_execnz .LBB14_1358
	s_branch .LBB14_1359
.LBB14_2346:                            ;   in Loop: Header=BB14_17 Depth=1
	s_movk_i32 vcc_lo, 0x80
	v_cmp_eq_u16_e32 vcc, vcc_lo, v14
	s_mov_b64 s[72:73], -1
                                        ; implicit-def: $sgpr78
	s_and_saveexec_b64 s[76:77], vcc
; %bb.2347:                             ;   in Loop: Header=BB14_17 Depth=1
	s_mov_b32 s78, 0x7f800001
	s_xor_b64 s[72:73], exec, -1
; %bb.2348:                             ;   in Loop: Header=BB14_17 Depth=1
	s_or_b64 exec, exec, s[76:77]
	s_and_b64 s[72:73], s[72:73], exec
	s_or_saveexec_b64 s[74:75], s[74:75]
	v_mov_b32_e32 v64, s78
	s_xor_b64 exec, exec, s[74:75]
	s_cbranch_execz .LBB14_1473
.LBB14_2349:                            ;   in Loop: Header=BB14_17 Depth=1
	v_cmp_ne_u16_e32 vcc, 0, v14
	s_andn2_b64 s[72:73], s[72:73], exec
	s_and_b64 vcc, vcc, exec
	v_mov_b32_e32 v64, 0
	s_or_b64 s[72:73], s[72:73], vcc
	s_or_b64 exec, exec, s[74:75]
	s_and_saveexec_b64 s[74:75], s[72:73]
	s_cbranch_execnz .LBB14_1474
	s_branch .LBB14_1475
.LBB14_2350:                            ;   in Loop: Header=BB14_17 Depth=1
	s_movk_i32 vcc_lo, 0x80
	v_cmp_eq_u16_e32 vcc, vcc_lo, v14
	s_mov_b64 s[72:73], -1
                                        ; implicit-def: $sgpr78
	s_and_saveexec_b64 s[76:77], vcc
; %bb.2351:                             ;   in Loop: Header=BB14_17 Depth=1
	s_mov_b32 s78, 0x7f800001
	s_xor_b64 s[72:73], exec, -1
; %bb.2352:                             ;   in Loop: Header=BB14_17 Depth=1
	s_or_b64 exec, exec, s[76:77]
	s_and_b64 s[72:73], s[72:73], exec
	s_or_saveexec_b64 s[74:75], s[74:75]
	v_mov_b32_e32 v66, s78
	s_xor_b64 exec, exec, s[74:75]
	s_cbranch_execz .LBB14_1573
.LBB14_2353:                            ;   in Loop: Header=BB14_17 Depth=1
	v_cmp_ne_u16_e32 vcc, 0, v14
	s_andn2_b64 s[72:73], s[72:73], exec
	s_and_b64 vcc, vcc, exec
	v_mov_b32_e32 v66, 0
	s_or_b64 s[72:73], s[72:73], vcc
	s_or_b64 exec, exec, s[74:75]
	s_and_saveexec_b64 s[74:75], s[72:73]
	s_cbranch_execnz .LBB14_1574
	s_branch .LBB14_1575
.LBB14_2354:                            ;   in Loop: Header=BB14_17 Depth=1
	v_cmp_gt_i16_sdwa vcc, v8, v19 src0_sel:BYTE_0 src1_sel:DWORD
                                        ; implicit-def: $sgpr88_sgpr89
                                        ; implicit-def: $sgpr90_sgpr91
                                        ; implicit-def: $vgpr65
	s_and_saveexec_b64 s[60:61], vcc
	s_xor_b64 s[84:85], exec, s[60:61]
	s_cbranch_execz .LBB14_2386
; %bb.2355:                             ;   in Loop: Header=BB14_17 Depth=1
	v_cmp_gt_i16_sdwa vcc, v8, v20 src0_sel:BYTE_0 src1_sel:DWORD
                                        ; implicit-def: $sgpr92_sgpr93
                                        ; implicit-def: $sgpr90_sgpr91
                                        ; implicit-def: $vgpr65
	s_and_saveexec_b64 s[60:61], vcc
	s_xor_b64 s[88:89], exec, s[60:61]
	s_cbranch_execz .LBB14_2371
; %bb.2356:                             ;   in Loop: Header=BB14_17 Depth=1
	v_cmp_gt_i16_sdwa s[60:61], v8, v21 src0_sel:BYTE_0 src1_sel:DWORD
	s_mov_b64 s[94:95], 0
                                        ; implicit-def: $vcc
                                        ; implicit-def: $sgpr96_sgpr97
                                        ; implicit-def: $vgpr65
	s_and_saveexec_b64 s[62:63], s[60:61]
	s_xor_b64 s[86:87], exec, s[62:63]
	s_cbranch_execz .LBB14_2366
; %bb.2357:                             ;   in Loop: Header=BB14_17 Depth=1
	v_cmp_gt_i16_sdwa vcc, v8, v22 src0_sel:BYTE_0 src1_sel:DWORD
	s_mov_b64 s[92:93], 0
                                        ; implicit-def: $sgpr94_sgpr95
                                        ; implicit-def: $sgpr90_sgpr91
                                        ; implicit-def: $vgpr65
	s_and_saveexec_b64 s[60:61], vcc
	s_xor_b64 vcc, exec, s[60:61]
	s_cbranch_execz .LBB14_2361
; %bb.2358:                             ;   in Loop: Header=BB14_17 Depth=1
	v_cmp_eq_u16_sdwa s[62:63], v8, v23 src0_sel:BYTE_0 src1_sel:DWORD
	s_mov_b64 s[90:91], 0
                                        ; implicit-def: $vgpr65
	s_and_saveexec_b64 s[60:61], s[62:63]
	s_cbranch_execz .LBB14_2360
; %bb.2359:                             ;   in Loop: Header=BB14_17 Depth=1
	flat_load_dword v14, v[14:15]
	s_mov_b64 s[66:67], exec
	s_waitcnt vmcnt(0) lgkmcnt(0)
	v_lshlrev_b32_e32 v65, 16, v14
.LBB14_2360:                            ;   in Loop: Header=BB14_17 Depth=1
	s_or_b64 exec, exec, s[60:61]
	s_mov_b64 s[94:95], -1
	s_and_b64 s[92:93], s[66:67], exec
                                        ; implicit-def: $vgpr14_vgpr15
.LBB14_2361:                            ;   in Loop: Header=BB14_17 Depth=1
	s_andn2_saveexec_b64 s[66:67], vcc
	s_cbranch_execz .LBB14_2365
; %bb.2362:                             ;   in Loop: Header=BB14_17 Depth=1
	v_cmp_eq_u16_sdwa s[60:61], v8, v24 src0_sel:BYTE_0 src1_sel:DWORD
	s_mov_b64 vcc, s[92:93]
                                        ; implicit-def: $vgpr65
	s_and_saveexec_b64 s[68:69], s[60:61]
	s_cbranch_execz .LBB14_2364
; %bb.2363:                             ;   in Loop: Header=BB14_17 Depth=1
	flat_load_ubyte v14, v[14:15]
	s_movk_i32 vcc_lo, 0xff
	s_waitcnt vmcnt(0) lgkmcnt(0)
	v_lshlrev_b32_e32 v15, 23, v14
	v_cmp_ne_u32_e32 vcc, vcc_lo, v14
	v_cndmask_b32_e32 v15, v25, v15, vcc
	v_cmp_ne_u32_e32 vcc, 0, v14
	v_cndmask_b32_e32 v65, v26, v15, vcc
	s_or_b64 vcc, s[92:93], exec
.LBB14_2364:                            ;   in Loop: Header=BB14_17 Depth=1
	s_or_b64 exec, exec, s[68:69]
	s_andn2_b64 s[60:61], s[92:93], exec
	s_and_b64 vcc, vcc, exec
	s_or_b64 s[94:95], s[94:95], exec
	s_andn2_b64 s[90:91], s[90:91], exec
	s_or_b64 s[92:93], s[60:61], vcc
.LBB14_2365:                            ;   in Loop: Header=BB14_17 Depth=1
	s_or_b64 exec, exec, s[66:67]
	s_and_b64 s[96:97], s[94:95], exec
	s_and_b64 vcc, s[90:91], exec
	s_and_b64 s[94:95], s[92:93], exec
                                        ; implicit-def: $vgpr14_vgpr15
.LBB14_2366:                            ;   in Loop: Header=BB14_17 Depth=1
	s_andn2_saveexec_b64 s[66:67], s[86:87]
	s_cbranch_execz .LBB14_2370
; %bb.2367:                             ;   in Loop: Header=BB14_17 Depth=1
	v_cmp_eq_u16_sdwa s[60:61], v8, v27 src0_sel:BYTE_0 src1_sel:DWORD
	s_mov_b64 s[70:71], s[94:95]
                                        ; implicit-def: $vgpr65
	s_and_saveexec_b64 s[68:69], s[60:61]
	s_cbranch_execz .LBB14_2369
; %bb.2368:                             ;   in Loop: Header=BB14_17 Depth=1
	flat_load_dwordx2 v[14:15], v[14:15]
	s_or_b64 s[70:71], s[94:95], exec
	s_waitcnt vmcnt(0) lgkmcnt(0)
	v_ffbh_u32_e32 v65, v15
	v_min_u32_e32 v65, 32, v65
	v_lshlrev_b64 v[14:15], v65, v[14:15]
	v_min_u32_e32 v14, 1, v14
	v_or_b32_e32 v14, v15, v14
	v_cvt_f32_u32_e32 v14, v14
	v_sub_u32_e32 v15, 32, v65
	v_ldexp_f32 v65, v14, v15
.LBB14_2369:                            ;   in Loop: Header=BB14_17 Depth=1
	s_or_b64 exec, exec, s[68:69]
	s_andn2_b64 s[60:61], s[94:95], exec
	s_and_b64 s[62:63], s[70:71], exec
	s_or_b64 s[96:97], s[96:97], exec
	s_andn2_b64 vcc, vcc, exec
	s_or_b64 s[94:95], s[60:61], s[62:63]
.LBB14_2370:                            ;   in Loop: Header=BB14_17 Depth=1
	s_or_b64 exec, exec, s[66:67]
	s_and_b64 s[90:91], s[96:97], exec
	s_and_b64 s[92:93], vcc, exec
	s_and_b64 s[86:87], s[94:95], exec
                                        ; implicit-def: $vgpr14_vgpr15
.LBB14_2371:                            ;   in Loop: Header=BB14_17 Depth=1
	s_andn2_saveexec_b64 s[88:89], s[88:89]
	s_cbranch_execz .LBB14_2385
; %bb.2372:                             ;   in Loop: Header=BB14_17 Depth=1
	v_cmp_gt_i16_sdwa vcc, v8, v28 src0_sel:BYTE_0 src1_sel:DWORD
                                        ; implicit-def: $vgpr65
	s_and_saveexec_b64 s[60:61], vcc
	s_xor_b64 vcc, exec, s[60:61]
	s_cbranch_execz .LBB14_2378
; %bb.2373:                             ;   in Loop: Header=BB14_17 Depth=1
	v_cmp_gt_i16_sdwa s[60:61], v8, v29 src0_sel:BYTE_0 src1_sel:DWORD
                                        ; implicit-def: $vgpr65
	s_and_saveexec_b64 s[62:63], s[60:61]
	s_xor_b64 s[60:61], exec, s[62:63]
	s_cbranch_execz .LBB14_2375
; %bb.2374:                             ;   in Loop: Header=BB14_17 Depth=1
	flat_load_dword v14, v[14:15]
	s_waitcnt vmcnt(0) lgkmcnt(0)
	v_cvt_f32_u32_e32 v65, v14
                                        ; implicit-def: $vgpr14_vgpr15
.LBB14_2375:                            ;   in Loop: Header=BB14_17 Depth=1
	s_andn2_saveexec_b64 s[60:61], s[60:61]
	s_cbranch_execz .LBB14_2377
; %bb.2376:                             ;   in Loop: Header=BB14_17 Depth=1
	flat_load_ushort v14, v[14:15]
	s_waitcnt vmcnt(0) lgkmcnt(0)
	v_cvt_f32_u32_e32 v65, v14
.LBB14_2377:                            ;   in Loop: Header=BB14_17 Depth=1
	s_or_b64 exec, exec, s[60:61]
                                        ; implicit-def: $vgpr14_vgpr15
.LBB14_2378:                            ;   in Loop: Header=BB14_17 Depth=1
	s_andn2_saveexec_b64 s[94:95], vcc
	s_cbranch_execz .LBB14_2384
; %bb.2379:                             ;   in Loop: Header=BB14_17 Depth=1
	flat_load_ubyte v14, v[14:15]
	s_movk_i32 vcc_lo, 0x7f
	s_mov_b64 s[66:67], 0
                                        ; implicit-def: $sgpr70
	s_waitcnt vmcnt(0) lgkmcnt(0)
	v_cmp_lt_i16_e32 vcc, vcc_lo, v14
	s_and_saveexec_b64 s[60:61], vcc
	s_xor_b64 s[68:69], exec, s[60:61]
	s_cbranch_execnz .LBB14_3354
; %bb.2380:                             ;   in Loop: Header=BB14_17 Depth=1
	s_or_saveexec_b64 s[68:69], s[68:69]
	v_mov_b32_e32 v65, s70
	s_xor_b64 exec, exec, s[68:69]
	s_cbranch_execnz .LBB14_3357
.LBB14_2381:                            ;   in Loop: Header=BB14_17 Depth=1
	s_or_b64 exec, exec, s[68:69]
	s_and_saveexec_b64 s[68:69], s[66:67]
	s_cbranch_execz .LBB14_2383
.LBB14_2382:                            ;   in Loop: Header=BB14_17 Depth=1
	v_lshlrev_b32_e32 v15, 24, v14
	v_and_b32_e32 v14, 0xffff, v14
	v_and_b32_e32 v65, 7, v14
	v_ffbh_u32_e32 v67, v65
	v_min_u32_e32 v67, 32, v67
	v_subrev_u32_e32 v68, 28, v67
	v_bfe_u32 v66, v14, 3, 4
	v_lshlrev_b32_e32 v14, v68, v14
	v_sub_u32_e32 v67, 29, v67
	v_and_b32_e32 v14, 7, v14
	v_cmp_eq_u32_e32 vcc, 0, v66
	v_cndmask_b32_e32 v66, v66, v67, vcc
	v_cndmask_b32_e32 v14, v65, v14, vcc
	v_lshlrev_b32_e32 v14, 20, v14
	v_and_b32_e32 v15, 0x80000000, v15
	v_lshl_add_u32 v65, v66, 23, v30
	v_or3_b32 v65, v15, v65, v14
.LBB14_2383:                            ;   in Loop: Header=BB14_17 Depth=1
	s_or_b64 exec, exec, s[68:69]
.LBB14_2384:                            ;   in Loop: Header=BB14_17 Depth=1
	s_or_b64 exec, exec, s[94:95]
	s_andn2_b64 s[90:91], s[90:91], exec
	s_andn2_b64 s[92:93], s[92:93], exec
	s_or_b64 s[86:87], s[86:87], exec
.LBB14_2385:                            ;   in Loop: Header=BB14_17 Depth=1
	s_or_b64 exec, exec, s[88:89]
	s_and_b64 s[90:91], s[90:91], exec
	s_and_b64 s[88:89], s[92:93], exec
	s_and_b64 s[86:87], s[86:87], exec
                                        ; implicit-def: $vgpr14_vgpr15
.LBB14_2386:                            ;   in Loop: Header=BB14_17 Depth=1
	s_andn2_saveexec_b64 s[84:85], s[84:85]
	s_cbranch_execz .LBB14_2412
; %bb.2387:                             ;   in Loop: Header=BB14_17 Depth=1
	v_cmp_gt_i16_sdwa vcc, v8, v31 src0_sel:BYTE_0 src1_sel:DWORD
	s_mov_b64 s[94:95], s[86:87]
                                        ; implicit-def: $vgpr65
	s_and_saveexec_b64 s[60:61], vcc
	s_xor_b64 s[92:93], exec, s[60:61]
	s_cbranch_execz .LBB14_2401
; %bb.2388:                             ;   in Loop: Header=BB14_17 Depth=1
	v_cmp_gt_i16_sdwa vcc, v8, v32 src0_sel:BYTE_0 src1_sel:DWORD
                                        ; implicit-def: $vgpr65
	s_and_saveexec_b64 s[60:61], vcc
	s_xor_b64 s[94:95], exec, s[60:61]
	s_cbranch_execz .LBB14_2398
; %bb.2389:                             ;   in Loop: Header=BB14_17 Depth=1
	v_cmp_gt_i16_sdwa vcc, v8, v33 src0_sel:BYTE_0 src1_sel:DWORD
                                        ; implicit-def: $vgpr65
	s_and_saveexec_b64 s[60:61], vcc
	s_xor_b64 s[96:97], exec, s[60:61]
	s_cbranch_execz .LBB14_2395
; %bb.2390:                             ;   in Loop: Header=BB14_17 Depth=1
	flat_load_ubyte v14, v[14:15]
	s_movk_i32 vcc_lo, 0x7f
	s_mov_b64 s[66:67], 0
                                        ; implicit-def: $sgpr70
	s_waitcnt vmcnt(0) lgkmcnt(0)
	v_cmp_lt_i16_e32 vcc, vcc_lo, v14
	s_and_saveexec_b64 s[60:61], vcc
	s_xor_b64 s[68:69], exec, s[60:61]
	s_cbranch_execnz .LBB14_3470
; %bb.2391:                             ;   in Loop: Header=BB14_17 Depth=1
	s_or_saveexec_b64 s[68:69], s[68:69]
	v_mov_b32_e32 v65, s70
	s_xor_b64 exec, exec, s[68:69]
	s_cbranch_execnz .LBB14_3473
.LBB14_2392:                            ;   in Loop: Header=BB14_17 Depth=1
	s_or_b64 exec, exec, s[68:69]
	s_and_saveexec_b64 s[68:69], s[66:67]
	s_cbranch_execz .LBB14_2394
.LBB14_2393:                            ;   in Loop: Header=BB14_17 Depth=1
	v_lshlrev_b32_e32 v15, 24, v14
	v_and_b32_e32 v14, 0xffff, v14
	v_and_b32_e32 v65, 3, v14
	v_ffbh_u32_e32 v67, v65
	v_min_u32_e32 v67, 32, v67
	v_subrev_u32_e32 v68, 29, v67
	v_bfe_u32 v66, v14, 2, 5
	v_lshlrev_b32_e32 v14, v68, v14
	v_sub_u32_e32 v67, 30, v67
	v_and_b32_e32 v14, 3, v14
	v_cmp_eq_u32_e32 vcc, 0, v66
	v_cndmask_b32_e32 v66, v66, v67, vcc
	v_cndmask_b32_e32 v14, v65, v14, vcc
	v_lshlrev_b32_e32 v14, 21, v14
	v_and_b32_e32 v15, 0x80000000, v15
	v_lshl_add_u32 v65, v66, 23, v34
	v_or3_b32 v65, v15, v65, v14
.LBB14_2394:                            ;   in Loop: Header=BB14_17 Depth=1
	s_or_b64 exec, exec, s[68:69]
                                        ; implicit-def: $vgpr14_vgpr15
.LBB14_2395:                            ;   in Loop: Header=BB14_17 Depth=1
	s_andn2_saveexec_b64 s[66:67], s[96:97]
	s_cbranch_execz .LBB14_2397
; %bb.2396:                             ;   in Loop: Header=BB14_17 Depth=1
	flat_load_ubyte v14, v[14:15]
	s_mov_b32 vcc_lo, 0x7f800000
	s_waitcnt vmcnt(0) lgkmcnt(0)
	v_lshlrev_b32_e32 v14, 24, v14
	v_and_b32_e32 v15, 0x7f000000, v14
	v_ffbh_u32_e32 v65, v15
	v_min_u32_e32 v65, 32, v65
	v_sub_u32_e64 v65, v65, 4 clamp
	v_lshlrev_b32_e32 v67, v65, v15
	v_lshlrev_b32_e32 v65, 23, v65
	v_lshrrev_b32_e32 v67, 4, v67
	v_add_u32_e32 v66, 0x1000000, v15
	v_sub_u32_e32 v65, v67, v65
	v_ashrrev_i32_e32 v66, 8, v66
	v_add_u32_e32 v65, 0x3c000000, v65
	v_and_or_b32 v65, v66, vcc_lo, v65
	v_cmp_ne_u32_e32 vcc, 0, v15
	v_cndmask_b32_e32 v15, 0, v65, vcc
	s_brev_b32 vcc_lo, 1
	v_and_or_b32 v65, v14, vcc_lo, v15
.LBB14_2397:                            ;   in Loop: Header=BB14_17 Depth=1
	s_or_b64 exec, exec, s[66:67]
                                        ; implicit-def: $vgpr14_vgpr15
.LBB14_2398:                            ;   in Loop: Header=BB14_17 Depth=1
	s_andn2_saveexec_b64 s[66:67], s[94:95]
	s_cbranch_execz .LBB14_2400
; %bb.2399:                             ;   in Loop: Header=BB14_17 Depth=1
	flat_load_ubyte v14, v[14:15]
	s_movk_i32 vcc_lo, 0x7f00
	s_waitcnt vmcnt(0) lgkmcnt(0)
	v_lshlrev_b16_e32 v15, 8, v14
	v_lshlrev_b32_e32 v14, 25, v14
	v_lshrrev_b32_e32 v65, 4, v14
	v_and_or_b32 v66, v15, vcc_lo, 0.5
	v_or_b32_e32 v65, 0x70000000, v65
	s_brev_b32 vcc_lo, 16
	v_add_f32_e32 v66, -0.5, v66
	v_mul_f32_e32 v65, 0x7800000, v65
	v_cmp_gt_u32_e32 vcc, vcc_lo, v14
	v_cndmask_b32_e32 v14, v65, v66, vcc
	v_bfe_i32 v15, v15, 0, 16
	s_brev_b32 vcc_lo, 1
	v_and_or_b32 v65, v15, vcc_lo, v14
.LBB14_2400:                            ;   in Loop: Header=BB14_17 Depth=1
	s_or_b64 exec, exec, s[66:67]
	s_or_b64 s[94:95], s[86:87], exec
                                        ; implicit-def: $vgpr14_vgpr15
.LBB14_2401:                            ;   in Loop: Header=BB14_17 Depth=1
	s_or_saveexec_b64 s[92:93], s[92:93]
                                        ; implicit-def: $vcc
                                        ; implicit-def: $sgpr68_sgpr69
	s_xor_b64 exec, exec, s[92:93]
	s_cbranch_execz .LBB14_2411
; %bb.2402:                             ;   in Loop: Header=BB14_17 Depth=1
	v_cmp_gt_i16_sdwa vcc, v8, v35 src0_sel:BYTE_0 src1_sel:DWORD
	s_mov_b64 s[66:67], s[94:95]
                                        ; implicit-def: $sgpr68_sgpr69
                                        ; implicit-def: $sgpr96_sgpr97
                                        ; implicit-def: $vgpr65
	s_and_saveexec_b64 s[60:61], vcc
	s_xor_b64 vcc, exec, s[60:61]
	s_cbranch_execz .LBB14_2406
; %bb.2403:                             ;   in Loop: Header=BB14_17 Depth=1
	v_cmp_eq_u16_sdwa s[62:63], v8, v36 src0_sel:BYTE_0 src1_sel:DWORD
	s_mov_b64 s[66:67], s[94:95]
                                        ; implicit-def: $vgpr65
	s_and_saveexec_b64 s[60:61], s[62:63]
	s_cbranch_execz .LBB14_2405
; %bb.2404:                             ;   in Loop: Header=BB14_17 Depth=1
	flat_load_ushort v14, v[14:15]
	s_or_b64 s[66:67], s[94:95], exec
	s_waitcnt vmcnt(0) lgkmcnt(0)
	v_lshlrev_b32_e32 v65, 16, v14
.LBB14_2405:                            ;   in Loop: Header=BB14_17 Depth=1
	s_or_b64 exec, exec, s[60:61]
	s_andn2_b64 s[60:61], s[94:95], exec
	s_and_b64 s[62:63], s[66:67], exec
	s_mov_b64 s[96:97], 0
	s_mov_b64 s[68:69], -1
	s_or_b64 s[66:67], s[60:61], s[62:63]
                                        ; implicit-def: $vgpr14_vgpr15
.LBB14_2406:                            ;   in Loop: Header=BB14_17 Depth=1
	s_andn2_saveexec_b64 s[70:71], vcc
	s_cbranch_execz .LBB14_2410
; %bb.2407:                             ;   in Loop: Header=BB14_17 Depth=1
	v_cmp_eq_u16_sdwa s[62:63], v8, v37 src0_sel:BYTE_0 src1_sel:DWORD
	s_mov_b64 vcc, s[66:67]
                                        ; implicit-def: $vgpr65
	s_and_saveexec_b64 s[60:61], s[62:63]
	s_cbranch_execz .LBB14_2409
; %bb.2408:                             ;   in Loop: Header=BB14_17 Depth=1
	flat_load_ubyte v14, v[14:15]
	s_waitcnt vmcnt(0) lgkmcnt(0)
	v_cmp_ne_u16_e32 vcc, 0, v14
	v_cndmask_b32_e64 v65, 0, 1.0, vcc
	s_or_b64 vcc, s[66:67], exec
.LBB14_2409:                            ;   in Loop: Header=BB14_17 Depth=1
	s_or_b64 exec, exec, s[60:61]
	s_andn2_b64 s[60:61], s[66:67], exec
	s_and_b64 vcc, vcc, exec
	s_or_b64 s[68:69], s[68:69], exec
	s_andn2_b64 s[96:97], s[96:97], exec
	s_or_b64 s[66:67], s[60:61], vcc
.LBB14_2410:                            ;   in Loop: Header=BB14_17 Depth=1
	s_or_b64 exec, exec, s[70:71]
	s_andn2_b64 s[60:61], s[94:95], exec
	s_and_b64 s[62:63], s[66:67], exec
	s_and_b64 s[68:69], s[68:69], exec
	s_and_b64 vcc, s[96:97], exec
	s_or_b64 s[94:95], s[60:61], s[62:63]
.LBB14_2411:                            ;   in Loop: Header=BB14_17 Depth=1
	s_or_b64 exec, exec, s[92:93]
	s_andn2_b64 s[60:61], s[90:91], exec
	s_and_b64 s[62:63], s[68:69], exec
	s_or_b64 s[90:91], s[60:61], s[62:63]
	s_andn2_b64 s[60:61], s[88:89], exec
	s_and_b64 vcc, vcc, exec
	s_or_b64 s[88:89], s[60:61], vcc
	s_andn2_b64 vcc, s[86:87], exec
	s_and_b64 s[60:61], s[94:95], exec
	s_or_b64 s[86:87], vcc, s[60:61]
.LBB14_2412:                            ;   in Loop: Header=BB14_17 Depth=1
	s_or_b64 exec, exec, s[84:85]
	s_and_b64 s[84:85], s[90:91], exec
	s_and_b64 vcc, s[88:89], exec
	s_and_b64 s[86:87], s[86:87], exec
                                        ; implicit-def: $vgpr14_vgpr15
	s_andn2_saveexec_b64 s[82:83], s[82:83]
	s_cbranch_execz .LBB14_2329
.LBB14_2413:                            ;   in Loop: Header=BB14_17 Depth=1
	v_cmp_gt_i16_sdwa s[60:61], v8, v38 src0_sel:BYTE_0 src1_sel:DWORD
                                        ; implicit-def: $vgpr65
	s_and_saveexec_b64 s[62:63], s[60:61]
	s_xor_b64 s[88:89], exec, s[62:63]
	s_cbranch_execz .LBB14_2435
; %bb.2414:                             ;   in Loop: Header=BB14_17 Depth=1
	v_cmp_gt_i16_sdwa s[60:61], v8, v39 src0_sel:BYTE_0 src1_sel:DWORD
                                        ; implicit-def: $vgpr65
	s_and_saveexec_b64 s[62:63], s[60:61]
	s_xor_b64 s[66:67], exec, s[62:63]
	s_cbranch_execz .LBB14_2424
; %bb.2415:                             ;   in Loop: Header=BB14_17 Depth=1
	;; [unrolled: 6-line block ×4, first 2 shown]
	flat_load_dwordx2 v[14:15], v[14:15]
	s_waitcnt vmcnt(0) lgkmcnt(0)
	v_cvt_f32_f64_e32 v65, v[14:15]
                                        ; implicit-def: $vgpr14_vgpr15
.LBB14_2418:                            ;   in Loop: Header=BB14_17 Depth=1
	s_andn2_saveexec_b64 s[60:61], s[60:61]
	s_cbranch_execz .LBB14_2420
; %bb.2419:                             ;   in Loop: Header=BB14_17 Depth=1
	flat_load_dword v65, v[14:15]
.LBB14_2420:                            ;   in Loop: Header=BB14_17 Depth=1
	s_or_b64 exec, exec, s[60:61]
                                        ; implicit-def: $vgpr14_vgpr15
.LBB14_2421:                            ;   in Loop: Header=BB14_17 Depth=1
	s_andn2_saveexec_b64 s[60:61], s[68:69]
	s_cbranch_execz .LBB14_2423
; %bb.2422:                             ;   in Loop: Header=BB14_17 Depth=1
	flat_load_dword v14, v[14:15]
	s_waitcnt vmcnt(0) lgkmcnt(0)
	v_cvt_f32_f16_e32 v65, v14
.LBB14_2423:                            ;   in Loop: Header=BB14_17 Depth=1
	s_or_b64 exec, exec, s[60:61]
                                        ; implicit-def: $vgpr14_vgpr15
.LBB14_2424:                            ;   in Loop: Header=BB14_17 Depth=1
	s_andn2_saveexec_b64 s[66:67], s[66:67]
	s_cbranch_execz .LBB14_2434
; %bb.2425:                             ;   in Loop: Header=BB14_17 Depth=1
	v_cmp_gt_i16_sdwa s[60:61], v8, v50 src0_sel:BYTE_0 src1_sel:DWORD
                                        ; implicit-def: $vgpr65
	s_and_saveexec_b64 s[62:63], s[60:61]
	s_xor_b64 s[68:69], exec, s[62:63]
	s_cbranch_execz .LBB14_2431
; %bb.2426:                             ;   in Loop: Header=BB14_17 Depth=1
	v_cmp_gt_i16_sdwa s[60:61], v8, v51 src0_sel:BYTE_0 src1_sel:DWORD
                                        ; implicit-def: $vgpr65
	s_and_saveexec_b64 s[62:63], s[60:61]
	s_xor_b64 s[60:61], exec, s[62:63]
	s_cbranch_execz .LBB14_2428
; %bb.2427:                             ;   in Loop: Header=BB14_17 Depth=1
	flat_load_dwordx2 v[14:15], v[14:15]
	s_waitcnt vmcnt(0) lgkmcnt(0)
	v_cvt_f32_f64_e32 v65, v[14:15]
                                        ; implicit-def: $vgpr14_vgpr15
.LBB14_2428:                            ;   in Loop: Header=BB14_17 Depth=1
	s_andn2_saveexec_b64 s[60:61], s[60:61]
	s_cbranch_execz .LBB14_2430
; %bb.2429:                             ;   in Loop: Header=BB14_17 Depth=1
	s_waitcnt vmcnt(0) lgkmcnt(0)
	flat_load_dword v65, v[14:15]
.LBB14_2430:                            ;   in Loop: Header=BB14_17 Depth=1
	s_or_b64 exec, exec, s[60:61]
                                        ; implicit-def: $vgpr14_vgpr15
.LBB14_2431:                            ;   in Loop: Header=BB14_17 Depth=1
	s_andn2_saveexec_b64 s[60:61], s[68:69]
	s_cbranch_execz .LBB14_2433
; %bb.2432:                             ;   in Loop: Header=BB14_17 Depth=1
	flat_load_ushort v14, v[14:15]
	s_waitcnt vmcnt(0) lgkmcnt(0)
	v_cvt_f32_f16_e32 v65, v14
.LBB14_2433:                            ;   in Loop: Header=BB14_17 Depth=1
	s_or_b64 exec, exec, s[60:61]
.LBB14_2434:                            ;   in Loop: Header=BB14_17 Depth=1
	s_or_b64 exec, exec, s[66:67]
                                        ; implicit-def: $vgpr14_vgpr15
.LBB14_2435:                            ;   in Loop: Header=BB14_17 Depth=1
	s_andn2_saveexec_b64 s[88:89], s[88:89]
	s_cbranch_execz .LBB14_2453
; %bb.2436:                             ;   in Loop: Header=BB14_17 Depth=1
	v_cmp_gt_i16_sdwa s[60:61], v8, v52 src0_sel:BYTE_0 src1_sel:DWORD
                                        ; implicit-def: $vgpr65
	s_and_saveexec_b64 s[62:63], s[60:61]
	s_xor_b64 s[90:91], exec, s[62:63]
	s_cbranch_execz .LBB14_2446
; %bb.2437:                             ;   in Loop: Header=BB14_17 Depth=1
	v_cmp_gt_i16_sdwa s[60:61], v8, v53 src0_sel:BYTE_0 src1_sel:DWORD
                                        ; implicit-def: $vgpr65
	s_and_saveexec_b64 s[62:63], s[60:61]
	s_xor_b64 s[66:67], exec, s[62:63]
	;; [unrolled: 6-line block ×3, first 2 shown]
	s_cbranch_execz .LBB14_2440
; %bb.2439:                             ;   in Loop: Header=BB14_17 Depth=1
	flat_load_dwordx2 v[14:15], v[14:15]
	s_waitcnt vmcnt(0) lgkmcnt(0)
	v_xor_b32_e32 v66, v14, v15
	v_ffbh_i32_e32 v65, v15
	v_ashrrev_i32_e32 v66, 31, v66
	v_add_u32_e32 v65, -1, v65
	v_add_u32_e32 v66, 32, v66
	v_min_u32_e32 v65, v65, v66
	v_lshlrev_b64 v[14:15], v65, v[14:15]
	v_min_u32_e32 v14, 1, v14
	v_or_b32_e32 v14, v15, v14
	v_cvt_f32_i32_e32 v14, v14
	v_sub_u32_e32 v15, 32, v65
	v_ldexp_f32 v65, v14, v15
                                        ; implicit-def: $vgpr14_vgpr15
.LBB14_2440:                            ;   in Loop: Header=BB14_17 Depth=1
	s_andn2_saveexec_b64 s[60:61], s[68:69]
	s_cbranch_execz .LBB14_2442
; %bb.2441:                             ;   in Loop: Header=BB14_17 Depth=1
	flat_load_dword v14, v[14:15]
	s_waitcnt vmcnt(0) lgkmcnt(0)
	v_cvt_f32_i32_e32 v65, v14
.LBB14_2442:                            ;   in Loop: Header=BB14_17 Depth=1
	s_or_b64 exec, exec, s[60:61]
                                        ; implicit-def: $vgpr14_vgpr15
.LBB14_2443:                            ;   in Loop: Header=BB14_17 Depth=1
	s_andn2_saveexec_b64 s[60:61], s[66:67]
	s_cbranch_execz .LBB14_2445
; %bb.2444:                             ;   in Loop: Header=BB14_17 Depth=1
	flat_load_sshort v14, v[14:15]
	s_waitcnt vmcnt(0) lgkmcnt(0)
	v_cvt_f32_i32_e32 v65, v14
.LBB14_2445:                            ;   in Loop: Header=BB14_17 Depth=1
	s_or_b64 exec, exec, s[60:61]
                                        ; implicit-def: $vgpr14_vgpr15
.LBB14_2446:                            ;   in Loop: Header=BB14_17 Depth=1
	s_andn2_saveexec_b64 s[66:67], s[90:91]
	s_cbranch_execz .LBB14_2452
; %bb.2447:                             ;   in Loop: Header=BB14_17 Depth=1
	v_cmp_gt_i16_sdwa s[60:61], v8, v16 src0_sel:BYTE_0 src1_sel:DWORD
                                        ; implicit-def: $vgpr65
	s_and_saveexec_b64 s[62:63], s[60:61]
	s_xor_b64 s[60:61], exec, s[62:63]
	s_cbranch_execz .LBB14_2449
; %bb.2448:                             ;   in Loop: Header=BB14_17 Depth=1
	flat_load_sbyte v14, v[14:15]
	s_waitcnt vmcnt(0) lgkmcnt(0)
	v_cvt_f32_i32_e32 v65, v14
                                        ; implicit-def: $vgpr14_vgpr15
.LBB14_2449:                            ;   in Loop: Header=BB14_17 Depth=1
	s_andn2_saveexec_b64 s[60:61], s[60:61]
	s_cbranch_execz .LBB14_2451
; %bb.2450:                             ;   in Loop: Header=BB14_17 Depth=1
	flat_load_ubyte v14, v[14:15]
	s_waitcnt vmcnt(0) lgkmcnt(0)
	v_cvt_f32_ubyte0_e32 v65, v14
.LBB14_2451:                            ;   in Loop: Header=BB14_17 Depth=1
	s_or_b64 exec, exec, s[60:61]
.LBB14_2452:                            ;   in Loop: Header=BB14_17 Depth=1
	s_or_b64 exec, exec, s[66:67]
.LBB14_2453:                            ;   in Loop: Header=BB14_17 Depth=1
	s_or_b64 exec, exec, s[88:89]
	s_andn2_b64 s[84:85], s[84:85], exec
	s_andn2_b64 vcc, vcc, exec
	s_or_b64 s[86:87], s[86:87], exec
	s_or_b64 exec, exec, s[82:83]
	s_mov_b64 s[66:67], 0
	s_and_saveexec_b64 s[68:69], s[86:87]
	s_cbranch_execnz .LBB14_2330
	s_branch .LBB14_2331
.LBB14_2454:                            ;   in Loop: Header=BB14_17 Depth=1
	v_cmp_gt_i16_sdwa vcc, v7, v19 src0_sel:BYTE_0 src1_sel:DWORD
	s_mov_b64 s[88:89], 0
                                        ; implicit-def: $sgpr90_sgpr91
                                        ; implicit-def: $sgpr80_sgpr81
                                        ; implicit-def: $vgpr66
	s_and_saveexec_b64 s[60:61], vcc
	s_xor_b64 s[78:79], exec, s[60:61]
	s_cbranch_execz .LBB14_2486
; %bb.2455:                             ;   in Loop: Header=BB14_17 Depth=1
	v_cmp_gt_i16_sdwa vcc, v7, v20 src0_sel:BYTE_0 src1_sel:DWORD
                                        ; implicit-def: $sgpr90_sgpr91
                                        ; implicit-def: $sgpr72_sgpr73
                                        ; implicit-def: $vgpr66
	s_and_saveexec_b64 s[60:61], vcc
	s_xor_b64 s[80:81], exec, s[60:61]
	s_cbranch_execz .LBB14_2471
; %bb.2456:                             ;   in Loop: Header=BB14_17 Depth=1
	v_cmp_gt_i16_sdwa s[60:61], v7, v21 src0_sel:BYTE_0 src1_sel:DWORD
	s_mov_b64 s[74:75], 0
                                        ; implicit-def: $vcc
                                        ; implicit-def: $sgpr90_sgpr91
                                        ; implicit-def: $vgpr66
	s_and_saveexec_b64 s[62:63], s[60:61]
	s_xor_b64 s[72:73], exec, s[62:63]
	s_cbranch_execz .LBB14_2466
; %bb.2457:                             ;   in Loop: Header=BB14_17 Depth=1
	v_cmp_gt_i16_sdwa vcc, v7, v22 src0_sel:BYTE_0 src1_sel:DWORD
                                        ; implicit-def: $sgpr74_sgpr75
                                        ; implicit-def: $sgpr92_sgpr93
                                        ; implicit-def: $vgpr66
	s_and_saveexec_b64 s[60:61], vcc
	s_xor_b64 vcc, exec, s[60:61]
	s_cbranch_execz .LBB14_2461
; %bb.2458:                             ;   in Loop: Header=BB14_17 Depth=1
	v_cmp_eq_u16_sdwa s[62:63], v7, v23 src0_sel:BYTE_0 src1_sel:DWORD
	s_mov_b64 s[74:75], 0
	s_mov_b64 s[66:67], 0
                                        ; implicit-def: $vgpr66
	s_and_saveexec_b64 s[60:61], s[62:63]
	s_cbranch_execz .LBB14_2460
; %bb.2459:                             ;   in Loop: Header=BB14_17 Depth=1
	flat_load_dword v14, v[14:15]
	s_mov_b64 s[66:67], exec
	s_waitcnt vmcnt(0) lgkmcnt(0)
	v_lshlrev_b32_e32 v66, 16, v14
.LBB14_2460:                            ;   in Loop: Header=BB14_17 Depth=1
	s_or_b64 exec, exec, s[60:61]
	s_mov_b64 s[92:93], -1
	s_and_b64 s[88:89], s[66:67], exec
                                        ; implicit-def: $vgpr14_vgpr15
.LBB14_2461:                            ;   in Loop: Header=BB14_17 Depth=1
	s_andn2_saveexec_b64 s[66:67], vcc
	s_cbranch_execz .LBB14_2465
; %bb.2462:                             ;   in Loop: Header=BB14_17 Depth=1
	v_cmp_eq_u16_sdwa s[60:61], v7, v24 src0_sel:BYTE_0 src1_sel:DWORD
	s_mov_b64 vcc, s[88:89]
                                        ; implicit-def: $vgpr66
	s_and_saveexec_b64 s[68:69], s[60:61]
	s_cbranch_execz .LBB14_2464
; %bb.2463:                             ;   in Loop: Header=BB14_17 Depth=1
	flat_load_ubyte v14, v[14:15]
	s_movk_i32 vcc_lo, 0xff
	s_waitcnt vmcnt(0) lgkmcnt(0)
	v_lshlrev_b32_e32 v15, 23, v14
	v_cmp_ne_u32_e32 vcc, vcc_lo, v14
	v_cndmask_b32_e32 v15, v25, v15, vcc
	v_cmp_ne_u32_e32 vcc, 0, v14
	v_cndmask_b32_e32 v66, v26, v15, vcc
	s_or_b64 vcc, s[88:89], exec
.LBB14_2464:                            ;   in Loop: Header=BB14_17 Depth=1
	s_or_b64 exec, exec, s[68:69]
	s_andn2_b64 s[60:61], s[88:89], exec
	s_and_b64 vcc, vcc, exec
	s_andn2_b64 s[74:75], s[74:75], exec
	s_or_b64 s[92:93], s[92:93], exec
	s_or_b64 s[88:89], s[60:61], vcc
.LBB14_2465:                            ;   in Loop: Header=BB14_17 Depth=1
	s_or_b64 exec, exec, s[66:67]
	s_and_b64 s[90:91], s[74:75], exec
	s_and_b64 vcc, s[92:93], exec
	s_and_b64 s[74:75], s[88:89], exec
                                        ; implicit-def: $vgpr14_vgpr15
.LBB14_2466:                            ;   in Loop: Header=BB14_17 Depth=1
	s_andn2_saveexec_b64 s[66:67], s[72:73]
	s_cbranch_execz .LBB14_2470
; %bb.2467:                             ;   in Loop: Header=BB14_17 Depth=1
	v_cmp_eq_u16_sdwa s[60:61], v7, v27 src0_sel:BYTE_0 src1_sel:DWORD
	s_mov_b64 s[70:71], s[74:75]
                                        ; implicit-def: $vgpr66
	s_and_saveexec_b64 s[68:69], s[60:61]
	s_cbranch_execz .LBB14_2469
; %bb.2468:                             ;   in Loop: Header=BB14_17 Depth=1
	flat_load_dwordx2 v[14:15], v[14:15]
	s_or_b64 s[70:71], s[74:75], exec
	s_waitcnt vmcnt(0) lgkmcnt(0)
	v_ffbh_u32_e32 v64, v15
	v_min_u32_e32 v64, 32, v64
	v_lshlrev_b64 v[14:15], v64, v[14:15]
	v_min_u32_e32 v14, 1, v14
	v_or_b32_e32 v14, v15, v14
	v_cvt_f32_u32_e32 v14, v14
	v_sub_u32_e32 v15, 32, v64
	v_ldexp_f32 v66, v14, v15
.LBB14_2469:                            ;   in Loop: Header=BB14_17 Depth=1
	s_or_b64 exec, exec, s[68:69]
	s_andn2_b64 s[60:61], s[74:75], exec
	s_and_b64 s[62:63], s[70:71], exec
	s_andn2_b64 s[90:91], s[90:91], exec
	s_or_b64 vcc, vcc, exec
	s_or_b64 s[74:75], s[60:61], s[62:63]
.LBB14_2470:                            ;   in Loop: Header=BB14_17 Depth=1
	s_or_b64 exec, exec, s[66:67]
	s_and_b64 s[72:73], s[90:91], exec
	s_and_b64 s[90:91], vcc, exec
	s_and_b64 s[88:89], s[74:75], exec
                                        ; implicit-def: $vgpr14_vgpr15
.LBB14_2471:                            ;   in Loop: Header=BB14_17 Depth=1
	s_andn2_saveexec_b64 s[80:81], s[80:81]
	s_cbranch_execz .LBB14_2485
; %bb.2472:                             ;   in Loop: Header=BB14_17 Depth=1
	v_cmp_gt_i16_sdwa vcc, v7, v28 src0_sel:BYTE_0 src1_sel:DWORD
                                        ; implicit-def: $vgpr66
	s_and_saveexec_b64 s[60:61], vcc
	s_xor_b64 vcc, exec, s[60:61]
	s_cbranch_execz .LBB14_2478
; %bb.2473:                             ;   in Loop: Header=BB14_17 Depth=1
	v_cmp_gt_i16_sdwa s[60:61], v7, v29 src0_sel:BYTE_0 src1_sel:DWORD
                                        ; implicit-def: $vgpr66
	s_and_saveexec_b64 s[62:63], s[60:61]
	s_xor_b64 s[60:61], exec, s[62:63]
	s_cbranch_execz .LBB14_2475
; %bb.2474:                             ;   in Loop: Header=BB14_17 Depth=1
	flat_load_dword v14, v[14:15]
	s_waitcnt vmcnt(0) lgkmcnt(0)
	v_cvt_f32_u32_e32 v66, v14
                                        ; implicit-def: $vgpr14_vgpr15
.LBB14_2475:                            ;   in Loop: Header=BB14_17 Depth=1
	s_andn2_saveexec_b64 s[60:61], s[60:61]
	s_cbranch_execz .LBB14_2477
; %bb.2476:                             ;   in Loop: Header=BB14_17 Depth=1
	flat_load_ushort v14, v[14:15]
	s_waitcnt vmcnt(0) lgkmcnt(0)
	v_cvt_f32_u32_e32 v66, v14
.LBB14_2477:                            ;   in Loop: Header=BB14_17 Depth=1
	s_or_b64 exec, exec, s[60:61]
                                        ; implicit-def: $vgpr14_vgpr15
.LBB14_2478:                            ;   in Loop: Header=BB14_17 Depth=1
	s_andn2_saveexec_b64 s[74:75], vcc
	s_cbranch_execz .LBB14_2484
; %bb.2479:                             ;   in Loop: Header=BB14_17 Depth=1
	flat_load_ubyte v14, v[14:15]
	s_movk_i32 vcc_lo, 0x7f
	s_mov_b64 s[66:67], 0
                                        ; implicit-def: $sgpr70
	s_waitcnt vmcnt(0) lgkmcnt(0)
	v_cmp_lt_i16_e32 vcc, vcc_lo, v14
	s_and_saveexec_b64 s[60:61], vcc
	s_xor_b64 s[68:69], exec, s[60:61]
	s_cbranch_execnz .LBB14_3358
; %bb.2480:                             ;   in Loop: Header=BB14_17 Depth=1
	s_or_saveexec_b64 s[68:69], s[68:69]
	v_mov_b32_e32 v66, s70
	s_xor_b64 exec, exec, s[68:69]
	s_cbranch_execnz .LBB14_3361
.LBB14_2481:                            ;   in Loop: Header=BB14_17 Depth=1
	s_or_b64 exec, exec, s[68:69]
	s_and_saveexec_b64 s[68:69], s[66:67]
	s_cbranch_execz .LBB14_2483
.LBB14_2482:                            ;   in Loop: Header=BB14_17 Depth=1
	v_lshlrev_b32_e32 v15, 24, v14
	v_and_b32_e32 v14, 0xffff, v14
	v_and_b32_e32 v64, 7, v14
	v_ffbh_u32_e32 v67, v64
	v_min_u32_e32 v67, 32, v67
	v_subrev_u32_e32 v68, 28, v67
	v_bfe_u32 v66, v14, 3, 4
	v_lshlrev_b32_e32 v14, v68, v14
	v_sub_u32_e32 v67, 29, v67
	v_and_b32_e32 v14, 7, v14
	v_cmp_eq_u32_e32 vcc, 0, v66
	v_cndmask_b32_e32 v66, v66, v67, vcc
	v_cndmask_b32_e32 v14, v64, v14, vcc
	v_lshlrev_b32_e32 v14, 20, v14
	v_and_b32_e32 v15, 0x80000000, v15
	v_lshl_add_u32 v64, v66, 23, v30
	v_or3_b32 v66, v15, v64, v14
.LBB14_2483:                            ;   in Loop: Header=BB14_17 Depth=1
	s_or_b64 exec, exec, s[68:69]
.LBB14_2484:                            ;   in Loop: Header=BB14_17 Depth=1
	s_or_b64 exec, exec, s[74:75]
	s_andn2_b64 s[72:73], s[72:73], exec
	s_andn2_b64 s[90:91], s[90:91], exec
	s_or_b64 s[88:89], s[88:89], exec
.LBB14_2485:                            ;   in Loop: Header=BB14_17 Depth=1
	s_or_b64 exec, exec, s[80:81]
	s_and_b64 s[80:81], s[72:73], exec
	s_and_b64 s[90:91], s[90:91], exec
	;; [unrolled: 1-line block ×3, first 2 shown]
                                        ; implicit-def: $vgpr14_vgpr15
.LBB14_2486:                            ;   in Loop: Header=BB14_17 Depth=1
	s_andn2_saveexec_b64 s[78:79], s[78:79]
	s_cbranch_execz .LBB14_2512
; %bb.2487:                             ;   in Loop: Header=BB14_17 Depth=1
	v_cmp_gt_i16_sdwa vcc, v7, v31 src0_sel:BYTE_0 src1_sel:DWORD
	s_mov_b64 s[92:93], s[88:89]
                                        ; implicit-def: $vgpr66
	s_and_saveexec_b64 s[60:61], vcc
	s_xor_b64 s[72:73], exec, s[60:61]
	s_cbranch_execz .LBB14_2501
; %bb.2488:                             ;   in Loop: Header=BB14_17 Depth=1
	v_cmp_gt_i16_sdwa vcc, v7, v32 src0_sel:BYTE_0 src1_sel:DWORD
                                        ; implicit-def: $vgpr66
	s_and_saveexec_b64 s[60:61], vcc
	s_xor_b64 s[92:93], exec, s[60:61]
	s_cbranch_execz .LBB14_2498
; %bb.2489:                             ;   in Loop: Header=BB14_17 Depth=1
	v_cmp_gt_i16_sdwa vcc, v7, v33 src0_sel:BYTE_0 src1_sel:DWORD
                                        ; implicit-def: $vgpr66
	s_and_saveexec_b64 s[60:61], vcc
	s_xor_b64 s[74:75], exec, s[60:61]
	s_cbranch_execz .LBB14_2495
; %bb.2490:                             ;   in Loop: Header=BB14_17 Depth=1
	flat_load_ubyte v14, v[14:15]
	s_movk_i32 vcc_lo, 0x7f
	s_mov_b64 s[66:67], 0
                                        ; implicit-def: $sgpr70
	s_waitcnt vmcnt(0) lgkmcnt(0)
	v_cmp_lt_i16_e32 vcc, vcc_lo, v14
	s_and_saveexec_b64 s[60:61], vcc
	s_xor_b64 s[68:69], exec, s[60:61]
	s_cbranch_execnz .LBB14_3474
; %bb.2491:                             ;   in Loop: Header=BB14_17 Depth=1
	s_or_saveexec_b64 s[68:69], s[68:69]
	v_mov_b32_e32 v66, s70
	s_xor_b64 exec, exec, s[68:69]
	s_cbranch_execnz .LBB14_3477
.LBB14_2492:                            ;   in Loop: Header=BB14_17 Depth=1
	s_or_b64 exec, exec, s[68:69]
	s_and_saveexec_b64 s[68:69], s[66:67]
	s_cbranch_execz .LBB14_2494
.LBB14_2493:                            ;   in Loop: Header=BB14_17 Depth=1
	v_lshlrev_b32_e32 v15, 24, v14
	v_and_b32_e32 v14, 0xffff, v14
	v_and_b32_e32 v64, 3, v14
	v_ffbh_u32_e32 v67, v64
	v_min_u32_e32 v67, 32, v67
	v_subrev_u32_e32 v68, 29, v67
	v_bfe_u32 v66, v14, 2, 5
	v_lshlrev_b32_e32 v14, v68, v14
	v_sub_u32_e32 v67, 30, v67
	v_and_b32_e32 v14, 3, v14
	v_cmp_eq_u32_e32 vcc, 0, v66
	v_cndmask_b32_e32 v66, v66, v67, vcc
	v_cndmask_b32_e32 v14, v64, v14, vcc
	v_lshlrev_b32_e32 v14, 21, v14
	v_and_b32_e32 v15, 0x80000000, v15
	v_lshl_add_u32 v64, v66, 23, v34
	v_or3_b32 v66, v15, v64, v14
.LBB14_2494:                            ;   in Loop: Header=BB14_17 Depth=1
	s_or_b64 exec, exec, s[68:69]
                                        ; implicit-def: $vgpr14_vgpr15
.LBB14_2495:                            ;   in Loop: Header=BB14_17 Depth=1
	s_andn2_saveexec_b64 s[66:67], s[74:75]
	s_cbranch_execz .LBB14_2497
; %bb.2496:                             ;   in Loop: Header=BB14_17 Depth=1
	flat_load_ubyte v14, v[14:15]
	s_mov_b32 vcc_lo, 0x7f800000
	s_waitcnt vmcnt(0) lgkmcnt(0)
	v_lshlrev_b32_e32 v14, 24, v14
	v_and_b32_e32 v15, 0x7f000000, v14
	v_ffbh_u32_e32 v64, v15
	v_min_u32_e32 v64, 32, v64
	v_sub_u32_e64 v64, v64, 4 clamp
	v_lshlrev_b32_e32 v67, v64, v15
	v_lshlrev_b32_e32 v64, 23, v64
	v_lshrrev_b32_e32 v67, 4, v67
	v_add_u32_e32 v66, 0x1000000, v15
	v_sub_u32_e32 v64, v67, v64
	v_ashrrev_i32_e32 v66, 8, v66
	v_add_u32_e32 v64, 0x3c000000, v64
	v_and_or_b32 v64, v66, vcc_lo, v64
	v_cmp_ne_u32_e32 vcc, 0, v15
	v_cndmask_b32_e32 v15, 0, v64, vcc
	s_brev_b32 vcc_lo, 1
	v_and_or_b32 v66, v14, vcc_lo, v15
.LBB14_2497:                            ;   in Loop: Header=BB14_17 Depth=1
	s_or_b64 exec, exec, s[66:67]
                                        ; implicit-def: $vgpr14_vgpr15
.LBB14_2498:                            ;   in Loop: Header=BB14_17 Depth=1
	s_andn2_saveexec_b64 s[66:67], s[92:93]
	s_cbranch_execz .LBB14_2500
; %bb.2499:                             ;   in Loop: Header=BB14_17 Depth=1
	flat_load_ubyte v14, v[14:15]
	s_movk_i32 vcc_lo, 0x7f00
	s_waitcnt vmcnt(0) lgkmcnt(0)
	v_lshlrev_b16_e32 v15, 8, v14
	v_lshlrev_b32_e32 v14, 25, v14
	v_lshrrev_b32_e32 v64, 4, v14
	v_and_or_b32 v66, v15, vcc_lo, 0.5
	v_or_b32_e32 v64, 0x70000000, v64
	s_brev_b32 vcc_lo, 16
	v_add_f32_e32 v66, -0.5, v66
	v_mul_f32_e32 v64, 0x7800000, v64
	v_cmp_gt_u32_e32 vcc, vcc_lo, v14
	v_cndmask_b32_e32 v14, v64, v66, vcc
	v_bfe_i32 v15, v15, 0, 16
	s_brev_b32 vcc_lo, 1
	v_and_or_b32 v66, v15, vcc_lo, v14
.LBB14_2500:                            ;   in Loop: Header=BB14_17 Depth=1
	s_or_b64 exec, exec, s[66:67]
	s_or_b64 s[92:93], s[88:89], exec
                                        ; implicit-def: $vgpr14_vgpr15
.LBB14_2501:                            ;   in Loop: Header=BB14_17 Depth=1
	s_or_saveexec_b64 s[72:73], s[72:73]
                                        ; implicit-def: $vcc
                                        ; implicit-def: $sgpr68_sgpr69
	s_xor_b64 exec, exec, s[72:73]
	s_cbranch_execz .LBB14_2511
; %bb.2502:                             ;   in Loop: Header=BB14_17 Depth=1
	v_cmp_gt_i16_sdwa vcc, v7, v35 src0_sel:BYTE_0 src1_sel:DWORD
	s_mov_b64 s[66:67], s[92:93]
                                        ; implicit-def: $sgpr68_sgpr69
                                        ; implicit-def: $sgpr74_sgpr75
                                        ; implicit-def: $vgpr66
	s_and_saveexec_b64 s[60:61], vcc
	s_xor_b64 vcc, exec, s[60:61]
	s_cbranch_execz .LBB14_2506
; %bb.2503:                             ;   in Loop: Header=BB14_17 Depth=1
	v_cmp_eq_u16_sdwa s[62:63], v7, v36 src0_sel:BYTE_0 src1_sel:DWORD
	s_mov_b64 s[66:67], s[92:93]
                                        ; implicit-def: $vgpr66
	s_and_saveexec_b64 s[60:61], s[62:63]
	s_cbranch_execz .LBB14_2505
; %bb.2504:                             ;   in Loop: Header=BB14_17 Depth=1
	flat_load_ushort v14, v[14:15]
	s_or_b64 s[66:67], s[92:93], exec
	s_waitcnt vmcnt(0) lgkmcnt(0)
	v_lshlrev_b32_e32 v66, 16, v14
.LBB14_2505:                            ;   in Loop: Header=BB14_17 Depth=1
	s_or_b64 exec, exec, s[60:61]
	s_andn2_b64 s[60:61], s[92:93], exec
	s_and_b64 s[62:63], s[66:67], exec
	s_mov_b64 s[74:75], -1
	s_mov_b64 s[68:69], 0
	s_or_b64 s[66:67], s[60:61], s[62:63]
                                        ; implicit-def: $vgpr14_vgpr15
.LBB14_2506:                            ;   in Loop: Header=BB14_17 Depth=1
	s_andn2_saveexec_b64 s[70:71], vcc
	s_cbranch_execz .LBB14_2510
; %bb.2507:                             ;   in Loop: Header=BB14_17 Depth=1
	v_cmp_eq_u16_sdwa s[62:63], v7, v37 src0_sel:BYTE_0 src1_sel:DWORD
	s_mov_b64 vcc, s[66:67]
                                        ; implicit-def: $vgpr66
	s_and_saveexec_b64 s[60:61], s[62:63]
	s_cbranch_execz .LBB14_2509
; %bb.2508:                             ;   in Loop: Header=BB14_17 Depth=1
	flat_load_ubyte v14, v[14:15]
	s_waitcnt vmcnt(0) lgkmcnt(0)
	v_cmp_ne_u16_e32 vcc, 0, v14
	v_cndmask_b32_e64 v66, 0, 1.0, vcc
	s_or_b64 vcc, s[66:67], exec
.LBB14_2509:                            ;   in Loop: Header=BB14_17 Depth=1
	s_or_b64 exec, exec, s[60:61]
	s_andn2_b64 s[60:61], s[66:67], exec
	s_and_b64 vcc, vcc, exec
	s_andn2_b64 s[68:69], s[68:69], exec
	s_or_b64 s[74:75], s[74:75], exec
	s_or_b64 s[66:67], s[60:61], vcc
.LBB14_2510:                            ;   in Loop: Header=BB14_17 Depth=1
	s_or_b64 exec, exec, s[70:71]
	s_andn2_b64 s[60:61], s[92:93], exec
	s_and_b64 s[62:63], s[66:67], exec
	s_and_b64 s[68:69], s[68:69], exec
	s_and_b64 vcc, s[74:75], exec
	s_or_b64 s[92:93], s[60:61], s[62:63]
.LBB14_2511:                            ;   in Loop: Header=BB14_17 Depth=1
	s_or_b64 exec, exec, s[72:73]
	s_andn2_b64 s[60:61], s[80:81], exec
	s_and_b64 s[62:63], s[68:69], exec
	s_or_b64 s[80:81], s[60:61], s[62:63]
	s_andn2_b64 s[60:61], s[90:91], exec
	s_and_b64 vcc, vcc, exec
	s_or_b64 s[90:91], s[60:61], vcc
	s_andn2_b64 vcc, s[88:89], exec
	s_and_b64 s[60:61], s[92:93], exec
	s_or_b64 s[88:89], vcc, s[60:61]
.LBB14_2512:                            ;   in Loop: Header=BB14_17 Depth=1
	s_or_b64 exec, exec, s[78:79]
	s_and_b64 s[80:81], s[80:81], exec
	s_and_b64 s[78:79], s[90:91], exec
	s_and_b64 vcc, s[88:89], exec
                                        ; implicit-def: $vgpr14_vgpr15
	s_andn2_saveexec_b64 s[86:87], s[86:87]
	s_cbranch_execz .LBB14_2337
.LBB14_2513:                            ;   in Loop: Header=BB14_17 Depth=1
	v_cmp_gt_i16_sdwa s[60:61], v7, v38 src0_sel:BYTE_0 src1_sel:DWORD
                                        ; implicit-def: $vgpr66
	s_and_saveexec_b64 s[62:63], s[60:61]
	s_xor_b64 s[72:73], exec, s[62:63]
	s_cbranch_execz .LBB14_2535
; %bb.2514:                             ;   in Loop: Header=BB14_17 Depth=1
	v_cmp_gt_i16_sdwa s[60:61], v7, v39 src0_sel:BYTE_0 src1_sel:DWORD
                                        ; implicit-def: $vgpr66
	s_and_saveexec_b64 s[62:63], s[60:61]
	s_xor_b64 s[66:67], exec, s[62:63]
	s_cbranch_execz .LBB14_2524
; %bb.2515:                             ;   in Loop: Header=BB14_17 Depth=1
	;; [unrolled: 6-line block ×4, first 2 shown]
	flat_load_dwordx2 v[14:15], v[14:15]
	s_waitcnt vmcnt(0) lgkmcnt(0)
	v_cvt_f32_f64_e32 v66, v[14:15]
                                        ; implicit-def: $vgpr14_vgpr15
.LBB14_2518:                            ;   in Loop: Header=BB14_17 Depth=1
	s_andn2_saveexec_b64 s[60:61], s[60:61]
	s_cbranch_execz .LBB14_2520
; %bb.2519:                             ;   in Loop: Header=BB14_17 Depth=1
	flat_load_dword v66, v[14:15]
.LBB14_2520:                            ;   in Loop: Header=BB14_17 Depth=1
	s_or_b64 exec, exec, s[60:61]
                                        ; implicit-def: $vgpr14_vgpr15
.LBB14_2521:                            ;   in Loop: Header=BB14_17 Depth=1
	s_andn2_saveexec_b64 s[60:61], s[68:69]
	s_cbranch_execz .LBB14_2523
; %bb.2522:                             ;   in Loop: Header=BB14_17 Depth=1
	flat_load_dword v14, v[14:15]
	s_waitcnt vmcnt(0) lgkmcnt(0)
	v_cvt_f32_f16_e32 v66, v14
.LBB14_2523:                            ;   in Loop: Header=BB14_17 Depth=1
	s_or_b64 exec, exec, s[60:61]
                                        ; implicit-def: $vgpr14_vgpr15
.LBB14_2524:                            ;   in Loop: Header=BB14_17 Depth=1
	s_andn2_saveexec_b64 s[66:67], s[66:67]
	s_cbranch_execz .LBB14_2534
; %bb.2525:                             ;   in Loop: Header=BB14_17 Depth=1
	v_cmp_gt_i16_sdwa s[60:61], v7, v50 src0_sel:BYTE_0 src1_sel:DWORD
                                        ; implicit-def: $vgpr66
	s_and_saveexec_b64 s[62:63], s[60:61]
	s_xor_b64 s[68:69], exec, s[62:63]
	s_cbranch_execz .LBB14_2531
; %bb.2526:                             ;   in Loop: Header=BB14_17 Depth=1
	v_cmp_gt_i16_sdwa s[60:61], v7, v51 src0_sel:BYTE_0 src1_sel:DWORD
                                        ; implicit-def: $vgpr66
	s_and_saveexec_b64 s[62:63], s[60:61]
	s_xor_b64 s[60:61], exec, s[62:63]
	s_cbranch_execz .LBB14_2528
; %bb.2527:                             ;   in Loop: Header=BB14_17 Depth=1
	flat_load_dwordx2 v[14:15], v[14:15]
	s_waitcnt vmcnt(0) lgkmcnt(0)
	v_cvt_f32_f64_e32 v66, v[14:15]
                                        ; implicit-def: $vgpr14_vgpr15
.LBB14_2528:                            ;   in Loop: Header=BB14_17 Depth=1
	s_andn2_saveexec_b64 s[60:61], s[60:61]
	s_cbranch_execz .LBB14_2530
; %bb.2529:                             ;   in Loop: Header=BB14_17 Depth=1
	s_waitcnt vmcnt(0) lgkmcnt(0)
	flat_load_dword v66, v[14:15]
.LBB14_2530:                            ;   in Loop: Header=BB14_17 Depth=1
	s_or_b64 exec, exec, s[60:61]
                                        ; implicit-def: $vgpr14_vgpr15
.LBB14_2531:                            ;   in Loop: Header=BB14_17 Depth=1
	s_andn2_saveexec_b64 s[60:61], s[68:69]
	s_cbranch_execz .LBB14_2533
; %bb.2532:                             ;   in Loop: Header=BB14_17 Depth=1
	flat_load_ushort v14, v[14:15]
	s_waitcnt vmcnt(0) lgkmcnt(0)
	v_cvt_f32_f16_e32 v66, v14
.LBB14_2533:                            ;   in Loop: Header=BB14_17 Depth=1
	s_or_b64 exec, exec, s[60:61]
.LBB14_2534:                            ;   in Loop: Header=BB14_17 Depth=1
	s_or_b64 exec, exec, s[66:67]
                                        ; implicit-def: $vgpr14_vgpr15
.LBB14_2535:                            ;   in Loop: Header=BB14_17 Depth=1
	s_andn2_saveexec_b64 s[72:73], s[72:73]
	s_cbranch_execz .LBB14_2553
; %bb.2536:                             ;   in Loop: Header=BB14_17 Depth=1
	v_cmp_gt_i16_sdwa s[60:61], v7, v52 src0_sel:BYTE_0 src1_sel:DWORD
                                        ; implicit-def: $vgpr66
	s_and_saveexec_b64 s[62:63], s[60:61]
	s_xor_b64 s[74:75], exec, s[62:63]
	s_cbranch_execz .LBB14_2546
; %bb.2537:                             ;   in Loop: Header=BB14_17 Depth=1
	v_cmp_gt_i16_sdwa s[60:61], v7, v53 src0_sel:BYTE_0 src1_sel:DWORD
                                        ; implicit-def: $vgpr66
	s_and_saveexec_b64 s[62:63], s[60:61]
	s_xor_b64 s[66:67], exec, s[62:63]
	;; [unrolled: 6-line block ×3, first 2 shown]
	s_cbranch_execz .LBB14_2540
; %bb.2539:                             ;   in Loop: Header=BB14_17 Depth=1
	flat_load_dwordx2 v[14:15], v[14:15]
	s_waitcnt vmcnt(0) lgkmcnt(0)
	v_xor_b32_e32 v66, v14, v15
	v_ffbh_i32_e32 v64, v15
	v_ashrrev_i32_e32 v66, 31, v66
	v_add_u32_e32 v64, -1, v64
	v_add_u32_e32 v66, 32, v66
	v_min_u32_e32 v64, v64, v66
	v_lshlrev_b64 v[14:15], v64, v[14:15]
	v_min_u32_e32 v14, 1, v14
	v_or_b32_e32 v14, v15, v14
	v_cvt_f32_i32_e32 v14, v14
	v_sub_u32_e32 v15, 32, v64
	v_ldexp_f32 v66, v14, v15
                                        ; implicit-def: $vgpr14_vgpr15
.LBB14_2540:                            ;   in Loop: Header=BB14_17 Depth=1
	s_andn2_saveexec_b64 s[60:61], s[68:69]
	s_cbranch_execz .LBB14_2542
; %bb.2541:                             ;   in Loop: Header=BB14_17 Depth=1
	flat_load_dword v14, v[14:15]
	s_waitcnt vmcnt(0) lgkmcnt(0)
	v_cvt_f32_i32_e32 v66, v14
.LBB14_2542:                            ;   in Loop: Header=BB14_17 Depth=1
	s_or_b64 exec, exec, s[60:61]
                                        ; implicit-def: $vgpr14_vgpr15
.LBB14_2543:                            ;   in Loop: Header=BB14_17 Depth=1
	s_andn2_saveexec_b64 s[60:61], s[66:67]
	s_cbranch_execz .LBB14_2545
; %bb.2544:                             ;   in Loop: Header=BB14_17 Depth=1
	flat_load_sshort v14, v[14:15]
	s_waitcnt vmcnt(0) lgkmcnt(0)
	v_cvt_f32_i32_e32 v66, v14
.LBB14_2545:                            ;   in Loop: Header=BB14_17 Depth=1
	s_or_b64 exec, exec, s[60:61]
                                        ; implicit-def: $vgpr14_vgpr15
.LBB14_2546:                            ;   in Loop: Header=BB14_17 Depth=1
	s_andn2_saveexec_b64 s[66:67], s[74:75]
	s_cbranch_execz .LBB14_2552
; %bb.2547:                             ;   in Loop: Header=BB14_17 Depth=1
	v_cmp_gt_i16_sdwa s[60:61], v7, v16 src0_sel:BYTE_0 src1_sel:DWORD
                                        ; implicit-def: $vgpr66
	s_and_saveexec_b64 s[62:63], s[60:61]
	s_xor_b64 s[60:61], exec, s[62:63]
	s_cbranch_execz .LBB14_2549
; %bb.2548:                             ;   in Loop: Header=BB14_17 Depth=1
	flat_load_sbyte v14, v[14:15]
	s_waitcnt vmcnt(0) lgkmcnt(0)
	v_cvt_f32_i32_e32 v66, v14
                                        ; implicit-def: $vgpr14_vgpr15
.LBB14_2549:                            ;   in Loop: Header=BB14_17 Depth=1
	s_andn2_saveexec_b64 s[60:61], s[60:61]
	s_cbranch_execz .LBB14_2551
; %bb.2550:                             ;   in Loop: Header=BB14_17 Depth=1
	flat_load_ubyte v14, v[14:15]
	s_waitcnt vmcnt(0) lgkmcnt(0)
	v_cvt_f32_ubyte0_e32 v66, v14
.LBB14_2551:                            ;   in Loop: Header=BB14_17 Depth=1
	s_or_b64 exec, exec, s[60:61]
.LBB14_2552:                            ;   in Loop: Header=BB14_17 Depth=1
	s_or_b64 exec, exec, s[66:67]
.LBB14_2553:                            ;   in Loop: Header=BB14_17 Depth=1
	s_or_b64 exec, exec, s[72:73]
	s_andn2_b64 s[80:81], s[80:81], exec
	s_andn2_b64 s[78:79], s[78:79], exec
	s_or_b64 vcc, vcc, exec
	s_or_b64 exec, exec, s[86:87]
	s_mov_b64 s[66:67], 0
	s_and_saveexec_b64 s[86:87], vcc
	s_cbranch_execz .LBB14_2559
.LBB14_2554:                            ;   in Loop: Header=BB14_17 Depth=1
	v_mul_lo_u32 v14, v65, v10
	v_readlane_b32 s60, v44, 0
	v_add_co_u32_e32 v14, vcc, v4, v14
	v_add_u32_e32 v64, s60, v17
	v_addc_co_u32_e32 v15, vcc, 0, v5, vcc
	v_cmp_gt_i16_sdwa s[60:61], v8, v18 src0_sel:BYTE_0 src1_sel:DWORD
	s_mov_b64 s[92:93], 0
	s_waitcnt vmcnt(0) lgkmcnt(0)
	buffer_store_dword v66, v64, s[0:3], 0 offen offset:92
                                        ; implicit-def: $vcc
                                        ; implicit-def: $sgpr90_sgpr91
                                        ; implicit-def: $vgpr65
	s_and_saveexec_b64 s[62:63], s[60:61]
	s_xor_b64 s[88:89], exec, s[62:63]
	s_cbranch_execnz .LBB14_2581
; %bb.2555:                             ;   in Loop: Header=BB14_17 Depth=1
	s_andn2_saveexec_b64 s[88:89], s[88:89]
	s_cbranch_execnz .LBB14_2640
.LBB14_2556:                            ;   in Loop: Header=BB14_17 Depth=1
	s_or_b64 exec, exec, s[88:89]
	s_mov_b64 s[66:67], 0
	s_and_saveexec_b64 s[68:69], s[92:93]
	s_cbranch_execz .LBB14_2558
.LBB14_2557:                            ;   in Loop: Header=BB14_17 Depth=1
	s_mov_b64 s[66:67], exec
	v_add_u32_e32 v55, 0x200, v55
	s_andn2_b64 s[90:91], s[90:91], exec
	s_andn2_b64 vcc, vcc, exec
	s_waitcnt vmcnt(0) lgkmcnt(0)
	buffer_store_dword v65, v64, s[0:3], 0 offen offset:88
.LBB14_2558:                            ;   in Loop: Header=BB14_17 Depth=1
	s_or_b64 exec, exec, s[68:69]
	s_andn2_b64 s[60:61], s[80:81], exec
	s_and_b64 s[62:63], s[90:91], exec
	s_or_b64 s[80:81], s[60:61], s[62:63]
	s_andn2_b64 s[60:61], s[78:79], exec
	s_and_b64 vcc, vcc, exec
	s_or_b64 s[78:79], s[60:61], vcc
	s_and_b64 s[66:67], s[66:67], exec
.LBB14_2559:                            ;   in Loop: Header=BB14_17 Depth=1
	s_or_b64 exec, exec, s[86:87]
	s_and_b64 vcc, s[80:81], exec
	v_writelane_b32 v44, vcc_lo, 18
	v_writelane_b32 v44, vcc_hi, 19
	s_and_b64 s[62:63], s[78:79], exec
	s_orn2_b64 s[66:67], s[66:67], exec
.LBB14_2560:                            ;   in Loop: Header=BB14_17 Depth=1
	s_or_b64 exec, exec, s[82:83]
	s_and_saveexec_b64 s[82:83], s[66:67]
	s_cbranch_execz .LBB14_5
; %bb.2561:                             ;   in Loop: Header=BB14_17 Depth=1
	v_writelane_b32 v44, s62, 20
	v_cmp_lt_i32_e32 vcc, v55, v6
	s_mov_b64 s[90:91], -1
	s_mov_b64 s[66:67], -1
	v_writelane_b32 v44, s63, 21
                                        ; implicit-def: $sgpr62_sgpr63
                                        ; implicit-def: $sgpr60_sgpr61
                                        ; kill: killed $sgpr60_sgpr61
	s_and_saveexec_b64 s[88:89], vcc
	s_cbranch_execz .LBB14_2887
; %bb.2562:                             ;   in Loop: Header=BB14_17 Depth=1
	v_readlane_b32 vcc_lo, v44, 1
	s_waitcnt vmcnt(0) lgkmcnt(0)
	v_add_u32_e32 v65, vcc_lo, v55
	v_mul_lo_u32 v14, v65, v9
	v_add_co_u32_e32 v14, vcc, v2, v14
	v_addc_co_u32_e32 v15, vcc, 0, v3, vcc
	v_cmp_gt_i16_sdwa s[60:61], v7, v18 src0_sel:BYTE_0 src1_sel:DWORD
	s_mov_b64 vcc, 0
                                        ; implicit-def: $sgpr84_sgpr85
                                        ; implicit-def: $sgpr86_sgpr87
                                        ; implicit-def: $vgpr66
	s_and_saveexec_b64 s[62:63], s[60:61]
	s_xor_b64 s[92:93], exec, s[62:63]
	s_cbranch_execnz .LBB14_2681
; %bb.2563:                             ;   in Loop: Header=BB14_17 Depth=1
	s_andn2_saveexec_b64 s[78:79], s[92:93]
	s_cbranch_execnz .LBB14_2740
.LBB14_2564:                            ;   in Loop: Header=BB14_17 Depth=1
	s_or_b64 exec, exec, s[78:79]
	s_mov_b64 s[66:67], 0
	s_and_saveexec_b64 s[92:93], vcc
	s_cbranch_execnz .LBB14_2781
	s_branch .LBB14_2886
.LBB14_2565:                            ;   in Loop: Header=BB14_17 Depth=1
	s_movk_i32 vcc_lo, 0x80
	v_cmp_eq_u16_e32 vcc, vcc_lo, v14
	s_mov_b64 s[74:75], -1
                                        ; implicit-def: $sgpr80
	s_and_saveexec_b64 s[78:79], vcc
; %bb.2566:                             ;   in Loop: Header=BB14_17 Depth=1
	s_mov_b32 s80, 0x7f800001
	s_xor_b64 s[74:75], exec, -1
; %bb.2567:                             ;   in Loop: Header=BB14_17 Depth=1
	s_or_b64 exec, exec, s[78:79]
	s_and_b64 s[74:75], s[74:75], exec
	s_or_saveexec_b64 s[76:77], s[76:77]
	v_mov_b32_e32 v64, s80
	s_xor_b64 exec, exec, s[76:77]
	s_cbranch_execz .LBB14_1484
.LBB14_2568:                            ;   in Loop: Header=BB14_17 Depth=1
	v_cmp_ne_u16_e32 vcc, 0, v14
	s_andn2_b64 s[74:75], s[74:75], exec
	s_and_b64 vcc, vcc, exec
	v_mov_b32_e32 v64, 0
	s_or_b64 s[74:75], s[74:75], vcc
	s_or_b64 exec, exec, s[76:77]
	s_and_saveexec_b64 s[76:77], s[74:75]
	s_cbranch_execnz .LBB14_1485
	s_branch .LBB14_1486
.LBB14_2569:                            ;   in Loop: Header=BB14_17 Depth=1
	s_movk_i32 vcc_lo, 0x80
	v_cmp_eq_u16_e32 vcc, vcc_lo, v14
	s_mov_b64 s[74:75], -1
                                        ; implicit-def: $sgpr80
	s_and_saveexec_b64 s[78:79], vcc
; %bb.2570:                             ;   in Loop: Header=BB14_17 Depth=1
	s_mov_b32 s80, 0x7f800001
	s_xor_b64 s[74:75], exec, -1
; %bb.2571:                             ;   in Loop: Header=BB14_17 Depth=1
	s_or_b64 exec, exec, s[78:79]
	s_and_b64 s[74:75], s[74:75], exec
	s_or_saveexec_b64 s[76:77], s[76:77]
	v_mov_b32_e32 v66, s80
	s_xor_b64 exec, exec, s[76:77]
	s_cbranch_execz .LBB14_1584
.LBB14_2572:                            ;   in Loop: Header=BB14_17 Depth=1
	v_cmp_ne_u16_e32 vcc, 0, v14
	s_andn2_b64 s[74:75], s[74:75], exec
	s_and_b64 vcc, vcc, exec
	v_mov_b32_e32 v66, 0
	s_or_b64 s[74:75], s[74:75], vcc
	s_or_b64 exec, exec, s[76:77]
	s_and_saveexec_b64 s[76:77], s[74:75]
	s_cbranch_execnz .LBB14_1585
	s_branch .LBB14_1586
.LBB14_2573:                            ;   in Loop: Header=BB14_17 Depth=1
	s_movk_i32 vcc_lo, 0x80
	v_cmp_eq_u16_e32 vcc, vcc_lo, v14
	s_mov_b64 s[78:79], -1
                                        ; implicit-def: $sgpr84
	s_and_saveexec_b64 s[82:83], vcc
; %bb.2574:                             ;   in Loop: Header=BB14_17 Depth=1
	s_mov_b32 s84, 0x7f800001
	s_xor_b64 s[78:79], exec, -1
; %bb.2575:                             ;   in Loop: Header=BB14_17 Depth=1
	s_or_b64 exec, exec, s[82:83]
	s_and_b64 s[78:79], s[78:79], exec
	s_or_saveexec_b64 s[80:81], s[80:81]
	v_mov_b32_e32 v64, s84
	s_xor_b64 exec, exec, s[80:81]
	s_cbranch_execz .LBB14_1700
.LBB14_2576:                            ;   in Loop: Header=BB14_17 Depth=1
	v_cmp_ne_u16_e32 vcc, 0, v14
	s_andn2_b64 s[78:79], s[78:79], exec
	s_and_b64 vcc, vcc, exec
	v_mov_b32_e32 v64, 0
	s_or_b64 s[78:79], s[78:79], vcc
	s_or_b64 exec, exec, s[80:81]
	s_and_saveexec_b64 s[80:81], s[78:79]
	s_cbranch_execnz .LBB14_1701
	s_branch .LBB14_1702
.LBB14_2577:                            ;   in Loop: Header=BB14_17 Depth=1
	s_movk_i32 vcc_lo, 0x80
	v_cmp_eq_u16_e32 vcc, vcc_lo, v14
	s_mov_b64 s[78:79], -1
                                        ; implicit-def: $sgpr84
	s_and_saveexec_b64 s[82:83], vcc
; %bb.2578:                             ;   in Loop: Header=BB14_17 Depth=1
	s_mov_b32 s84, 0x7f800001
	s_xor_b64 s[78:79], exec, -1
; %bb.2579:                             ;   in Loop: Header=BB14_17 Depth=1
	s_or_b64 exec, exec, s[82:83]
	s_and_b64 s[78:79], s[78:79], exec
	s_or_saveexec_b64 s[80:81], s[80:81]
	v_mov_b32_e32 v66, s84
	s_xor_b64 exec, exec, s[80:81]
	s_cbranch_execz .LBB14_1800
.LBB14_2580:                            ;   in Loop: Header=BB14_17 Depth=1
	v_cmp_ne_u16_e32 vcc, 0, v14
	s_andn2_b64 s[78:79], s[78:79], exec
	s_and_b64 vcc, vcc, exec
	v_mov_b32_e32 v66, 0
	s_or_b64 s[78:79], s[78:79], vcc
	s_or_b64 exec, exec, s[80:81]
	s_and_saveexec_b64 s[80:81], s[78:79]
	s_cbranch_execnz .LBB14_1801
	s_branch .LBB14_1802
.LBB14_2581:                            ;   in Loop: Header=BB14_17 Depth=1
	v_cmp_gt_i16_sdwa vcc, v8, v19 src0_sel:BYTE_0 src1_sel:DWORD
	s_mov_b64 s[74:75], 0
                                        ; implicit-def: $sgpr94_sgpr95
                                        ; implicit-def: $sgpr96_sgpr97
                                        ; implicit-def: $vgpr65
	s_and_saveexec_b64 s[60:61], vcc
	s_xor_b64 s[90:91], exec, s[60:61]
	s_cbranch_execz .LBB14_2613
; %bb.2582:                             ;   in Loop: Header=BB14_17 Depth=1
	v_cmp_gt_i16_sdwa vcc, v8, v20 src0_sel:BYTE_0 src1_sel:DWORD
                                        ; implicit-def: $sgpr72_sgpr73
                                        ; implicit-def: $sgpr96_sgpr97
                                        ; implicit-def: $vgpr65
	s_and_saveexec_b64 s[60:61], vcc
	s_xor_b64 s[94:95], exec, s[60:61]
	s_cbranch_execz .LBB14_2598
; %bb.2583:                             ;   in Loop: Header=BB14_17 Depth=1
	v_cmp_gt_i16_sdwa s[60:61], v8, v21 src0_sel:BYTE_0 src1_sel:DWORD
                                        ; implicit-def: $vcc
                                        ; implicit-def: $sgpr96_sgpr97
                                        ; implicit-def: $vgpr65
	s_and_saveexec_b64 s[62:63], s[60:61]
	s_xor_b64 s[72:73], exec, s[62:63]
	s_cbranch_execz .LBB14_2593
; %bb.2584:                             ;   in Loop: Header=BB14_17 Depth=1
	v_cmp_gt_i16_sdwa vcc, v8, v22 src0_sel:BYTE_0 src1_sel:DWORD
                                        ; implicit-def: $sgpr96_sgpr97
                                        ; implicit-def: $sgpr74_sgpr75
                                        ; implicit-def: $vgpr65
	s_and_saveexec_b64 s[60:61], vcc
	s_xor_b64 vcc, exec, s[60:61]
	s_cbranch_execz .LBB14_2588
; %bb.2585:                             ;   in Loop: Header=BB14_17 Depth=1
	v_cmp_eq_u16_sdwa s[62:63], v8, v23 src0_sel:BYTE_0 src1_sel:DWORD
	s_mov_b64 s[74:75], 0
                                        ; implicit-def: $vgpr65
	s_and_saveexec_b64 s[60:61], s[62:63]
	s_cbranch_execz .LBB14_2587
; %bb.2586:                             ;   in Loop: Header=BB14_17 Depth=1
	flat_load_dword v14, v[14:15]
	s_mov_b64 s[66:67], exec
	s_waitcnt vmcnt(0) lgkmcnt(0)
	v_lshlrev_b32_e32 v65, 16, v14
.LBB14_2587:                            ;   in Loop: Header=BB14_17 Depth=1
	s_or_b64 exec, exec, s[60:61]
	s_mov_b64 s[96:97], -1
	s_and_b64 s[92:93], s[66:67], exec
                                        ; implicit-def: $vgpr14_vgpr15
.LBB14_2588:                            ;   in Loop: Header=BB14_17 Depth=1
	s_andn2_saveexec_b64 s[66:67], vcc
	s_cbranch_execz .LBB14_2592
; %bb.2589:                             ;   in Loop: Header=BB14_17 Depth=1
	v_cmp_eq_u16_sdwa s[60:61], v8, v24 src0_sel:BYTE_0 src1_sel:DWORD
	s_mov_b64 vcc, s[92:93]
                                        ; implicit-def: $vgpr65
	s_and_saveexec_b64 s[68:69], s[60:61]
	s_cbranch_execz .LBB14_2591
; %bb.2590:                             ;   in Loop: Header=BB14_17 Depth=1
	flat_load_ubyte v14, v[14:15]
	s_movk_i32 vcc_lo, 0xff
	s_waitcnt vmcnt(0) lgkmcnt(0)
	v_lshlrev_b32_e32 v15, 23, v14
	v_cmp_ne_u32_e32 vcc, vcc_lo, v14
	v_cndmask_b32_e32 v15, v25, v15, vcc
	v_cmp_ne_u32_e32 vcc, 0, v14
	v_cndmask_b32_e32 v65, v26, v15, vcc
	s_or_b64 vcc, s[92:93], exec
.LBB14_2591:                            ;   in Loop: Header=BB14_17 Depth=1
	s_or_b64 exec, exec, s[68:69]
	s_andn2_b64 s[60:61], s[92:93], exec
	s_and_b64 vcc, vcc, exec
	s_or_b64 s[96:97], s[96:97], exec
	s_andn2_b64 s[74:75], s[74:75], exec
	s_or_b64 s[92:93], s[60:61], vcc
.LBB14_2592:                            ;   in Loop: Header=BB14_17 Depth=1
	s_or_b64 exec, exec, s[66:67]
	s_and_b64 s[96:97], s[96:97], exec
	s_and_b64 vcc, s[74:75], exec
	s_and_b64 s[74:75], s[92:93], exec
                                        ; implicit-def: $vgpr14_vgpr15
.LBB14_2593:                            ;   in Loop: Header=BB14_17 Depth=1
	s_andn2_saveexec_b64 s[66:67], s[72:73]
	s_cbranch_execz .LBB14_2597
; %bb.2594:                             ;   in Loop: Header=BB14_17 Depth=1
	v_cmp_eq_u16_sdwa s[60:61], v8, v27 src0_sel:BYTE_0 src1_sel:DWORD
	s_mov_b64 s[70:71], s[74:75]
                                        ; implicit-def: $vgpr65
	s_and_saveexec_b64 s[68:69], s[60:61]
	s_cbranch_execz .LBB14_2596
; %bb.2595:                             ;   in Loop: Header=BB14_17 Depth=1
	flat_load_dwordx2 v[14:15], v[14:15]
	s_or_b64 s[70:71], s[74:75], exec
	s_waitcnt vmcnt(0) lgkmcnt(0)
	v_ffbh_u32_e32 v65, v15
	v_min_u32_e32 v65, 32, v65
	v_lshlrev_b64 v[14:15], v65, v[14:15]
	v_min_u32_e32 v14, 1, v14
	v_or_b32_e32 v14, v15, v14
	v_cvt_f32_u32_e32 v14, v14
	v_sub_u32_e32 v15, 32, v65
	v_ldexp_f32 v65, v14, v15
.LBB14_2596:                            ;   in Loop: Header=BB14_17 Depth=1
	s_or_b64 exec, exec, s[68:69]
	s_andn2_b64 s[60:61], s[74:75], exec
	s_and_b64 s[62:63], s[70:71], exec
	s_or_b64 s[96:97], s[96:97], exec
	s_andn2_b64 vcc, vcc, exec
	s_or_b64 s[74:75], s[60:61], s[62:63]
.LBB14_2597:                            ;   in Loop: Header=BB14_17 Depth=1
	s_or_b64 exec, exec, s[66:67]
	s_and_b64 s[96:97], s[96:97], exec
	s_and_b64 s[72:73], vcc, exec
	s_and_b64 s[92:93], s[74:75], exec
                                        ; implicit-def: $vgpr14_vgpr15
.LBB14_2598:                            ;   in Loop: Header=BB14_17 Depth=1
	s_andn2_saveexec_b64 s[94:95], s[94:95]
	s_cbranch_execz .LBB14_2612
; %bb.2599:                             ;   in Loop: Header=BB14_17 Depth=1
	v_cmp_gt_i16_sdwa vcc, v8, v28 src0_sel:BYTE_0 src1_sel:DWORD
                                        ; implicit-def: $vgpr65
	s_and_saveexec_b64 s[60:61], vcc
	s_xor_b64 vcc, exec, s[60:61]
	s_cbranch_execz .LBB14_2605
; %bb.2600:                             ;   in Loop: Header=BB14_17 Depth=1
	v_cmp_gt_i16_sdwa s[60:61], v8, v29 src0_sel:BYTE_0 src1_sel:DWORD
                                        ; implicit-def: $vgpr65
	s_and_saveexec_b64 s[62:63], s[60:61]
	s_xor_b64 s[60:61], exec, s[62:63]
	s_cbranch_execz .LBB14_2602
; %bb.2601:                             ;   in Loop: Header=BB14_17 Depth=1
	flat_load_dword v14, v[14:15]
	s_waitcnt vmcnt(0) lgkmcnt(0)
	v_cvt_f32_u32_e32 v65, v14
                                        ; implicit-def: $vgpr14_vgpr15
.LBB14_2602:                            ;   in Loop: Header=BB14_17 Depth=1
	s_andn2_saveexec_b64 s[60:61], s[60:61]
	s_cbranch_execz .LBB14_2604
; %bb.2603:                             ;   in Loop: Header=BB14_17 Depth=1
	flat_load_ushort v14, v[14:15]
	s_waitcnt vmcnt(0) lgkmcnt(0)
	v_cvt_f32_u32_e32 v65, v14
.LBB14_2604:                            ;   in Loop: Header=BB14_17 Depth=1
	s_or_b64 exec, exec, s[60:61]
                                        ; implicit-def: $vgpr14_vgpr15
.LBB14_2605:                            ;   in Loop: Header=BB14_17 Depth=1
	s_andn2_saveexec_b64 s[74:75], vcc
	s_cbranch_execz .LBB14_2611
; %bb.2606:                             ;   in Loop: Header=BB14_17 Depth=1
	flat_load_ubyte v14, v[14:15]
	s_movk_i32 vcc_lo, 0x7f
	s_mov_b64 s[66:67], 0
                                        ; implicit-def: $sgpr70
	s_waitcnt vmcnt(0) lgkmcnt(0)
	v_cmp_lt_i16_e32 vcc, vcc_lo, v14
	s_and_saveexec_b64 s[60:61], vcc
	s_xor_b64 s[68:69], exec, s[60:61]
	s_cbranch_execnz .LBB14_3478
; %bb.2607:                             ;   in Loop: Header=BB14_17 Depth=1
	s_or_saveexec_b64 s[68:69], s[68:69]
	v_mov_b32_e32 v65, s70
	s_xor_b64 exec, exec, s[68:69]
	s_cbranch_execnz .LBB14_3481
.LBB14_2608:                            ;   in Loop: Header=BB14_17 Depth=1
	s_or_b64 exec, exec, s[68:69]
	s_and_saveexec_b64 s[68:69], s[66:67]
	s_cbranch_execz .LBB14_2610
.LBB14_2609:                            ;   in Loop: Header=BB14_17 Depth=1
	v_lshlrev_b32_e32 v15, 24, v14
	v_and_b32_e32 v14, 0xffff, v14
	v_and_b32_e32 v65, 7, v14
	v_ffbh_u32_e32 v67, v65
	v_min_u32_e32 v67, 32, v67
	v_subrev_u32_e32 v68, 28, v67
	v_bfe_u32 v66, v14, 3, 4
	v_lshlrev_b32_e32 v14, v68, v14
	v_sub_u32_e32 v67, 29, v67
	v_and_b32_e32 v14, 7, v14
	v_cmp_eq_u32_e32 vcc, 0, v66
	v_cndmask_b32_e32 v66, v66, v67, vcc
	v_cndmask_b32_e32 v14, v65, v14, vcc
	v_lshlrev_b32_e32 v14, 20, v14
	v_and_b32_e32 v15, 0x80000000, v15
	v_lshl_add_u32 v65, v66, 23, v30
	v_or3_b32 v65, v15, v65, v14
.LBB14_2610:                            ;   in Loop: Header=BB14_17 Depth=1
	s_or_b64 exec, exec, s[68:69]
.LBB14_2611:                            ;   in Loop: Header=BB14_17 Depth=1
	s_or_b64 exec, exec, s[74:75]
	s_andn2_b64 s[96:97], s[96:97], exec
	s_andn2_b64 s[72:73], s[72:73], exec
	s_or_b64 s[92:93], s[92:93], exec
.LBB14_2612:                            ;   in Loop: Header=BB14_17 Depth=1
	s_or_b64 exec, exec, s[94:95]
	s_and_b64 s[96:97], s[96:97], exec
	s_and_b64 s[94:95], s[72:73], exec
	;; [unrolled: 1-line block ×3, first 2 shown]
                                        ; implicit-def: $vgpr14_vgpr15
.LBB14_2613:                            ;   in Loop: Header=BB14_17 Depth=1
	s_andn2_saveexec_b64 s[90:91], s[90:91]
	s_cbranch_execz .LBB14_2639
; %bb.2614:                             ;   in Loop: Header=BB14_17 Depth=1
	v_cmp_gt_i16_sdwa vcc, v8, v31 src0_sel:BYTE_0 src1_sel:DWORD
	s_mov_b64 s[92:93], s[74:75]
                                        ; implicit-def: $vgpr65
	s_and_saveexec_b64 s[60:61], vcc
	s_xor_b64 s[72:73], exec, s[60:61]
	s_cbranch_execz .LBB14_2628
; %bb.2615:                             ;   in Loop: Header=BB14_17 Depth=1
	v_cmp_gt_i16_sdwa vcc, v8, v32 src0_sel:BYTE_0 src1_sel:DWORD
                                        ; implicit-def: $vgpr65
	s_and_saveexec_b64 s[60:61], vcc
	s_xor_b64 s[62:63], exec, s[60:61]
	s_cbranch_execz .LBB14_2625
; %bb.2616:                             ;   in Loop: Header=BB14_17 Depth=1
	v_cmp_gt_i16_sdwa vcc, v8, v33 src0_sel:BYTE_0 src1_sel:DWORD
                                        ; implicit-def: $vgpr65
	s_and_saveexec_b64 s[60:61], vcc
	s_xor_b64 s[92:93], exec, s[60:61]
	s_cbranch_execz .LBB14_2622
; %bb.2617:                             ;   in Loop: Header=BB14_17 Depth=1
	flat_load_ubyte v14, v[14:15]
	s_movk_i32 vcc_lo, 0x7f
	s_mov_b64 s[66:67], 0
                                        ; implicit-def: $sgpr70
	s_waitcnt vmcnt(0) lgkmcnt(0)
	v_cmp_lt_i16_e32 vcc, vcc_lo, v14
	s_and_saveexec_b64 s[60:61], vcc
	s_xor_b64 s[68:69], exec, s[60:61]
	s_cbranch_execnz .LBB14_3586
; %bb.2618:                             ;   in Loop: Header=BB14_17 Depth=1
	s_or_saveexec_b64 s[68:69], s[68:69]
	v_mov_b32_e32 v65, s70
	s_xor_b64 exec, exec, s[68:69]
	s_cbranch_execnz .LBB14_3589
.LBB14_2619:                            ;   in Loop: Header=BB14_17 Depth=1
	s_or_b64 exec, exec, s[68:69]
	s_and_saveexec_b64 s[68:69], s[66:67]
	s_cbranch_execz .LBB14_2621
.LBB14_2620:                            ;   in Loop: Header=BB14_17 Depth=1
	v_lshlrev_b32_e32 v15, 24, v14
	v_and_b32_e32 v14, 0xffff, v14
	v_and_b32_e32 v65, 3, v14
	v_ffbh_u32_e32 v67, v65
	v_min_u32_e32 v67, 32, v67
	v_subrev_u32_e32 v68, 29, v67
	v_bfe_u32 v66, v14, 2, 5
	v_lshlrev_b32_e32 v14, v68, v14
	v_sub_u32_e32 v67, 30, v67
	v_and_b32_e32 v14, 3, v14
	v_cmp_eq_u32_e32 vcc, 0, v66
	v_cndmask_b32_e32 v66, v66, v67, vcc
	v_cndmask_b32_e32 v14, v65, v14, vcc
	v_lshlrev_b32_e32 v14, 21, v14
	v_and_b32_e32 v15, 0x80000000, v15
	v_lshl_add_u32 v65, v66, 23, v34
	v_or3_b32 v65, v15, v65, v14
.LBB14_2621:                            ;   in Loop: Header=BB14_17 Depth=1
	s_or_b64 exec, exec, s[68:69]
                                        ; implicit-def: $vgpr14_vgpr15
.LBB14_2622:                            ;   in Loop: Header=BB14_17 Depth=1
	s_andn2_saveexec_b64 s[66:67], s[92:93]
	s_cbranch_execz .LBB14_2624
; %bb.2623:                             ;   in Loop: Header=BB14_17 Depth=1
	flat_load_ubyte v14, v[14:15]
	s_mov_b32 vcc_lo, 0x7f800000
	s_waitcnt vmcnt(0) lgkmcnt(0)
	v_lshlrev_b32_e32 v14, 24, v14
	v_and_b32_e32 v15, 0x7f000000, v14
	v_ffbh_u32_e32 v65, v15
	v_min_u32_e32 v65, 32, v65
	v_sub_u32_e64 v65, v65, 4 clamp
	v_lshlrev_b32_e32 v67, v65, v15
	v_lshlrev_b32_e32 v65, 23, v65
	v_lshrrev_b32_e32 v67, 4, v67
	v_add_u32_e32 v66, 0x1000000, v15
	v_sub_u32_e32 v65, v67, v65
	v_ashrrev_i32_e32 v66, 8, v66
	v_add_u32_e32 v65, 0x3c000000, v65
	v_and_or_b32 v65, v66, vcc_lo, v65
	v_cmp_ne_u32_e32 vcc, 0, v15
	v_cndmask_b32_e32 v15, 0, v65, vcc
	s_brev_b32 vcc_lo, 1
	v_and_or_b32 v65, v14, vcc_lo, v15
.LBB14_2624:                            ;   in Loop: Header=BB14_17 Depth=1
	s_or_b64 exec, exec, s[66:67]
                                        ; implicit-def: $vgpr14_vgpr15
.LBB14_2625:                            ;   in Loop: Header=BB14_17 Depth=1
	s_andn2_saveexec_b64 s[66:67], s[62:63]
	s_cbranch_execz .LBB14_2627
; %bb.2626:                             ;   in Loop: Header=BB14_17 Depth=1
	flat_load_ubyte v14, v[14:15]
	s_movk_i32 vcc_lo, 0x7f00
	s_waitcnt vmcnt(0) lgkmcnt(0)
	v_lshlrev_b16_e32 v15, 8, v14
	v_lshlrev_b32_e32 v14, 25, v14
	v_lshrrev_b32_e32 v65, 4, v14
	v_and_or_b32 v66, v15, vcc_lo, 0.5
	v_or_b32_e32 v65, 0x70000000, v65
	s_brev_b32 vcc_lo, 16
	v_add_f32_e32 v66, -0.5, v66
	v_mul_f32_e32 v65, 0x7800000, v65
	v_cmp_gt_u32_e32 vcc, vcc_lo, v14
	v_cndmask_b32_e32 v14, v65, v66, vcc
	v_bfe_i32 v15, v15, 0, 16
	s_brev_b32 vcc_lo, 1
	v_and_or_b32 v65, v15, vcc_lo, v14
.LBB14_2627:                            ;   in Loop: Header=BB14_17 Depth=1
	s_or_b64 exec, exec, s[66:67]
	s_or_b64 s[92:93], s[74:75], exec
                                        ; implicit-def: $vgpr14_vgpr15
.LBB14_2628:                            ;   in Loop: Header=BB14_17 Depth=1
	s_or_saveexec_b64 s[72:73], s[72:73]
                                        ; implicit-def: $vcc
                                        ; implicit-def: $sgpr68_sgpr69
	s_xor_b64 exec, exec, s[72:73]
	s_cbranch_execz .LBB14_2638
; %bb.2629:                             ;   in Loop: Header=BB14_17 Depth=1
	v_cmp_gt_i16_sdwa vcc, v8, v35 src0_sel:BYTE_0 src1_sel:DWORD
	s_mov_b64 s[66:67], s[92:93]
                                        ; implicit-def: $sgpr68_sgpr69
                                        ; implicit-def: $sgpr76_sgpr77
                                        ; implicit-def: $vgpr65
	s_and_saveexec_b64 s[60:61], vcc
	s_xor_b64 vcc, exec, s[60:61]
	s_cbranch_execz .LBB14_2633
; %bb.2630:                             ;   in Loop: Header=BB14_17 Depth=1
	v_cmp_eq_u16_sdwa s[62:63], v8, v36 src0_sel:BYTE_0 src1_sel:DWORD
	s_mov_b64 s[66:67], s[92:93]
                                        ; implicit-def: $vgpr65
	s_and_saveexec_b64 s[60:61], s[62:63]
	s_cbranch_execz .LBB14_2632
; %bb.2631:                             ;   in Loop: Header=BB14_17 Depth=1
	flat_load_ushort v14, v[14:15]
	s_or_b64 s[66:67], s[92:93], exec
	s_waitcnt vmcnt(0) lgkmcnt(0)
	v_lshlrev_b32_e32 v65, 16, v14
.LBB14_2632:                            ;   in Loop: Header=BB14_17 Depth=1
	s_or_b64 exec, exec, s[60:61]
	s_andn2_b64 s[60:61], s[92:93], exec
	s_and_b64 s[62:63], s[66:67], exec
	s_mov_b64 s[76:77], 0
	s_mov_b64 s[68:69], -1
	s_or_b64 s[66:67], s[60:61], s[62:63]
                                        ; implicit-def: $vgpr14_vgpr15
.LBB14_2633:                            ;   in Loop: Header=BB14_17 Depth=1
	s_andn2_saveexec_b64 s[70:71], vcc
	s_cbranch_execz .LBB14_2637
; %bb.2634:                             ;   in Loop: Header=BB14_17 Depth=1
	v_cmp_eq_u16_sdwa s[62:63], v8, v37 src0_sel:BYTE_0 src1_sel:DWORD
	s_mov_b64 vcc, s[66:67]
                                        ; implicit-def: $vgpr65
	s_and_saveexec_b64 s[60:61], s[62:63]
	s_cbranch_execz .LBB14_2636
; %bb.2635:                             ;   in Loop: Header=BB14_17 Depth=1
	flat_load_ubyte v14, v[14:15]
	s_waitcnt vmcnt(0) lgkmcnt(0)
	v_cmp_ne_u16_e32 vcc, 0, v14
	v_cndmask_b32_e64 v65, 0, 1.0, vcc
	s_or_b64 vcc, s[66:67], exec
.LBB14_2636:                            ;   in Loop: Header=BB14_17 Depth=1
	s_or_b64 exec, exec, s[60:61]
	s_andn2_b64 s[60:61], s[66:67], exec
	s_and_b64 vcc, vcc, exec
	s_or_b64 s[68:69], s[68:69], exec
	s_andn2_b64 s[76:77], s[76:77], exec
	s_or_b64 s[66:67], s[60:61], vcc
.LBB14_2637:                            ;   in Loop: Header=BB14_17 Depth=1
	s_or_b64 exec, exec, s[70:71]
	s_andn2_b64 s[60:61], s[92:93], exec
	s_and_b64 s[62:63], s[66:67], exec
	s_and_b64 s[68:69], s[68:69], exec
	s_and_b64 vcc, s[76:77], exec
	s_or_b64 s[92:93], s[60:61], s[62:63]
.LBB14_2638:                            ;   in Loop: Header=BB14_17 Depth=1
	s_or_b64 exec, exec, s[72:73]
	s_andn2_b64 s[60:61], s[96:97], exec
	s_and_b64 s[62:63], s[68:69], exec
	s_or_b64 s[96:97], s[60:61], s[62:63]
	s_andn2_b64 s[60:61], s[94:95], exec
	s_and_b64 vcc, vcc, exec
	s_or_b64 s[94:95], s[60:61], vcc
	s_andn2_b64 vcc, s[74:75], exec
	s_and_b64 s[60:61], s[92:93], exec
	s_or_b64 s[74:75], vcc, s[60:61]
.LBB14_2639:                            ;   in Loop: Header=BB14_17 Depth=1
	s_or_b64 exec, exec, s[90:91]
	s_and_b64 s[90:91], s[96:97], exec
	s_and_b64 vcc, s[94:95], exec
	s_and_b64 s[92:93], s[74:75], exec
                                        ; implicit-def: $vgpr14_vgpr15
	s_andn2_saveexec_b64 s[88:89], s[88:89]
	s_cbranch_execz .LBB14_2556
.LBB14_2640:                            ;   in Loop: Header=BB14_17 Depth=1
	v_cmp_gt_i16_sdwa s[60:61], v8, v38 src0_sel:BYTE_0 src1_sel:DWORD
                                        ; implicit-def: $vgpr65
	s_and_saveexec_b64 s[62:63], s[60:61]
	s_xor_b64 s[72:73], exec, s[62:63]
	s_cbranch_execz .LBB14_2662
; %bb.2641:                             ;   in Loop: Header=BB14_17 Depth=1
	v_cmp_gt_i16_sdwa s[60:61], v8, v39 src0_sel:BYTE_0 src1_sel:DWORD
                                        ; implicit-def: $vgpr65
	s_and_saveexec_b64 s[62:63], s[60:61]
	s_xor_b64 s[66:67], exec, s[62:63]
	s_cbranch_execz .LBB14_2651
; %bb.2642:                             ;   in Loop: Header=BB14_17 Depth=1
	v_cmp_gt_i16_sdwa s[60:61], v8, v48 src0_sel:BYTE_0 src1_sel:DWORD
                                        ; implicit-def: $vgpr65
	s_and_saveexec_b64 s[62:63], s[60:61]
	s_xor_b64 s[68:69], exec, s[62:63]
	s_cbranch_execz .LBB14_2648
; %bb.2643:                             ;   in Loop: Header=BB14_17 Depth=1
	v_cmp_gt_i16_sdwa s[60:61], v8, v49 src0_sel:BYTE_0 src1_sel:DWORD
                                        ; implicit-def: $vgpr65
	s_and_saveexec_b64 s[62:63], s[60:61]
	s_xor_b64 s[60:61], exec, s[62:63]
	s_cbranch_execz .LBB14_2645
; %bb.2644:                             ;   in Loop: Header=BB14_17 Depth=1
	flat_load_dwordx2 v[14:15], v[14:15]
	s_waitcnt vmcnt(0) lgkmcnt(0)
	v_cvt_f32_f64_e32 v65, v[14:15]
                                        ; implicit-def: $vgpr14_vgpr15
.LBB14_2645:                            ;   in Loop: Header=BB14_17 Depth=1
	s_andn2_saveexec_b64 s[60:61], s[60:61]
	s_cbranch_execz .LBB14_2647
; %bb.2646:                             ;   in Loop: Header=BB14_17 Depth=1
	flat_load_dword v65, v[14:15]
.LBB14_2647:                            ;   in Loop: Header=BB14_17 Depth=1
	s_or_b64 exec, exec, s[60:61]
                                        ; implicit-def: $vgpr14_vgpr15
.LBB14_2648:                            ;   in Loop: Header=BB14_17 Depth=1
	s_andn2_saveexec_b64 s[60:61], s[68:69]
	s_cbranch_execz .LBB14_2650
; %bb.2649:                             ;   in Loop: Header=BB14_17 Depth=1
	flat_load_dword v14, v[14:15]
	s_waitcnt vmcnt(0) lgkmcnt(0)
	v_cvt_f32_f16_e32 v65, v14
.LBB14_2650:                            ;   in Loop: Header=BB14_17 Depth=1
	s_or_b64 exec, exec, s[60:61]
                                        ; implicit-def: $vgpr14_vgpr15
.LBB14_2651:                            ;   in Loop: Header=BB14_17 Depth=1
	s_andn2_saveexec_b64 s[66:67], s[66:67]
	s_cbranch_execz .LBB14_2661
; %bb.2652:                             ;   in Loop: Header=BB14_17 Depth=1
	v_cmp_gt_i16_sdwa s[60:61], v8, v50 src0_sel:BYTE_0 src1_sel:DWORD
                                        ; implicit-def: $vgpr65
	s_and_saveexec_b64 s[62:63], s[60:61]
	s_xor_b64 s[68:69], exec, s[62:63]
	s_cbranch_execz .LBB14_2658
; %bb.2653:                             ;   in Loop: Header=BB14_17 Depth=1
	v_cmp_gt_i16_sdwa s[60:61], v8, v51 src0_sel:BYTE_0 src1_sel:DWORD
                                        ; implicit-def: $vgpr65
	s_and_saveexec_b64 s[62:63], s[60:61]
	s_xor_b64 s[60:61], exec, s[62:63]
	s_cbranch_execz .LBB14_2655
; %bb.2654:                             ;   in Loop: Header=BB14_17 Depth=1
	flat_load_dwordx2 v[14:15], v[14:15]
	s_waitcnt vmcnt(0) lgkmcnt(0)
	v_cvt_f32_f64_e32 v65, v[14:15]
                                        ; implicit-def: $vgpr14_vgpr15
.LBB14_2655:                            ;   in Loop: Header=BB14_17 Depth=1
	s_andn2_saveexec_b64 s[60:61], s[60:61]
	s_cbranch_execz .LBB14_2657
; %bb.2656:                             ;   in Loop: Header=BB14_17 Depth=1
	s_waitcnt vmcnt(0) lgkmcnt(0)
	flat_load_dword v65, v[14:15]
.LBB14_2657:                            ;   in Loop: Header=BB14_17 Depth=1
	s_or_b64 exec, exec, s[60:61]
                                        ; implicit-def: $vgpr14_vgpr15
.LBB14_2658:                            ;   in Loop: Header=BB14_17 Depth=1
	s_andn2_saveexec_b64 s[60:61], s[68:69]
	s_cbranch_execz .LBB14_2660
; %bb.2659:                             ;   in Loop: Header=BB14_17 Depth=1
	flat_load_ushort v14, v[14:15]
	s_waitcnt vmcnt(0) lgkmcnt(0)
	v_cvt_f32_f16_e32 v65, v14
.LBB14_2660:                            ;   in Loop: Header=BB14_17 Depth=1
	s_or_b64 exec, exec, s[60:61]
.LBB14_2661:                            ;   in Loop: Header=BB14_17 Depth=1
	s_or_b64 exec, exec, s[66:67]
                                        ; implicit-def: $vgpr14_vgpr15
.LBB14_2662:                            ;   in Loop: Header=BB14_17 Depth=1
	s_andn2_saveexec_b64 s[72:73], s[72:73]
	s_cbranch_execz .LBB14_2680
; %bb.2663:                             ;   in Loop: Header=BB14_17 Depth=1
	v_cmp_gt_i16_sdwa s[60:61], v8, v52 src0_sel:BYTE_0 src1_sel:DWORD
                                        ; implicit-def: $vgpr65
	s_and_saveexec_b64 s[62:63], s[60:61]
	s_xor_b64 s[74:75], exec, s[62:63]
	s_cbranch_execz .LBB14_2673
; %bb.2664:                             ;   in Loop: Header=BB14_17 Depth=1
	v_cmp_gt_i16_sdwa s[60:61], v8, v53 src0_sel:BYTE_0 src1_sel:DWORD
                                        ; implicit-def: $vgpr65
	s_and_saveexec_b64 s[62:63], s[60:61]
	s_xor_b64 s[66:67], exec, s[62:63]
	;; [unrolled: 6-line block ×3, first 2 shown]
	s_cbranch_execz .LBB14_2667
; %bb.2666:                             ;   in Loop: Header=BB14_17 Depth=1
	flat_load_dwordx2 v[14:15], v[14:15]
	s_waitcnt vmcnt(0) lgkmcnt(0)
	v_xor_b32_e32 v66, v14, v15
	v_ffbh_i32_e32 v65, v15
	v_ashrrev_i32_e32 v66, 31, v66
	v_add_u32_e32 v65, -1, v65
	v_add_u32_e32 v66, 32, v66
	v_min_u32_e32 v65, v65, v66
	v_lshlrev_b64 v[14:15], v65, v[14:15]
	v_min_u32_e32 v14, 1, v14
	v_or_b32_e32 v14, v15, v14
	v_cvt_f32_i32_e32 v14, v14
	v_sub_u32_e32 v15, 32, v65
	v_ldexp_f32 v65, v14, v15
                                        ; implicit-def: $vgpr14_vgpr15
.LBB14_2667:                            ;   in Loop: Header=BB14_17 Depth=1
	s_andn2_saveexec_b64 s[60:61], s[68:69]
	s_cbranch_execz .LBB14_2669
; %bb.2668:                             ;   in Loop: Header=BB14_17 Depth=1
	flat_load_dword v14, v[14:15]
	s_waitcnt vmcnt(0) lgkmcnt(0)
	v_cvt_f32_i32_e32 v65, v14
.LBB14_2669:                            ;   in Loop: Header=BB14_17 Depth=1
	s_or_b64 exec, exec, s[60:61]
                                        ; implicit-def: $vgpr14_vgpr15
.LBB14_2670:                            ;   in Loop: Header=BB14_17 Depth=1
	s_andn2_saveexec_b64 s[60:61], s[66:67]
	s_cbranch_execz .LBB14_2672
; %bb.2671:                             ;   in Loop: Header=BB14_17 Depth=1
	flat_load_sshort v14, v[14:15]
	s_waitcnt vmcnt(0) lgkmcnt(0)
	v_cvt_f32_i32_e32 v65, v14
.LBB14_2672:                            ;   in Loop: Header=BB14_17 Depth=1
	s_or_b64 exec, exec, s[60:61]
                                        ; implicit-def: $vgpr14_vgpr15
.LBB14_2673:                            ;   in Loop: Header=BB14_17 Depth=1
	s_andn2_saveexec_b64 s[66:67], s[74:75]
	s_cbranch_execz .LBB14_2679
; %bb.2674:                             ;   in Loop: Header=BB14_17 Depth=1
	v_cmp_gt_i16_sdwa s[60:61], v8, v16 src0_sel:BYTE_0 src1_sel:DWORD
                                        ; implicit-def: $vgpr65
	s_and_saveexec_b64 s[62:63], s[60:61]
	s_xor_b64 s[60:61], exec, s[62:63]
	s_cbranch_execz .LBB14_2676
; %bb.2675:                             ;   in Loop: Header=BB14_17 Depth=1
	flat_load_sbyte v14, v[14:15]
	s_waitcnt vmcnt(0) lgkmcnt(0)
	v_cvt_f32_i32_e32 v65, v14
                                        ; implicit-def: $vgpr14_vgpr15
.LBB14_2676:                            ;   in Loop: Header=BB14_17 Depth=1
	s_andn2_saveexec_b64 s[60:61], s[60:61]
	s_cbranch_execz .LBB14_2678
; %bb.2677:                             ;   in Loop: Header=BB14_17 Depth=1
	flat_load_ubyte v14, v[14:15]
	s_waitcnt vmcnt(0) lgkmcnt(0)
	v_cvt_f32_ubyte0_e32 v65, v14
.LBB14_2678:                            ;   in Loop: Header=BB14_17 Depth=1
	s_or_b64 exec, exec, s[60:61]
.LBB14_2679:                            ;   in Loop: Header=BB14_17 Depth=1
	s_or_b64 exec, exec, s[66:67]
.LBB14_2680:                            ;   in Loop: Header=BB14_17 Depth=1
	s_or_b64 exec, exec, s[72:73]
	s_andn2_b64 s[90:91], s[90:91], exec
	s_andn2_b64 vcc, vcc, exec
	s_or_b64 s[92:93], s[92:93], exec
	s_or_b64 exec, exec, s[88:89]
	s_mov_b64 s[66:67], 0
	s_and_saveexec_b64 s[68:69], s[92:93]
	s_cbranch_execnz .LBB14_2557
	s_branch .LBB14_2558
.LBB14_2681:                            ;   in Loop: Header=BB14_17 Depth=1
	v_cmp_gt_i16_sdwa vcc, v7, v19 src0_sel:BYTE_0 src1_sel:DWORD
	s_mov_b64 s[94:95], 0
                                        ; implicit-def: $sgpr78_sgpr79
                                        ; implicit-def: $sgpr80_sgpr81
                                        ; implicit-def: $vgpr66
	s_and_saveexec_b64 s[60:61], vcc
	s_xor_b64 s[84:85], exec, s[60:61]
	s_cbranch_execz .LBB14_2713
; %bb.2682:                             ;   in Loop: Header=BB14_17 Depth=1
	v_cmp_gt_i16_sdwa vcc, v7, v20 src0_sel:BYTE_0 src1_sel:DWORD
	s_mov_b64 s[86:87], 0
                                        ; implicit-def: $sgpr72_sgpr73
                                        ; implicit-def: $sgpr80_sgpr81
                                        ; implicit-def: $vgpr66
	s_and_saveexec_b64 s[60:61], vcc
	s_xor_b64 s[78:79], exec, s[60:61]
	s_cbranch_execz .LBB14_2698
; %bb.2683:                             ;   in Loop: Header=BB14_17 Depth=1
	v_cmp_gt_i16_sdwa s[60:61], v7, v21 src0_sel:BYTE_0 src1_sel:DWORD
	s_mov_b64 s[74:75], 0
                                        ; implicit-def: $vcc
                                        ; implicit-def: $sgpr86_sgpr87
                                        ; implicit-def: $vgpr66
	s_and_saveexec_b64 s[62:63], s[60:61]
	s_xor_b64 s[72:73], exec, s[62:63]
	s_cbranch_execz .LBB14_2693
; %bb.2684:                             ;   in Loop: Header=BB14_17 Depth=1
	v_cmp_gt_i16_sdwa vcc, v7, v22 src0_sel:BYTE_0 src1_sel:DWORD
	s_mov_b64 s[80:81], 0
                                        ; implicit-def: $sgpr74_sgpr75
                                        ; implicit-def: $sgpr94_sgpr95
                                        ; implicit-def: $vgpr66
	s_and_saveexec_b64 s[60:61], vcc
	s_xor_b64 vcc, exec, s[60:61]
	s_cbranch_execz .LBB14_2688
; %bb.2685:                             ;   in Loop: Header=BB14_17 Depth=1
	v_cmp_eq_u16_sdwa s[62:63], v7, v23 src0_sel:BYTE_0 src1_sel:DWORD
	s_mov_b64 s[74:75], 0
	s_mov_b64 s[66:67], 0
                                        ; implicit-def: $vgpr66
	s_and_saveexec_b64 s[60:61], s[62:63]
	s_cbranch_execz .LBB14_2687
; %bb.2686:                             ;   in Loop: Header=BB14_17 Depth=1
	flat_load_dword v14, v[14:15]
	s_mov_b64 s[66:67], exec
	s_waitcnt vmcnt(0) lgkmcnt(0)
	v_lshlrev_b32_e32 v66, 16, v14
.LBB14_2687:                            ;   in Loop: Header=BB14_17 Depth=1
	s_or_b64 exec, exec, s[60:61]
	s_mov_b64 s[94:95], -1
	s_and_b64 s[80:81], s[66:67], exec
                                        ; implicit-def: $vgpr14_vgpr15
.LBB14_2688:                            ;   in Loop: Header=BB14_17 Depth=1
	s_andn2_saveexec_b64 s[66:67], vcc
	s_cbranch_execz .LBB14_2692
; %bb.2689:                             ;   in Loop: Header=BB14_17 Depth=1
	v_cmp_eq_u16_sdwa s[60:61], v7, v24 src0_sel:BYTE_0 src1_sel:DWORD
	s_mov_b64 vcc, s[80:81]
                                        ; implicit-def: $vgpr66
	s_and_saveexec_b64 s[68:69], s[60:61]
	s_cbranch_execz .LBB14_2691
; %bb.2690:                             ;   in Loop: Header=BB14_17 Depth=1
	flat_load_ubyte v14, v[14:15]
	s_movk_i32 vcc_lo, 0xff
	s_waitcnt vmcnt(0) lgkmcnt(0)
	v_lshlrev_b32_e32 v15, 23, v14
	v_cmp_ne_u32_e32 vcc, vcc_lo, v14
	v_cndmask_b32_e32 v15, v25, v15, vcc
	v_cmp_ne_u32_e32 vcc, 0, v14
	v_cndmask_b32_e32 v66, v26, v15, vcc
	s_or_b64 vcc, s[80:81], exec
.LBB14_2691:                            ;   in Loop: Header=BB14_17 Depth=1
	s_or_b64 exec, exec, s[68:69]
	s_andn2_b64 s[60:61], s[80:81], exec
	s_and_b64 vcc, vcc, exec
	s_andn2_b64 s[74:75], s[74:75], exec
	s_or_b64 s[94:95], s[94:95], exec
	s_or_b64 s[80:81], s[60:61], vcc
.LBB14_2692:                            ;   in Loop: Header=BB14_17 Depth=1
	s_or_b64 exec, exec, s[66:67]
	s_and_b64 s[86:87], s[74:75], exec
	s_and_b64 vcc, s[94:95], exec
	s_and_b64 s[74:75], s[80:81], exec
                                        ; implicit-def: $vgpr14_vgpr15
.LBB14_2693:                            ;   in Loop: Header=BB14_17 Depth=1
	s_andn2_saveexec_b64 s[66:67], s[72:73]
	s_cbranch_execz .LBB14_2697
; %bb.2694:                             ;   in Loop: Header=BB14_17 Depth=1
	v_cmp_eq_u16_sdwa s[60:61], v7, v27 src0_sel:BYTE_0 src1_sel:DWORD
	s_mov_b64 s[70:71], s[74:75]
                                        ; implicit-def: $vgpr66
	s_and_saveexec_b64 s[68:69], s[60:61]
	s_cbranch_execz .LBB14_2696
; %bb.2695:                             ;   in Loop: Header=BB14_17 Depth=1
	flat_load_dwordx2 v[14:15], v[14:15]
	s_or_b64 s[70:71], s[74:75], exec
	s_waitcnt vmcnt(0) lgkmcnt(0)
	v_ffbh_u32_e32 v64, v15
	v_min_u32_e32 v64, 32, v64
	v_lshlrev_b64 v[14:15], v64, v[14:15]
	v_min_u32_e32 v14, 1, v14
	v_or_b32_e32 v14, v15, v14
	v_cvt_f32_u32_e32 v14, v14
	v_sub_u32_e32 v15, 32, v64
	v_ldexp_f32 v66, v14, v15
.LBB14_2696:                            ;   in Loop: Header=BB14_17 Depth=1
	s_or_b64 exec, exec, s[68:69]
	s_andn2_b64 s[60:61], s[74:75], exec
	s_and_b64 s[62:63], s[70:71], exec
	s_andn2_b64 s[86:87], s[86:87], exec
	s_or_b64 vcc, vcc, exec
	s_or_b64 s[74:75], s[60:61], s[62:63]
.LBB14_2697:                            ;   in Loop: Header=BB14_17 Depth=1
	s_or_b64 exec, exec, s[66:67]
	s_and_b64 s[80:81], s[86:87], exec
	s_and_b64 s[72:73], vcc, exec
	s_and_b64 s[86:87], s[74:75], exec
                                        ; implicit-def: $vgpr14_vgpr15
.LBB14_2698:                            ;   in Loop: Header=BB14_17 Depth=1
	s_andn2_saveexec_b64 s[78:79], s[78:79]
	s_cbranch_execz .LBB14_2712
; %bb.2699:                             ;   in Loop: Header=BB14_17 Depth=1
	v_cmp_gt_i16_sdwa vcc, v7, v28 src0_sel:BYTE_0 src1_sel:DWORD
                                        ; implicit-def: $vgpr66
	s_and_saveexec_b64 s[60:61], vcc
	s_xor_b64 vcc, exec, s[60:61]
	s_cbranch_execz .LBB14_2705
; %bb.2700:                             ;   in Loop: Header=BB14_17 Depth=1
	v_cmp_gt_i16_sdwa s[60:61], v7, v29 src0_sel:BYTE_0 src1_sel:DWORD
                                        ; implicit-def: $vgpr66
	s_and_saveexec_b64 s[62:63], s[60:61]
	s_xor_b64 s[60:61], exec, s[62:63]
	s_cbranch_execz .LBB14_2702
; %bb.2701:                             ;   in Loop: Header=BB14_17 Depth=1
	flat_load_dword v14, v[14:15]
	s_waitcnt vmcnt(0) lgkmcnt(0)
	v_cvt_f32_u32_e32 v66, v14
                                        ; implicit-def: $vgpr14_vgpr15
.LBB14_2702:                            ;   in Loop: Header=BB14_17 Depth=1
	s_andn2_saveexec_b64 s[60:61], s[60:61]
	s_cbranch_execz .LBB14_2704
; %bb.2703:                             ;   in Loop: Header=BB14_17 Depth=1
	flat_load_ushort v14, v[14:15]
	s_waitcnt vmcnt(0) lgkmcnt(0)
	v_cvt_f32_u32_e32 v66, v14
.LBB14_2704:                            ;   in Loop: Header=BB14_17 Depth=1
	s_or_b64 exec, exec, s[60:61]
                                        ; implicit-def: $vgpr14_vgpr15
.LBB14_2705:                            ;   in Loop: Header=BB14_17 Depth=1
	s_andn2_saveexec_b64 s[74:75], vcc
	s_cbranch_execz .LBB14_2711
; %bb.2706:                             ;   in Loop: Header=BB14_17 Depth=1
	flat_load_ubyte v14, v[14:15]
	s_movk_i32 vcc_lo, 0x7f
	s_mov_b64 s[66:67], 0
                                        ; implicit-def: $sgpr70
	s_waitcnt vmcnt(0) lgkmcnt(0)
	v_cmp_lt_i16_e32 vcc, vcc_lo, v14
	s_and_saveexec_b64 s[60:61], vcc
	s_xor_b64 s[68:69], exec, s[60:61]
	s_cbranch_execnz .LBB14_3482
; %bb.2707:                             ;   in Loop: Header=BB14_17 Depth=1
	s_or_saveexec_b64 s[68:69], s[68:69]
	v_mov_b32_e32 v66, s70
	s_xor_b64 exec, exec, s[68:69]
	s_cbranch_execnz .LBB14_3485
.LBB14_2708:                            ;   in Loop: Header=BB14_17 Depth=1
	s_or_b64 exec, exec, s[68:69]
	s_and_saveexec_b64 s[68:69], s[66:67]
	s_cbranch_execz .LBB14_2710
.LBB14_2709:                            ;   in Loop: Header=BB14_17 Depth=1
	v_lshlrev_b32_e32 v15, 24, v14
	v_and_b32_e32 v14, 0xffff, v14
	v_and_b32_e32 v64, 7, v14
	v_ffbh_u32_e32 v67, v64
	v_min_u32_e32 v67, 32, v67
	v_subrev_u32_e32 v68, 28, v67
	v_bfe_u32 v66, v14, 3, 4
	v_lshlrev_b32_e32 v14, v68, v14
	v_sub_u32_e32 v67, 29, v67
	v_and_b32_e32 v14, 7, v14
	v_cmp_eq_u32_e32 vcc, 0, v66
	v_cndmask_b32_e32 v66, v66, v67, vcc
	v_cndmask_b32_e32 v14, v64, v14, vcc
	v_lshlrev_b32_e32 v14, 20, v14
	v_and_b32_e32 v15, 0x80000000, v15
	v_lshl_add_u32 v64, v66, 23, v30
	v_or3_b32 v66, v15, v64, v14
.LBB14_2710:                            ;   in Loop: Header=BB14_17 Depth=1
	s_or_b64 exec, exec, s[68:69]
.LBB14_2711:                            ;   in Loop: Header=BB14_17 Depth=1
	s_or_b64 exec, exec, s[74:75]
	s_andn2_b64 s[80:81], s[80:81], exec
	s_andn2_b64 s[72:73], s[72:73], exec
	s_or_b64 s[86:87], s[86:87], exec
.LBB14_2712:                            ;   in Loop: Header=BB14_17 Depth=1
	s_or_b64 exec, exec, s[78:79]
	s_and_b64 s[80:81], s[80:81], exec
	s_and_b64 s[78:79], s[72:73], exec
	s_and_b64 s[94:95], s[86:87], exec
                                        ; implicit-def: $vgpr14_vgpr15
.LBB14_2713:                            ;   in Loop: Header=BB14_17 Depth=1
	s_andn2_saveexec_b64 s[84:85], s[84:85]
	s_cbranch_execz .LBB14_2739
; %bb.2714:                             ;   in Loop: Header=BB14_17 Depth=1
	v_cmp_gt_i16_sdwa vcc, v7, v31 src0_sel:BYTE_0 src1_sel:DWORD
	s_mov_b64 s[74:75], s[94:95]
                                        ; implicit-def: $vgpr66
	s_and_saveexec_b64 s[60:61], vcc
	s_xor_b64 s[72:73], exec, s[60:61]
	s_cbranch_execz .LBB14_2728
; %bb.2715:                             ;   in Loop: Header=BB14_17 Depth=1
	v_cmp_gt_i16_sdwa vcc, v7, v32 src0_sel:BYTE_0 src1_sel:DWORD
                                        ; implicit-def: $vgpr66
	s_and_saveexec_b64 s[60:61], vcc
	s_xor_b64 s[86:87], exec, s[60:61]
	s_cbranch_execz .LBB14_2725
; %bb.2716:                             ;   in Loop: Header=BB14_17 Depth=1
	v_cmp_gt_i16_sdwa vcc, v7, v33 src0_sel:BYTE_0 src1_sel:DWORD
                                        ; implicit-def: $vgpr66
	s_and_saveexec_b64 s[60:61], vcc
	s_xor_b64 s[74:75], exec, s[60:61]
	s_cbranch_execz .LBB14_2722
; %bb.2717:                             ;   in Loop: Header=BB14_17 Depth=1
	flat_load_ubyte v14, v[14:15]
	s_movk_i32 vcc_lo, 0x7f
	s_mov_b64 s[66:67], 0
                                        ; implicit-def: $sgpr70
	s_waitcnt vmcnt(0) lgkmcnt(0)
	v_cmp_lt_i16_e32 vcc, vcc_lo, v14
	s_and_saveexec_b64 s[60:61], vcc
	s_xor_b64 s[68:69], exec, s[60:61]
	s_cbranch_execnz .LBB14_3590
; %bb.2718:                             ;   in Loop: Header=BB14_17 Depth=1
	s_or_saveexec_b64 s[68:69], s[68:69]
	v_mov_b32_e32 v66, s70
	s_xor_b64 exec, exec, s[68:69]
	s_cbranch_execnz .LBB14_3593
.LBB14_2719:                            ;   in Loop: Header=BB14_17 Depth=1
	s_or_b64 exec, exec, s[68:69]
	s_and_saveexec_b64 s[68:69], s[66:67]
	s_cbranch_execz .LBB14_2721
.LBB14_2720:                            ;   in Loop: Header=BB14_17 Depth=1
	v_lshlrev_b32_e32 v15, 24, v14
	v_and_b32_e32 v14, 0xffff, v14
	v_and_b32_e32 v64, 3, v14
	v_ffbh_u32_e32 v67, v64
	v_min_u32_e32 v67, 32, v67
	v_subrev_u32_e32 v68, 29, v67
	v_bfe_u32 v66, v14, 2, 5
	v_lshlrev_b32_e32 v14, v68, v14
	v_sub_u32_e32 v67, 30, v67
	v_and_b32_e32 v14, 3, v14
	v_cmp_eq_u32_e32 vcc, 0, v66
	v_cndmask_b32_e32 v66, v66, v67, vcc
	v_cndmask_b32_e32 v14, v64, v14, vcc
	v_lshlrev_b32_e32 v14, 21, v14
	v_and_b32_e32 v15, 0x80000000, v15
	v_lshl_add_u32 v64, v66, 23, v34
	v_or3_b32 v66, v15, v64, v14
.LBB14_2721:                            ;   in Loop: Header=BB14_17 Depth=1
	s_or_b64 exec, exec, s[68:69]
                                        ; implicit-def: $vgpr14_vgpr15
.LBB14_2722:                            ;   in Loop: Header=BB14_17 Depth=1
	s_andn2_saveexec_b64 s[66:67], s[74:75]
	s_cbranch_execz .LBB14_2724
; %bb.2723:                             ;   in Loop: Header=BB14_17 Depth=1
	flat_load_ubyte v14, v[14:15]
	s_mov_b32 vcc_lo, 0x7f800000
	s_waitcnt vmcnt(0) lgkmcnt(0)
	v_lshlrev_b32_e32 v14, 24, v14
	v_and_b32_e32 v15, 0x7f000000, v14
	v_ffbh_u32_e32 v64, v15
	v_min_u32_e32 v64, 32, v64
	v_sub_u32_e64 v64, v64, 4 clamp
	v_lshlrev_b32_e32 v67, v64, v15
	v_lshlrev_b32_e32 v64, 23, v64
	v_lshrrev_b32_e32 v67, 4, v67
	v_add_u32_e32 v66, 0x1000000, v15
	v_sub_u32_e32 v64, v67, v64
	v_ashrrev_i32_e32 v66, 8, v66
	v_add_u32_e32 v64, 0x3c000000, v64
	v_and_or_b32 v64, v66, vcc_lo, v64
	v_cmp_ne_u32_e32 vcc, 0, v15
	v_cndmask_b32_e32 v15, 0, v64, vcc
	s_brev_b32 vcc_lo, 1
	v_and_or_b32 v66, v14, vcc_lo, v15
.LBB14_2724:                            ;   in Loop: Header=BB14_17 Depth=1
	s_or_b64 exec, exec, s[66:67]
                                        ; implicit-def: $vgpr14_vgpr15
.LBB14_2725:                            ;   in Loop: Header=BB14_17 Depth=1
	s_andn2_saveexec_b64 s[66:67], s[86:87]
	s_cbranch_execz .LBB14_2727
; %bb.2726:                             ;   in Loop: Header=BB14_17 Depth=1
	flat_load_ubyte v14, v[14:15]
	s_movk_i32 vcc_lo, 0x7f00
	s_waitcnt vmcnt(0) lgkmcnt(0)
	v_lshlrev_b16_e32 v15, 8, v14
	v_lshlrev_b32_e32 v14, 25, v14
	v_lshrrev_b32_e32 v64, 4, v14
	v_and_or_b32 v66, v15, vcc_lo, 0.5
	v_or_b32_e32 v64, 0x70000000, v64
	s_brev_b32 vcc_lo, 16
	v_add_f32_e32 v66, -0.5, v66
	v_mul_f32_e32 v64, 0x7800000, v64
	v_cmp_gt_u32_e32 vcc, vcc_lo, v14
	v_cndmask_b32_e32 v14, v64, v66, vcc
	v_bfe_i32 v15, v15, 0, 16
	s_brev_b32 vcc_lo, 1
	v_and_or_b32 v66, v15, vcc_lo, v14
.LBB14_2727:                            ;   in Loop: Header=BB14_17 Depth=1
	s_or_b64 exec, exec, s[66:67]
	s_or_b64 s[74:75], s[94:95], exec
                                        ; implicit-def: $vgpr14_vgpr15
.LBB14_2728:                            ;   in Loop: Header=BB14_17 Depth=1
	s_or_saveexec_b64 s[72:73], s[72:73]
                                        ; implicit-def: $vcc
                                        ; implicit-def: $sgpr68_sgpr69
	s_xor_b64 exec, exec, s[72:73]
	s_cbranch_execz .LBB14_2738
; %bb.2729:                             ;   in Loop: Header=BB14_17 Depth=1
	v_cmp_gt_i16_sdwa vcc, v7, v35 src0_sel:BYTE_0 src1_sel:DWORD
	s_mov_b64 s[66:67], s[74:75]
                                        ; implicit-def: $sgpr68_sgpr69
                                        ; implicit-def: $sgpr76_sgpr77
                                        ; implicit-def: $vgpr66
	s_and_saveexec_b64 s[60:61], vcc
	s_xor_b64 vcc, exec, s[60:61]
	s_cbranch_execz .LBB14_2733
; %bb.2730:                             ;   in Loop: Header=BB14_17 Depth=1
	v_cmp_eq_u16_sdwa s[62:63], v7, v36 src0_sel:BYTE_0 src1_sel:DWORD
	s_mov_b64 s[66:67], s[74:75]
                                        ; implicit-def: $vgpr66
	s_and_saveexec_b64 s[60:61], s[62:63]
	s_cbranch_execz .LBB14_2732
; %bb.2731:                             ;   in Loop: Header=BB14_17 Depth=1
	flat_load_ushort v14, v[14:15]
	s_or_b64 s[66:67], s[74:75], exec
	s_waitcnt vmcnt(0) lgkmcnt(0)
	v_lshlrev_b32_e32 v66, 16, v14
.LBB14_2732:                            ;   in Loop: Header=BB14_17 Depth=1
	s_or_b64 exec, exec, s[60:61]
	s_andn2_b64 s[60:61], s[74:75], exec
	s_and_b64 s[62:63], s[66:67], exec
	s_mov_b64 s[76:77], -1
	s_mov_b64 s[68:69], 0
	s_or_b64 s[66:67], s[60:61], s[62:63]
                                        ; implicit-def: $vgpr14_vgpr15
.LBB14_2733:                            ;   in Loop: Header=BB14_17 Depth=1
	s_andn2_saveexec_b64 s[70:71], vcc
	s_cbranch_execz .LBB14_2737
; %bb.2734:                             ;   in Loop: Header=BB14_17 Depth=1
	v_cmp_eq_u16_sdwa s[62:63], v7, v37 src0_sel:BYTE_0 src1_sel:DWORD
	s_mov_b64 vcc, s[66:67]
                                        ; implicit-def: $vgpr66
	s_and_saveexec_b64 s[60:61], s[62:63]
	s_cbranch_execz .LBB14_2736
; %bb.2735:                             ;   in Loop: Header=BB14_17 Depth=1
	flat_load_ubyte v14, v[14:15]
	s_waitcnt vmcnt(0) lgkmcnt(0)
	v_cmp_ne_u16_e32 vcc, 0, v14
	v_cndmask_b32_e64 v66, 0, 1.0, vcc
	s_or_b64 vcc, s[66:67], exec
.LBB14_2736:                            ;   in Loop: Header=BB14_17 Depth=1
	s_or_b64 exec, exec, s[60:61]
	s_andn2_b64 s[60:61], s[66:67], exec
	s_and_b64 vcc, vcc, exec
	s_andn2_b64 s[68:69], s[68:69], exec
	s_or_b64 s[76:77], s[76:77], exec
	s_or_b64 s[66:67], s[60:61], vcc
.LBB14_2737:                            ;   in Loop: Header=BB14_17 Depth=1
	s_or_b64 exec, exec, s[70:71]
	s_andn2_b64 s[60:61], s[74:75], exec
	s_and_b64 s[62:63], s[66:67], exec
	s_and_b64 s[68:69], s[68:69], exec
	s_and_b64 vcc, s[76:77], exec
	s_or_b64 s[74:75], s[60:61], s[62:63]
.LBB14_2738:                            ;   in Loop: Header=BB14_17 Depth=1
	s_or_b64 exec, exec, s[72:73]
	s_andn2_b64 s[60:61], s[80:81], exec
	s_and_b64 s[62:63], s[68:69], exec
	s_or_b64 s[80:81], s[60:61], s[62:63]
	s_andn2_b64 s[60:61], s[78:79], exec
	s_and_b64 vcc, vcc, exec
	s_or_b64 s[78:79], s[60:61], vcc
	s_andn2_b64 vcc, s[94:95], exec
	s_and_b64 s[60:61], s[74:75], exec
	s_or_b64 s[94:95], vcc, s[60:61]
.LBB14_2739:                            ;   in Loop: Header=BB14_17 Depth=1
	s_or_b64 exec, exec, s[84:85]
	s_and_b64 s[86:87], s[80:81], exec
	s_and_b64 s[84:85], s[78:79], exec
	s_and_b64 vcc, s[94:95], exec
                                        ; implicit-def: $vgpr14_vgpr15
	s_andn2_saveexec_b64 s[78:79], s[92:93]
	s_cbranch_execz .LBB14_2564
.LBB14_2740:                            ;   in Loop: Header=BB14_17 Depth=1
	v_cmp_gt_i16_sdwa s[60:61], v7, v38 src0_sel:BYTE_0 src1_sel:DWORD
                                        ; implicit-def: $vgpr66
	s_and_saveexec_b64 s[62:63], s[60:61]
	s_xor_b64 s[72:73], exec, s[62:63]
	s_cbranch_execz .LBB14_2762
; %bb.2741:                             ;   in Loop: Header=BB14_17 Depth=1
	v_cmp_gt_i16_sdwa s[60:61], v7, v39 src0_sel:BYTE_0 src1_sel:DWORD
                                        ; implicit-def: $vgpr66
	s_and_saveexec_b64 s[62:63], s[60:61]
	s_xor_b64 s[66:67], exec, s[62:63]
	s_cbranch_execz .LBB14_2751
; %bb.2742:                             ;   in Loop: Header=BB14_17 Depth=1
	;; [unrolled: 6-line block ×4, first 2 shown]
	flat_load_dwordx2 v[14:15], v[14:15]
	s_waitcnt vmcnt(0) lgkmcnt(0)
	v_cvt_f32_f64_e32 v66, v[14:15]
                                        ; implicit-def: $vgpr14_vgpr15
.LBB14_2745:                            ;   in Loop: Header=BB14_17 Depth=1
	s_andn2_saveexec_b64 s[60:61], s[60:61]
	s_cbranch_execz .LBB14_2747
; %bb.2746:                             ;   in Loop: Header=BB14_17 Depth=1
	flat_load_dword v66, v[14:15]
.LBB14_2747:                            ;   in Loop: Header=BB14_17 Depth=1
	s_or_b64 exec, exec, s[60:61]
                                        ; implicit-def: $vgpr14_vgpr15
.LBB14_2748:                            ;   in Loop: Header=BB14_17 Depth=1
	s_andn2_saveexec_b64 s[60:61], s[68:69]
	s_cbranch_execz .LBB14_2750
; %bb.2749:                             ;   in Loop: Header=BB14_17 Depth=1
	flat_load_dword v14, v[14:15]
	s_waitcnt vmcnt(0) lgkmcnt(0)
	v_cvt_f32_f16_e32 v66, v14
.LBB14_2750:                            ;   in Loop: Header=BB14_17 Depth=1
	s_or_b64 exec, exec, s[60:61]
                                        ; implicit-def: $vgpr14_vgpr15
.LBB14_2751:                            ;   in Loop: Header=BB14_17 Depth=1
	s_andn2_saveexec_b64 s[66:67], s[66:67]
	s_cbranch_execz .LBB14_2761
; %bb.2752:                             ;   in Loop: Header=BB14_17 Depth=1
	v_cmp_gt_i16_sdwa s[60:61], v7, v50 src0_sel:BYTE_0 src1_sel:DWORD
                                        ; implicit-def: $vgpr66
	s_and_saveexec_b64 s[62:63], s[60:61]
	s_xor_b64 s[68:69], exec, s[62:63]
	s_cbranch_execz .LBB14_2758
; %bb.2753:                             ;   in Loop: Header=BB14_17 Depth=1
	v_cmp_gt_i16_sdwa s[60:61], v7, v51 src0_sel:BYTE_0 src1_sel:DWORD
                                        ; implicit-def: $vgpr66
	s_and_saveexec_b64 s[62:63], s[60:61]
	s_xor_b64 s[60:61], exec, s[62:63]
	s_cbranch_execz .LBB14_2755
; %bb.2754:                             ;   in Loop: Header=BB14_17 Depth=1
	flat_load_dwordx2 v[14:15], v[14:15]
	s_waitcnt vmcnt(0) lgkmcnt(0)
	v_cvt_f32_f64_e32 v66, v[14:15]
                                        ; implicit-def: $vgpr14_vgpr15
.LBB14_2755:                            ;   in Loop: Header=BB14_17 Depth=1
	s_andn2_saveexec_b64 s[60:61], s[60:61]
	s_cbranch_execz .LBB14_2757
; %bb.2756:                             ;   in Loop: Header=BB14_17 Depth=1
	s_waitcnt vmcnt(0) lgkmcnt(0)
	flat_load_dword v66, v[14:15]
.LBB14_2757:                            ;   in Loop: Header=BB14_17 Depth=1
	s_or_b64 exec, exec, s[60:61]
                                        ; implicit-def: $vgpr14_vgpr15
.LBB14_2758:                            ;   in Loop: Header=BB14_17 Depth=1
	s_andn2_saveexec_b64 s[60:61], s[68:69]
	s_cbranch_execz .LBB14_2760
; %bb.2759:                             ;   in Loop: Header=BB14_17 Depth=1
	flat_load_ushort v14, v[14:15]
	s_waitcnt vmcnt(0) lgkmcnt(0)
	v_cvt_f32_f16_e32 v66, v14
.LBB14_2760:                            ;   in Loop: Header=BB14_17 Depth=1
	s_or_b64 exec, exec, s[60:61]
.LBB14_2761:                            ;   in Loop: Header=BB14_17 Depth=1
	s_or_b64 exec, exec, s[66:67]
                                        ; implicit-def: $vgpr14_vgpr15
.LBB14_2762:                            ;   in Loop: Header=BB14_17 Depth=1
	s_andn2_saveexec_b64 s[72:73], s[72:73]
	s_cbranch_execz .LBB14_2780
; %bb.2763:                             ;   in Loop: Header=BB14_17 Depth=1
	v_cmp_gt_i16_sdwa s[60:61], v7, v52 src0_sel:BYTE_0 src1_sel:DWORD
                                        ; implicit-def: $vgpr66
	s_and_saveexec_b64 s[62:63], s[60:61]
	s_xor_b64 s[74:75], exec, s[62:63]
	s_cbranch_execz .LBB14_2773
; %bb.2764:                             ;   in Loop: Header=BB14_17 Depth=1
	v_cmp_gt_i16_sdwa s[60:61], v7, v53 src0_sel:BYTE_0 src1_sel:DWORD
                                        ; implicit-def: $vgpr66
	s_and_saveexec_b64 s[62:63], s[60:61]
	s_xor_b64 s[66:67], exec, s[62:63]
	;; [unrolled: 6-line block ×3, first 2 shown]
	s_cbranch_execz .LBB14_2767
; %bb.2766:                             ;   in Loop: Header=BB14_17 Depth=1
	flat_load_dwordx2 v[14:15], v[14:15]
	s_waitcnt vmcnt(0) lgkmcnt(0)
	v_xor_b32_e32 v66, v14, v15
	v_ffbh_i32_e32 v64, v15
	v_ashrrev_i32_e32 v66, 31, v66
	v_add_u32_e32 v64, -1, v64
	v_add_u32_e32 v66, 32, v66
	v_min_u32_e32 v64, v64, v66
	v_lshlrev_b64 v[14:15], v64, v[14:15]
	v_min_u32_e32 v14, 1, v14
	v_or_b32_e32 v14, v15, v14
	v_cvt_f32_i32_e32 v14, v14
	v_sub_u32_e32 v15, 32, v64
	v_ldexp_f32 v66, v14, v15
                                        ; implicit-def: $vgpr14_vgpr15
.LBB14_2767:                            ;   in Loop: Header=BB14_17 Depth=1
	s_andn2_saveexec_b64 s[60:61], s[68:69]
	s_cbranch_execz .LBB14_2769
; %bb.2768:                             ;   in Loop: Header=BB14_17 Depth=1
	flat_load_dword v14, v[14:15]
	s_waitcnt vmcnt(0) lgkmcnt(0)
	v_cvt_f32_i32_e32 v66, v14
.LBB14_2769:                            ;   in Loop: Header=BB14_17 Depth=1
	s_or_b64 exec, exec, s[60:61]
                                        ; implicit-def: $vgpr14_vgpr15
.LBB14_2770:                            ;   in Loop: Header=BB14_17 Depth=1
	s_andn2_saveexec_b64 s[60:61], s[66:67]
	s_cbranch_execz .LBB14_2772
; %bb.2771:                             ;   in Loop: Header=BB14_17 Depth=1
	flat_load_sshort v14, v[14:15]
	s_waitcnt vmcnt(0) lgkmcnt(0)
	v_cvt_f32_i32_e32 v66, v14
.LBB14_2772:                            ;   in Loop: Header=BB14_17 Depth=1
	s_or_b64 exec, exec, s[60:61]
                                        ; implicit-def: $vgpr14_vgpr15
.LBB14_2773:                            ;   in Loop: Header=BB14_17 Depth=1
	s_andn2_saveexec_b64 s[66:67], s[74:75]
	s_cbranch_execz .LBB14_2779
; %bb.2774:                             ;   in Loop: Header=BB14_17 Depth=1
	v_cmp_gt_i16_sdwa s[60:61], v7, v16 src0_sel:BYTE_0 src1_sel:DWORD
                                        ; implicit-def: $vgpr66
	s_and_saveexec_b64 s[62:63], s[60:61]
	s_xor_b64 s[60:61], exec, s[62:63]
	s_cbranch_execz .LBB14_2776
; %bb.2775:                             ;   in Loop: Header=BB14_17 Depth=1
	flat_load_sbyte v14, v[14:15]
	s_waitcnt vmcnt(0) lgkmcnt(0)
	v_cvt_f32_i32_e32 v66, v14
                                        ; implicit-def: $vgpr14_vgpr15
.LBB14_2776:                            ;   in Loop: Header=BB14_17 Depth=1
	s_andn2_saveexec_b64 s[60:61], s[60:61]
	s_cbranch_execz .LBB14_2778
; %bb.2777:                             ;   in Loop: Header=BB14_17 Depth=1
	flat_load_ubyte v14, v[14:15]
	s_waitcnt vmcnt(0) lgkmcnt(0)
	v_cvt_f32_ubyte0_e32 v66, v14
.LBB14_2778:                            ;   in Loop: Header=BB14_17 Depth=1
	s_or_b64 exec, exec, s[60:61]
.LBB14_2779:                            ;   in Loop: Header=BB14_17 Depth=1
	s_or_b64 exec, exec, s[66:67]
.LBB14_2780:                            ;   in Loop: Header=BB14_17 Depth=1
	s_or_b64 exec, exec, s[72:73]
	s_andn2_b64 s[86:87], s[86:87], exec
	s_andn2_b64 s[84:85], s[84:85], exec
	s_or_b64 vcc, vcc, exec
	s_or_b64 exec, exec, s[78:79]
	s_mov_b64 s[66:67], 0
	s_and_saveexec_b64 s[92:93], vcc
	s_cbranch_execz .LBB14_2886
.LBB14_2781:                            ;   in Loop: Header=BB14_17 Depth=1
	v_mul_lo_u32 v14, v65, v10
	v_readlane_b32 s60, v44, 0
	v_add_co_u32_e32 v14, vcc, v4, v14
	v_add_u32_e32 v64, s60, v17
	v_addc_co_u32_e32 v15, vcc, 0, v5, vcc
	v_cmp_gt_i16_sdwa s[60:61], v8, v18 src0_sel:BYTE_0 src1_sel:DWORD
	s_mov_b64 s[78:79], 0
	s_waitcnt vmcnt(0) lgkmcnt(0)
	buffer_store_dword v66, v64, s[0:3], 0 offen offset:100
                                        ; implicit-def: $vcc
                                        ; implicit-def: $sgpr96_sgpr97
                                        ; implicit-def: $vgpr65
	s_and_saveexec_b64 s[62:63], s[60:61]
	s_xor_b64 s[62:63], exec, s[62:63]
	v_writelane_b32 v44, s62, 24
	v_writelane_b32 v44, s63, 25
	s_cbranch_execz .LBB14_2841
; %bb.2782:                             ;   in Loop: Header=BB14_17 Depth=1
	v_cmp_gt_i16_sdwa vcc, v8, v19 src0_sel:BYTE_0 src1_sel:DWORD
                                        ; implicit-def: $sgpr80_sgpr81
                                        ; implicit-def: $sgpr96_sgpr97
                                        ; implicit-def: $vgpr65
	s_and_saveexec_b64 s[60:61], vcc
	s_xor_b64 s[76:77], exec, s[60:61]
	s_cbranch_execz .LBB14_2814
; %bb.2783:                             ;   in Loop: Header=BB14_17 Depth=1
	v_cmp_gt_i16_sdwa vcc, v8, v20 src0_sel:BYTE_0 src1_sel:DWORD
                                        ; implicit-def: $sgpr72_sgpr73
                                        ; implicit-def: $sgpr94_sgpr95
                                        ; implicit-def: $vgpr65
	s_and_saveexec_b64 s[60:61], vcc
	s_xor_b64 s[80:81], exec, s[60:61]
	s_cbranch_execz .LBB14_2799
; %bb.2784:                             ;   in Loop: Header=BB14_17 Depth=1
	v_cmp_gt_i16_sdwa s[60:61], v8, v21 src0_sel:BYTE_0 src1_sel:DWORD
	s_mov_b64 s[74:75], 0
                                        ; implicit-def: $vcc
                                        ; implicit-def: $sgpr94_sgpr95
                                        ; implicit-def: $vgpr65
	s_and_saveexec_b64 s[62:63], s[60:61]
	s_xor_b64 s[72:73], exec, s[62:63]
	s_cbranch_execz .LBB14_2794
; %bb.2785:                             ;   in Loop: Header=BB14_17 Depth=1
	v_cmp_gt_i16_sdwa vcc, v8, v22 src0_sel:BYTE_0 src1_sel:DWORD
                                        ; implicit-def: $sgpr94_sgpr95
                                        ; implicit-def: $sgpr74_sgpr75
                                        ; implicit-def: $vgpr65
	s_and_saveexec_b64 s[60:61], vcc
	s_xor_b64 vcc, exec, s[60:61]
	s_cbranch_execz .LBB14_2789
; %bb.2786:                             ;   in Loop: Header=BB14_17 Depth=1
	v_cmp_eq_u16_sdwa s[62:63], v8, v23 src0_sel:BYTE_0 src1_sel:DWORD
	s_mov_b64 s[74:75], 0
                                        ; implicit-def: $vgpr65
	s_and_saveexec_b64 s[60:61], s[62:63]
	s_cbranch_execz .LBB14_2788
; %bb.2787:                             ;   in Loop: Header=BB14_17 Depth=1
	flat_load_dword v14, v[14:15]
	s_mov_b64 s[66:67], exec
	s_waitcnt vmcnt(0) lgkmcnt(0)
	v_lshlrev_b32_e32 v65, 16, v14
.LBB14_2788:                            ;   in Loop: Header=BB14_17 Depth=1
	s_or_b64 exec, exec, s[60:61]
	s_mov_b64 s[94:95], -1
	s_and_b64 s[78:79], s[66:67], exec
                                        ; implicit-def: $vgpr14_vgpr15
.LBB14_2789:                            ;   in Loop: Header=BB14_17 Depth=1
	s_andn2_saveexec_b64 s[66:67], vcc
	s_cbranch_execz .LBB14_2793
; %bb.2790:                             ;   in Loop: Header=BB14_17 Depth=1
	v_cmp_eq_u16_sdwa s[60:61], v8, v24 src0_sel:BYTE_0 src1_sel:DWORD
	s_mov_b64 vcc, s[78:79]
                                        ; implicit-def: $vgpr65
	s_and_saveexec_b64 s[68:69], s[60:61]
	s_cbranch_execz .LBB14_2792
; %bb.2791:                             ;   in Loop: Header=BB14_17 Depth=1
	flat_load_ubyte v14, v[14:15]
	s_movk_i32 vcc_lo, 0xff
	s_waitcnt vmcnt(0) lgkmcnt(0)
	v_lshlrev_b32_e32 v15, 23, v14
	v_cmp_ne_u32_e32 vcc, vcc_lo, v14
	v_cndmask_b32_e32 v15, v25, v15, vcc
	v_cmp_ne_u32_e32 vcc, 0, v14
	v_cndmask_b32_e32 v65, v26, v15, vcc
	s_or_b64 vcc, s[78:79], exec
.LBB14_2792:                            ;   in Loop: Header=BB14_17 Depth=1
	s_or_b64 exec, exec, s[68:69]
	s_andn2_b64 s[60:61], s[78:79], exec
	s_and_b64 vcc, vcc, exec
	s_or_b64 s[94:95], s[94:95], exec
	s_andn2_b64 s[74:75], s[74:75], exec
	s_or_b64 s[78:79], s[60:61], vcc
.LBB14_2793:                            ;   in Loop: Header=BB14_17 Depth=1
	s_or_b64 exec, exec, s[66:67]
	s_and_b64 s[94:95], s[94:95], exec
	s_and_b64 vcc, s[74:75], exec
	s_and_b64 s[74:75], s[78:79], exec
                                        ; implicit-def: $vgpr14_vgpr15
.LBB14_2794:                            ;   in Loop: Header=BB14_17 Depth=1
	s_andn2_saveexec_b64 s[66:67], s[72:73]
	s_cbranch_execz .LBB14_2798
; %bb.2795:                             ;   in Loop: Header=BB14_17 Depth=1
	v_cmp_eq_u16_sdwa s[60:61], v8, v27 src0_sel:BYTE_0 src1_sel:DWORD
	s_mov_b64 s[70:71], s[74:75]
                                        ; implicit-def: $vgpr65
	s_and_saveexec_b64 s[68:69], s[60:61]
	s_cbranch_execz .LBB14_2797
; %bb.2796:                             ;   in Loop: Header=BB14_17 Depth=1
	flat_load_dwordx2 v[14:15], v[14:15]
	s_or_b64 s[70:71], s[74:75], exec
	s_waitcnt vmcnt(0) lgkmcnt(0)
	v_ffbh_u32_e32 v65, v15
	v_min_u32_e32 v65, 32, v65
	v_lshlrev_b64 v[14:15], v65, v[14:15]
	v_min_u32_e32 v14, 1, v14
	v_or_b32_e32 v14, v15, v14
	v_cvt_f32_u32_e32 v14, v14
	v_sub_u32_e32 v15, 32, v65
	v_ldexp_f32 v65, v14, v15
.LBB14_2797:                            ;   in Loop: Header=BB14_17 Depth=1
	s_or_b64 exec, exec, s[68:69]
	s_andn2_b64 s[60:61], s[74:75], exec
	s_and_b64 s[62:63], s[70:71], exec
	s_or_b64 s[94:95], s[94:95], exec
	s_andn2_b64 vcc, vcc, exec
	s_or_b64 s[74:75], s[60:61], s[62:63]
.LBB14_2798:                            ;   in Loop: Header=BB14_17 Depth=1
	s_or_b64 exec, exec, s[66:67]
	s_and_b64 s[94:95], s[94:95], exec
	s_and_b64 s[72:73], vcc, exec
	s_and_b64 s[78:79], s[74:75], exec
                                        ; implicit-def: $vgpr14_vgpr15
.LBB14_2799:                            ;   in Loop: Header=BB14_17 Depth=1
	s_andn2_saveexec_b64 s[80:81], s[80:81]
	s_cbranch_execz .LBB14_2813
; %bb.2800:                             ;   in Loop: Header=BB14_17 Depth=1
	v_cmp_gt_i16_sdwa vcc, v8, v28 src0_sel:BYTE_0 src1_sel:DWORD
                                        ; implicit-def: $vgpr65
	s_and_saveexec_b64 s[60:61], vcc
	s_xor_b64 vcc, exec, s[60:61]
	s_cbranch_execz .LBB14_2806
; %bb.2801:                             ;   in Loop: Header=BB14_17 Depth=1
	v_cmp_gt_i16_sdwa s[60:61], v8, v29 src0_sel:BYTE_0 src1_sel:DWORD
                                        ; implicit-def: $vgpr65
	s_and_saveexec_b64 s[62:63], s[60:61]
	s_xor_b64 s[60:61], exec, s[62:63]
	s_cbranch_execz .LBB14_2803
; %bb.2802:                             ;   in Loop: Header=BB14_17 Depth=1
	flat_load_dword v14, v[14:15]
	s_waitcnt vmcnt(0) lgkmcnt(0)
	v_cvt_f32_u32_e32 v65, v14
                                        ; implicit-def: $vgpr14_vgpr15
.LBB14_2803:                            ;   in Loop: Header=BB14_17 Depth=1
	s_andn2_saveexec_b64 s[60:61], s[60:61]
	s_cbranch_execz .LBB14_2805
; %bb.2804:                             ;   in Loop: Header=BB14_17 Depth=1
	flat_load_ushort v14, v[14:15]
	s_waitcnt vmcnt(0) lgkmcnt(0)
	v_cvt_f32_u32_e32 v65, v14
.LBB14_2805:                            ;   in Loop: Header=BB14_17 Depth=1
	s_or_b64 exec, exec, s[60:61]
                                        ; implicit-def: $vgpr14_vgpr15
.LBB14_2806:                            ;   in Loop: Header=BB14_17 Depth=1
	s_andn2_saveexec_b64 s[74:75], vcc
	s_cbranch_execz .LBB14_2812
; %bb.2807:                             ;   in Loop: Header=BB14_17 Depth=1
	flat_load_ubyte v14, v[14:15]
	s_movk_i32 vcc_lo, 0x7f
	s_mov_b64 s[66:67], 0
                                        ; implicit-def: $sgpr70
	s_waitcnt vmcnt(0) lgkmcnt(0)
	v_cmp_lt_i16_e32 vcc, vcc_lo, v14
	s_and_saveexec_b64 s[60:61], vcc
	s_xor_b64 s[68:69], exec, s[60:61]
	s_cbranch_execnz .LBB14_3594
; %bb.2808:                             ;   in Loop: Header=BB14_17 Depth=1
	s_or_saveexec_b64 s[68:69], s[68:69]
	v_mov_b32_e32 v65, s70
	s_xor_b64 exec, exec, s[68:69]
	s_cbranch_execnz .LBB14_3597
.LBB14_2809:                            ;   in Loop: Header=BB14_17 Depth=1
	s_or_b64 exec, exec, s[68:69]
	s_and_saveexec_b64 s[68:69], s[66:67]
	s_cbranch_execz .LBB14_2811
.LBB14_2810:                            ;   in Loop: Header=BB14_17 Depth=1
	v_lshlrev_b32_e32 v15, 24, v14
	v_and_b32_e32 v14, 0xffff, v14
	v_and_b32_e32 v65, 7, v14
	v_ffbh_u32_e32 v67, v65
	v_min_u32_e32 v67, 32, v67
	v_subrev_u32_e32 v68, 28, v67
	v_bfe_u32 v66, v14, 3, 4
	v_lshlrev_b32_e32 v14, v68, v14
	v_sub_u32_e32 v67, 29, v67
	v_and_b32_e32 v14, 7, v14
	v_cmp_eq_u32_e32 vcc, 0, v66
	v_cndmask_b32_e32 v66, v66, v67, vcc
	v_cndmask_b32_e32 v14, v65, v14, vcc
	v_lshlrev_b32_e32 v14, 20, v14
	v_and_b32_e32 v15, 0x80000000, v15
	v_lshl_add_u32 v65, v66, 23, v30
	v_or3_b32 v65, v15, v65, v14
.LBB14_2811:                            ;   in Loop: Header=BB14_17 Depth=1
	s_or_b64 exec, exec, s[68:69]
.LBB14_2812:                            ;   in Loop: Header=BB14_17 Depth=1
	s_or_b64 exec, exec, s[74:75]
	s_andn2_b64 s[94:95], s[94:95], exec
	s_andn2_b64 s[72:73], s[72:73], exec
	s_or_b64 s[78:79], s[78:79], exec
.LBB14_2813:                            ;   in Loop: Header=BB14_17 Depth=1
	s_or_b64 exec, exec, s[80:81]
	s_and_b64 s[96:97], s[94:95], exec
	s_and_b64 s[80:81], s[72:73], exec
	;; [unrolled: 1-line block ×3, first 2 shown]
                                        ; implicit-def: $vgpr14_vgpr15
.LBB14_2814:                            ;   in Loop: Header=BB14_17 Depth=1
	s_andn2_saveexec_b64 s[94:95], s[76:77]
	s_cbranch_execz .LBB14_2840
; %bb.2815:                             ;   in Loop: Header=BB14_17 Depth=1
	v_cmp_gt_i16_sdwa vcc, v8, v31 src0_sel:BYTE_0 src1_sel:DWORD
	s_mov_b64 s[74:75], s[78:79]
                                        ; implicit-def: $vgpr65
	s_and_saveexec_b64 s[60:61], vcc
	s_xor_b64 s[72:73], exec, s[60:61]
	s_cbranch_execz .LBB14_2829
; %bb.2816:                             ;   in Loop: Header=BB14_17 Depth=1
	v_cmp_gt_i16_sdwa vcc, v8, v32 src0_sel:BYTE_0 src1_sel:DWORD
                                        ; implicit-def: $vgpr65
	s_and_saveexec_b64 s[60:61], vcc
	s_xor_b64 s[62:63], exec, s[60:61]
	s_cbranch_execz .LBB14_2826
; %bb.2817:                             ;   in Loop: Header=BB14_17 Depth=1
	v_cmp_gt_i16_sdwa vcc, v8, v33 src0_sel:BYTE_0 src1_sel:DWORD
                                        ; implicit-def: $vgpr65
	s_and_saveexec_b64 s[60:61], vcc
	s_xor_b64 s[74:75], exec, s[60:61]
	s_cbranch_execz .LBB14_2823
; %bb.2818:                             ;   in Loop: Header=BB14_17 Depth=1
	flat_load_ubyte v14, v[14:15]
	s_movk_i32 vcc_lo, 0x7f
	s_mov_b64 s[66:67], 0
                                        ; implicit-def: $sgpr70
	s_waitcnt vmcnt(0) lgkmcnt(0)
	v_cmp_lt_i16_e32 vcc, vcc_lo, v14
	s_and_saveexec_b64 s[60:61], vcc
	s_xor_b64 s[68:69], exec, s[60:61]
	s_cbranch_execnz .LBB14_3602
; %bb.2819:                             ;   in Loop: Header=BB14_17 Depth=1
	s_or_saveexec_b64 s[68:69], s[68:69]
	v_mov_b32_e32 v65, s70
	s_xor_b64 exec, exec, s[68:69]
	s_cbranch_execnz .LBB14_3605
.LBB14_2820:                            ;   in Loop: Header=BB14_17 Depth=1
	s_or_b64 exec, exec, s[68:69]
	s_and_saveexec_b64 s[68:69], s[66:67]
	s_cbranch_execz .LBB14_2822
.LBB14_2821:                            ;   in Loop: Header=BB14_17 Depth=1
	v_lshlrev_b32_e32 v15, 24, v14
	v_and_b32_e32 v14, 0xffff, v14
	v_and_b32_e32 v65, 3, v14
	v_ffbh_u32_e32 v67, v65
	v_min_u32_e32 v67, 32, v67
	v_subrev_u32_e32 v68, 29, v67
	v_bfe_u32 v66, v14, 2, 5
	v_lshlrev_b32_e32 v14, v68, v14
	v_sub_u32_e32 v67, 30, v67
	v_and_b32_e32 v14, 3, v14
	v_cmp_eq_u32_e32 vcc, 0, v66
	v_cndmask_b32_e32 v66, v66, v67, vcc
	v_cndmask_b32_e32 v14, v65, v14, vcc
	v_lshlrev_b32_e32 v14, 21, v14
	v_and_b32_e32 v15, 0x80000000, v15
	v_lshl_add_u32 v65, v66, 23, v34
	v_or3_b32 v65, v15, v65, v14
.LBB14_2822:                            ;   in Loop: Header=BB14_17 Depth=1
	s_or_b64 exec, exec, s[68:69]
                                        ; implicit-def: $vgpr14_vgpr15
.LBB14_2823:                            ;   in Loop: Header=BB14_17 Depth=1
	s_andn2_saveexec_b64 s[66:67], s[74:75]
	s_cbranch_execz .LBB14_2825
; %bb.2824:                             ;   in Loop: Header=BB14_17 Depth=1
	flat_load_ubyte v14, v[14:15]
	s_mov_b32 vcc_lo, 0x7f800000
	s_waitcnt vmcnt(0) lgkmcnt(0)
	v_lshlrev_b32_e32 v14, 24, v14
	v_and_b32_e32 v15, 0x7f000000, v14
	v_ffbh_u32_e32 v65, v15
	v_min_u32_e32 v65, 32, v65
	v_sub_u32_e64 v65, v65, 4 clamp
	v_lshlrev_b32_e32 v67, v65, v15
	v_lshlrev_b32_e32 v65, 23, v65
	v_lshrrev_b32_e32 v67, 4, v67
	v_add_u32_e32 v66, 0x1000000, v15
	v_sub_u32_e32 v65, v67, v65
	v_ashrrev_i32_e32 v66, 8, v66
	v_add_u32_e32 v65, 0x3c000000, v65
	v_and_or_b32 v65, v66, vcc_lo, v65
	v_cmp_ne_u32_e32 vcc, 0, v15
	v_cndmask_b32_e32 v15, 0, v65, vcc
	s_brev_b32 vcc_lo, 1
	v_and_or_b32 v65, v14, vcc_lo, v15
.LBB14_2825:                            ;   in Loop: Header=BB14_17 Depth=1
	s_or_b64 exec, exec, s[66:67]
                                        ; implicit-def: $vgpr14_vgpr15
.LBB14_2826:                            ;   in Loop: Header=BB14_17 Depth=1
	s_andn2_saveexec_b64 s[66:67], s[62:63]
	s_cbranch_execz .LBB14_2828
; %bb.2827:                             ;   in Loop: Header=BB14_17 Depth=1
	flat_load_ubyte v14, v[14:15]
	s_movk_i32 vcc_lo, 0x7f00
	s_waitcnt vmcnt(0) lgkmcnt(0)
	v_lshlrev_b16_e32 v15, 8, v14
	v_lshlrev_b32_e32 v14, 25, v14
	v_lshrrev_b32_e32 v65, 4, v14
	v_and_or_b32 v66, v15, vcc_lo, 0.5
	v_or_b32_e32 v65, 0x70000000, v65
	s_brev_b32 vcc_lo, 16
	v_add_f32_e32 v66, -0.5, v66
	v_mul_f32_e32 v65, 0x7800000, v65
	v_cmp_gt_u32_e32 vcc, vcc_lo, v14
	v_cndmask_b32_e32 v14, v65, v66, vcc
	v_bfe_i32 v15, v15, 0, 16
	s_brev_b32 vcc_lo, 1
	v_and_or_b32 v65, v15, vcc_lo, v14
.LBB14_2828:                            ;   in Loop: Header=BB14_17 Depth=1
	s_or_b64 exec, exec, s[66:67]
	s_or_b64 s[74:75], s[78:79], exec
                                        ; implicit-def: $vgpr14_vgpr15
.LBB14_2829:                            ;   in Loop: Header=BB14_17 Depth=1
	s_or_saveexec_b64 s[72:73], s[72:73]
                                        ; implicit-def: $vcc
                                        ; implicit-def: $sgpr68_sgpr69
	s_xor_b64 exec, exec, s[72:73]
	s_cbranch_execz .LBB14_2839
; %bb.2830:                             ;   in Loop: Header=BB14_17 Depth=1
	v_cmp_gt_i16_sdwa vcc, v8, v35 src0_sel:BYTE_0 src1_sel:DWORD
	s_mov_b64 s[66:67], s[74:75]
                                        ; implicit-def: $sgpr68_sgpr69
                                        ; implicit-def: $sgpr76_sgpr77
                                        ; implicit-def: $vgpr65
	s_and_saveexec_b64 s[60:61], vcc
	s_xor_b64 vcc, exec, s[60:61]
	s_cbranch_execz .LBB14_2834
; %bb.2831:                             ;   in Loop: Header=BB14_17 Depth=1
	v_cmp_eq_u16_sdwa s[62:63], v8, v36 src0_sel:BYTE_0 src1_sel:DWORD
	s_mov_b64 s[66:67], s[74:75]
                                        ; implicit-def: $vgpr65
	s_and_saveexec_b64 s[60:61], s[62:63]
	s_cbranch_execz .LBB14_2833
; %bb.2832:                             ;   in Loop: Header=BB14_17 Depth=1
	flat_load_ushort v14, v[14:15]
	s_or_b64 s[66:67], s[74:75], exec
	s_waitcnt vmcnt(0) lgkmcnt(0)
	v_lshlrev_b32_e32 v65, 16, v14
.LBB14_2833:                            ;   in Loop: Header=BB14_17 Depth=1
	s_or_b64 exec, exec, s[60:61]
	s_andn2_b64 s[60:61], s[74:75], exec
	s_and_b64 s[62:63], s[66:67], exec
	s_mov_b64 s[76:77], 0
	s_mov_b64 s[68:69], -1
	s_or_b64 s[66:67], s[60:61], s[62:63]
                                        ; implicit-def: $vgpr14_vgpr15
.LBB14_2834:                            ;   in Loop: Header=BB14_17 Depth=1
	s_andn2_saveexec_b64 s[70:71], vcc
	s_cbranch_execz .LBB14_2838
; %bb.2835:                             ;   in Loop: Header=BB14_17 Depth=1
	v_cmp_eq_u16_sdwa s[62:63], v8, v37 src0_sel:BYTE_0 src1_sel:DWORD
	s_mov_b64 vcc, s[66:67]
                                        ; implicit-def: $vgpr65
	s_and_saveexec_b64 s[60:61], s[62:63]
	s_cbranch_execz .LBB14_2837
; %bb.2836:                             ;   in Loop: Header=BB14_17 Depth=1
	flat_load_ubyte v14, v[14:15]
	s_waitcnt vmcnt(0) lgkmcnt(0)
	v_cmp_ne_u16_e32 vcc, 0, v14
	v_cndmask_b32_e64 v65, 0, 1.0, vcc
	s_or_b64 vcc, s[66:67], exec
.LBB14_2837:                            ;   in Loop: Header=BB14_17 Depth=1
	s_or_b64 exec, exec, s[60:61]
	s_andn2_b64 s[60:61], s[66:67], exec
	s_and_b64 vcc, vcc, exec
	s_or_b64 s[68:69], s[68:69], exec
	s_andn2_b64 s[76:77], s[76:77], exec
	s_or_b64 s[66:67], s[60:61], vcc
.LBB14_2838:                            ;   in Loop: Header=BB14_17 Depth=1
	s_or_b64 exec, exec, s[70:71]
	s_andn2_b64 s[60:61], s[74:75], exec
	s_and_b64 s[62:63], s[66:67], exec
	s_and_b64 s[68:69], s[68:69], exec
	s_and_b64 vcc, s[76:77], exec
	s_or_b64 s[74:75], s[60:61], s[62:63]
.LBB14_2839:                            ;   in Loop: Header=BB14_17 Depth=1
	s_or_b64 exec, exec, s[72:73]
	s_andn2_b64 s[60:61], s[96:97], exec
	s_and_b64 s[62:63], s[68:69], exec
	s_or_b64 s[96:97], s[60:61], s[62:63]
	s_andn2_b64 s[60:61], s[80:81], exec
	s_and_b64 vcc, vcc, exec
	s_or_b64 s[80:81], s[60:61], vcc
	s_andn2_b64 vcc, s[78:79], exec
	s_and_b64 s[60:61], s[74:75], exec
	s_or_b64 s[78:79], vcc, s[60:61]
.LBB14_2840:                            ;   in Loop: Header=BB14_17 Depth=1
	s_or_b64 exec, exec, s[94:95]
	s_and_b64 s[96:97], s[96:97], exec
	s_and_b64 vcc, s[80:81], exec
	s_and_b64 s[78:79], s[78:79], exec
                                        ; implicit-def: $vgpr14_vgpr15
.LBB14_2841:                            ;   in Loop: Header=BB14_17 Depth=1
	v_readlane_b32 s60, v44, 24
	v_readlane_b32 s61, v44, 25
	s_andn2_saveexec_b64 s[80:81], s[60:61]
	s_cbranch_execz .LBB14_2883
; %bb.2842:                             ;   in Loop: Header=BB14_17 Depth=1
	v_cmp_gt_i16_sdwa s[60:61], v8, v38 src0_sel:BYTE_0 src1_sel:DWORD
                                        ; implicit-def: $vgpr65
	s_and_saveexec_b64 s[62:63], s[60:61]
	s_xor_b64 s[72:73], exec, s[62:63]
	s_cbranch_execz .LBB14_2864
; %bb.2843:                             ;   in Loop: Header=BB14_17 Depth=1
	v_cmp_gt_i16_sdwa s[60:61], v8, v39 src0_sel:BYTE_0 src1_sel:DWORD
                                        ; implicit-def: $vgpr65
	s_and_saveexec_b64 s[62:63], s[60:61]
	s_xor_b64 s[66:67], exec, s[62:63]
	;; [unrolled: 6-line block ×4, first 2 shown]
	s_cbranch_execz .LBB14_2847
; %bb.2846:                             ;   in Loop: Header=BB14_17 Depth=1
	flat_load_dwordx2 v[14:15], v[14:15]
	s_waitcnt vmcnt(0) lgkmcnt(0)
	v_cvt_f32_f64_e32 v65, v[14:15]
                                        ; implicit-def: $vgpr14_vgpr15
.LBB14_2847:                            ;   in Loop: Header=BB14_17 Depth=1
	s_andn2_saveexec_b64 s[60:61], s[60:61]
	s_cbranch_execz .LBB14_2849
; %bb.2848:                             ;   in Loop: Header=BB14_17 Depth=1
	flat_load_dword v65, v[14:15]
.LBB14_2849:                            ;   in Loop: Header=BB14_17 Depth=1
	s_or_b64 exec, exec, s[60:61]
                                        ; implicit-def: $vgpr14_vgpr15
.LBB14_2850:                            ;   in Loop: Header=BB14_17 Depth=1
	s_andn2_saveexec_b64 s[60:61], s[68:69]
	s_cbranch_execz .LBB14_2852
; %bb.2851:                             ;   in Loop: Header=BB14_17 Depth=1
	flat_load_dword v14, v[14:15]
	s_waitcnt vmcnt(0) lgkmcnt(0)
	v_cvt_f32_f16_e32 v65, v14
.LBB14_2852:                            ;   in Loop: Header=BB14_17 Depth=1
	s_or_b64 exec, exec, s[60:61]
                                        ; implicit-def: $vgpr14_vgpr15
.LBB14_2853:                            ;   in Loop: Header=BB14_17 Depth=1
	s_andn2_saveexec_b64 s[66:67], s[66:67]
	s_cbranch_execz .LBB14_2863
; %bb.2854:                             ;   in Loop: Header=BB14_17 Depth=1
	v_cmp_gt_i16_sdwa s[60:61], v8, v50 src0_sel:BYTE_0 src1_sel:DWORD
                                        ; implicit-def: $vgpr65
	s_and_saveexec_b64 s[62:63], s[60:61]
	s_xor_b64 s[68:69], exec, s[62:63]
	s_cbranch_execz .LBB14_2860
; %bb.2855:                             ;   in Loop: Header=BB14_17 Depth=1
	v_cmp_gt_i16_sdwa s[60:61], v8, v51 src0_sel:BYTE_0 src1_sel:DWORD
                                        ; implicit-def: $vgpr65
	s_and_saveexec_b64 s[62:63], s[60:61]
	s_xor_b64 s[60:61], exec, s[62:63]
	s_cbranch_execz .LBB14_2857
; %bb.2856:                             ;   in Loop: Header=BB14_17 Depth=1
	flat_load_dwordx2 v[14:15], v[14:15]
	s_waitcnt vmcnt(0) lgkmcnt(0)
	v_cvt_f32_f64_e32 v65, v[14:15]
                                        ; implicit-def: $vgpr14_vgpr15
.LBB14_2857:                            ;   in Loop: Header=BB14_17 Depth=1
	s_andn2_saveexec_b64 s[60:61], s[60:61]
	s_cbranch_execz .LBB14_2859
; %bb.2858:                             ;   in Loop: Header=BB14_17 Depth=1
	s_waitcnt vmcnt(0) lgkmcnt(0)
	flat_load_dword v65, v[14:15]
.LBB14_2859:                            ;   in Loop: Header=BB14_17 Depth=1
	s_or_b64 exec, exec, s[60:61]
                                        ; implicit-def: $vgpr14_vgpr15
.LBB14_2860:                            ;   in Loop: Header=BB14_17 Depth=1
	s_andn2_saveexec_b64 s[60:61], s[68:69]
	s_cbranch_execz .LBB14_2862
; %bb.2861:                             ;   in Loop: Header=BB14_17 Depth=1
	flat_load_ushort v14, v[14:15]
	s_waitcnt vmcnt(0) lgkmcnt(0)
	v_cvt_f32_f16_e32 v65, v14
.LBB14_2862:                            ;   in Loop: Header=BB14_17 Depth=1
	s_or_b64 exec, exec, s[60:61]
.LBB14_2863:                            ;   in Loop: Header=BB14_17 Depth=1
	s_or_b64 exec, exec, s[66:67]
                                        ; implicit-def: $vgpr14_vgpr15
.LBB14_2864:                            ;   in Loop: Header=BB14_17 Depth=1
	s_andn2_saveexec_b64 s[72:73], s[72:73]
	s_cbranch_execz .LBB14_2882
; %bb.2865:                             ;   in Loop: Header=BB14_17 Depth=1
	v_cmp_gt_i16_sdwa s[60:61], v8, v52 src0_sel:BYTE_0 src1_sel:DWORD
                                        ; implicit-def: $vgpr65
	s_and_saveexec_b64 s[62:63], s[60:61]
	s_xor_b64 s[74:75], exec, s[62:63]
	s_cbranch_execz .LBB14_2875
; %bb.2866:                             ;   in Loop: Header=BB14_17 Depth=1
	v_cmp_gt_i16_sdwa s[60:61], v8, v53 src0_sel:BYTE_0 src1_sel:DWORD
                                        ; implicit-def: $vgpr65
	s_and_saveexec_b64 s[62:63], s[60:61]
	s_xor_b64 s[66:67], exec, s[62:63]
	s_cbranch_execz .LBB14_2872
; %bb.2867:                             ;   in Loop: Header=BB14_17 Depth=1
	v_cmp_gt_i16_sdwa s[60:61], v8, v54 src0_sel:BYTE_0 src1_sel:DWORD
                                        ; implicit-def: $vgpr65
	s_and_saveexec_b64 s[62:63], s[60:61]
	s_xor_b64 s[68:69], exec, s[62:63]
	s_cbranch_execz .LBB14_2869
; %bb.2868:                             ;   in Loop: Header=BB14_17 Depth=1
	flat_load_dwordx2 v[14:15], v[14:15]
	s_waitcnt vmcnt(0) lgkmcnt(0)
	v_xor_b32_e32 v66, v14, v15
	v_ffbh_i32_e32 v65, v15
	v_ashrrev_i32_e32 v66, 31, v66
	v_add_u32_e32 v65, -1, v65
	v_add_u32_e32 v66, 32, v66
	v_min_u32_e32 v65, v65, v66
	v_lshlrev_b64 v[14:15], v65, v[14:15]
	v_min_u32_e32 v14, 1, v14
	v_or_b32_e32 v14, v15, v14
	v_cvt_f32_i32_e32 v14, v14
	v_sub_u32_e32 v15, 32, v65
	v_ldexp_f32 v65, v14, v15
                                        ; implicit-def: $vgpr14_vgpr15
.LBB14_2869:                            ;   in Loop: Header=BB14_17 Depth=1
	s_andn2_saveexec_b64 s[60:61], s[68:69]
	s_cbranch_execz .LBB14_2871
; %bb.2870:                             ;   in Loop: Header=BB14_17 Depth=1
	flat_load_dword v14, v[14:15]
	s_waitcnt vmcnt(0) lgkmcnt(0)
	v_cvt_f32_i32_e32 v65, v14
.LBB14_2871:                            ;   in Loop: Header=BB14_17 Depth=1
	s_or_b64 exec, exec, s[60:61]
                                        ; implicit-def: $vgpr14_vgpr15
.LBB14_2872:                            ;   in Loop: Header=BB14_17 Depth=1
	s_andn2_saveexec_b64 s[60:61], s[66:67]
	s_cbranch_execz .LBB14_2874
; %bb.2873:                             ;   in Loop: Header=BB14_17 Depth=1
	flat_load_sshort v14, v[14:15]
	s_waitcnt vmcnt(0) lgkmcnt(0)
	v_cvt_f32_i32_e32 v65, v14
.LBB14_2874:                            ;   in Loop: Header=BB14_17 Depth=1
	s_or_b64 exec, exec, s[60:61]
                                        ; implicit-def: $vgpr14_vgpr15
.LBB14_2875:                            ;   in Loop: Header=BB14_17 Depth=1
	s_andn2_saveexec_b64 s[66:67], s[74:75]
	s_cbranch_execz .LBB14_2881
; %bb.2876:                             ;   in Loop: Header=BB14_17 Depth=1
	v_cmp_gt_i16_sdwa s[60:61], v8, v16 src0_sel:BYTE_0 src1_sel:DWORD
                                        ; implicit-def: $vgpr65
	s_and_saveexec_b64 s[62:63], s[60:61]
	s_xor_b64 s[60:61], exec, s[62:63]
	s_cbranch_execz .LBB14_2878
; %bb.2877:                             ;   in Loop: Header=BB14_17 Depth=1
	flat_load_sbyte v14, v[14:15]
	s_waitcnt vmcnt(0) lgkmcnt(0)
	v_cvt_f32_i32_e32 v65, v14
                                        ; implicit-def: $vgpr14_vgpr15
.LBB14_2878:                            ;   in Loop: Header=BB14_17 Depth=1
	s_andn2_saveexec_b64 s[60:61], s[60:61]
	s_cbranch_execz .LBB14_2880
; %bb.2879:                             ;   in Loop: Header=BB14_17 Depth=1
	flat_load_ubyte v14, v[14:15]
	s_waitcnt vmcnt(0) lgkmcnt(0)
	v_cvt_f32_ubyte0_e32 v65, v14
.LBB14_2880:                            ;   in Loop: Header=BB14_17 Depth=1
	s_or_b64 exec, exec, s[60:61]
.LBB14_2881:                            ;   in Loop: Header=BB14_17 Depth=1
	s_or_b64 exec, exec, s[66:67]
.LBB14_2882:                            ;   in Loop: Header=BB14_17 Depth=1
	s_or_b64 exec, exec, s[72:73]
	s_andn2_b64 s[96:97], s[96:97], exec
	s_andn2_b64 vcc, vcc, exec
	s_or_b64 s[78:79], s[78:79], exec
.LBB14_2883:                            ;   in Loop: Header=BB14_17 Depth=1
	s_or_b64 exec, exec, s[80:81]
	s_mov_b64 s[66:67], 0
	s_and_saveexec_b64 s[68:69], s[78:79]
	s_cbranch_execz .LBB14_2885
; %bb.2884:                             ;   in Loop: Header=BB14_17 Depth=1
	s_mov_b64 s[66:67], exec
	v_add_u32_e32 v55, 0x200, v55
	s_andn2_b64 s[96:97], s[96:97], exec
	s_andn2_b64 vcc, vcc, exec
	s_waitcnt vmcnt(0) lgkmcnt(0)
	buffer_store_dword v65, v64, s[0:3], 0 offen offset:96
.LBB14_2885:                            ;   in Loop: Header=BB14_17 Depth=1
	s_or_b64 exec, exec, s[68:69]
	s_andn2_b64 s[60:61], s[86:87], exec
	s_and_b64 s[62:63], s[96:97], exec
	s_or_b64 s[86:87], s[60:61], s[62:63]
	s_andn2_b64 s[60:61], s[84:85], exec
	s_and_b64 vcc, vcc, exec
	s_or_b64 s[84:85], s[60:61], vcc
	s_and_b64 s[66:67], s[66:67], exec
.LBB14_2886:                            ;   in Loop: Header=BB14_17 Depth=1
	s_or_b64 exec, exec, s[92:93]
	s_and_b64 vcc, s[86:87], exec
	v_writelane_b32 v44, vcc_lo, 22
	v_writelane_b32 v44, vcc_hi, 23
	s_and_b64 s[62:63], s[84:85], exec
	s_orn2_b64 s[66:67], s[66:67], exec
.LBB14_2887:                            ;   in Loop: Header=BB14_17 Depth=1
	s_or_b64 exec, exec, s[88:89]
	s_and_saveexec_b64 s[88:89], s[66:67]
	s_cbranch_execz .LBB14_4
; %bb.2888:                             ;   in Loop: Header=BB14_17 Depth=1
	v_writelane_b32 v44, s62, 26
	v_cmp_lt_i32_e32 vcc, v55, v6
	s_mov_b64 s[96:97], -1
	s_mov_b64 s[66:67], -1
                                        ; implicit-def: $sgpr60_sgpr61
	v_writelane_b32 v44, s63, 27
                                        ; kill: killed $sgpr60_sgpr61
                                        ; implicit-def: $sgpr60_sgpr61
                                        ; kill: killed $sgpr60_sgpr61
	s_and_saveexec_b64 s[90:91], vcc
	s_cbranch_execz .LBB14_3114
; %bb.2889:                             ;   in Loop: Header=BB14_17 Depth=1
	v_readlane_b32 vcc_lo, v44, 1
	s_waitcnt vmcnt(0) lgkmcnt(0)
	v_add_u32_e32 v65, vcc_lo, v55
	v_mul_lo_u32 v14, v65, v9
	v_add_co_u32_e32 v14, vcc, v2, v14
	v_addc_co_u32_e32 v15, vcc, 0, v3, vcc
	v_cmp_gt_i16_sdwa s[60:61], v7, v18 src0_sel:BYTE_0 src1_sel:DWORD
	s_mov_b64 vcc, 0
                                        ; implicit-def: $sgpr94_sgpr95
                                        ; implicit-def: $sgpr92_sgpr93
                                        ; implicit-def: $vgpr66
	s_and_saveexec_b64 s[62:63], s[60:61]
	s_xor_b64 s[84:85], exec, s[62:63]
	s_cbranch_execnz .LBB14_2908
; %bb.2890:                             ;   in Loop: Header=BB14_17 Depth=1
	s_andn2_saveexec_b64 s[78:79], s[84:85]
	s_cbranch_execnz .LBB14_2967
.LBB14_2891:                            ;   in Loop: Header=BB14_17 Depth=1
	s_or_b64 exec, exec, s[78:79]
	s_mov_b64 s[66:67], 0
	s_and_saveexec_b64 s[84:85], vcc
	s_cbranch_execnz .LBB14_3008
	s_branch .LBB14_3113
.LBB14_2892:                            ;   in Loop: Header=BB14_17 Depth=1
	s_movk_i32 vcc_lo, 0x80
	v_cmp_eq_u16_e32 vcc, vcc_lo, v14
	s_mov_b64 s[80:81], -1
                                        ; implicit-def: $sgpr86
	s_and_saveexec_b64 s[84:85], vcc
; %bb.2893:                             ;   in Loop: Header=BB14_17 Depth=1
	s_mov_b32 s86, 0x7f800001
	s_xor_b64 s[80:81], exec, -1
; %bb.2894:                             ;   in Loop: Header=BB14_17 Depth=1
	s_or_b64 exec, exec, s[84:85]
	s_and_b64 s[80:81], s[80:81], exec
	s_or_saveexec_b64 s[82:83], s[82:83]
	v_mov_b32_e32 v64, s86
	s_xor_b64 exec, exec, s[82:83]
	s_cbranch_execz .LBB14_1711
.LBB14_2895:                            ;   in Loop: Header=BB14_17 Depth=1
	v_cmp_ne_u16_e32 vcc, 0, v14
	s_andn2_b64 s[80:81], s[80:81], exec
	s_and_b64 vcc, vcc, exec
	v_mov_b32_e32 v64, 0
	s_or_b64 s[80:81], s[80:81], vcc
	s_or_b64 exec, exec, s[82:83]
	s_and_saveexec_b64 s[82:83], s[80:81]
	s_cbranch_execnz .LBB14_1712
	s_branch .LBB14_1713
.LBB14_2896:                            ;   in Loop: Header=BB14_17 Depth=1
	s_movk_i32 vcc_lo, 0x80
	v_cmp_eq_u16_e32 vcc, vcc_lo, v14
	s_mov_b64 s[80:81], -1
                                        ; implicit-def: $sgpr86
	s_and_saveexec_b64 s[84:85], vcc
; %bb.2897:                             ;   in Loop: Header=BB14_17 Depth=1
	s_mov_b32 s86, 0x7f800001
	s_xor_b64 s[80:81], exec, -1
; %bb.2898:                             ;   in Loop: Header=BB14_17 Depth=1
	s_or_b64 exec, exec, s[84:85]
	s_and_b64 s[80:81], s[80:81], exec
	s_or_saveexec_b64 s[82:83], s[82:83]
	v_mov_b32_e32 v66, s86
	s_xor_b64 exec, exec, s[82:83]
	s_cbranch_execz .LBB14_1811
.LBB14_2899:                            ;   in Loop: Header=BB14_17 Depth=1
	v_cmp_ne_u16_e32 vcc, 0, v14
	s_andn2_b64 s[80:81], s[80:81], exec
	s_and_b64 vcc, vcc, exec
	v_mov_b32_e32 v66, 0
	s_or_b64 s[80:81], s[80:81], vcc
	s_or_b64 exec, exec, s[82:83]
	s_and_saveexec_b64 s[82:83], s[80:81]
	s_cbranch_execnz .LBB14_1812
	s_branch .LBB14_1813
.LBB14_2900:                            ;   in Loop: Header=BB14_17 Depth=1
	s_movk_i32 vcc_lo, 0x80
	v_cmp_eq_u16_e32 vcc, vcc_lo, v14
	s_mov_b64 s[84:85], -1
                                        ; implicit-def: $sgpr90
	s_and_saveexec_b64 s[88:89], vcc
; %bb.2901:                             ;   in Loop: Header=BB14_17 Depth=1
	s_mov_b32 s90, 0x7f800001
	s_xor_b64 s[84:85], exec, -1
; %bb.2902:                             ;   in Loop: Header=BB14_17 Depth=1
	s_or_b64 exec, exec, s[88:89]
	s_and_b64 s[84:85], s[84:85], exec
	s_or_saveexec_b64 s[86:87], s[86:87]
	v_mov_b32_e32 v64, s90
	s_xor_b64 exec, exec, s[86:87]
	s_cbranch_execz .LBB14_1927
.LBB14_2903:                            ;   in Loop: Header=BB14_17 Depth=1
	v_cmp_ne_u16_e32 vcc, 0, v14
	s_andn2_b64 s[84:85], s[84:85], exec
	s_and_b64 vcc, vcc, exec
	v_mov_b32_e32 v64, 0
	s_or_b64 s[84:85], s[84:85], vcc
	s_or_b64 exec, exec, s[86:87]
	s_and_saveexec_b64 s[86:87], s[84:85]
	s_cbranch_execnz .LBB14_1928
	s_branch .LBB14_1929
.LBB14_2904:                            ;   in Loop: Header=BB14_17 Depth=1
	s_movk_i32 vcc_lo, 0x80
	v_cmp_eq_u16_e32 vcc, vcc_lo, v14
	s_mov_b64 s[84:85], -1
                                        ; implicit-def: $sgpr88
	s_and_saveexec_b64 s[60:61], vcc
; %bb.2905:                             ;   in Loop: Header=BB14_17 Depth=1
	s_mov_b32 s88, 0x7f800001
	s_xor_b64 s[84:85], exec, -1
; %bb.2906:                             ;   in Loop: Header=BB14_17 Depth=1
	s_or_b64 exec, exec, s[60:61]
	s_and_b64 s[84:85], s[84:85], exec
	s_or_saveexec_b64 s[86:87], s[86:87]
	v_mov_b32_e32 v66, s88
	s_xor_b64 exec, exec, s[86:87]
	s_cbranch_execz .LBB14_2027
.LBB14_2907:                            ;   in Loop: Header=BB14_17 Depth=1
	v_cmp_ne_u16_e32 vcc, 0, v14
	s_andn2_b64 s[60:61], s[84:85], exec
	s_and_b64 vcc, vcc, exec
	v_mov_b32_e32 v66, 0
	s_or_b64 s[84:85], s[60:61], vcc
	s_or_b64 exec, exec, s[86:87]
	s_and_saveexec_b64 s[86:87], s[84:85]
	s_cbranch_execnz .LBB14_2028
	s_branch .LBB14_2029
.LBB14_2908:                            ;   in Loop: Header=BB14_17 Depth=1
	v_cmp_gt_i16_sdwa vcc, v7, v19 src0_sel:BYTE_0 src1_sel:DWORD
	s_mov_b64 s[78:79], 0
                                        ; implicit-def: $sgpr80_sgpr81
                                        ; implicit-def: $sgpr94_sgpr95
                                        ; implicit-def: $vgpr66
	s_and_saveexec_b64 s[60:61], vcc
	s_xor_b64 s[92:93], exec, s[60:61]
	s_cbranch_execz .LBB14_2940
; %bb.2909:                             ;   in Loop: Header=BB14_17 Depth=1
	v_cmp_gt_i16_sdwa vcc, v7, v20 src0_sel:BYTE_0 src1_sel:DWORD
                                        ; implicit-def: $sgpr72_sgpr73
                                        ; implicit-def: $sgpr86_sgpr87
                                        ; implicit-def: $vgpr66
	s_and_saveexec_b64 s[60:61], vcc
	s_xor_b64 s[80:81], exec, s[60:61]
	s_cbranch_execz .LBB14_2925
; %bb.2910:                             ;   in Loop: Header=BB14_17 Depth=1
	v_cmp_gt_i16_sdwa s[60:61], v7, v21 src0_sel:BYTE_0 src1_sel:DWORD
	s_mov_b64 s[74:75], 0
                                        ; implicit-def: $vcc
                                        ; implicit-def: $sgpr86_sgpr87
                                        ; implicit-def: $vgpr66
	s_and_saveexec_b64 s[62:63], s[60:61]
	s_xor_b64 s[72:73], exec, s[62:63]
	s_cbranch_execz .LBB14_2920
; %bb.2911:                             ;   in Loop: Header=BB14_17 Depth=1
	v_cmp_gt_i16_sdwa vcc, v7, v22 src0_sel:BYTE_0 src1_sel:DWORD
                                        ; implicit-def: $sgpr74_sgpr75
                                        ; implicit-def: $sgpr94_sgpr95
                                        ; implicit-def: $vgpr66
	s_and_saveexec_b64 s[60:61], vcc
	s_xor_b64 vcc, exec, s[60:61]
	s_cbranch_execz .LBB14_2915
; %bb.2912:                             ;   in Loop: Header=BB14_17 Depth=1
	v_cmp_eq_u16_sdwa s[62:63], v7, v23 src0_sel:BYTE_0 src1_sel:DWORD
	s_mov_b64 s[74:75], 0
	s_mov_b64 s[66:67], 0
                                        ; implicit-def: $vgpr66
	s_and_saveexec_b64 s[60:61], s[62:63]
	s_cbranch_execz .LBB14_2914
; %bb.2913:                             ;   in Loop: Header=BB14_17 Depth=1
	flat_load_dword v14, v[14:15]
	s_mov_b64 s[66:67], exec
	s_waitcnt vmcnt(0) lgkmcnt(0)
	v_lshlrev_b32_e32 v66, 16, v14
.LBB14_2914:                            ;   in Loop: Header=BB14_17 Depth=1
	s_or_b64 exec, exec, s[60:61]
	s_mov_b64 s[94:95], -1
	s_and_b64 s[78:79], s[66:67], exec
                                        ; implicit-def: $vgpr14_vgpr15
.LBB14_2915:                            ;   in Loop: Header=BB14_17 Depth=1
	s_andn2_saveexec_b64 s[66:67], vcc
	s_cbranch_execz .LBB14_2919
; %bb.2916:                             ;   in Loop: Header=BB14_17 Depth=1
	v_cmp_eq_u16_sdwa s[60:61], v7, v24 src0_sel:BYTE_0 src1_sel:DWORD
	s_mov_b64 vcc, s[78:79]
                                        ; implicit-def: $vgpr66
	s_and_saveexec_b64 s[68:69], s[60:61]
	s_cbranch_execz .LBB14_2918
; %bb.2917:                             ;   in Loop: Header=BB14_17 Depth=1
	flat_load_ubyte v14, v[14:15]
	s_movk_i32 vcc_lo, 0xff
	s_waitcnt vmcnt(0) lgkmcnt(0)
	v_lshlrev_b32_e32 v15, 23, v14
	v_cmp_ne_u32_e32 vcc, vcc_lo, v14
	v_cndmask_b32_e32 v15, v25, v15, vcc
	v_cmp_ne_u32_e32 vcc, 0, v14
	v_cndmask_b32_e32 v66, v26, v15, vcc
	s_or_b64 vcc, s[78:79], exec
.LBB14_2918:                            ;   in Loop: Header=BB14_17 Depth=1
	s_or_b64 exec, exec, s[68:69]
	s_andn2_b64 s[60:61], s[78:79], exec
	s_and_b64 vcc, vcc, exec
	s_andn2_b64 s[74:75], s[74:75], exec
	s_or_b64 s[94:95], s[94:95], exec
	s_or_b64 s[78:79], s[60:61], vcc
.LBB14_2919:                            ;   in Loop: Header=BB14_17 Depth=1
	s_or_b64 exec, exec, s[66:67]
	s_and_b64 s[86:87], s[74:75], exec
	s_and_b64 vcc, s[94:95], exec
	s_and_b64 s[74:75], s[78:79], exec
                                        ; implicit-def: $vgpr14_vgpr15
.LBB14_2920:                            ;   in Loop: Header=BB14_17 Depth=1
	s_andn2_saveexec_b64 s[66:67], s[72:73]
	s_cbranch_execz .LBB14_2924
; %bb.2921:                             ;   in Loop: Header=BB14_17 Depth=1
	v_cmp_eq_u16_sdwa s[60:61], v7, v27 src0_sel:BYTE_0 src1_sel:DWORD
	s_mov_b64 s[70:71], s[74:75]
                                        ; implicit-def: $vgpr66
	s_and_saveexec_b64 s[68:69], s[60:61]
	s_cbranch_execz .LBB14_2923
; %bb.2922:                             ;   in Loop: Header=BB14_17 Depth=1
	flat_load_dwordx2 v[14:15], v[14:15]
	s_or_b64 s[70:71], s[74:75], exec
	s_waitcnt vmcnt(0) lgkmcnt(0)
	v_ffbh_u32_e32 v64, v15
	v_min_u32_e32 v64, 32, v64
	v_lshlrev_b64 v[14:15], v64, v[14:15]
	v_min_u32_e32 v14, 1, v14
	v_or_b32_e32 v14, v15, v14
	v_cvt_f32_u32_e32 v14, v14
	v_sub_u32_e32 v15, 32, v64
	v_ldexp_f32 v66, v14, v15
.LBB14_2923:                            ;   in Loop: Header=BB14_17 Depth=1
	s_or_b64 exec, exec, s[68:69]
	s_andn2_b64 s[60:61], s[74:75], exec
	s_and_b64 s[62:63], s[70:71], exec
	s_andn2_b64 s[86:87], s[86:87], exec
	s_or_b64 vcc, vcc, exec
	s_or_b64 s[74:75], s[60:61], s[62:63]
.LBB14_2924:                            ;   in Loop: Header=BB14_17 Depth=1
	s_or_b64 exec, exec, s[66:67]
	s_and_b64 s[86:87], s[86:87], exec
	s_and_b64 s[72:73], vcc, exec
	s_and_b64 s[78:79], s[74:75], exec
                                        ; implicit-def: $vgpr14_vgpr15
.LBB14_2925:                            ;   in Loop: Header=BB14_17 Depth=1
	s_andn2_saveexec_b64 s[80:81], s[80:81]
	s_cbranch_execz .LBB14_2939
; %bb.2926:                             ;   in Loop: Header=BB14_17 Depth=1
	v_cmp_gt_i16_sdwa vcc, v7, v28 src0_sel:BYTE_0 src1_sel:DWORD
                                        ; implicit-def: $vgpr66
	s_and_saveexec_b64 s[60:61], vcc
	s_xor_b64 vcc, exec, s[60:61]
	s_cbranch_execz .LBB14_2932
; %bb.2927:                             ;   in Loop: Header=BB14_17 Depth=1
	v_cmp_gt_i16_sdwa s[60:61], v7, v29 src0_sel:BYTE_0 src1_sel:DWORD
                                        ; implicit-def: $vgpr66
	s_and_saveexec_b64 s[62:63], s[60:61]
	s_xor_b64 s[60:61], exec, s[62:63]
	s_cbranch_execz .LBB14_2929
; %bb.2928:                             ;   in Loop: Header=BB14_17 Depth=1
	flat_load_dword v14, v[14:15]
	s_waitcnt vmcnt(0) lgkmcnt(0)
	v_cvt_f32_u32_e32 v66, v14
                                        ; implicit-def: $vgpr14_vgpr15
.LBB14_2929:                            ;   in Loop: Header=BB14_17 Depth=1
	s_andn2_saveexec_b64 s[60:61], s[60:61]
	s_cbranch_execz .LBB14_2931
; %bb.2930:                             ;   in Loop: Header=BB14_17 Depth=1
	flat_load_ushort v14, v[14:15]
	s_waitcnt vmcnt(0) lgkmcnt(0)
	v_cvt_f32_u32_e32 v66, v14
.LBB14_2931:                            ;   in Loop: Header=BB14_17 Depth=1
	s_or_b64 exec, exec, s[60:61]
                                        ; implicit-def: $vgpr14_vgpr15
.LBB14_2932:                            ;   in Loop: Header=BB14_17 Depth=1
	s_andn2_saveexec_b64 s[74:75], vcc
	s_cbranch_execz .LBB14_2938
; %bb.2933:                             ;   in Loop: Header=BB14_17 Depth=1
	flat_load_ubyte v14, v[14:15]
	s_movk_i32 vcc_lo, 0x7f
	s_mov_b64 s[66:67], 0
                                        ; implicit-def: $sgpr70
	s_waitcnt vmcnt(0) lgkmcnt(0)
	v_cmp_lt_i16_e32 vcc, vcc_lo, v14
	s_and_saveexec_b64 s[60:61], vcc
	s_xor_b64 s[68:69], exec, s[60:61]
	s_cbranch_execnz .LBB14_3598
; %bb.2934:                             ;   in Loop: Header=BB14_17 Depth=1
	s_or_saveexec_b64 s[68:69], s[68:69]
	v_mov_b32_e32 v66, s70
	s_xor_b64 exec, exec, s[68:69]
	s_cbranch_execnz .LBB14_3601
.LBB14_2935:                            ;   in Loop: Header=BB14_17 Depth=1
	s_or_b64 exec, exec, s[68:69]
	s_and_saveexec_b64 s[68:69], s[66:67]
	s_cbranch_execz .LBB14_2937
.LBB14_2936:                            ;   in Loop: Header=BB14_17 Depth=1
	v_lshlrev_b32_e32 v15, 24, v14
	v_and_b32_e32 v14, 0xffff, v14
	v_and_b32_e32 v64, 7, v14
	v_ffbh_u32_e32 v67, v64
	v_min_u32_e32 v67, 32, v67
	v_subrev_u32_e32 v68, 28, v67
	v_bfe_u32 v66, v14, 3, 4
	v_lshlrev_b32_e32 v14, v68, v14
	v_sub_u32_e32 v67, 29, v67
	v_and_b32_e32 v14, 7, v14
	v_cmp_eq_u32_e32 vcc, 0, v66
	v_cndmask_b32_e32 v66, v66, v67, vcc
	v_cndmask_b32_e32 v14, v64, v14, vcc
	v_lshlrev_b32_e32 v14, 20, v14
	v_and_b32_e32 v15, 0x80000000, v15
	v_lshl_add_u32 v64, v66, 23, v30
	v_or3_b32 v66, v15, v64, v14
.LBB14_2937:                            ;   in Loop: Header=BB14_17 Depth=1
	s_or_b64 exec, exec, s[68:69]
.LBB14_2938:                            ;   in Loop: Header=BB14_17 Depth=1
	s_or_b64 exec, exec, s[74:75]
	s_andn2_b64 s[86:87], s[86:87], exec
	s_andn2_b64 s[72:73], s[72:73], exec
	s_or_b64 s[78:79], s[78:79], exec
.LBB14_2939:                            ;   in Loop: Header=BB14_17 Depth=1
	s_or_b64 exec, exec, s[80:81]
	s_and_b64 s[94:95], s[86:87], exec
	s_and_b64 s[80:81], s[72:73], exec
	;; [unrolled: 1-line block ×3, first 2 shown]
                                        ; implicit-def: $vgpr14_vgpr15
.LBB14_2940:                            ;   in Loop: Header=BB14_17 Depth=1
	s_andn2_saveexec_b64 s[86:87], s[92:93]
	s_cbranch_execz .LBB14_2966
; %bb.2941:                             ;   in Loop: Header=BB14_17 Depth=1
	v_cmp_gt_i16_sdwa vcc, v7, v31 src0_sel:BYTE_0 src1_sel:DWORD
	s_mov_b64 s[74:75], s[78:79]
                                        ; implicit-def: $vgpr66
	s_and_saveexec_b64 s[60:61], vcc
	s_xor_b64 s[72:73], exec, s[60:61]
	s_cbranch_execz .LBB14_2955
; %bb.2942:                             ;   in Loop: Header=BB14_17 Depth=1
	v_cmp_gt_i16_sdwa vcc, v7, v32 src0_sel:BYTE_0 src1_sel:DWORD
                                        ; implicit-def: $vgpr66
	s_and_saveexec_b64 s[60:61], vcc
	s_xor_b64 s[92:93], exec, s[60:61]
	s_cbranch_execz .LBB14_2952
; %bb.2943:                             ;   in Loop: Header=BB14_17 Depth=1
	v_cmp_gt_i16_sdwa vcc, v7, v33 src0_sel:BYTE_0 src1_sel:DWORD
                                        ; implicit-def: $vgpr66
	s_and_saveexec_b64 s[60:61], vcc
	s_xor_b64 s[74:75], exec, s[60:61]
	s_cbranch_execz .LBB14_2949
; %bb.2944:                             ;   in Loop: Header=BB14_17 Depth=1
	flat_load_ubyte v14, v[14:15]
	s_movk_i32 vcc_lo, 0x7f
	s_mov_b64 s[66:67], 0
                                        ; implicit-def: $sgpr70
	s_waitcnt vmcnt(0) lgkmcnt(0)
	v_cmp_lt_i16_e32 vcc, vcc_lo, v14
	s_and_saveexec_b64 s[60:61], vcc
	s_xor_b64 s[68:69], exec, s[60:61]
	s_cbranch_execnz .LBB14_3606
; %bb.2945:                             ;   in Loop: Header=BB14_17 Depth=1
	s_or_saveexec_b64 s[68:69], s[68:69]
	v_mov_b32_e32 v66, s70
	s_xor_b64 exec, exec, s[68:69]
	s_cbranch_execnz .LBB14_3609
.LBB14_2946:                            ;   in Loop: Header=BB14_17 Depth=1
	s_or_b64 exec, exec, s[68:69]
	s_and_saveexec_b64 s[68:69], s[66:67]
	s_cbranch_execz .LBB14_2948
.LBB14_2947:                            ;   in Loop: Header=BB14_17 Depth=1
	v_lshlrev_b32_e32 v15, 24, v14
	v_and_b32_e32 v14, 0xffff, v14
	v_and_b32_e32 v64, 3, v14
	v_ffbh_u32_e32 v67, v64
	v_min_u32_e32 v67, 32, v67
	v_subrev_u32_e32 v68, 29, v67
	v_bfe_u32 v66, v14, 2, 5
	v_lshlrev_b32_e32 v14, v68, v14
	v_sub_u32_e32 v67, 30, v67
	v_and_b32_e32 v14, 3, v14
	v_cmp_eq_u32_e32 vcc, 0, v66
	v_cndmask_b32_e32 v66, v66, v67, vcc
	v_cndmask_b32_e32 v14, v64, v14, vcc
	v_lshlrev_b32_e32 v14, 21, v14
	v_and_b32_e32 v15, 0x80000000, v15
	v_lshl_add_u32 v64, v66, 23, v34
	v_or3_b32 v66, v15, v64, v14
.LBB14_2948:                            ;   in Loop: Header=BB14_17 Depth=1
	s_or_b64 exec, exec, s[68:69]
                                        ; implicit-def: $vgpr14_vgpr15
.LBB14_2949:                            ;   in Loop: Header=BB14_17 Depth=1
	s_andn2_saveexec_b64 s[66:67], s[74:75]
	s_cbranch_execz .LBB14_2951
; %bb.2950:                             ;   in Loop: Header=BB14_17 Depth=1
	flat_load_ubyte v14, v[14:15]
	s_mov_b32 vcc_lo, 0x7f800000
	s_waitcnt vmcnt(0) lgkmcnt(0)
	v_lshlrev_b32_e32 v14, 24, v14
	v_and_b32_e32 v15, 0x7f000000, v14
	v_ffbh_u32_e32 v64, v15
	v_min_u32_e32 v64, 32, v64
	v_sub_u32_e64 v64, v64, 4 clamp
	v_lshlrev_b32_e32 v67, v64, v15
	v_lshlrev_b32_e32 v64, 23, v64
	v_lshrrev_b32_e32 v67, 4, v67
	v_add_u32_e32 v66, 0x1000000, v15
	v_sub_u32_e32 v64, v67, v64
	v_ashrrev_i32_e32 v66, 8, v66
	v_add_u32_e32 v64, 0x3c000000, v64
	v_and_or_b32 v64, v66, vcc_lo, v64
	v_cmp_ne_u32_e32 vcc, 0, v15
	v_cndmask_b32_e32 v15, 0, v64, vcc
	s_brev_b32 vcc_lo, 1
	v_and_or_b32 v66, v14, vcc_lo, v15
.LBB14_2951:                            ;   in Loop: Header=BB14_17 Depth=1
	s_or_b64 exec, exec, s[66:67]
                                        ; implicit-def: $vgpr14_vgpr15
.LBB14_2952:                            ;   in Loop: Header=BB14_17 Depth=1
	s_andn2_saveexec_b64 s[66:67], s[92:93]
	s_cbranch_execz .LBB14_2954
; %bb.2953:                             ;   in Loop: Header=BB14_17 Depth=1
	flat_load_ubyte v14, v[14:15]
	s_movk_i32 vcc_lo, 0x7f00
	s_waitcnt vmcnt(0) lgkmcnt(0)
	v_lshlrev_b16_e32 v15, 8, v14
	v_lshlrev_b32_e32 v14, 25, v14
	v_lshrrev_b32_e32 v64, 4, v14
	v_and_or_b32 v66, v15, vcc_lo, 0.5
	v_or_b32_e32 v64, 0x70000000, v64
	s_brev_b32 vcc_lo, 16
	v_add_f32_e32 v66, -0.5, v66
	v_mul_f32_e32 v64, 0x7800000, v64
	v_cmp_gt_u32_e32 vcc, vcc_lo, v14
	v_cndmask_b32_e32 v14, v64, v66, vcc
	v_bfe_i32 v15, v15, 0, 16
	s_brev_b32 vcc_lo, 1
	v_and_or_b32 v66, v15, vcc_lo, v14
.LBB14_2954:                            ;   in Loop: Header=BB14_17 Depth=1
	s_or_b64 exec, exec, s[66:67]
	s_or_b64 s[74:75], s[78:79], exec
                                        ; implicit-def: $vgpr14_vgpr15
.LBB14_2955:                            ;   in Loop: Header=BB14_17 Depth=1
	s_or_saveexec_b64 s[72:73], s[72:73]
                                        ; implicit-def: $vcc
                                        ; implicit-def: $sgpr68_sgpr69
	s_xor_b64 exec, exec, s[72:73]
	s_cbranch_execz .LBB14_2965
; %bb.2956:                             ;   in Loop: Header=BB14_17 Depth=1
	v_cmp_gt_i16_sdwa vcc, v7, v35 src0_sel:BYTE_0 src1_sel:DWORD
	s_mov_b64 s[66:67], s[74:75]
                                        ; implicit-def: $sgpr68_sgpr69
                                        ; implicit-def: $sgpr76_sgpr77
                                        ; implicit-def: $vgpr66
	s_and_saveexec_b64 s[60:61], vcc
	s_xor_b64 vcc, exec, s[60:61]
	s_cbranch_execz .LBB14_2960
; %bb.2957:                             ;   in Loop: Header=BB14_17 Depth=1
	v_cmp_eq_u16_sdwa s[62:63], v7, v36 src0_sel:BYTE_0 src1_sel:DWORD
	s_mov_b64 s[66:67], s[74:75]
                                        ; implicit-def: $vgpr66
	s_and_saveexec_b64 s[60:61], s[62:63]
	s_cbranch_execz .LBB14_2959
; %bb.2958:                             ;   in Loop: Header=BB14_17 Depth=1
	flat_load_ushort v14, v[14:15]
	s_or_b64 s[66:67], s[74:75], exec
	s_waitcnt vmcnt(0) lgkmcnt(0)
	v_lshlrev_b32_e32 v66, 16, v14
.LBB14_2959:                            ;   in Loop: Header=BB14_17 Depth=1
	s_or_b64 exec, exec, s[60:61]
	s_andn2_b64 s[60:61], s[74:75], exec
	s_and_b64 s[62:63], s[66:67], exec
	s_mov_b64 s[76:77], -1
	s_mov_b64 s[68:69], 0
	s_or_b64 s[66:67], s[60:61], s[62:63]
                                        ; implicit-def: $vgpr14_vgpr15
.LBB14_2960:                            ;   in Loop: Header=BB14_17 Depth=1
	s_andn2_saveexec_b64 s[70:71], vcc
	s_cbranch_execz .LBB14_2964
; %bb.2961:                             ;   in Loop: Header=BB14_17 Depth=1
	v_cmp_eq_u16_sdwa s[62:63], v7, v37 src0_sel:BYTE_0 src1_sel:DWORD
	s_mov_b64 vcc, s[66:67]
                                        ; implicit-def: $vgpr66
	s_and_saveexec_b64 s[60:61], s[62:63]
	s_cbranch_execz .LBB14_2963
; %bb.2962:                             ;   in Loop: Header=BB14_17 Depth=1
	flat_load_ubyte v14, v[14:15]
	s_waitcnt vmcnt(0) lgkmcnt(0)
	v_cmp_ne_u16_e32 vcc, 0, v14
	v_cndmask_b32_e64 v66, 0, 1.0, vcc
	s_or_b64 vcc, s[66:67], exec
.LBB14_2963:                            ;   in Loop: Header=BB14_17 Depth=1
	s_or_b64 exec, exec, s[60:61]
	s_andn2_b64 s[60:61], s[66:67], exec
	s_and_b64 vcc, vcc, exec
	s_andn2_b64 s[68:69], s[68:69], exec
	s_or_b64 s[76:77], s[76:77], exec
	s_or_b64 s[66:67], s[60:61], vcc
.LBB14_2964:                            ;   in Loop: Header=BB14_17 Depth=1
	s_or_b64 exec, exec, s[70:71]
	s_andn2_b64 s[60:61], s[74:75], exec
	s_and_b64 s[62:63], s[66:67], exec
	s_and_b64 s[68:69], s[68:69], exec
	s_and_b64 vcc, s[76:77], exec
	s_or_b64 s[74:75], s[60:61], s[62:63]
.LBB14_2965:                            ;   in Loop: Header=BB14_17 Depth=1
	s_or_b64 exec, exec, s[72:73]
	s_andn2_b64 s[60:61], s[94:95], exec
	s_and_b64 s[62:63], s[68:69], exec
	s_or_b64 s[94:95], s[60:61], s[62:63]
	s_andn2_b64 s[60:61], s[80:81], exec
	s_and_b64 vcc, vcc, exec
	s_or_b64 s[80:81], s[60:61], vcc
	s_andn2_b64 vcc, s[78:79], exec
	s_and_b64 s[60:61], s[74:75], exec
	s_or_b64 s[78:79], vcc, s[60:61]
.LBB14_2966:                            ;   in Loop: Header=BB14_17 Depth=1
	s_or_b64 exec, exec, s[86:87]
	s_and_b64 s[92:93], s[94:95], exec
	s_and_b64 s[94:95], s[80:81], exec
	s_and_b64 vcc, s[78:79], exec
                                        ; implicit-def: $vgpr14_vgpr15
	s_andn2_saveexec_b64 s[78:79], s[84:85]
	s_cbranch_execz .LBB14_2891
.LBB14_2967:                            ;   in Loop: Header=BB14_17 Depth=1
	v_cmp_gt_i16_sdwa s[60:61], v7, v38 src0_sel:BYTE_0 src1_sel:DWORD
                                        ; implicit-def: $vgpr66
	s_and_saveexec_b64 s[62:63], s[60:61]
	s_xor_b64 s[72:73], exec, s[62:63]
	s_cbranch_execz .LBB14_2989
; %bb.2968:                             ;   in Loop: Header=BB14_17 Depth=1
	v_cmp_gt_i16_sdwa s[60:61], v7, v39 src0_sel:BYTE_0 src1_sel:DWORD
                                        ; implicit-def: $vgpr66
	s_and_saveexec_b64 s[62:63], s[60:61]
	s_xor_b64 s[66:67], exec, s[62:63]
	s_cbranch_execz .LBB14_2978
; %bb.2969:                             ;   in Loop: Header=BB14_17 Depth=1
	;; [unrolled: 6-line block ×4, first 2 shown]
	flat_load_dwordx2 v[14:15], v[14:15]
	s_waitcnt vmcnt(0) lgkmcnt(0)
	v_cvt_f32_f64_e32 v66, v[14:15]
                                        ; implicit-def: $vgpr14_vgpr15
.LBB14_2972:                            ;   in Loop: Header=BB14_17 Depth=1
	s_andn2_saveexec_b64 s[60:61], s[60:61]
	s_cbranch_execz .LBB14_2974
; %bb.2973:                             ;   in Loop: Header=BB14_17 Depth=1
	flat_load_dword v66, v[14:15]
.LBB14_2974:                            ;   in Loop: Header=BB14_17 Depth=1
	s_or_b64 exec, exec, s[60:61]
                                        ; implicit-def: $vgpr14_vgpr15
.LBB14_2975:                            ;   in Loop: Header=BB14_17 Depth=1
	s_andn2_saveexec_b64 s[60:61], s[68:69]
	s_cbranch_execz .LBB14_2977
; %bb.2976:                             ;   in Loop: Header=BB14_17 Depth=1
	flat_load_dword v14, v[14:15]
	s_waitcnt vmcnt(0) lgkmcnt(0)
	v_cvt_f32_f16_e32 v66, v14
.LBB14_2977:                            ;   in Loop: Header=BB14_17 Depth=1
	s_or_b64 exec, exec, s[60:61]
                                        ; implicit-def: $vgpr14_vgpr15
.LBB14_2978:                            ;   in Loop: Header=BB14_17 Depth=1
	s_andn2_saveexec_b64 s[66:67], s[66:67]
	s_cbranch_execz .LBB14_2988
; %bb.2979:                             ;   in Loop: Header=BB14_17 Depth=1
	v_cmp_gt_i16_sdwa s[60:61], v7, v50 src0_sel:BYTE_0 src1_sel:DWORD
                                        ; implicit-def: $vgpr66
	s_and_saveexec_b64 s[62:63], s[60:61]
	s_xor_b64 s[68:69], exec, s[62:63]
	s_cbranch_execz .LBB14_2985
; %bb.2980:                             ;   in Loop: Header=BB14_17 Depth=1
	v_cmp_gt_i16_sdwa s[60:61], v7, v51 src0_sel:BYTE_0 src1_sel:DWORD
                                        ; implicit-def: $vgpr66
	s_and_saveexec_b64 s[62:63], s[60:61]
	s_xor_b64 s[60:61], exec, s[62:63]
	s_cbranch_execz .LBB14_2982
; %bb.2981:                             ;   in Loop: Header=BB14_17 Depth=1
	flat_load_dwordx2 v[14:15], v[14:15]
	s_waitcnt vmcnt(0) lgkmcnt(0)
	v_cvt_f32_f64_e32 v66, v[14:15]
                                        ; implicit-def: $vgpr14_vgpr15
.LBB14_2982:                            ;   in Loop: Header=BB14_17 Depth=1
	s_andn2_saveexec_b64 s[60:61], s[60:61]
	s_cbranch_execz .LBB14_2984
; %bb.2983:                             ;   in Loop: Header=BB14_17 Depth=1
	s_waitcnt vmcnt(0) lgkmcnt(0)
	flat_load_dword v66, v[14:15]
.LBB14_2984:                            ;   in Loop: Header=BB14_17 Depth=1
	s_or_b64 exec, exec, s[60:61]
                                        ; implicit-def: $vgpr14_vgpr15
.LBB14_2985:                            ;   in Loop: Header=BB14_17 Depth=1
	s_andn2_saveexec_b64 s[60:61], s[68:69]
	s_cbranch_execz .LBB14_2987
; %bb.2986:                             ;   in Loop: Header=BB14_17 Depth=1
	flat_load_ushort v14, v[14:15]
	s_waitcnt vmcnt(0) lgkmcnt(0)
	v_cvt_f32_f16_e32 v66, v14
.LBB14_2987:                            ;   in Loop: Header=BB14_17 Depth=1
	s_or_b64 exec, exec, s[60:61]
.LBB14_2988:                            ;   in Loop: Header=BB14_17 Depth=1
	s_or_b64 exec, exec, s[66:67]
                                        ; implicit-def: $vgpr14_vgpr15
.LBB14_2989:                            ;   in Loop: Header=BB14_17 Depth=1
	s_andn2_saveexec_b64 s[72:73], s[72:73]
	s_cbranch_execz .LBB14_3007
; %bb.2990:                             ;   in Loop: Header=BB14_17 Depth=1
	v_cmp_gt_i16_sdwa s[60:61], v7, v52 src0_sel:BYTE_0 src1_sel:DWORD
                                        ; implicit-def: $vgpr66
	s_and_saveexec_b64 s[62:63], s[60:61]
	s_xor_b64 s[74:75], exec, s[62:63]
	s_cbranch_execz .LBB14_3000
; %bb.2991:                             ;   in Loop: Header=BB14_17 Depth=1
	v_cmp_gt_i16_sdwa s[60:61], v7, v53 src0_sel:BYTE_0 src1_sel:DWORD
                                        ; implicit-def: $vgpr66
	s_and_saveexec_b64 s[62:63], s[60:61]
	s_xor_b64 s[66:67], exec, s[62:63]
	;; [unrolled: 6-line block ×3, first 2 shown]
	s_cbranch_execz .LBB14_2994
; %bb.2993:                             ;   in Loop: Header=BB14_17 Depth=1
	flat_load_dwordx2 v[14:15], v[14:15]
	s_waitcnt vmcnt(0) lgkmcnt(0)
	v_xor_b32_e32 v66, v14, v15
	v_ffbh_i32_e32 v64, v15
	v_ashrrev_i32_e32 v66, 31, v66
	v_add_u32_e32 v64, -1, v64
	v_add_u32_e32 v66, 32, v66
	v_min_u32_e32 v64, v64, v66
	v_lshlrev_b64 v[14:15], v64, v[14:15]
	v_min_u32_e32 v14, 1, v14
	v_or_b32_e32 v14, v15, v14
	v_cvt_f32_i32_e32 v14, v14
	v_sub_u32_e32 v15, 32, v64
	v_ldexp_f32 v66, v14, v15
                                        ; implicit-def: $vgpr14_vgpr15
.LBB14_2994:                            ;   in Loop: Header=BB14_17 Depth=1
	s_andn2_saveexec_b64 s[60:61], s[68:69]
	s_cbranch_execz .LBB14_2996
; %bb.2995:                             ;   in Loop: Header=BB14_17 Depth=1
	flat_load_dword v14, v[14:15]
	s_waitcnt vmcnt(0) lgkmcnt(0)
	v_cvt_f32_i32_e32 v66, v14
.LBB14_2996:                            ;   in Loop: Header=BB14_17 Depth=1
	s_or_b64 exec, exec, s[60:61]
                                        ; implicit-def: $vgpr14_vgpr15
.LBB14_2997:                            ;   in Loop: Header=BB14_17 Depth=1
	s_andn2_saveexec_b64 s[60:61], s[66:67]
	s_cbranch_execz .LBB14_2999
; %bb.2998:                             ;   in Loop: Header=BB14_17 Depth=1
	flat_load_sshort v14, v[14:15]
	s_waitcnt vmcnt(0) lgkmcnt(0)
	v_cvt_f32_i32_e32 v66, v14
.LBB14_2999:                            ;   in Loop: Header=BB14_17 Depth=1
	s_or_b64 exec, exec, s[60:61]
                                        ; implicit-def: $vgpr14_vgpr15
.LBB14_3000:                            ;   in Loop: Header=BB14_17 Depth=1
	s_andn2_saveexec_b64 s[66:67], s[74:75]
	s_cbranch_execz .LBB14_3006
; %bb.3001:                             ;   in Loop: Header=BB14_17 Depth=1
	v_cmp_gt_i16_sdwa s[60:61], v7, v16 src0_sel:BYTE_0 src1_sel:DWORD
                                        ; implicit-def: $vgpr66
	s_and_saveexec_b64 s[62:63], s[60:61]
	s_xor_b64 s[60:61], exec, s[62:63]
	s_cbranch_execz .LBB14_3003
; %bb.3002:                             ;   in Loop: Header=BB14_17 Depth=1
	flat_load_sbyte v14, v[14:15]
	s_waitcnt vmcnt(0) lgkmcnt(0)
	v_cvt_f32_i32_e32 v66, v14
                                        ; implicit-def: $vgpr14_vgpr15
.LBB14_3003:                            ;   in Loop: Header=BB14_17 Depth=1
	s_andn2_saveexec_b64 s[60:61], s[60:61]
	s_cbranch_execz .LBB14_3005
; %bb.3004:                             ;   in Loop: Header=BB14_17 Depth=1
	flat_load_ubyte v14, v[14:15]
	s_waitcnt vmcnt(0) lgkmcnt(0)
	v_cvt_f32_ubyte0_e32 v66, v14
.LBB14_3005:                            ;   in Loop: Header=BB14_17 Depth=1
	s_or_b64 exec, exec, s[60:61]
.LBB14_3006:                            ;   in Loop: Header=BB14_17 Depth=1
	s_or_b64 exec, exec, s[66:67]
.LBB14_3007:                            ;   in Loop: Header=BB14_17 Depth=1
	s_or_b64 exec, exec, s[72:73]
	s_andn2_b64 s[92:93], s[92:93], exec
	s_andn2_b64 s[94:95], s[94:95], exec
	s_or_b64 vcc, vcc, exec
	s_or_b64 exec, exec, s[78:79]
	s_mov_b64 s[66:67], 0
	s_and_saveexec_b64 s[84:85], vcc
	s_cbranch_execz .LBB14_3113
.LBB14_3008:                            ;   in Loop: Header=BB14_17 Depth=1
	v_mul_lo_u32 v14, v65, v10
	v_readlane_b32 s60, v44, 0
	v_add_co_u32_e32 v14, vcc, v4, v14
	v_add_u32_e32 v64, s60, v17
	v_addc_co_u32_e32 v15, vcc, 0, v5, vcc
	v_cmp_gt_i16_sdwa s[60:61], v8, v18 src0_sel:BYTE_0 src1_sel:DWORD
	s_mov_b64 s[78:79], 0
	s_waitcnt vmcnt(0) lgkmcnt(0)
	buffer_store_dword v66, v64, s[0:3], 0 offen offset:108
                                        ; implicit-def: $vcc
                                        ; implicit-def: $sgpr86_sgpr87
                                        ; implicit-def: $vgpr65
	s_and_saveexec_b64 s[62:63], s[60:61]
	s_xor_b64 s[62:63], exec, s[62:63]
	v_writelane_b32 v44, s62, 32
	v_writelane_b32 v44, s63, 33
	s_cbranch_execz .LBB14_3068
; %bb.3009:                             ;   in Loop: Header=BB14_17 Depth=1
	v_cmp_gt_i16_sdwa vcc, v8, v19 src0_sel:BYTE_0 src1_sel:DWORD
                                        ; implicit-def: $sgpr62_sgpr63
                                        ; implicit-def: $sgpr86_sgpr87
                                        ; implicit-def: $vgpr65
	s_and_saveexec_b64 s[60:61], vcc
	s_xor_b64 s[76:77], exec, s[60:61]
	s_cbranch_execz .LBB14_3041
; %bb.3010:                             ;   in Loop: Header=BB14_17 Depth=1
	v_cmp_gt_i16_sdwa vcc, v8, v20 src0_sel:BYTE_0 src1_sel:DWORD
                                        ; implicit-def: $sgpr72_sgpr73
                                        ; implicit-def: $sgpr86_sgpr87
                                        ; implicit-def: $vgpr65
	s_and_saveexec_b64 s[60:61], vcc
	s_xor_b64 s[80:81], exec, s[60:61]
	s_cbranch_execz .LBB14_3026
; %bb.3011:                             ;   in Loop: Header=BB14_17 Depth=1
	v_cmp_gt_i16_sdwa s[60:61], v8, v21 src0_sel:BYTE_0 src1_sel:DWORD
	s_mov_b64 s[74:75], 0
                                        ; implicit-def: $vcc
                                        ; implicit-def: $sgpr86_sgpr87
                                        ; implicit-def: $vgpr65
	s_and_saveexec_b64 s[62:63], s[60:61]
	s_xor_b64 s[72:73], exec, s[62:63]
	s_cbranch_execz .LBB14_3021
; %bb.3012:                             ;   in Loop: Header=BB14_17 Depth=1
	v_cmp_gt_i16_sdwa vcc, v8, v22 src0_sel:BYTE_0 src1_sel:DWORD
                                        ; implicit-def: $sgpr86_sgpr87
                                        ; implicit-def: $sgpr74_sgpr75
                                        ; implicit-def: $vgpr65
	s_and_saveexec_b64 s[60:61], vcc
	s_xor_b64 vcc, exec, s[60:61]
	s_cbranch_execz .LBB14_3016
; %bb.3013:                             ;   in Loop: Header=BB14_17 Depth=1
	v_cmp_eq_u16_sdwa s[62:63], v8, v23 src0_sel:BYTE_0 src1_sel:DWORD
	s_mov_b64 s[74:75], 0
                                        ; implicit-def: $vgpr65
	s_and_saveexec_b64 s[60:61], s[62:63]
	s_cbranch_execz .LBB14_3015
; %bb.3014:                             ;   in Loop: Header=BB14_17 Depth=1
	flat_load_dword v14, v[14:15]
	s_mov_b64 s[66:67], exec
	s_waitcnt vmcnt(0) lgkmcnt(0)
	v_lshlrev_b32_e32 v65, 16, v14
.LBB14_3015:                            ;   in Loop: Header=BB14_17 Depth=1
	s_or_b64 exec, exec, s[60:61]
	s_mov_b64 s[86:87], -1
	s_and_b64 s[78:79], s[66:67], exec
                                        ; implicit-def: $vgpr14_vgpr15
.LBB14_3016:                            ;   in Loop: Header=BB14_17 Depth=1
	s_andn2_saveexec_b64 s[66:67], vcc
	s_cbranch_execz .LBB14_3020
; %bb.3017:                             ;   in Loop: Header=BB14_17 Depth=1
	v_cmp_eq_u16_sdwa s[60:61], v8, v24 src0_sel:BYTE_0 src1_sel:DWORD
	s_mov_b64 vcc, s[78:79]
                                        ; implicit-def: $vgpr65
	s_and_saveexec_b64 s[68:69], s[60:61]
	s_cbranch_execz .LBB14_3019
; %bb.3018:                             ;   in Loop: Header=BB14_17 Depth=1
	flat_load_ubyte v14, v[14:15]
	s_movk_i32 vcc_lo, 0xff
	s_waitcnt vmcnt(0) lgkmcnt(0)
	v_lshlrev_b32_e32 v15, 23, v14
	v_cmp_ne_u32_e32 vcc, vcc_lo, v14
	v_cndmask_b32_e32 v15, v25, v15, vcc
	v_cmp_ne_u32_e32 vcc, 0, v14
	v_cndmask_b32_e32 v65, v26, v15, vcc
	s_or_b64 vcc, s[78:79], exec
.LBB14_3019:                            ;   in Loop: Header=BB14_17 Depth=1
	s_or_b64 exec, exec, s[68:69]
	s_andn2_b64 s[60:61], s[78:79], exec
	s_and_b64 vcc, vcc, exec
	s_or_b64 s[86:87], s[86:87], exec
	s_andn2_b64 s[74:75], s[74:75], exec
	s_or_b64 s[78:79], s[60:61], vcc
.LBB14_3020:                            ;   in Loop: Header=BB14_17 Depth=1
	s_or_b64 exec, exec, s[66:67]
	s_and_b64 s[86:87], s[86:87], exec
	s_and_b64 vcc, s[74:75], exec
	s_and_b64 s[74:75], s[78:79], exec
                                        ; implicit-def: $vgpr14_vgpr15
.LBB14_3021:                            ;   in Loop: Header=BB14_17 Depth=1
	s_andn2_saveexec_b64 s[66:67], s[72:73]
	s_cbranch_execz .LBB14_3025
; %bb.3022:                             ;   in Loop: Header=BB14_17 Depth=1
	v_cmp_eq_u16_sdwa s[60:61], v8, v27 src0_sel:BYTE_0 src1_sel:DWORD
	s_mov_b64 s[70:71], s[74:75]
                                        ; implicit-def: $vgpr65
	s_and_saveexec_b64 s[68:69], s[60:61]
	s_cbranch_execz .LBB14_3024
; %bb.3023:                             ;   in Loop: Header=BB14_17 Depth=1
	flat_load_dwordx2 v[14:15], v[14:15]
	s_or_b64 s[70:71], s[74:75], exec
	s_waitcnt vmcnt(0) lgkmcnt(0)
	v_ffbh_u32_e32 v65, v15
	v_min_u32_e32 v65, 32, v65
	v_lshlrev_b64 v[14:15], v65, v[14:15]
	v_min_u32_e32 v14, 1, v14
	v_or_b32_e32 v14, v15, v14
	v_cvt_f32_u32_e32 v14, v14
	v_sub_u32_e32 v15, 32, v65
	v_ldexp_f32 v65, v14, v15
.LBB14_3024:                            ;   in Loop: Header=BB14_17 Depth=1
	s_or_b64 exec, exec, s[68:69]
	s_andn2_b64 s[60:61], s[74:75], exec
	s_and_b64 s[62:63], s[70:71], exec
	s_or_b64 s[86:87], s[86:87], exec
	s_andn2_b64 vcc, vcc, exec
	s_or_b64 s[74:75], s[60:61], s[62:63]
.LBB14_3025:                            ;   in Loop: Header=BB14_17 Depth=1
	s_or_b64 exec, exec, s[66:67]
	s_and_b64 s[86:87], s[86:87], exec
	s_and_b64 s[72:73], vcc, exec
	s_and_b64 s[78:79], s[74:75], exec
                                        ; implicit-def: $vgpr14_vgpr15
.LBB14_3026:                            ;   in Loop: Header=BB14_17 Depth=1
	s_andn2_saveexec_b64 s[80:81], s[80:81]
	s_cbranch_execz .LBB14_3040
; %bb.3027:                             ;   in Loop: Header=BB14_17 Depth=1
	v_cmp_gt_i16_sdwa vcc, v8, v28 src0_sel:BYTE_0 src1_sel:DWORD
                                        ; implicit-def: $vgpr65
	s_and_saveexec_b64 s[60:61], vcc
	s_xor_b64 vcc, exec, s[60:61]
	s_cbranch_execz .LBB14_3033
; %bb.3028:                             ;   in Loop: Header=BB14_17 Depth=1
	v_cmp_gt_i16_sdwa s[60:61], v8, v29 src0_sel:BYTE_0 src1_sel:DWORD
                                        ; implicit-def: $vgpr65
	s_and_saveexec_b64 s[62:63], s[60:61]
	s_xor_b64 s[60:61], exec, s[62:63]
	s_cbranch_execz .LBB14_3030
; %bb.3029:                             ;   in Loop: Header=BB14_17 Depth=1
	flat_load_dword v14, v[14:15]
	s_waitcnt vmcnt(0) lgkmcnt(0)
	v_cvt_f32_u32_e32 v65, v14
                                        ; implicit-def: $vgpr14_vgpr15
.LBB14_3030:                            ;   in Loop: Header=BB14_17 Depth=1
	s_andn2_saveexec_b64 s[60:61], s[60:61]
	s_cbranch_execz .LBB14_3032
; %bb.3031:                             ;   in Loop: Header=BB14_17 Depth=1
	flat_load_ushort v14, v[14:15]
	s_waitcnt vmcnt(0) lgkmcnt(0)
	v_cvt_f32_u32_e32 v65, v14
.LBB14_3032:                            ;   in Loop: Header=BB14_17 Depth=1
	s_or_b64 exec, exec, s[60:61]
                                        ; implicit-def: $vgpr14_vgpr15
.LBB14_3033:                            ;   in Loop: Header=BB14_17 Depth=1
	s_andn2_saveexec_b64 s[74:75], vcc
	s_cbranch_execz .LBB14_3039
; %bb.3034:                             ;   in Loop: Header=BB14_17 Depth=1
	flat_load_ubyte v14, v[14:15]
	s_movk_i32 vcc_lo, 0x7f
	s_mov_b64 s[66:67], 0
                                        ; implicit-def: $sgpr70
	s_waitcnt vmcnt(0) lgkmcnt(0)
	v_cmp_lt_i16_e32 vcc, vcc_lo, v14
	s_and_saveexec_b64 s[60:61], vcc
	s_xor_b64 s[68:69], exec, s[60:61]
	s_cbranch_execnz .LBB14_3610
; %bb.3035:                             ;   in Loop: Header=BB14_17 Depth=1
	s_or_saveexec_b64 s[68:69], s[68:69]
	v_mov_b32_e32 v65, s70
	s_xor_b64 exec, exec, s[68:69]
	s_cbranch_execnz .LBB14_3613
.LBB14_3036:                            ;   in Loop: Header=BB14_17 Depth=1
	s_or_b64 exec, exec, s[68:69]
	s_and_saveexec_b64 s[68:69], s[66:67]
	s_cbranch_execz .LBB14_3038
.LBB14_3037:                            ;   in Loop: Header=BB14_17 Depth=1
	v_lshlrev_b32_e32 v15, 24, v14
	v_and_b32_e32 v14, 0xffff, v14
	v_and_b32_e32 v65, 7, v14
	v_ffbh_u32_e32 v67, v65
	v_min_u32_e32 v67, 32, v67
	v_subrev_u32_e32 v68, 28, v67
	v_bfe_u32 v66, v14, 3, 4
	v_lshlrev_b32_e32 v14, v68, v14
	v_sub_u32_e32 v67, 29, v67
	v_and_b32_e32 v14, 7, v14
	v_cmp_eq_u32_e32 vcc, 0, v66
	v_cndmask_b32_e32 v66, v66, v67, vcc
	v_cndmask_b32_e32 v14, v65, v14, vcc
	v_lshlrev_b32_e32 v14, 20, v14
	v_and_b32_e32 v15, 0x80000000, v15
	v_lshl_add_u32 v65, v66, 23, v30
	v_or3_b32 v65, v15, v65, v14
.LBB14_3038:                            ;   in Loop: Header=BB14_17 Depth=1
	s_or_b64 exec, exec, s[68:69]
.LBB14_3039:                            ;   in Loop: Header=BB14_17 Depth=1
	s_or_b64 exec, exec, s[74:75]
	s_andn2_b64 s[86:87], s[86:87], exec
	s_andn2_b64 s[72:73], s[72:73], exec
	s_or_b64 s[78:79], s[78:79], exec
.LBB14_3040:                            ;   in Loop: Header=BB14_17 Depth=1
	s_or_b64 exec, exec, s[80:81]
	s_and_b64 s[86:87], s[86:87], exec
	s_and_b64 s[62:63], s[72:73], exec
	;; [unrolled: 1-line block ×3, first 2 shown]
                                        ; implicit-def: $vgpr14_vgpr15
.LBB14_3041:                            ;   in Loop: Header=BB14_17 Depth=1
	s_andn2_saveexec_b64 s[80:81], s[76:77]
	s_cbranch_execz .LBB14_3067
; %bb.3042:                             ;   in Loop: Header=BB14_17 Depth=1
	v_writelane_b32 v44, s62, 34
	v_cmp_gt_i16_sdwa vcc, v8, v31 src0_sel:BYTE_0 src1_sel:DWORD
	s_mov_b64 s[74:75], s[78:79]
	v_writelane_b32 v44, s63, 35
                                        ; implicit-def: $vgpr65
	s_and_saveexec_b64 s[60:61], vcc
	s_xor_b64 s[72:73], exec, s[60:61]
	s_cbranch_execz .LBB14_3056
; %bb.3043:                             ;   in Loop: Header=BB14_17 Depth=1
	v_cmp_gt_i16_sdwa vcc, v8, v32 src0_sel:BYTE_0 src1_sel:DWORD
                                        ; implicit-def: $vgpr65
	s_and_saveexec_b64 s[60:61], vcc
	s_xor_b64 s[62:63], exec, s[60:61]
	s_cbranch_execz .LBB14_3053
; %bb.3044:                             ;   in Loop: Header=BB14_17 Depth=1
	v_cmp_gt_i16_sdwa vcc, v8, v33 src0_sel:BYTE_0 src1_sel:DWORD
                                        ; implicit-def: $vgpr65
	s_and_saveexec_b64 s[60:61], vcc
	s_xor_b64 s[74:75], exec, s[60:61]
	s_cbranch_execz .LBB14_3050
; %bb.3045:                             ;   in Loop: Header=BB14_17 Depth=1
	flat_load_ubyte v14, v[14:15]
	s_movk_i32 vcc_lo, 0x7f
	s_mov_b64 s[66:67], 0
                                        ; implicit-def: $sgpr70
	s_waitcnt vmcnt(0) lgkmcnt(0)
	v_cmp_lt_i16_e32 vcc, vcc_lo, v14
	s_and_saveexec_b64 s[60:61], vcc
	s_xor_b64 s[68:69], exec, s[60:61]
	s_cbranch_execnz .LBB14_3618
; %bb.3046:                             ;   in Loop: Header=BB14_17 Depth=1
	s_or_saveexec_b64 s[68:69], s[68:69]
	v_mov_b32_e32 v65, s70
	s_xor_b64 exec, exec, s[68:69]
	s_cbranch_execnz .LBB14_3621
.LBB14_3047:                            ;   in Loop: Header=BB14_17 Depth=1
	s_or_b64 exec, exec, s[68:69]
	s_and_saveexec_b64 s[68:69], s[66:67]
	s_cbranch_execz .LBB14_3049
.LBB14_3048:                            ;   in Loop: Header=BB14_17 Depth=1
	v_lshlrev_b32_e32 v15, 24, v14
	v_and_b32_e32 v14, 0xffff, v14
	v_and_b32_e32 v65, 3, v14
	v_ffbh_u32_e32 v67, v65
	v_min_u32_e32 v67, 32, v67
	v_subrev_u32_e32 v68, 29, v67
	v_bfe_u32 v66, v14, 2, 5
	v_lshlrev_b32_e32 v14, v68, v14
	v_sub_u32_e32 v67, 30, v67
	v_and_b32_e32 v14, 3, v14
	v_cmp_eq_u32_e32 vcc, 0, v66
	v_cndmask_b32_e32 v66, v66, v67, vcc
	v_cndmask_b32_e32 v14, v65, v14, vcc
	v_lshlrev_b32_e32 v14, 21, v14
	v_and_b32_e32 v15, 0x80000000, v15
	v_lshl_add_u32 v65, v66, 23, v34
	v_or3_b32 v65, v15, v65, v14
.LBB14_3049:                            ;   in Loop: Header=BB14_17 Depth=1
	s_or_b64 exec, exec, s[68:69]
                                        ; implicit-def: $vgpr14_vgpr15
.LBB14_3050:                            ;   in Loop: Header=BB14_17 Depth=1
	s_andn2_saveexec_b64 s[66:67], s[74:75]
	s_cbranch_execz .LBB14_3052
; %bb.3051:                             ;   in Loop: Header=BB14_17 Depth=1
	flat_load_ubyte v14, v[14:15]
	s_mov_b32 vcc_lo, 0x7f800000
	s_waitcnt vmcnt(0) lgkmcnt(0)
	v_lshlrev_b32_e32 v14, 24, v14
	v_and_b32_e32 v15, 0x7f000000, v14
	v_ffbh_u32_e32 v65, v15
	v_min_u32_e32 v65, 32, v65
	v_sub_u32_e64 v65, v65, 4 clamp
	v_lshlrev_b32_e32 v67, v65, v15
	v_lshlrev_b32_e32 v65, 23, v65
	v_lshrrev_b32_e32 v67, 4, v67
	v_add_u32_e32 v66, 0x1000000, v15
	v_sub_u32_e32 v65, v67, v65
	v_ashrrev_i32_e32 v66, 8, v66
	v_add_u32_e32 v65, 0x3c000000, v65
	v_and_or_b32 v65, v66, vcc_lo, v65
	v_cmp_ne_u32_e32 vcc, 0, v15
	v_cndmask_b32_e32 v15, 0, v65, vcc
	s_brev_b32 vcc_lo, 1
	v_and_or_b32 v65, v14, vcc_lo, v15
.LBB14_3052:                            ;   in Loop: Header=BB14_17 Depth=1
	s_or_b64 exec, exec, s[66:67]
                                        ; implicit-def: $vgpr14_vgpr15
.LBB14_3053:                            ;   in Loop: Header=BB14_17 Depth=1
	s_andn2_saveexec_b64 s[66:67], s[62:63]
	s_cbranch_execz .LBB14_3055
; %bb.3054:                             ;   in Loop: Header=BB14_17 Depth=1
	flat_load_ubyte v14, v[14:15]
	s_movk_i32 vcc_lo, 0x7f00
	s_waitcnt vmcnt(0) lgkmcnt(0)
	v_lshlrev_b16_e32 v15, 8, v14
	v_lshlrev_b32_e32 v14, 25, v14
	v_lshrrev_b32_e32 v65, 4, v14
	v_and_or_b32 v66, v15, vcc_lo, 0.5
	v_or_b32_e32 v65, 0x70000000, v65
	s_brev_b32 vcc_lo, 16
	v_add_f32_e32 v66, -0.5, v66
	v_mul_f32_e32 v65, 0x7800000, v65
	v_cmp_gt_u32_e32 vcc, vcc_lo, v14
	v_cndmask_b32_e32 v14, v65, v66, vcc
	v_bfe_i32 v15, v15, 0, 16
	s_brev_b32 vcc_lo, 1
	v_and_or_b32 v65, v15, vcc_lo, v14
.LBB14_3055:                            ;   in Loop: Header=BB14_17 Depth=1
	s_or_b64 exec, exec, s[66:67]
	s_or_b64 s[74:75], s[78:79], exec
                                        ; implicit-def: $vgpr14_vgpr15
.LBB14_3056:                            ;   in Loop: Header=BB14_17 Depth=1
	s_or_saveexec_b64 s[72:73], s[72:73]
                                        ; implicit-def: $vcc
                                        ; implicit-def: $sgpr68_sgpr69
	s_xor_b64 exec, exec, s[72:73]
	s_cbranch_execz .LBB14_3066
; %bb.3057:                             ;   in Loop: Header=BB14_17 Depth=1
	v_cmp_gt_i16_sdwa vcc, v8, v35 src0_sel:BYTE_0 src1_sel:DWORD
	s_mov_b64 s[66:67], s[74:75]
                                        ; implicit-def: $sgpr68_sgpr69
                                        ; implicit-def: $sgpr76_sgpr77
                                        ; implicit-def: $vgpr65
	s_and_saveexec_b64 s[60:61], vcc
	s_xor_b64 vcc, exec, s[60:61]
	s_cbranch_execz .LBB14_3061
; %bb.3058:                             ;   in Loop: Header=BB14_17 Depth=1
	v_cmp_eq_u16_sdwa s[62:63], v8, v36 src0_sel:BYTE_0 src1_sel:DWORD
	s_mov_b64 s[66:67], s[74:75]
                                        ; implicit-def: $vgpr65
	s_and_saveexec_b64 s[60:61], s[62:63]
	s_cbranch_execz .LBB14_3060
; %bb.3059:                             ;   in Loop: Header=BB14_17 Depth=1
	flat_load_ushort v14, v[14:15]
	s_or_b64 s[66:67], s[74:75], exec
	s_waitcnt vmcnt(0) lgkmcnt(0)
	v_lshlrev_b32_e32 v65, 16, v14
.LBB14_3060:                            ;   in Loop: Header=BB14_17 Depth=1
	s_or_b64 exec, exec, s[60:61]
	s_andn2_b64 s[60:61], s[74:75], exec
	s_and_b64 s[62:63], s[66:67], exec
	s_mov_b64 s[76:77], 0
	s_mov_b64 s[68:69], -1
	s_or_b64 s[66:67], s[60:61], s[62:63]
                                        ; implicit-def: $vgpr14_vgpr15
.LBB14_3061:                            ;   in Loop: Header=BB14_17 Depth=1
	s_andn2_saveexec_b64 s[70:71], vcc
	s_cbranch_execz .LBB14_3065
; %bb.3062:                             ;   in Loop: Header=BB14_17 Depth=1
	v_cmp_eq_u16_sdwa s[62:63], v8, v37 src0_sel:BYTE_0 src1_sel:DWORD
	s_mov_b64 vcc, s[66:67]
                                        ; implicit-def: $vgpr65
	s_and_saveexec_b64 s[60:61], s[62:63]
	s_cbranch_execz .LBB14_3064
; %bb.3063:                             ;   in Loop: Header=BB14_17 Depth=1
	flat_load_ubyte v14, v[14:15]
	s_waitcnt vmcnt(0) lgkmcnt(0)
	v_cmp_ne_u16_e32 vcc, 0, v14
	v_cndmask_b32_e64 v65, 0, 1.0, vcc
	s_or_b64 vcc, s[66:67], exec
.LBB14_3064:                            ;   in Loop: Header=BB14_17 Depth=1
	s_or_b64 exec, exec, s[60:61]
	s_andn2_b64 s[60:61], s[66:67], exec
	s_and_b64 vcc, vcc, exec
	s_or_b64 s[68:69], s[68:69], exec
	s_andn2_b64 s[76:77], s[76:77], exec
	s_or_b64 s[66:67], s[60:61], vcc
.LBB14_3065:                            ;   in Loop: Header=BB14_17 Depth=1
	s_or_b64 exec, exec, s[70:71]
	s_andn2_b64 s[60:61], s[74:75], exec
	s_and_b64 s[62:63], s[66:67], exec
	s_and_b64 s[68:69], s[68:69], exec
	s_and_b64 vcc, s[76:77], exec
	s_or_b64 s[74:75], s[60:61], s[62:63]
.LBB14_3066:                            ;   in Loop: Header=BB14_17 Depth=1
	s_or_b64 exec, exec, s[72:73]
	s_andn2_b64 s[60:61], s[86:87], exec
	s_and_b64 s[62:63], s[68:69], exec
	s_or_b64 s[86:87], s[60:61], s[62:63]
	v_readlane_b32 s60, v44, 34
	v_readlane_b32 s61, v44, 35
	s_andn2_b64 s[60:61], s[60:61], exec
	s_and_b64 vcc, vcc, exec
	s_or_b64 s[62:63], s[60:61], vcc
	s_andn2_b64 vcc, s[78:79], exec
	s_and_b64 s[60:61], s[74:75], exec
	s_or_b64 s[78:79], vcc, s[60:61]
.LBB14_3067:                            ;   in Loop: Header=BB14_17 Depth=1
	s_or_b64 exec, exec, s[80:81]
	s_and_b64 s[86:87], s[86:87], exec
	s_and_b64 vcc, s[62:63], exec
	s_and_b64 s[78:79], s[78:79], exec
                                        ; implicit-def: $vgpr14_vgpr15
.LBB14_3068:                            ;   in Loop: Header=BB14_17 Depth=1
	v_readlane_b32 s60, v44, 32
	v_readlane_b32 s61, v44, 33
	s_andn2_saveexec_b64 s[80:81], s[60:61]
	s_cbranch_execz .LBB14_3110
; %bb.3069:                             ;   in Loop: Header=BB14_17 Depth=1
	v_cmp_gt_i16_sdwa s[60:61], v8, v38 src0_sel:BYTE_0 src1_sel:DWORD
                                        ; implicit-def: $vgpr65
	s_and_saveexec_b64 s[62:63], s[60:61]
	s_xor_b64 s[72:73], exec, s[62:63]
	s_cbranch_execz .LBB14_3091
; %bb.3070:                             ;   in Loop: Header=BB14_17 Depth=1
	v_cmp_gt_i16_sdwa s[60:61], v8, v39 src0_sel:BYTE_0 src1_sel:DWORD
                                        ; implicit-def: $vgpr65
	s_and_saveexec_b64 s[62:63], s[60:61]
	s_xor_b64 s[66:67], exec, s[62:63]
	;; [unrolled: 6-line block ×4, first 2 shown]
	s_cbranch_execz .LBB14_3074
; %bb.3073:                             ;   in Loop: Header=BB14_17 Depth=1
	flat_load_dwordx2 v[14:15], v[14:15]
	s_waitcnt vmcnt(0) lgkmcnt(0)
	v_cvt_f32_f64_e32 v65, v[14:15]
                                        ; implicit-def: $vgpr14_vgpr15
.LBB14_3074:                            ;   in Loop: Header=BB14_17 Depth=1
	s_andn2_saveexec_b64 s[60:61], s[60:61]
	s_cbranch_execz .LBB14_3076
; %bb.3075:                             ;   in Loop: Header=BB14_17 Depth=1
	flat_load_dword v65, v[14:15]
.LBB14_3076:                            ;   in Loop: Header=BB14_17 Depth=1
	s_or_b64 exec, exec, s[60:61]
                                        ; implicit-def: $vgpr14_vgpr15
.LBB14_3077:                            ;   in Loop: Header=BB14_17 Depth=1
	s_andn2_saveexec_b64 s[60:61], s[68:69]
	s_cbranch_execz .LBB14_3079
; %bb.3078:                             ;   in Loop: Header=BB14_17 Depth=1
	flat_load_dword v14, v[14:15]
	s_waitcnt vmcnt(0) lgkmcnt(0)
	v_cvt_f32_f16_e32 v65, v14
.LBB14_3079:                            ;   in Loop: Header=BB14_17 Depth=1
	s_or_b64 exec, exec, s[60:61]
                                        ; implicit-def: $vgpr14_vgpr15
.LBB14_3080:                            ;   in Loop: Header=BB14_17 Depth=1
	s_andn2_saveexec_b64 s[66:67], s[66:67]
	s_cbranch_execz .LBB14_3090
; %bb.3081:                             ;   in Loop: Header=BB14_17 Depth=1
	v_cmp_gt_i16_sdwa s[60:61], v8, v50 src0_sel:BYTE_0 src1_sel:DWORD
                                        ; implicit-def: $vgpr65
	s_and_saveexec_b64 s[62:63], s[60:61]
	s_xor_b64 s[68:69], exec, s[62:63]
	s_cbranch_execz .LBB14_3087
; %bb.3082:                             ;   in Loop: Header=BB14_17 Depth=1
	v_cmp_gt_i16_sdwa s[60:61], v8, v51 src0_sel:BYTE_0 src1_sel:DWORD
                                        ; implicit-def: $vgpr65
	s_and_saveexec_b64 s[62:63], s[60:61]
	s_xor_b64 s[60:61], exec, s[62:63]
	s_cbranch_execz .LBB14_3084
; %bb.3083:                             ;   in Loop: Header=BB14_17 Depth=1
	flat_load_dwordx2 v[14:15], v[14:15]
	s_waitcnt vmcnt(0) lgkmcnt(0)
	v_cvt_f32_f64_e32 v65, v[14:15]
                                        ; implicit-def: $vgpr14_vgpr15
.LBB14_3084:                            ;   in Loop: Header=BB14_17 Depth=1
	s_andn2_saveexec_b64 s[60:61], s[60:61]
	s_cbranch_execz .LBB14_3086
; %bb.3085:                             ;   in Loop: Header=BB14_17 Depth=1
	s_waitcnt vmcnt(0) lgkmcnt(0)
	flat_load_dword v65, v[14:15]
.LBB14_3086:                            ;   in Loop: Header=BB14_17 Depth=1
	s_or_b64 exec, exec, s[60:61]
                                        ; implicit-def: $vgpr14_vgpr15
.LBB14_3087:                            ;   in Loop: Header=BB14_17 Depth=1
	s_andn2_saveexec_b64 s[60:61], s[68:69]
	s_cbranch_execz .LBB14_3089
; %bb.3088:                             ;   in Loop: Header=BB14_17 Depth=1
	flat_load_ushort v14, v[14:15]
	s_waitcnt vmcnt(0) lgkmcnt(0)
	v_cvt_f32_f16_e32 v65, v14
.LBB14_3089:                            ;   in Loop: Header=BB14_17 Depth=1
	s_or_b64 exec, exec, s[60:61]
.LBB14_3090:                            ;   in Loop: Header=BB14_17 Depth=1
	s_or_b64 exec, exec, s[66:67]
                                        ; implicit-def: $vgpr14_vgpr15
.LBB14_3091:                            ;   in Loop: Header=BB14_17 Depth=1
	s_andn2_saveexec_b64 s[72:73], s[72:73]
	s_cbranch_execz .LBB14_3109
; %bb.3092:                             ;   in Loop: Header=BB14_17 Depth=1
	v_cmp_gt_i16_sdwa s[60:61], v8, v52 src0_sel:BYTE_0 src1_sel:DWORD
                                        ; implicit-def: $vgpr65
	s_and_saveexec_b64 s[62:63], s[60:61]
	s_xor_b64 s[74:75], exec, s[62:63]
	s_cbranch_execz .LBB14_3102
; %bb.3093:                             ;   in Loop: Header=BB14_17 Depth=1
	v_cmp_gt_i16_sdwa s[60:61], v8, v53 src0_sel:BYTE_0 src1_sel:DWORD
                                        ; implicit-def: $vgpr65
	s_and_saveexec_b64 s[62:63], s[60:61]
	s_xor_b64 s[66:67], exec, s[62:63]
	s_cbranch_execz .LBB14_3099
; %bb.3094:                             ;   in Loop: Header=BB14_17 Depth=1
	v_cmp_gt_i16_sdwa s[60:61], v8, v54 src0_sel:BYTE_0 src1_sel:DWORD
                                        ; implicit-def: $vgpr65
	s_and_saveexec_b64 s[62:63], s[60:61]
	s_xor_b64 s[68:69], exec, s[62:63]
	s_cbranch_execz .LBB14_3096
; %bb.3095:                             ;   in Loop: Header=BB14_17 Depth=1
	flat_load_dwordx2 v[14:15], v[14:15]
	s_waitcnt vmcnt(0) lgkmcnt(0)
	v_xor_b32_e32 v66, v14, v15
	v_ffbh_i32_e32 v65, v15
	v_ashrrev_i32_e32 v66, 31, v66
	v_add_u32_e32 v65, -1, v65
	v_add_u32_e32 v66, 32, v66
	v_min_u32_e32 v65, v65, v66
	v_lshlrev_b64 v[14:15], v65, v[14:15]
	v_min_u32_e32 v14, 1, v14
	v_or_b32_e32 v14, v15, v14
	v_cvt_f32_i32_e32 v14, v14
	v_sub_u32_e32 v15, 32, v65
	v_ldexp_f32 v65, v14, v15
                                        ; implicit-def: $vgpr14_vgpr15
.LBB14_3096:                            ;   in Loop: Header=BB14_17 Depth=1
	s_andn2_saveexec_b64 s[60:61], s[68:69]
	s_cbranch_execz .LBB14_3098
; %bb.3097:                             ;   in Loop: Header=BB14_17 Depth=1
	flat_load_dword v14, v[14:15]
	s_waitcnt vmcnt(0) lgkmcnt(0)
	v_cvt_f32_i32_e32 v65, v14
.LBB14_3098:                            ;   in Loop: Header=BB14_17 Depth=1
	s_or_b64 exec, exec, s[60:61]
                                        ; implicit-def: $vgpr14_vgpr15
.LBB14_3099:                            ;   in Loop: Header=BB14_17 Depth=1
	s_andn2_saveexec_b64 s[60:61], s[66:67]
	s_cbranch_execz .LBB14_3101
; %bb.3100:                             ;   in Loop: Header=BB14_17 Depth=1
	flat_load_sshort v14, v[14:15]
	s_waitcnt vmcnt(0) lgkmcnt(0)
	v_cvt_f32_i32_e32 v65, v14
.LBB14_3101:                            ;   in Loop: Header=BB14_17 Depth=1
	s_or_b64 exec, exec, s[60:61]
                                        ; implicit-def: $vgpr14_vgpr15
.LBB14_3102:                            ;   in Loop: Header=BB14_17 Depth=1
	s_andn2_saveexec_b64 s[66:67], s[74:75]
	s_cbranch_execz .LBB14_3108
; %bb.3103:                             ;   in Loop: Header=BB14_17 Depth=1
	v_cmp_gt_i16_sdwa s[60:61], v8, v16 src0_sel:BYTE_0 src1_sel:DWORD
                                        ; implicit-def: $vgpr65
	s_and_saveexec_b64 s[62:63], s[60:61]
	s_xor_b64 s[60:61], exec, s[62:63]
	s_cbranch_execz .LBB14_3105
; %bb.3104:                             ;   in Loop: Header=BB14_17 Depth=1
	flat_load_sbyte v14, v[14:15]
	s_waitcnt vmcnt(0) lgkmcnt(0)
	v_cvt_f32_i32_e32 v65, v14
                                        ; implicit-def: $vgpr14_vgpr15
.LBB14_3105:                            ;   in Loop: Header=BB14_17 Depth=1
	s_andn2_saveexec_b64 s[60:61], s[60:61]
	s_cbranch_execz .LBB14_3107
; %bb.3106:                             ;   in Loop: Header=BB14_17 Depth=1
	flat_load_ubyte v14, v[14:15]
	s_waitcnt vmcnt(0) lgkmcnt(0)
	v_cvt_f32_ubyte0_e32 v65, v14
.LBB14_3107:                            ;   in Loop: Header=BB14_17 Depth=1
	s_or_b64 exec, exec, s[60:61]
.LBB14_3108:                            ;   in Loop: Header=BB14_17 Depth=1
	s_or_b64 exec, exec, s[66:67]
.LBB14_3109:                            ;   in Loop: Header=BB14_17 Depth=1
	s_or_b64 exec, exec, s[72:73]
	s_andn2_b64 s[86:87], s[86:87], exec
	s_andn2_b64 vcc, vcc, exec
	s_or_b64 s[78:79], s[78:79], exec
.LBB14_3110:                            ;   in Loop: Header=BB14_17 Depth=1
	s_or_b64 exec, exec, s[80:81]
	s_mov_b64 s[66:67], 0
	s_and_saveexec_b64 s[68:69], s[78:79]
	s_cbranch_execz .LBB14_3112
; %bb.3111:                             ;   in Loop: Header=BB14_17 Depth=1
	s_mov_b64 s[66:67], exec
	v_add_u32_e32 v55, 0x200, v55
	s_andn2_b64 s[86:87], s[86:87], exec
	s_andn2_b64 vcc, vcc, exec
	s_waitcnt vmcnt(0) lgkmcnt(0)
	buffer_store_dword v65, v64, s[0:3], 0 offen offset:104
.LBB14_3112:                            ;   in Loop: Header=BB14_17 Depth=1
	s_or_b64 exec, exec, s[68:69]
	s_andn2_b64 s[60:61], s[92:93], exec
	s_and_b64 s[62:63], s[86:87], exec
	s_or_b64 s[92:93], s[60:61], s[62:63]
	s_andn2_b64 s[60:61], s[94:95], exec
	s_and_b64 vcc, vcc, exec
	s_or_b64 s[94:95], s[60:61], vcc
	s_and_b64 s[66:67], s[66:67], exec
.LBB14_3113:                            ;   in Loop: Header=BB14_17 Depth=1
	s_or_b64 exec, exec, s[84:85]
	s_and_b64 vcc, s[92:93], exec
	v_writelane_b32 v44, vcc_lo, 28
	v_writelane_b32 v44, vcc_hi, 29
	s_and_b64 vcc, s[94:95], exec
	v_writelane_b32 v44, vcc_lo, 30
	v_writelane_b32 v44, vcc_hi, 31
	s_orn2_b64 s[66:67], s[66:67], exec
.LBB14_3114:                            ;   in Loop: Header=BB14_17 Depth=1
	s_or_b64 exec, exec, s[90:91]
	s_and_saveexec_b64 s[94:95], s[66:67]
	s_cbranch_execz .LBB14_3
; %bb.3115:                             ;   in Loop: Header=BB14_17 Depth=1
	s_mov_b64 s[60:61], -1
	v_cmp_lt_i32_e32 vcc, v55, v6
	v_writelane_b32 v44, s60, 36
	s_mov_b64 s[66:67], -1
	v_writelane_b32 v44, s61, 37
                                        ; implicit-def: $sgpr62_sgpr63
                                        ; implicit-def: $sgpr60_sgpr61
                                        ; kill: killed $sgpr60_sgpr61
	s_and_saveexec_b64 s[96:97], vcc
	s_cbranch_execz .LBB14_3341
; %bb.3116:                             ;   in Loop: Header=BB14_17 Depth=1
	v_readlane_b32 vcc_lo, v44, 1
	s_waitcnt vmcnt(0) lgkmcnt(0)
	v_add_u32_e32 v65, vcc_lo, v55
	v_mul_lo_u32 v14, v65, v9
	v_add_co_u32_e32 v14, vcc, v2, v14
	v_addc_co_u32_e32 v15, vcc, 0, v3, vcc
	v_cmp_gt_i16_sdwa s[60:61], v7, v18 src0_sel:BYTE_0 src1_sel:DWORD
	s_mov_b64 vcc, 0
                                        ; implicit-def: $sgpr92_sgpr93
                                        ; implicit-def: $sgpr90_sgpr91
                                        ; implicit-def: $vgpr66
	s_and_saveexec_b64 s[62:63], s[60:61]
	s_xor_b64 s[84:85], exec, s[62:63]
	s_cbranch_execnz .LBB14_3135
; %bb.3117:                             ;   in Loop: Header=BB14_17 Depth=1
	s_andn2_saveexec_b64 s[78:79], s[84:85]
	s_cbranch_execnz .LBB14_3194
.LBB14_3118:                            ;   in Loop: Header=BB14_17 Depth=1
	s_or_b64 exec, exec, s[78:79]
	s_mov_b64 s[66:67], 0
	s_and_saveexec_b64 s[84:85], vcc
	s_cbranch_execnz .LBB14_3235
	s_branch .LBB14_3340
.LBB14_3119:                            ;   in Loop: Header=BB14_17 Depth=1
	s_movk_i32 vcc_lo, 0x80
	v_cmp_eq_u16_e32 vcc, vcc_lo, v14
	s_mov_b64 s[86:87], -1
                                        ; implicit-def: $sgpr92
	s_and_saveexec_b64 s[90:91], vcc
; %bb.3120:                             ;   in Loop: Header=BB14_17 Depth=1
	s_mov_b32 s92, 0x7f800001
	s_xor_b64 s[86:87], exec, -1
; %bb.3121:                             ;   in Loop: Header=BB14_17 Depth=1
	s_or_b64 exec, exec, s[90:91]
	s_and_b64 s[86:87], s[86:87], exec
	s_or_saveexec_b64 s[88:89], s[88:89]
	v_mov_b32_e32 v64, s92
	s_xor_b64 exec, exec, s[88:89]
	s_cbranch_execz .LBB14_1938
.LBB14_3122:                            ;   in Loop: Header=BB14_17 Depth=1
	v_cmp_ne_u16_e32 vcc, 0, v14
	s_andn2_b64 s[86:87], s[86:87], exec
	s_and_b64 vcc, vcc, exec
	v_mov_b32_e32 v64, 0
	s_or_b64 s[86:87], s[86:87], vcc
	s_or_b64 exec, exec, s[88:89]
	s_and_saveexec_b64 s[88:89], s[86:87]
	s_cbranch_execnz .LBB14_1939
	s_branch .LBB14_1940
.LBB14_3123:                            ;   in Loop: Header=BB14_17 Depth=1
	s_movk_i32 vcc_lo, 0x80
	v_cmp_eq_u16_e32 vcc, vcc_lo, v14
	s_mov_b64 s[86:87], -1
                                        ; implicit-def: $sgpr90
	s_and_saveexec_b64 s[60:61], vcc
; %bb.3124:                             ;   in Loop: Header=BB14_17 Depth=1
	s_mov_b32 s90, 0x7f800001
	s_xor_b64 s[86:87], exec, -1
; %bb.3125:                             ;   in Loop: Header=BB14_17 Depth=1
	s_or_b64 exec, exec, s[60:61]
	s_and_b64 s[86:87], s[86:87], exec
	s_or_saveexec_b64 s[88:89], s[88:89]
	v_mov_b32_e32 v66, s90
	s_xor_b64 exec, exec, s[88:89]
	s_cbranch_execz .LBB14_2038
.LBB14_3126:                            ;   in Loop: Header=BB14_17 Depth=1
	v_cmp_ne_u16_e32 vcc, 0, v14
	s_andn2_b64 s[60:61], s[86:87], exec
	s_and_b64 vcc, vcc, exec
	v_mov_b32_e32 v66, 0
	s_or_b64 s[86:87], s[60:61], vcc
	s_or_b64 exec, exec, s[88:89]
	s_and_saveexec_b64 s[88:89], s[86:87]
	s_cbranch_execnz .LBB14_2039
	s_branch .LBB14_2040
.LBB14_3127:                            ;   in Loop: Header=BB14_17 Depth=1
	s_movk_i32 vcc_lo, 0x80
	v_cmp_eq_u16_e32 vcc, vcc_lo, v14
	s_mov_b64 s[90:91], -1
                                        ; implicit-def: $sgpr94
	s_and_saveexec_b64 s[60:61], vcc
; %bb.3128:                             ;   in Loop: Header=BB14_17 Depth=1
	s_mov_b32 s94, 0x7f800001
	s_xor_b64 s[90:91], exec, -1
; %bb.3129:                             ;   in Loop: Header=BB14_17 Depth=1
	s_or_b64 exec, exec, s[60:61]
	s_and_b64 s[90:91], s[90:91], exec
	s_or_saveexec_b64 s[92:93], s[92:93]
	v_mov_b32_e32 v64, s94
	s_xor_b64 exec, exec, s[92:93]
	s_cbranch_execz .LBB14_2154
.LBB14_3130:                            ;   in Loop: Header=BB14_17 Depth=1
	v_cmp_ne_u16_e32 vcc, 0, v14
	s_andn2_b64 s[60:61], s[90:91], exec
	s_and_b64 vcc, vcc, exec
	v_mov_b32_e32 v64, 0
	s_or_b64 s[90:91], s[60:61], vcc
	s_or_b64 exec, exec, s[92:93]
	s_and_saveexec_b64 s[92:93], s[90:91]
	s_cbranch_execnz .LBB14_2155
	s_branch .LBB14_2156
.LBB14_3131:                            ;   in Loop: Header=BB14_17 Depth=1
	s_movk_i32 vcc_lo, 0x80
	v_cmp_eq_u16_e32 vcc, vcc_lo, v14
	s_mov_b64 s[66:67], -1
                                        ; implicit-def: $sgpr70
	s_and_saveexec_b64 s[60:61], vcc
; %bb.3132:                             ;   in Loop: Header=BB14_17 Depth=1
	s_mov_b32 s70, 0x7f800001
	s_xor_b64 s[66:67], exec, -1
; %bb.3133:                             ;   in Loop: Header=BB14_17 Depth=1
	s_or_b64 exec, exec, s[60:61]
	s_and_b64 s[66:67], s[66:67], exec
	s_or_saveexec_b64 s[68:69], s[68:69]
	v_mov_b32_e32 v66, s70
	s_xor_b64 exec, exec, s[68:69]
	s_cbranch_execz .LBB14_2254
.LBB14_3134:                            ;   in Loop: Header=BB14_17 Depth=1
	v_cmp_ne_u16_e32 vcc, 0, v14
	s_andn2_b64 s[60:61], s[66:67], exec
	s_and_b64 vcc, vcc, exec
	v_mov_b32_e32 v66, 0
	s_or_b64 s[66:67], s[60:61], vcc
	s_or_b64 exec, exec, s[68:69]
	s_and_saveexec_b64 s[68:69], s[66:67]
	s_cbranch_execnz .LBB14_2255
	s_branch .LBB14_2256
.LBB14_3135:                            ;   in Loop: Header=BB14_17 Depth=1
	v_cmp_gt_i16_sdwa vcc, v7, v19 src0_sel:BYTE_0 src1_sel:DWORD
	s_mov_b64 s[78:79], 0
                                        ; implicit-def: $sgpr80_sgpr81
                                        ; implicit-def: $sgpr86_sgpr87
                                        ; implicit-def: $vgpr66
	s_and_saveexec_b64 s[60:61], vcc
	s_xor_b64 s[90:91], exec, s[60:61]
	s_cbranch_execz .LBB14_3167
; %bb.3136:                             ;   in Loop: Header=BB14_17 Depth=1
	v_cmp_gt_i16_sdwa vcc, v7, v20 src0_sel:BYTE_0 src1_sel:DWORD
                                        ; implicit-def: $sgpr72_sgpr73
                                        ; implicit-def: $sgpr86_sgpr87
                                        ; implicit-def: $vgpr66
	s_and_saveexec_b64 s[60:61], vcc
	s_xor_b64 s[80:81], exec, s[60:61]
	s_cbranch_execz .LBB14_3152
; %bb.3137:                             ;   in Loop: Header=BB14_17 Depth=1
	v_cmp_gt_i16_sdwa s[60:61], v7, v21 src0_sel:BYTE_0 src1_sel:DWORD
	s_mov_b64 s[74:75], 0
                                        ; implicit-def: $vcc
                                        ; implicit-def: $sgpr86_sgpr87
                                        ; implicit-def: $vgpr66
	s_and_saveexec_b64 s[62:63], s[60:61]
	s_xor_b64 s[72:73], exec, s[62:63]
	s_cbranch_execz .LBB14_3147
; %bb.3138:                             ;   in Loop: Header=BB14_17 Depth=1
	v_cmp_gt_i16_sdwa vcc, v7, v22 src0_sel:BYTE_0 src1_sel:DWORD
                                        ; implicit-def: $sgpr74_sgpr75
                                        ; implicit-def: $sgpr92_sgpr93
                                        ; implicit-def: $vgpr66
	s_and_saveexec_b64 s[60:61], vcc
	s_xor_b64 vcc, exec, s[60:61]
	s_cbranch_execz .LBB14_3142
; %bb.3139:                             ;   in Loop: Header=BB14_17 Depth=1
	v_cmp_eq_u16_sdwa s[62:63], v7, v23 src0_sel:BYTE_0 src1_sel:DWORD
	s_mov_b64 s[74:75], 0
	s_mov_b64 s[66:67], 0
                                        ; implicit-def: $vgpr66
	s_and_saveexec_b64 s[60:61], s[62:63]
	s_cbranch_execz .LBB14_3141
; %bb.3140:                             ;   in Loop: Header=BB14_17 Depth=1
	flat_load_dword v14, v[14:15]
	s_mov_b64 s[66:67], exec
	s_waitcnt vmcnt(0) lgkmcnt(0)
	v_lshlrev_b32_e32 v66, 16, v14
.LBB14_3141:                            ;   in Loop: Header=BB14_17 Depth=1
	s_or_b64 exec, exec, s[60:61]
	s_mov_b64 s[92:93], -1
	s_and_b64 s[78:79], s[66:67], exec
                                        ; implicit-def: $vgpr14_vgpr15
.LBB14_3142:                            ;   in Loop: Header=BB14_17 Depth=1
	s_andn2_saveexec_b64 s[66:67], vcc
	s_cbranch_execz .LBB14_3146
; %bb.3143:                             ;   in Loop: Header=BB14_17 Depth=1
	v_cmp_eq_u16_sdwa s[60:61], v7, v24 src0_sel:BYTE_0 src1_sel:DWORD
	s_mov_b64 vcc, s[78:79]
                                        ; implicit-def: $vgpr66
	s_and_saveexec_b64 s[68:69], s[60:61]
	s_cbranch_execz .LBB14_3145
; %bb.3144:                             ;   in Loop: Header=BB14_17 Depth=1
	flat_load_ubyte v14, v[14:15]
	s_movk_i32 vcc_lo, 0xff
	s_waitcnt vmcnt(0) lgkmcnt(0)
	v_lshlrev_b32_e32 v15, 23, v14
	v_cmp_ne_u32_e32 vcc, vcc_lo, v14
	v_cndmask_b32_e32 v15, v25, v15, vcc
	v_cmp_ne_u32_e32 vcc, 0, v14
	v_cndmask_b32_e32 v66, v26, v15, vcc
	s_or_b64 vcc, s[78:79], exec
.LBB14_3145:                            ;   in Loop: Header=BB14_17 Depth=1
	s_or_b64 exec, exec, s[68:69]
	s_andn2_b64 s[60:61], s[78:79], exec
	s_and_b64 vcc, vcc, exec
	s_andn2_b64 s[74:75], s[74:75], exec
	s_or_b64 s[92:93], s[92:93], exec
	s_or_b64 s[78:79], s[60:61], vcc
.LBB14_3146:                            ;   in Loop: Header=BB14_17 Depth=1
	s_or_b64 exec, exec, s[66:67]
	s_and_b64 s[86:87], s[74:75], exec
	s_and_b64 vcc, s[92:93], exec
	s_and_b64 s[74:75], s[78:79], exec
                                        ; implicit-def: $vgpr14_vgpr15
.LBB14_3147:                            ;   in Loop: Header=BB14_17 Depth=1
	s_andn2_saveexec_b64 s[66:67], s[72:73]
	s_cbranch_execz .LBB14_3151
; %bb.3148:                             ;   in Loop: Header=BB14_17 Depth=1
	v_cmp_eq_u16_sdwa s[60:61], v7, v27 src0_sel:BYTE_0 src1_sel:DWORD
	s_mov_b64 s[70:71], s[74:75]
                                        ; implicit-def: $vgpr66
	s_and_saveexec_b64 s[68:69], s[60:61]
	s_cbranch_execz .LBB14_3150
; %bb.3149:                             ;   in Loop: Header=BB14_17 Depth=1
	flat_load_dwordx2 v[14:15], v[14:15]
	s_or_b64 s[70:71], s[74:75], exec
	s_waitcnt vmcnt(0) lgkmcnt(0)
	v_ffbh_u32_e32 v64, v15
	v_min_u32_e32 v64, 32, v64
	v_lshlrev_b64 v[14:15], v64, v[14:15]
	v_min_u32_e32 v14, 1, v14
	v_or_b32_e32 v14, v15, v14
	v_cvt_f32_u32_e32 v14, v14
	v_sub_u32_e32 v15, 32, v64
	v_ldexp_f32 v66, v14, v15
.LBB14_3150:                            ;   in Loop: Header=BB14_17 Depth=1
	s_or_b64 exec, exec, s[68:69]
	s_andn2_b64 s[60:61], s[74:75], exec
	s_and_b64 s[62:63], s[70:71], exec
	s_andn2_b64 s[86:87], s[86:87], exec
	s_or_b64 vcc, vcc, exec
	s_or_b64 s[74:75], s[60:61], s[62:63]
.LBB14_3151:                            ;   in Loop: Header=BB14_17 Depth=1
	s_or_b64 exec, exec, s[66:67]
	s_and_b64 s[86:87], s[86:87], exec
	s_and_b64 s[72:73], vcc, exec
	s_and_b64 s[78:79], s[74:75], exec
                                        ; implicit-def: $vgpr14_vgpr15
.LBB14_3152:                            ;   in Loop: Header=BB14_17 Depth=1
	s_andn2_saveexec_b64 s[80:81], s[80:81]
	s_cbranch_execz .LBB14_3166
; %bb.3153:                             ;   in Loop: Header=BB14_17 Depth=1
	v_cmp_gt_i16_sdwa vcc, v7, v28 src0_sel:BYTE_0 src1_sel:DWORD
                                        ; implicit-def: $vgpr66
	s_and_saveexec_b64 s[60:61], vcc
	s_xor_b64 vcc, exec, s[60:61]
	s_cbranch_execz .LBB14_3159
; %bb.3154:                             ;   in Loop: Header=BB14_17 Depth=1
	v_cmp_gt_i16_sdwa s[60:61], v7, v29 src0_sel:BYTE_0 src1_sel:DWORD
                                        ; implicit-def: $vgpr66
	s_and_saveexec_b64 s[62:63], s[60:61]
	s_xor_b64 s[60:61], exec, s[62:63]
	s_cbranch_execz .LBB14_3156
; %bb.3155:                             ;   in Loop: Header=BB14_17 Depth=1
	flat_load_dword v14, v[14:15]
	s_waitcnt vmcnt(0) lgkmcnt(0)
	v_cvt_f32_u32_e32 v66, v14
                                        ; implicit-def: $vgpr14_vgpr15
.LBB14_3156:                            ;   in Loop: Header=BB14_17 Depth=1
	s_andn2_saveexec_b64 s[60:61], s[60:61]
	s_cbranch_execz .LBB14_3158
; %bb.3157:                             ;   in Loop: Header=BB14_17 Depth=1
	flat_load_ushort v14, v[14:15]
	s_waitcnt vmcnt(0) lgkmcnt(0)
	v_cvt_f32_u32_e32 v66, v14
.LBB14_3158:                            ;   in Loop: Header=BB14_17 Depth=1
	s_or_b64 exec, exec, s[60:61]
                                        ; implicit-def: $vgpr14_vgpr15
.LBB14_3159:                            ;   in Loop: Header=BB14_17 Depth=1
	s_andn2_saveexec_b64 s[74:75], vcc
	s_cbranch_execz .LBB14_3165
; %bb.3160:                             ;   in Loop: Header=BB14_17 Depth=1
	flat_load_ubyte v14, v[14:15]
	s_movk_i32 vcc_lo, 0x7f
	s_mov_b64 s[66:67], 0
                                        ; implicit-def: $sgpr70
	s_waitcnt vmcnt(0) lgkmcnt(0)
	v_cmp_lt_i16_e32 vcc, vcc_lo, v14
	s_and_saveexec_b64 s[60:61], vcc
	s_xor_b64 s[68:69], exec, s[60:61]
	s_cbranch_execnz .LBB14_3614
; %bb.3161:                             ;   in Loop: Header=BB14_17 Depth=1
	s_or_saveexec_b64 s[68:69], s[68:69]
	v_mov_b32_e32 v66, s70
	s_xor_b64 exec, exec, s[68:69]
	s_cbranch_execnz .LBB14_3617
.LBB14_3162:                            ;   in Loop: Header=BB14_17 Depth=1
	s_or_b64 exec, exec, s[68:69]
	s_and_saveexec_b64 s[68:69], s[66:67]
	s_cbranch_execz .LBB14_3164
.LBB14_3163:                            ;   in Loop: Header=BB14_17 Depth=1
	v_lshlrev_b32_e32 v15, 24, v14
	v_and_b32_e32 v14, 0xffff, v14
	v_and_b32_e32 v64, 7, v14
	v_ffbh_u32_e32 v67, v64
	v_min_u32_e32 v67, 32, v67
	v_subrev_u32_e32 v68, 28, v67
	v_bfe_u32 v66, v14, 3, 4
	v_lshlrev_b32_e32 v14, v68, v14
	v_sub_u32_e32 v67, 29, v67
	v_and_b32_e32 v14, 7, v14
	v_cmp_eq_u32_e32 vcc, 0, v66
	v_cndmask_b32_e32 v66, v66, v67, vcc
	v_cndmask_b32_e32 v14, v64, v14, vcc
	v_lshlrev_b32_e32 v14, 20, v14
	v_and_b32_e32 v15, 0x80000000, v15
	v_lshl_add_u32 v64, v66, 23, v30
	v_or3_b32 v66, v15, v64, v14
.LBB14_3164:                            ;   in Loop: Header=BB14_17 Depth=1
	s_or_b64 exec, exec, s[68:69]
.LBB14_3165:                            ;   in Loop: Header=BB14_17 Depth=1
	s_or_b64 exec, exec, s[74:75]
	s_andn2_b64 s[86:87], s[86:87], exec
	s_andn2_b64 s[72:73], s[72:73], exec
	s_or_b64 s[78:79], s[78:79], exec
.LBB14_3166:                            ;   in Loop: Header=BB14_17 Depth=1
	s_or_b64 exec, exec, s[80:81]
	s_and_b64 s[86:87], s[86:87], exec
	s_and_b64 s[80:81], s[72:73], exec
	;; [unrolled: 1-line block ×3, first 2 shown]
                                        ; implicit-def: $vgpr14_vgpr15
.LBB14_3167:                            ;   in Loop: Header=BB14_17 Depth=1
	s_andn2_saveexec_b64 s[90:91], s[90:91]
	s_cbranch_execz .LBB14_3193
; %bb.3168:                             ;   in Loop: Header=BB14_17 Depth=1
	v_cmp_gt_i16_sdwa vcc, v7, v31 src0_sel:BYTE_0 src1_sel:DWORD
	s_mov_b64 s[74:75], s[78:79]
                                        ; implicit-def: $vgpr66
	s_and_saveexec_b64 s[60:61], vcc
	s_xor_b64 s[72:73], exec, s[60:61]
	s_cbranch_execz .LBB14_3182
; %bb.3169:                             ;   in Loop: Header=BB14_17 Depth=1
	v_cmp_gt_i16_sdwa vcc, v7, v32 src0_sel:BYTE_0 src1_sel:DWORD
                                        ; implicit-def: $vgpr66
	s_and_saveexec_b64 s[60:61], vcc
	s_xor_b64 s[92:93], exec, s[60:61]
	s_cbranch_execz .LBB14_3179
; %bb.3170:                             ;   in Loop: Header=BB14_17 Depth=1
	v_cmp_gt_i16_sdwa vcc, v7, v33 src0_sel:BYTE_0 src1_sel:DWORD
                                        ; implicit-def: $vgpr66
	s_and_saveexec_b64 s[60:61], vcc
	s_xor_b64 s[74:75], exec, s[60:61]
	s_cbranch_execz .LBB14_3176
; %bb.3171:                             ;   in Loop: Header=BB14_17 Depth=1
	flat_load_ubyte v14, v[14:15]
	s_movk_i32 vcc_lo, 0x7f
	s_mov_b64 s[66:67], 0
                                        ; implicit-def: $sgpr70
	s_waitcnt vmcnt(0) lgkmcnt(0)
	v_cmp_lt_i16_e32 vcc, vcc_lo, v14
	s_and_saveexec_b64 s[60:61], vcc
	s_xor_b64 s[68:69], exec, s[60:61]
	s_cbranch_execnz .LBB14_3622
; %bb.3172:                             ;   in Loop: Header=BB14_17 Depth=1
	s_or_saveexec_b64 s[68:69], s[68:69]
	v_mov_b32_e32 v66, s70
	s_xor_b64 exec, exec, s[68:69]
	s_cbranch_execnz .LBB14_3625
.LBB14_3173:                            ;   in Loop: Header=BB14_17 Depth=1
	s_or_b64 exec, exec, s[68:69]
	s_and_saveexec_b64 s[68:69], s[66:67]
	s_cbranch_execz .LBB14_3175
.LBB14_3174:                            ;   in Loop: Header=BB14_17 Depth=1
	v_lshlrev_b32_e32 v15, 24, v14
	v_and_b32_e32 v14, 0xffff, v14
	v_and_b32_e32 v64, 3, v14
	v_ffbh_u32_e32 v67, v64
	v_min_u32_e32 v67, 32, v67
	v_subrev_u32_e32 v68, 29, v67
	v_bfe_u32 v66, v14, 2, 5
	v_lshlrev_b32_e32 v14, v68, v14
	v_sub_u32_e32 v67, 30, v67
	v_and_b32_e32 v14, 3, v14
	v_cmp_eq_u32_e32 vcc, 0, v66
	v_cndmask_b32_e32 v66, v66, v67, vcc
	v_cndmask_b32_e32 v14, v64, v14, vcc
	v_lshlrev_b32_e32 v14, 21, v14
	v_and_b32_e32 v15, 0x80000000, v15
	v_lshl_add_u32 v64, v66, 23, v34
	v_or3_b32 v66, v15, v64, v14
.LBB14_3175:                            ;   in Loop: Header=BB14_17 Depth=1
	s_or_b64 exec, exec, s[68:69]
                                        ; implicit-def: $vgpr14_vgpr15
.LBB14_3176:                            ;   in Loop: Header=BB14_17 Depth=1
	s_andn2_saveexec_b64 s[66:67], s[74:75]
	s_cbranch_execz .LBB14_3178
; %bb.3177:                             ;   in Loop: Header=BB14_17 Depth=1
	flat_load_ubyte v14, v[14:15]
	s_mov_b32 vcc_lo, 0x7f800000
	s_waitcnt vmcnt(0) lgkmcnt(0)
	v_lshlrev_b32_e32 v14, 24, v14
	v_and_b32_e32 v15, 0x7f000000, v14
	v_ffbh_u32_e32 v64, v15
	v_min_u32_e32 v64, 32, v64
	v_sub_u32_e64 v64, v64, 4 clamp
	v_lshlrev_b32_e32 v67, v64, v15
	v_lshlrev_b32_e32 v64, 23, v64
	v_lshrrev_b32_e32 v67, 4, v67
	v_add_u32_e32 v66, 0x1000000, v15
	v_sub_u32_e32 v64, v67, v64
	v_ashrrev_i32_e32 v66, 8, v66
	v_add_u32_e32 v64, 0x3c000000, v64
	v_and_or_b32 v64, v66, vcc_lo, v64
	v_cmp_ne_u32_e32 vcc, 0, v15
	v_cndmask_b32_e32 v15, 0, v64, vcc
	s_brev_b32 vcc_lo, 1
	v_and_or_b32 v66, v14, vcc_lo, v15
.LBB14_3178:                            ;   in Loop: Header=BB14_17 Depth=1
	s_or_b64 exec, exec, s[66:67]
                                        ; implicit-def: $vgpr14_vgpr15
.LBB14_3179:                            ;   in Loop: Header=BB14_17 Depth=1
	s_andn2_saveexec_b64 s[66:67], s[92:93]
	s_cbranch_execz .LBB14_3181
; %bb.3180:                             ;   in Loop: Header=BB14_17 Depth=1
	flat_load_ubyte v14, v[14:15]
	s_movk_i32 vcc_lo, 0x7f00
	s_waitcnt vmcnt(0) lgkmcnt(0)
	v_lshlrev_b16_e32 v15, 8, v14
	v_lshlrev_b32_e32 v14, 25, v14
	v_lshrrev_b32_e32 v64, 4, v14
	v_and_or_b32 v66, v15, vcc_lo, 0.5
	v_or_b32_e32 v64, 0x70000000, v64
	s_brev_b32 vcc_lo, 16
	v_add_f32_e32 v66, -0.5, v66
	v_mul_f32_e32 v64, 0x7800000, v64
	v_cmp_gt_u32_e32 vcc, vcc_lo, v14
	v_cndmask_b32_e32 v14, v64, v66, vcc
	v_bfe_i32 v15, v15, 0, 16
	s_brev_b32 vcc_lo, 1
	v_and_or_b32 v66, v15, vcc_lo, v14
.LBB14_3181:                            ;   in Loop: Header=BB14_17 Depth=1
	s_or_b64 exec, exec, s[66:67]
	s_or_b64 s[74:75], s[78:79], exec
                                        ; implicit-def: $vgpr14_vgpr15
.LBB14_3182:                            ;   in Loop: Header=BB14_17 Depth=1
	s_or_saveexec_b64 s[72:73], s[72:73]
                                        ; implicit-def: $vcc
                                        ; implicit-def: $sgpr68_sgpr69
	s_xor_b64 exec, exec, s[72:73]
	s_cbranch_execz .LBB14_3192
; %bb.3183:                             ;   in Loop: Header=BB14_17 Depth=1
	v_cmp_gt_i16_sdwa vcc, v7, v35 src0_sel:BYTE_0 src1_sel:DWORD
	s_mov_b64 s[66:67], s[74:75]
                                        ; implicit-def: $sgpr68_sgpr69
                                        ; implicit-def: $sgpr76_sgpr77
                                        ; implicit-def: $vgpr66
	s_and_saveexec_b64 s[60:61], vcc
	s_xor_b64 vcc, exec, s[60:61]
	s_cbranch_execz .LBB14_3187
; %bb.3184:                             ;   in Loop: Header=BB14_17 Depth=1
	v_cmp_eq_u16_sdwa s[62:63], v7, v36 src0_sel:BYTE_0 src1_sel:DWORD
	s_mov_b64 s[66:67], s[74:75]
                                        ; implicit-def: $vgpr66
	s_and_saveexec_b64 s[60:61], s[62:63]
	s_cbranch_execz .LBB14_3186
; %bb.3185:                             ;   in Loop: Header=BB14_17 Depth=1
	flat_load_ushort v14, v[14:15]
	s_or_b64 s[66:67], s[74:75], exec
	s_waitcnt vmcnt(0) lgkmcnt(0)
	v_lshlrev_b32_e32 v66, 16, v14
.LBB14_3186:                            ;   in Loop: Header=BB14_17 Depth=1
	s_or_b64 exec, exec, s[60:61]
	s_andn2_b64 s[60:61], s[74:75], exec
	s_and_b64 s[62:63], s[66:67], exec
	s_mov_b64 s[76:77], -1
	s_mov_b64 s[68:69], 0
	s_or_b64 s[66:67], s[60:61], s[62:63]
                                        ; implicit-def: $vgpr14_vgpr15
.LBB14_3187:                            ;   in Loop: Header=BB14_17 Depth=1
	s_andn2_saveexec_b64 s[70:71], vcc
	s_cbranch_execz .LBB14_3191
; %bb.3188:                             ;   in Loop: Header=BB14_17 Depth=1
	v_cmp_eq_u16_sdwa s[62:63], v7, v37 src0_sel:BYTE_0 src1_sel:DWORD
	s_mov_b64 vcc, s[66:67]
                                        ; implicit-def: $vgpr66
	s_and_saveexec_b64 s[60:61], s[62:63]
	s_cbranch_execz .LBB14_3190
; %bb.3189:                             ;   in Loop: Header=BB14_17 Depth=1
	flat_load_ubyte v14, v[14:15]
	s_waitcnt vmcnt(0) lgkmcnt(0)
	v_cmp_ne_u16_e32 vcc, 0, v14
	v_cndmask_b32_e64 v66, 0, 1.0, vcc
	s_or_b64 vcc, s[66:67], exec
.LBB14_3190:                            ;   in Loop: Header=BB14_17 Depth=1
	s_or_b64 exec, exec, s[60:61]
	s_andn2_b64 s[60:61], s[66:67], exec
	s_and_b64 vcc, vcc, exec
	s_andn2_b64 s[68:69], s[68:69], exec
	s_or_b64 s[76:77], s[76:77], exec
	s_or_b64 s[66:67], s[60:61], vcc
.LBB14_3191:                            ;   in Loop: Header=BB14_17 Depth=1
	s_or_b64 exec, exec, s[70:71]
	s_andn2_b64 s[60:61], s[74:75], exec
	s_and_b64 s[62:63], s[66:67], exec
	s_and_b64 s[68:69], s[68:69], exec
	s_and_b64 vcc, s[76:77], exec
	s_or_b64 s[74:75], s[60:61], s[62:63]
.LBB14_3192:                            ;   in Loop: Header=BB14_17 Depth=1
	s_or_b64 exec, exec, s[72:73]
	s_andn2_b64 s[60:61], s[86:87], exec
	s_and_b64 s[62:63], s[68:69], exec
	s_or_b64 s[86:87], s[60:61], s[62:63]
	s_andn2_b64 s[60:61], s[80:81], exec
	s_and_b64 vcc, vcc, exec
	s_or_b64 s[80:81], s[60:61], vcc
	s_andn2_b64 vcc, s[78:79], exec
	s_and_b64 s[60:61], s[74:75], exec
	s_or_b64 s[78:79], vcc, s[60:61]
.LBB14_3193:                            ;   in Loop: Header=BB14_17 Depth=1
	s_or_b64 exec, exec, s[90:91]
	s_and_b64 s[90:91], s[86:87], exec
	s_and_b64 s[92:93], s[80:81], exec
	s_and_b64 vcc, s[78:79], exec
                                        ; implicit-def: $vgpr14_vgpr15
	s_andn2_saveexec_b64 s[78:79], s[84:85]
	s_cbranch_execz .LBB14_3118
.LBB14_3194:                            ;   in Loop: Header=BB14_17 Depth=1
	v_cmp_gt_i16_sdwa s[60:61], v7, v38 src0_sel:BYTE_0 src1_sel:DWORD
                                        ; implicit-def: $vgpr66
	s_and_saveexec_b64 s[62:63], s[60:61]
	s_xor_b64 s[72:73], exec, s[62:63]
	s_cbranch_execz .LBB14_3216
; %bb.3195:                             ;   in Loop: Header=BB14_17 Depth=1
	v_cmp_gt_i16_sdwa s[60:61], v7, v39 src0_sel:BYTE_0 src1_sel:DWORD
                                        ; implicit-def: $vgpr66
	s_and_saveexec_b64 s[62:63], s[60:61]
	s_xor_b64 s[66:67], exec, s[62:63]
	s_cbranch_execz .LBB14_3205
; %bb.3196:                             ;   in Loop: Header=BB14_17 Depth=1
	;; [unrolled: 6-line block ×4, first 2 shown]
	flat_load_dwordx2 v[14:15], v[14:15]
	s_waitcnt vmcnt(0) lgkmcnt(0)
	v_cvt_f32_f64_e32 v66, v[14:15]
                                        ; implicit-def: $vgpr14_vgpr15
.LBB14_3199:                            ;   in Loop: Header=BB14_17 Depth=1
	s_andn2_saveexec_b64 s[60:61], s[60:61]
	s_cbranch_execz .LBB14_3201
; %bb.3200:                             ;   in Loop: Header=BB14_17 Depth=1
	flat_load_dword v66, v[14:15]
.LBB14_3201:                            ;   in Loop: Header=BB14_17 Depth=1
	s_or_b64 exec, exec, s[60:61]
                                        ; implicit-def: $vgpr14_vgpr15
.LBB14_3202:                            ;   in Loop: Header=BB14_17 Depth=1
	s_andn2_saveexec_b64 s[60:61], s[68:69]
	s_cbranch_execz .LBB14_3204
; %bb.3203:                             ;   in Loop: Header=BB14_17 Depth=1
	flat_load_dword v14, v[14:15]
	s_waitcnt vmcnt(0) lgkmcnt(0)
	v_cvt_f32_f16_e32 v66, v14
.LBB14_3204:                            ;   in Loop: Header=BB14_17 Depth=1
	s_or_b64 exec, exec, s[60:61]
                                        ; implicit-def: $vgpr14_vgpr15
.LBB14_3205:                            ;   in Loop: Header=BB14_17 Depth=1
	s_andn2_saveexec_b64 s[66:67], s[66:67]
	s_cbranch_execz .LBB14_3215
; %bb.3206:                             ;   in Loop: Header=BB14_17 Depth=1
	v_cmp_gt_i16_sdwa s[60:61], v7, v50 src0_sel:BYTE_0 src1_sel:DWORD
                                        ; implicit-def: $vgpr66
	s_and_saveexec_b64 s[62:63], s[60:61]
	s_xor_b64 s[68:69], exec, s[62:63]
	s_cbranch_execz .LBB14_3212
; %bb.3207:                             ;   in Loop: Header=BB14_17 Depth=1
	v_cmp_gt_i16_sdwa s[60:61], v7, v51 src0_sel:BYTE_0 src1_sel:DWORD
                                        ; implicit-def: $vgpr66
	s_and_saveexec_b64 s[62:63], s[60:61]
	s_xor_b64 s[60:61], exec, s[62:63]
	s_cbranch_execz .LBB14_3209
; %bb.3208:                             ;   in Loop: Header=BB14_17 Depth=1
	flat_load_dwordx2 v[14:15], v[14:15]
	s_waitcnt vmcnt(0) lgkmcnt(0)
	v_cvt_f32_f64_e32 v66, v[14:15]
                                        ; implicit-def: $vgpr14_vgpr15
.LBB14_3209:                            ;   in Loop: Header=BB14_17 Depth=1
	s_andn2_saveexec_b64 s[60:61], s[60:61]
	s_cbranch_execz .LBB14_3211
; %bb.3210:                             ;   in Loop: Header=BB14_17 Depth=1
	s_waitcnt vmcnt(0) lgkmcnt(0)
	flat_load_dword v66, v[14:15]
.LBB14_3211:                            ;   in Loop: Header=BB14_17 Depth=1
	s_or_b64 exec, exec, s[60:61]
                                        ; implicit-def: $vgpr14_vgpr15
.LBB14_3212:                            ;   in Loop: Header=BB14_17 Depth=1
	s_andn2_saveexec_b64 s[60:61], s[68:69]
	s_cbranch_execz .LBB14_3214
; %bb.3213:                             ;   in Loop: Header=BB14_17 Depth=1
	flat_load_ushort v14, v[14:15]
	s_waitcnt vmcnt(0) lgkmcnt(0)
	v_cvt_f32_f16_e32 v66, v14
.LBB14_3214:                            ;   in Loop: Header=BB14_17 Depth=1
	s_or_b64 exec, exec, s[60:61]
.LBB14_3215:                            ;   in Loop: Header=BB14_17 Depth=1
	s_or_b64 exec, exec, s[66:67]
                                        ; implicit-def: $vgpr14_vgpr15
.LBB14_3216:                            ;   in Loop: Header=BB14_17 Depth=1
	s_andn2_saveexec_b64 s[72:73], s[72:73]
	s_cbranch_execz .LBB14_3234
; %bb.3217:                             ;   in Loop: Header=BB14_17 Depth=1
	v_cmp_gt_i16_sdwa s[60:61], v7, v52 src0_sel:BYTE_0 src1_sel:DWORD
                                        ; implicit-def: $vgpr66
	s_and_saveexec_b64 s[62:63], s[60:61]
	s_xor_b64 s[74:75], exec, s[62:63]
	s_cbranch_execz .LBB14_3227
; %bb.3218:                             ;   in Loop: Header=BB14_17 Depth=1
	v_cmp_gt_i16_sdwa s[60:61], v7, v53 src0_sel:BYTE_0 src1_sel:DWORD
                                        ; implicit-def: $vgpr66
	s_and_saveexec_b64 s[62:63], s[60:61]
	s_xor_b64 s[66:67], exec, s[62:63]
	;; [unrolled: 6-line block ×3, first 2 shown]
	s_cbranch_execz .LBB14_3221
; %bb.3220:                             ;   in Loop: Header=BB14_17 Depth=1
	flat_load_dwordx2 v[14:15], v[14:15]
	s_waitcnt vmcnt(0) lgkmcnt(0)
	v_xor_b32_e32 v66, v14, v15
	v_ffbh_i32_e32 v64, v15
	v_ashrrev_i32_e32 v66, 31, v66
	v_add_u32_e32 v64, -1, v64
	v_add_u32_e32 v66, 32, v66
	v_min_u32_e32 v64, v64, v66
	v_lshlrev_b64 v[14:15], v64, v[14:15]
	v_min_u32_e32 v14, 1, v14
	v_or_b32_e32 v14, v15, v14
	v_cvt_f32_i32_e32 v14, v14
	v_sub_u32_e32 v15, 32, v64
	v_ldexp_f32 v66, v14, v15
                                        ; implicit-def: $vgpr14_vgpr15
.LBB14_3221:                            ;   in Loop: Header=BB14_17 Depth=1
	s_andn2_saveexec_b64 s[60:61], s[68:69]
	s_cbranch_execz .LBB14_3223
; %bb.3222:                             ;   in Loop: Header=BB14_17 Depth=1
	flat_load_dword v14, v[14:15]
	s_waitcnt vmcnt(0) lgkmcnt(0)
	v_cvt_f32_i32_e32 v66, v14
.LBB14_3223:                            ;   in Loop: Header=BB14_17 Depth=1
	s_or_b64 exec, exec, s[60:61]
                                        ; implicit-def: $vgpr14_vgpr15
.LBB14_3224:                            ;   in Loop: Header=BB14_17 Depth=1
	s_andn2_saveexec_b64 s[60:61], s[66:67]
	s_cbranch_execz .LBB14_3226
; %bb.3225:                             ;   in Loop: Header=BB14_17 Depth=1
	flat_load_sshort v14, v[14:15]
	s_waitcnt vmcnt(0) lgkmcnt(0)
	v_cvt_f32_i32_e32 v66, v14
.LBB14_3226:                            ;   in Loop: Header=BB14_17 Depth=1
	s_or_b64 exec, exec, s[60:61]
                                        ; implicit-def: $vgpr14_vgpr15
.LBB14_3227:                            ;   in Loop: Header=BB14_17 Depth=1
	s_andn2_saveexec_b64 s[66:67], s[74:75]
	s_cbranch_execz .LBB14_3233
; %bb.3228:                             ;   in Loop: Header=BB14_17 Depth=1
	v_cmp_gt_i16_sdwa s[60:61], v7, v16 src0_sel:BYTE_0 src1_sel:DWORD
                                        ; implicit-def: $vgpr66
	s_and_saveexec_b64 s[62:63], s[60:61]
	s_xor_b64 s[60:61], exec, s[62:63]
	s_cbranch_execz .LBB14_3230
; %bb.3229:                             ;   in Loop: Header=BB14_17 Depth=1
	flat_load_sbyte v14, v[14:15]
	s_waitcnt vmcnt(0) lgkmcnt(0)
	v_cvt_f32_i32_e32 v66, v14
                                        ; implicit-def: $vgpr14_vgpr15
.LBB14_3230:                            ;   in Loop: Header=BB14_17 Depth=1
	s_andn2_saveexec_b64 s[60:61], s[60:61]
	s_cbranch_execz .LBB14_3232
; %bb.3231:                             ;   in Loop: Header=BB14_17 Depth=1
	flat_load_ubyte v14, v[14:15]
	s_waitcnt vmcnt(0) lgkmcnt(0)
	v_cvt_f32_ubyte0_e32 v66, v14
.LBB14_3232:                            ;   in Loop: Header=BB14_17 Depth=1
	s_or_b64 exec, exec, s[60:61]
.LBB14_3233:                            ;   in Loop: Header=BB14_17 Depth=1
	s_or_b64 exec, exec, s[66:67]
.LBB14_3234:                            ;   in Loop: Header=BB14_17 Depth=1
	s_or_b64 exec, exec, s[72:73]
	s_andn2_b64 s[90:91], s[90:91], exec
	s_andn2_b64 s[92:93], s[92:93], exec
	s_or_b64 vcc, vcc, exec
	s_or_b64 exec, exec, s[78:79]
	s_mov_b64 s[66:67], 0
	s_and_saveexec_b64 s[84:85], vcc
	s_cbranch_execz .LBB14_3340
.LBB14_3235:                            ;   in Loop: Header=BB14_17 Depth=1
	v_mul_lo_u32 v14, v65, v10
	v_readlane_b32 s60, v44, 0
	v_add_co_u32_e32 v14, vcc, v4, v14
	v_add_u32_e32 v64, s60, v17
	v_addc_co_u32_e32 v15, vcc, 0, v5, vcc
	v_cmp_gt_i16_sdwa s[60:61], v8, v18 src0_sel:BYTE_0 src1_sel:DWORD
	s_mov_b64 s[78:79], 0
	s_waitcnt vmcnt(0) lgkmcnt(0)
	buffer_store_dword v66, v64, s[0:3], 0 offen offset:116
                                        ; implicit-def: $vcc
                                        ; implicit-def: $sgpr86_sgpr87
                                        ; implicit-def: $vgpr65
	s_and_saveexec_b64 s[62:63], s[60:61]
	s_xor_b64 s[62:63], exec, s[62:63]
	v_writelane_b32 v44, s62, 40
	v_writelane_b32 v44, s63, 41
	s_cbranch_execz .LBB14_3295
; %bb.3236:                             ;   in Loop: Header=BB14_17 Depth=1
	v_cmp_gt_i16_sdwa vcc, v8, v19 src0_sel:BYTE_0 src1_sel:DWORD
                                        ; implicit-def: $sgpr62_sgpr63
                                        ; implicit-def: $sgpr86_sgpr87
                                        ; implicit-def: $vgpr65
	s_and_saveexec_b64 s[60:61], vcc
	s_xor_b64 s[76:77], exec, s[60:61]
	s_cbranch_execz .LBB14_3268
; %bb.3237:                             ;   in Loop: Header=BB14_17 Depth=1
	v_cmp_gt_i16_sdwa vcc, v8, v20 src0_sel:BYTE_0 src1_sel:DWORD
                                        ; implicit-def: $sgpr72_sgpr73
                                        ; implicit-def: $sgpr86_sgpr87
                                        ; implicit-def: $vgpr65
	s_and_saveexec_b64 s[60:61], vcc
	s_xor_b64 s[80:81], exec, s[60:61]
	s_cbranch_execz .LBB14_3253
; %bb.3238:                             ;   in Loop: Header=BB14_17 Depth=1
	v_cmp_gt_i16_sdwa s[60:61], v8, v21 src0_sel:BYTE_0 src1_sel:DWORD
	s_mov_b64 s[74:75], 0
                                        ; implicit-def: $vcc
                                        ; implicit-def: $sgpr86_sgpr87
                                        ; implicit-def: $vgpr65
	s_and_saveexec_b64 s[62:63], s[60:61]
	s_xor_b64 s[72:73], exec, s[62:63]
	s_cbranch_execz .LBB14_3248
; %bb.3239:                             ;   in Loop: Header=BB14_17 Depth=1
	v_cmp_gt_i16_sdwa vcc, v8, v22 src0_sel:BYTE_0 src1_sel:DWORD
                                        ; implicit-def: $sgpr86_sgpr87
                                        ; implicit-def: $sgpr74_sgpr75
                                        ; implicit-def: $vgpr65
	s_and_saveexec_b64 s[60:61], vcc
	s_xor_b64 vcc, exec, s[60:61]
	s_cbranch_execz .LBB14_3243
; %bb.3240:                             ;   in Loop: Header=BB14_17 Depth=1
	v_cmp_eq_u16_sdwa s[62:63], v8, v23 src0_sel:BYTE_0 src1_sel:DWORD
	s_mov_b64 s[74:75], 0
                                        ; implicit-def: $vgpr65
	s_and_saveexec_b64 s[60:61], s[62:63]
	s_cbranch_execz .LBB14_3242
; %bb.3241:                             ;   in Loop: Header=BB14_17 Depth=1
	flat_load_dword v14, v[14:15]
	s_mov_b64 s[66:67], exec
	s_waitcnt vmcnt(0) lgkmcnt(0)
	v_lshlrev_b32_e32 v65, 16, v14
.LBB14_3242:                            ;   in Loop: Header=BB14_17 Depth=1
	s_or_b64 exec, exec, s[60:61]
	s_mov_b64 s[86:87], -1
	s_and_b64 s[78:79], s[66:67], exec
                                        ; implicit-def: $vgpr14_vgpr15
.LBB14_3243:                            ;   in Loop: Header=BB14_17 Depth=1
	s_andn2_saveexec_b64 s[66:67], vcc
	s_cbranch_execz .LBB14_3247
; %bb.3244:                             ;   in Loop: Header=BB14_17 Depth=1
	v_cmp_eq_u16_sdwa s[60:61], v8, v24 src0_sel:BYTE_0 src1_sel:DWORD
	s_mov_b64 vcc, s[78:79]
                                        ; implicit-def: $vgpr65
	s_and_saveexec_b64 s[68:69], s[60:61]
	s_cbranch_execz .LBB14_3246
; %bb.3245:                             ;   in Loop: Header=BB14_17 Depth=1
	flat_load_ubyte v14, v[14:15]
	s_movk_i32 vcc_lo, 0xff
	s_waitcnt vmcnt(0) lgkmcnt(0)
	v_lshlrev_b32_e32 v15, 23, v14
	v_cmp_ne_u32_e32 vcc, vcc_lo, v14
	v_cndmask_b32_e32 v15, v25, v15, vcc
	v_cmp_ne_u32_e32 vcc, 0, v14
	v_cndmask_b32_e32 v65, v26, v15, vcc
	s_or_b64 vcc, s[78:79], exec
.LBB14_3246:                            ;   in Loop: Header=BB14_17 Depth=1
	s_or_b64 exec, exec, s[68:69]
	s_andn2_b64 s[60:61], s[78:79], exec
	s_and_b64 vcc, vcc, exec
	s_or_b64 s[86:87], s[86:87], exec
	s_andn2_b64 s[74:75], s[74:75], exec
	s_or_b64 s[78:79], s[60:61], vcc
.LBB14_3247:                            ;   in Loop: Header=BB14_17 Depth=1
	s_or_b64 exec, exec, s[66:67]
	s_and_b64 s[86:87], s[86:87], exec
	s_and_b64 vcc, s[74:75], exec
	s_and_b64 s[74:75], s[78:79], exec
                                        ; implicit-def: $vgpr14_vgpr15
.LBB14_3248:                            ;   in Loop: Header=BB14_17 Depth=1
	s_andn2_saveexec_b64 s[66:67], s[72:73]
	s_cbranch_execz .LBB14_3252
; %bb.3249:                             ;   in Loop: Header=BB14_17 Depth=1
	v_cmp_eq_u16_sdwa s[60:61], v8, v27 src0_sel:BYTE_0 src1_sel:DWORD
	s_mov_b64 s[70:71], s[74:75]
                                        ; implicit-def: $vgpr65
	s_and_saveexec_b64 s[68:69], s[60:61]
	s_cbranch_execz .LBB14_3251
; %bb.3250:                             ;   in Loop: Header=BB14_17 Depth=1
	flat_load_dwordx2 v[14:15], v[14:15]
	s_or_b64 s[70:71], s[74:75], exec
	s_waitcnt vmcnt(0) lgkmcnt(0)
	v_ffbh_u32_e32 v65, v15
	v_min_u32_e32 v65, 32, v65
	v_lshlrev_b64 v[14:15], v65, v[14:15]
	v_min_u32_e32 v14, 1, v14
	v_or_b32_e32 v14, v15, v14
	v_cvt_f32_u32_e32 v14, v14
	v_sub_u32_e32 v15, 32, v65
	v_ldexp_f32 v65, v14, v15
.LBB14_3251:                            ;   in Loop: Header=BB14_17 Depth=1
	s_or_b64 exec, exec, s[68:69]
	s_andn2_b64 s[60:61], s[74:75], exec
	s_and_b64 s[62:63], s[70:71], exec
	s_or_b64 s[86:87], s[86:87], exec
	s_andn2_b64 vcc, vcc, exec
	s_or_b64 s[74:75], s[60:61], s[62:63]
.LBB14_3252:                            ;   in Loop: Header=BB14_17 Depth=1
	s_or_b64 exec, exec, s[66:67]
	s_and_b64 s[86:87], s[86:87], exec
	s_and_b64 s[72:73], vcc, exec
	s_and_b64 s[78:79], s[74:75], exec
                                        ; implicit-def: $vgpr14_vgpr15
.LBB14_3253:                            ;   in Loop: Header=BB14_17 Depth=1
	s_andn2_saveexec_b64 s[80:81], s[80:81]
	s_cbranch_execz .LBB14_3267
; %bb.3254:                             ;   in Loop: Header=BB14_17 Depth=1
	v_cmp_gt_i16_sdwa vcc, v8, v28 src0_sel:BYTE_0 src1_sel:DWORD
                                        ; implicit-def: $vgpr65
	s_and_saveexec_b64 s[60:61], vcc
	s_xor_b64 vcc, exec, s[60:61]
	s_cbranch_execz .LBB14_3260
; %bb.3255:                             ;   in Loop: Header=BB14_17 Depth=1
	v_cmp_gt_i16_sdwa s[60:61], v8, v29 src0_sel:BYTE_0 src1_sel:DWORD
                                        ; implicit-def: $vgpr65
	s_and_saveexec_b64 s[62:63], s[60:61]
	s_xor_b64 s[60:61], exec, s[62:63]
	s_cbranch_execz .LBB14_3257
; %bb.3256:                             ;   in Loop: Header=BB14_17 Depth=1
	flat_load_dword v14, v[14:15]
	s_waitcnt vmcnt(0) lgkmcnt(0)
	v_cvt_f32_u32_e32 v65, v14
                                        ; implicit-def: $vgpr14_vgpr15
.LBB14_3257:                            ;   in Loop: Header=BB14_17 Depth=1
	s_andn2_saveexec_b64 s[60:61], s[60:61]
	s_cbranch_execz .LBB14_3259
; %bb.3258:                             ;   in Loop: Header=BB14_17 Depth=1
	flat_load_ushort v14, v[14:15]
	s_waitcnt vmcnt(0) lgkmcnt(0)
	v_cvt_f32_u32_e32 v65, v14
.LBB14_3259:                            ;   in Loop: Header=BB14_17 Depth=1
	s_or_b64 exec, exec, s[60:61]
                                        ; implicit-def: $vgpr14_vgpr15
.LBB14_3260:                            ;   in Loop: Header=BB14_17 Depth=1
	s_andn2_saveexec_b64 s[74:75], vcc
	s_cbranch_execz .LBB14_3266
; %bb.3261:                             ;   in Loop: Header=BB14_17 Depth=1
	flat_load_ubyte v14, v[14:15]
	s_movk_i32 vcc_lo, 0x7f
	s_mov_b64 s[66:67], 0
                                        ; implicit-def: $sgpr70
	s_waitcnt vmcnt(0) lgkmcnt(0)
	v_cmp_lt_i16_e32 vcc, vcc_lo, v14
	s_and_saveexec_b64 s[60:61], vcc
	s_xor_b64 s[68:69], exec, s[60:61]
	s_cbranch_execnz .LBB14_3626
; %bb.3262:                             ;   in Loop: Header=BB14_17 Depth=1
	s_or_saveexec_b64 s[68:69], s[68:69]
	v_mov_b32_e32 v65, s70
	s_xor_b64 exec, exec, s[68:69]
	s_cbranch_execnz .LBB14_3629
.LBB14_3263:                            ;   in Loop: Header=BB14_17 Depth=1
	s_or_b64 exec, exec, s[68:69]
	s_and_saveexec_b64 s[68:69], s[66:67]
	s_cbranch_execz .LBB14_3265
.LBB14_3264:                            ;   in Loop: Header=BB14_17 Depth=1
	v_lshlrev_b32_e32 v15, 24, v14
	v_and_b32_e32 v14, 0xffff, v14
	v_and_b32_e32 v65, 7, v14
	v_ffbh_u32_e32 v67, v65
	v_min_u32_e32 v67, 32, v67
	v_subrev_u32_e32 v68, 28, v67
	v_bfe_u32 v66, v14, 3, 4
	v_lshlrev_b32_e32 v14, v68, v14
	v_sub_u32_e32 v67, 29, v67
	v_and_b32_e32 v14, 7, v14
	v_cmp_eq_u32_e32 vcc, 0, v66
	v_cndmask_b32_e32 v66, v66, v67, vcc
	v_cndmask_b32_e32 v14, v65, v14, vcc
	v_lshlrev_b32_e32 v14, 20, v14
	v_and_b32_e32 v15, 0x80000000, v15
	v_lshl_add_u32 v65, v66, 23, v30
	v_or3_b32 v65, v15, v65, v14
.LBB14_3265:                            ;   in Loop: Header=BB14_17 Depth=1
	s_or_b64 exec, exec, s[68:69]
.LBB14_3266:                            ;   in Loop: Header=BB14_17 Depth=1
	s_or_b64 exec, exec, s[74:75]
	s_andn2_b64 s[86:87], s[86:87], exec
	s_andn2_b64 s[72:73], s[72:73], exec
	s_or_b64 s[78:79], s[78:79], exec
.LBB14_3267:                            ;   in Loop: Header=BB14_17 Depth=1
	s_or_b64 exec, exec, s[80:81]
	s_and_b64 s[86:87], s[86:87], exec
	s_and_b64 s[62:63], s[72:73], exec
	;; [unrolled: 1-line block ×3, first 2 shown]
                                        ; implicit-def: $vgpr14_vgpr15
.LBB14_3268:                            ;   in Loop: Header=BB14_17 Depth=1
	s_andn2_saveexec_b64 s[80:81], s[76:77]
	s_cbranch_execz .LBB14_3294
; %bb.3269:                             ;   in Loop: Header=BB14_17 Depth=1
	v_writelane_b32 v44, s62, 42
	v_cmp_gt_i16_sdwa vcc, v8, v31 src0_sel:BYTE_0 src1_sel:DWORD
	s_mov_b64 s[74:75], s[78:79]
	v_writelane_b32 v44, s63, 43
                                        ; implicit-def: $vgpr65
	s_and_saveexec_b64 s[60:61], vcc
	s_xor_b64 s[72:73], exec, s[60:61]
	s_cbranch_execz .LBB14_3283
; %bb.3270:                             ;   in Loop: Header=BB14_17 Depth=1
	v_cmp_gt_i16_sdwa vcc, v8, v32 src0_sel:BYTE_0 src1_sel:DWORD
                                        ; implicit-def: $vgpr65
	s_and_saveexec_b64 s[60:61], vcc
	s_xor_b64 s[62:63], exec, s[60:61]
	s_cbranch_execz .LBB14_3280
; %bb.3271:                             ;   in Loop: Header=BB14_17 Depth=1
	v_cmp_gt_i16_sdwa vcc, v8, v33 src0_sel:BYTE_0 src1_sel:DWORD
                                        ; implicit-def: $vgpr65
	s_and_saveexec_b64 s[60:61], vcc
	s_xor_b64 s[74:75], exec, s[60:61]
	s_cbranch_execz .LBB14_3277
; %bb.3272:                             ;   in Loop: Header=BB14_17 Depth=1
	flat_load_ubyte v14, v[14:15]
	s_movk_i32 vcc_lo, 0x7f
	s_mov_b64 s[66:67], 0
                                        ; implicit-def: $sgpr70
	s_waitcnt vmcnt(0) lgkmcnt(0)
	v_cmp_lt_i16_e32 vcc, vcc_lo, v14
	s_and_saveexec_b64 s[60:61], vcc
	s_xor_b64 s[68:69], exec, s[60:61]
	s_cbranch_execnz .LBB14_3634
; %bb.3273:                             ;   in Loop: Header=BB14_17 Depth=1
	s_or_saveexec_b64 s[68:69], s[68:69]
	v_mov_b32_e32 v65, s70
	s_xor_b64 exec, exec, s[68:69]
	s_cbranch_execnz .LBB14_3637
.LBB14_3274:                            ;   in Loop: Header=BB14_17 Depth=1
	s_or_b64 exec, exec, s[68:69]
	s_and_saveexec_b64 s[68:69], s[66:67]
	s_cbranch_execz .LBB14_3276
.LBB14_3275:                            ;   in Loop: Header=BB14_17 Depth=1
	v_lshlrev_b32_e32 v15, 24, v14
	v_and_b32_e32 v14, 0xffff, v14
	v_and_b32_e32 v65, 3, v14
	v_ffbh_u32_e32 v67, v65
	v_min_u32_e32 v67, 32, v67
	v_subrev_u32_e32 v68, 29, v67
	v_bfe_u32 v66, v14, 2, 5
	v_lshlrev_b32_e32 v14, v68, v14
	v_sub_u32_e32 v67, 30, v67
	v_and_b32_e32 v14, 3, v14
	v_cmp_eq_u32_e32 vcc, 0, v66
	v_cndmask_b32_e32 v66, v66, v67, vcc
	v_cndmask_b32_e32 v14, v65, v14, vcc
	v_lshlrev_b32_e32 v14, 21, v14
	v_and_b32_e32 v15, 0x80000000, v15
	v_lshl_add_u32 v65, v66, 23, v34
	v_or3_b32 v65, v15, v65, v14
.LBB14_3276:                            ;   in Loop: Header=BB14_17 Depth=1
	s_or_b64 exec, exec, s[68:69]
                                        ; implicit-def: $vgpr14_vgpr15
.LBB14_3277:                            ;   in Loop: Header=BB14_17 Depth=1
	s_andn2_saveexec_b64 s[66:67], s[74:75]
	s_cbranch_execz .LBB14_3279
; %bb.3278:                             ;   in Loop: Header=BB14_17 Depth=1
	flat_load_ubyte v14, v[14:15]
	s_mov_b32 vcc_lo, 0x7f800000
	s_waitcnt vmcnt(0) lgkmcnt(0)
	v_lshlrev_b32_e32 v14, 24, v14
	v_and_b32_e32 v15, 0x7f000000, v14
	v_ffbh_u32_e32 v65, v15
	v_min_u32_e32 v65, 32, v65
	v_sub_u32_e64 v65, v65, 4 clamp
	v_lshlrev_b32_e32 v67, v65, v15
	v_lshlrev_b32_e32 v65, 23, v65
	v_lshrrev_b32_e32 v67, 4, v67
	v_add_u32_e32 v66, 0x1000000, v15
	v_sub_u32_e32 v65, v67, v65
	v_ashrrev_i32_e32 v66, 8, v66
	v_add_u32_e32 v65, 0x3c000000, v65
	v_and_or_b32 v65, v66, vcc_lo, v65
	v_cmp_ne_u32_e32 vcc, 0, v15
	v_cndmask_b32_e32 v15, 0, v65, vcc
	s_brev_b32 vcc_lo, 1
	v_and_or_b32 v65, v14, vcc_lo, v15
.LBB14_3279:                            ;   in Loop: Header=BB14_17 Depth=1
	s_or_b64 exec, exec, s[66:67]
                                        ; implicit-def: $vgpr14_vgpr15
.LBB14_3280:                            ;   in Loop: Header=BB14_17 Depth=1
	s_andn2_saveexec_b64 s[66:67], s[62:63]
	s_cbranch_execz .LBB14_3282
; %bb.3281:                             ;   in Loop: Header=BB14_17 Depth=1
	flat_load_ubyte v14, v[14:15]
	s_movk_i32 vcc_lo, 0x7f00
	s_waitcnt vmcnt(0) lgkmcnt(0)
	v_lshlrev_b16_e32 v15, 8, v14
	v_lshlrev_b32_e32 v14, 25, v14
	v_lshrrev_b32_e32 v65, 4, v14
	v_and_or_b32 v66, v15, vcc_lo, 0.5
	v_or_b32_e32 v65, 0x70000000, v65
	s_brev_b32 vcc_lo, 16
	v_add_f32_e32 v66, -0.5, v66
	v_mul_f32_e32 v65, 0x7800000, v65
	v_cmp_gt_u32_e32 vcc, vcc_lo, v14
	v_cndmask_b32_e32 v14, v65, v66, vcc
	v_bfe_i32 v15, v15, 0, 16
	s_brev_b32 vcc_lo, 1
	v_and_or_b32 v65, v15, vcc_lo, v14
.LBB14_3282:                            ;   in Loop: Header=BB14_17 Depth=1
	s_or_b64 exec, exec, s[66:67]
	s_or_b64 s[74:75], s[78:79], exec
                                        ; implicit-def: $vgpr14_vgpr15
.LBB14_3283:                            ;   in Loop: Header=BB14_17 Depth=1
	s_or_saveexec_b64 s[72:73], s[72:73]
                                        ; implicit-def: $vcc
                                        ; implicit-def: $sgpr68_sgpr69
	s_xor_b64 exec, exec, s[72:73]
	s_cbranch_execz .LBB14_3293
; %bb.3284:                             ;   in Loop: Header=BB14_17 Depth=1
	v_cmp_gt_i16_sdwa vcc, v8, v35 src0_sel:BYTE_0 src1_sel:DWORD
	s_mov_b64 s[66:67], s[74:75]
                                        ; implicit-def: $sgpr68_sgpr69
                                        ; implicit-def: $sgpr76_sgpr77
                                        ; implicit-def: $vgpr65
	s_and_saveexec_b64 s[60:61], vcc
	s_xor_b64 vcc, exec, s[60:61]
	s_cbranch_execz .LBB14_3288
; %bb.3285:                             ;   in Loop: Header=BB14_17 Depth=1
	v_cmp_eq_u16_sdwa s[62:63], v8, v36 src0_sel:BYTE_0 src1_sel:DWORD
	s_mov_b64 s[66:67], s[74:75]
                                        ; implicit-def: $vgpr65
	s_and_saveexec_b64 s[60:61], s[62:63]
	s_cbranch_execz .LBB14_3287
; %bb.3286:                             ;   in Loop: Header=BB14_17 Depth=1
	flat_load_ushort v14, v[14:15]
	s_or_b64 s[66:67], s[74:75], exec
	s_waitcnt vmcnt(0) lgkmcnt(0)
	v_lshlrev_b32_e32 v65, 16, v14
.LBB14_3287:                            ;   in Loop: Header=BB14_17 Depth=1
	s_or_b64 exec, exec, s[60:61]
	s_andn2_b64 s[60:61], s[74:75], exec
	s_and_b64 s[62:63], s[66:67], exec
	s_mov_b64 s[76:77], 0
	s_mov_b64 s[68:69], -1
	s_or_b64 s[66:67], s[60:61], s[62:63]
                                        ; implicit-def: $vgpr14_vgpr15
.LBB14_3288:                            ;   in Loop: Header=BB14_17 Depth=1
	s_andn2_saveexec_b64 s[70:71], vcc
	s_cbranch_execz .LBB14_3292
; %bb.3289:                             ;   in Loop: Header=BB14_17 Depth=1
	v_cmp_eq_u16_sdwa s[62:63], v8, v37 src0_sel:BYTE_0 src1_sel:DWORD
	s_mov_b64 vcc, s[66:67]
                                        ; implicit-def: $vgpr65
	s_and_saveexec_b64 s[60:61], s[62:63]
	s_cbranch_execz .LBB14_3291
; %bb.3290:                             ;   in Loop: Header=BB14_17 Depth=1
	flat_load_ubyte v14, v[14:15]
	s_waitcnt vmcnt(0) lgkmcnt(0)
	v_cmp_ne_u16_e32 vcc, 0, v14
	v_cndmask_b32_e64 v65, 0, 1.0, vcc
	s_or_b64 vcc, s[66:67], exec
.LBB14_3291:                            ;   in Loop: Header=BB14_17 Depth=1
	s_or_b64 exec, exec, s[60:61]
	s_andn2_b64 s[60:61], s[66:67], exec
	s_and_b64 vcc, vcc, exec
	s_or_b64 s[68:69], s[68:69], exec
	s_andn2_b64 s[76:77], s[76:77], exec
	s_or_b64 s[66:67], s[60:61], vcc
.LBB14_3292:                            ;   in Loop: Header=BB14_17 Depth=1
	s_or_b64 exec, exec, s[70:71]
	s_andn2_b64 s[60:61], s[74:75], exec
	s_and_b64 s[62:63], s[66:67], exec
	s_and_b64 s[68:69], s[68:69], exec
	s_and_b64 vcc, s[76:77], exec
	s_or_b64 s[74:75], s[60:61], s[62:63]
.LBB14_3293:                            ;   in Loop: Header=BB14_17 Depth=1
	s_or_b64 exec, exec, s[72:73]
	s_andn2_b64 s[60:61], s[86:87], exec
	s_and_b64 s[62:63], s[68:69], exec
	s_or_b64 s[86:87], s[60:61], s[62:63]
	v_readlane_b32 s60, v44, 42
	v_readlane_b32 s61, v44, 43
	s_andn2_b64 s[60:61], s[60:61], exec
	s_and_b64 vcc, vcc, exec
	s_or_b64 s[62:63], s[60:61], vcc
	s_andn2_b64 vcc, s[78:79], exec
	s_and_b64 s[60:61], s[74:75], exec
	s_or_b64 s[78:79], vcc, s[60:61]
.LBB14_3294:                            ;   in Loop: Header=BB14_17 Depth=1
	s_or_b64 exec, exec, s[80:81]
	s_and_b64 s[86:87], s[86:87], exec
	s_and_b64 vcc, s[62:63], exec
	s_and_b64 s[78:79], s[78:79], exec
                                        ; implicit-def: $vgpr14_vgpr15
.LBB14_3295:                            ;   in Loop: Header=BB14_17 Depth=1
	v_readlane_b32 s60, v44, 40
	v_readlane_b32 s61, v44, 41
	s_andn2_saveexec_b64 s[80:81], s[60:61]
	s_cbranch_execz .LBB14_3337
; %bb.3296:                             ;   in Loop: Header=BB14_17 Depth=1
	v_cmp_gt_i16_sdwa s[60:61], v8, v38 src0_sel:BYTE_0 src1_sel:DWORD
                                        ; implicit-def: $vgpr65
	s_and_saveexec_b64 s[62:63], s[60:61]
	s_xor_b64 s[72:73], exec, s[62:63]
	s_cbranch_execz .LBB14_3318
; %bb.3297:                             ;   in Loop: Header=BB14_17 Depth=1
	v_cmp_gt_i16_sdwa s[60:61], v8, v39 src0_sel:BYTE_0 src1_sel:DWORD
                                        ; implicit-def: $vgpr65
	s_and_saveexec_b64 s[62:63], s[60:61]
	s_xor_b64 s[66:67], exec, s[62:63]
	;; [unrolled: 6-line block ×4, first 2 shown]
	s_cbranch_execz .LBB14_3301
; %bb.3300:                             ;   in Loop: Header=BB14_17 Depth=1
	flat_load_dwordx2 v[14:15], v[14:15]
	s_waitcnt vmcnt(0) lgkmcnt(0)
	v_cvt_f32_f64_e32 v65, v[14:15]
                                        ; implicit-def: $vgpr14_vgpr15
.LBB14_3301:                            ;   in Loop: Header=BB14_17 Depth=1
	s_andn2_saveexec_b64 s[60:61], s[60:61]
	s_cbranch_execz .LBB14_3303
; %bb.3302:                             ;   in Loop: Header=BB14_17 Depth=1
	flat_load_dword v65, v[14:15]
.LBB14_3303:                            ;   in Loop: Header=BB14_17 Depth=1
	s_or_b64 exec, exec, s[60:61]
                                        ; implicit-def: $vgpr14_vgpr15
.LBB14_3304:                            ;   in Loop: Header=BB14_17 Depth=1
	s_andn2_saveexec_b64 s[60:61], s[68:69]
	s_cbranch_execz .LBB14_3306
; %bb.3305:                             ;   in Loop: Header=BB14_17 Depth=1
	flat_load_dword v14, v[14:15]
	s_waitcnt vmcnt(0) lgkmcnt(0)
	v_cvt_f32_f16_e32 v65, v14
.LBB14_3306:                            ;   in Loop: Header=BB14_17 Depth=1
	s_or_b64 exec, exec, s[60:61]
                                        ; implicit-def: $vgpr14_vgpr15
.LBB14_3307:                            ;   in Loop: Header=BB14_17 Depth=1
	s_andn2_saveexec_b64 s[66:67], s[66:67]
	s_cbranch_execz .LBB14_3317
; %bb.3308:                             ;   in Loop: Header=BB14_17 Depth=1
	v_cmp_gt_i16_sdwa s[60:61], v8, v50 src0_sel:BYTE_0 src1_sel:DWORD
                                        ; implicit-def: $vgpr65
	s_and_saveexec_b64 s[62:63], s[60:61]
	s_xor_b64 s[68:69], exec, s[62:63]
	s_cbranch_execz .LBB14_3314
; %bb.3309:                             ;   in Loop: Header=BB14_17 Depth=1
	v_cmp_gt_i16_sdwa s[60:61], v8, v51 src0_sel:BYTE_0 src1_sel:DWORD
                                        ; implicit-def: $vgpr65
	s_and_saveexec_b64 s[62:63], s[60:61]
	s_xor_b64 s[60:61], exec, s[62:63]
	s_cbranch_execz .LBB14_3311
; %bb.3310:                             ;   in Loop: Header=BB14_17 Depth=1
	flat_load_dwordx2 v[14:15], v[14:15]
	s_waitcnt vmcnt(0) lgkmcnt(0)
	v_cvt_f32_f64_e32 v65, v[14:15]
                                        ; implicit-def: $vgpr14_vgpr15
.LBB14_3311:                            ;   in Loop: Header=BB14_17 Depth=1
	s_andn2_saveexec_b64 s[60:61], s[60:61]
	s_cbranch_execz .LBB14_3313
; %bb.3312:                             ;   in Loop: Header=BB14_17 Depth=1
	s_waitcnt vmcnt(0) lgkmcnt(0)
	flat_load_dword v65, v[14:15]
.LBB14_3313:                            ;   in Loop: Header=BB14_17 Depth=1
	s_or_b64 exec, exec, s[60:61]
                                        ; implicit-def: $vgpr14_vgpr15
.LBB14_3314:                            ;   in Loop: Header=BB14_17 Depth=1
	s_andn2_saveexec_b64 s[60:61], s[68:69]
	s_cbranch_execz .LBB14_3316
; %bb.3315:                             ;   in Loop: Header=BB14_17 Depth=1
	flat_load_ushort v14, v[14:15]
	s_waitcnt vmcnt(0) lgkmcnt(0)
	v_cvt_f32_f16_e32 v65, v14
.LBB14_3316:                            ;   in Loop: Header=BB14_17 Depth=1
	s_or_b64 exec, exec, s[60:61]
.LBB14_3317:                            ;   in Loop: Header=BB14_17 Depth=1
	s_or_b64 exec, exec, s[66:67]
                                        ; implicit-def: $vgpr14_vgpr15
.LBB14_3318:                            ;   in Loop: Header=BB14_17 Depth=1
	s_andn2_saveexec_b64 s[72:73], s[72:73]
	s_cbranch_execz .LBB14_3336
; %bb.3319:                             ;   in Loop: Header=BB14_17 Depth=1
	v_cmp_gt_i16_sdwa s[60:61], v8, v52 src0_sel:BYTE_0 src1_sel:DWORD
                                        ; implicit-def: $vgpr65
	s_and_saveexec_b64 s[62:63], s[60:61]
	s_xor_b64 s[74:75], exec, s[62:63]
	s_cbranch_execz .LBB14_3329
; %bb.3320:                             ;   in Loop: Header=BB14_17 Depth=1
	v_cmp_gt_i16_sdwa s[60:61], v8, v53 src0_sel:BYTE_0 src1_sel:DWORD
                                        ; implicit-def: $vgpr65
	s_and_saveexec_b64 s[62:63], s[60:61]
	s_xor_b64 s[66:67], exec, s[62:63]
	;; [unrolled: 6-line block ×3, first 2 shown]
	s_cbranch_execz .LBB14_3323
; %bb.3322:                             ;   in Loop: Header=BB14_17 Depth=1
	flat_load_dwordx2 v[14:15], v[14:15]
	s_waitcnt vmcnt(0) lgkmcnt(0)
	v_xor_b32_e32 v66, v14, v15
	v_ffbh_i32_e32 v65, v15
	v_ashrrev_i32_e32 v66, 31, v66
	v_add_u32_e32 v65, -1, v65
	v_add_u32_e32 v66, 32, v66
	v_min_u32_e32 v65, v65, v66
	v_lshlrev_b64 v[14:15], v65, v[14:15]
	v_min_u32_e32 v14, 1, v14
	v_or_b32_e32 v14, v15, v14
	v_cvt_f32_i32_e32 v14, v14
	v_sub_u32_e32 v15, 32, v65
	v_ldexp_f32 v65, v14, v15
                                        ; implicit-def: $vgpr14_vgpr15
.LBB14_3323:                            ;   in Loop: Header=BB14_17 Depth=1
	s_andn2_saveexec_b64 s[60:61], s[68:69]
	s_cbranch_execz .LBB14_3325
; %bb.3324:                             ;   in Loop: Header=BB14_17 Depth=1
	flat_load_dword v14, v[14:15]
	s_waitcnt vmcnt(0) lgkmcnt(0)
	v_cvt_f32_i32_e32 v65, v14
.LBB14_3325:                            ;   in Loop: Header=BB14_17 Depth=1
	s_or_b64 exec, exec, s[60:61]
                                        ; implicit-def: $vgpr14_vgpr15
.LBB14_3326:                            ;   in Loop: Header=BB14_17 Depth=1
	s_andn2_saveexec_b64 s[60:61], s[66:67]
	s_cbranch_execz .LBB14_3328
; %bb.3327:                             ;   in Loop: Header=BB14_17 Depth=1
	flat_load_sshort v14, v[14:15]
	s_waitcnt vmcnt(0) lgkmcnt(0)
	v_cvt_f32_i32_e32 v65, v14
.LBB14_3328:                            ;   in Loop: Header=BB14_17 Depth=1
	s_or_b64 exec, exec, s[60:61]
                                        ; implicit-def: $vgpr14_vgpr15
.LBB14_3329:                            ;   in Loop: Header=BB14_17 Depth=1
	s_andn2_saveexec_b64 s[66:67], s[74:75]
	s_cbranch_execz .LBB14_3335
; %bb.3330:                             ;   in Loop: Header=BB14_17 Depth=1
	v_cmp_gt_i16_sdwa s[60:61], v8, v16 src0_sel:BYTE_0 src1_sel:DWORD
                                        ; implicit-def: $vgpr65
	s_and_saveexec_b64 s[62:63], s[60:61]
	s_xor_b64 s[60:61], exec, s[62:63]
	s_cbranch_execz .LBB14_3332
; %bb.3331:                             ;   in Loop: Header=BB14_17 Depth=1
	flat_load_sbyte v14, v[14:15]
	s_waitcnt vmcnt(0) lgkmcnt(0)
	v_cvt_f32_i32_e32 v65, v14
                                        ; implicit-def: $vgpr14_vgpr15
.LBB14_3332:                            ;   in Loop: Header=BB14_17 Depth=1
	s_andn2_saveexec_b64 s[60:61], s[60:61]
	s_cbranch_execz .LBB14_3334
; %bb.3333:                             ;   in Loop: Header=BB14_17 Depth=1
	flat_load_ubyte v14, v[14:15]
	s_waitcnt vmcnt(0) lgkmcnt(0)
	v_cvt_f32_ubyte0_e32 v65, v14
.LBB14_3334:                            ;   in Loop: Header=BB14_17 Depth=1
	s_or_b64 exec, exec, s[60:61]
.LBB14_3335:                            ;   in Loop: Header=BB14_17 Depth=1
	s_or_b64 exec, exec, s[66:67]
.LBB14_3336:                            ;   in Loop: Header=BB14_17 Depth=1
	s_or_b64 exec, exec, s[72:73]
	s_andn2_b64 s[86:87], s[86:87], exec
	s_andn2_b64 vcc, vcc, exec
	s_or_b64 s[78:79], s[78:79], exec
.LBB14_3337:                            ;   in Loop: Header=BB14_17 Depth=1
	s_or_b64 exec, exec, s[80:81]
	s_mov_b64 s[66:67], 0
	s_and_saveexec_b64 s[68:69], s[78:79]
	s_cbranch_execz .LBB14_3339
; %bb.3338:                             ;   in Loop: Header=BB14_17 Depth=1
	s_mov_b64 s[66:67], exec
	v_add_u32_e32 v55, 0x200, v55
	s_andn2_b64 s[86:87], s[86:87], exec
	s_andn2_b64 vcc, vcc, exec
	s_waitcnt vmcnt(0) lgkmcnt(0)
	buffer_store_dword v65, v64, s[0:3], 0 offen offset:112
.LBB14_3339:                            ;   in Loop: Header=BB14_17 Depth=1
	s_or_b64 exec, exec, s[68:69]
	s_andn2_b64 s[60:61], s[90:91], exec
	s_and_b64 s[62:63], s[86:87], exec
	s_or_b64 s[90:91], s[60:61], s[62:63]
	s_andn2_b64 s[60:61], s[92:93], exec
	s_and_b64 vcc, vcc, exec
	s_or_b64 s[92:93], s[60:61], vcc
	s_and_b64 s[66:67], s[66:67], exec
.LBB14_3340:                            ;   in Loop: Header=BB14_17 Depth=1
	s_or_b64 exec, exec, s[84:85]
	s_and_b64 vcc, s[90:91], exec
	v_writelane_b32 v44, vcc_lo, 38
	v_writelane_b32 v44, vcc_hi, 39
	s_and_b64 s[62:63], s[92:93], exec
	s_orn2_b64 s[66:67], s[66:67], exec
.LBB14_3341:                            ;   in Loop: Header=BB14_17 Depth=1
	s_or_b64 exec, exec, s[96:97]
	s_and_saveexec_b64 s[96:97], s[66:67]
	s_cbranch_execz .LBB14_2
; %bb.3342:                             ;   in Loop: Header=BB14_17 Depth=1
	v_writelane_b32 v44, s62, 44
	v_writelane_b32 v44, s63, 45
	s_mov_b64 s[60:61], -1
	v_cmp_lt_i32_e32 vcc, v55, v6
	v_writelane_b32 v44, s60, 46
	s_mov_b64 s[70:71], -1
	v_writelane_b32 v44, s61, 47
                                        ; implicit-def: $sgpr66_sgpr67
                                        ; implicit-def: $sgpr68_sgpr69
	s_and_saveexec_b64 s[90:91], vcc
	s_cbranch_execz .LBB14_3468
; %bb.3343:                             ;   in Loop: Header=BB14_17 Depth=1
	v_readlane_b32 vcc_lo, v44, 1
	s_waitcnt vmcnt(0) lgkmcnt(0)
	v_add_u32_e32 v65, vcc_lo, v55
	v_mul_lo_u32 v14, v65, v9
	v_add_co_u32_e32 v14, vcc, v2, v14
	v_addc_co_u32_e32 v15, vcc, 0, v3, vcc
	v_cmp_gt_i16_sdwa s[60:61], v7, v18 src0_sel:BYTE_0 src1_sel:DWORD
	s_mov_b64 vcc, 0
                                        ; implicit-def: $sgpr76_sgpr77
                                        ; implicit-def: $sgpr92_sgpr93
                                        ; implicit-def: $vgpr66
	s_and_saveexec_b64 s[62:63], s[60:61]
	s_xor_b64 s[84:85], exec, s[62:63]
	s_cbranch_execnz .LBB14_3362
; %bb.3344:                             ;   in Loop: Header=BB14_17 Depth=1
	s_andn2_saveexec_b64 s[78:79], s[84:85]
	s_cbranch_execnz .LBB14_3421
.LBB14_3345:                            ;   in Loop: Header=BB14_17 Depth=1
	s_or_b64 exec, exec, s[78:79]
	s_mov_b64 s[70:71], 0
	s_and_saveexec_b64 s[84:85], vcc
	s_cbranch_execnz .LBB14_3462
	s_branch .LBB14_3467
.LBB14_3346:                            ;   in Loop: Header=BB14_17 Depth=1
	s_movk_i32 vcc_lo, 0x80
	v_cmp_eq_u16_e32 vcc, vcc_lo, v14
	s_mov_b64 s[92:93], -1
                                        ; implicit-def: $sgpr96
	s_and_saveexec_b64 s[60:61], vcc
; %bb.3347:                             ;   in Loop: Header=BB14_17 Depth=1
	s_mov_b32 s96, 0x7f800001
	s_xor_b64 s[92:93], exec, -1
; %bb.3348:                             ;   in Loop: Header=BB14_17 Depth=1
	s_or_b64 exec, exec, s[60:61]
	s_and_b64 s[92:93], s[92:93], exec
	s_or_saveexec_b64 s[94:95], s[94:95]
	v_mov_b32_e32 v64, s96
	s_xor_b64 exec, exec, s[94:95]
	s_cbranch_execz .LBB14_2165
.LBB14_3349:                            ;   in Loop: Header=BB14_17 Depth=1
	v_cmp_ne_u16_e32 vcc, 0, v14
	s_andn2_b64 s[60:61], s[92:93], exec
	s_and_b64 vcc, vcc, exec
	v_mov_b32_e32 v64, 0
	s_or_b64 s[92:93], s[60:61], vcc
	s_or_b64 exec, exec, s[94:95]
	s_and_saveexec_b64 s[94:95], s[92:93]
	s_cbranch_execnz .LBB14_2166
	s_branch .LBB14_2167
.LBB14_3350:                            ;   in Loop: Header=BB14_17 Depth=1
	s_movk_i32 vcc_lo, 0x80
	v_cmp_eq_u16_e32 vcc, vcc_lo, v14
	s_mov_b64 s[66:67], -1
                                        ; implicit-def: $sgpr70
	s_and_saveexec_b64 s[60:61], vcc
; %bb.3351:                             ;   in Loop: Header=BB14_17 Depth=1
	s_mov_b32 s70, 0x7f800001
	s_xor_b64 s[66:67], exec, -1
; %bb.3352:                             ;   in Loop: Header=BB14_17 Depth=1
	s_or_b64 exec, exec, s[60:61]
	s_and_b64 s[66:67], s[66:67], exec
	s_or_saveexec_b64 s[68:69], s[68:69]
	v_mov_b32_e32 v66, s70
	s_xor_b64 exec, exec, s[68:69]
	s_cbranch_execz .LBB14_2265
.LBB14_3353:                            ;   in Loop: Header=BB14_17 Depth=1
	v_cmp_ne_u16_e32 vcc, 0, v14
	s_andn2_b64 s[60:61], s[66:67], exec
	s_and_b64 vcc, vcc, exec
	v_mov_b32_e32 v66, 0
	s_or_b64 s[66:67], s[60:61], vcc
	s_or_b64 exec, exec, s[68:69]
	s_and_saveexec_b64 s[68:69], s[66:67]
	s_cbranch_execnz .LBB14_2266
	s_branch .LBB14_2267
.LBB14_3354:                            ;   in Loop: Header=BB14_17 Depth=1
	s_movk_i32 vcc_lo, 0x80
	v_cmp_eq_u16_e32 vcc, vcc_lo, v14
	s_mov_b64 s[66:67], -1
                                        ; implicit-def: $sgpr70
	s_and_saveexec_b64 s[60:61], vcc
; %bb.3355:                             ;   in Loop: Header=BB14_17 Depth=1
	s_mov_b32 s70, 0x7f800001
	s_xor_b64 s[66:67], exec, -1
; %bb.3356:                             ;   in Loop: Header=BB14_17 Depth=1
	s_or_b64 exec, exec, s[60:61]
	s_and_b64 s[66:67], s[66:67], exec
	s_or_saveexec_b64 s[68:69], s[68:69]
	v_mov_b32_e32 v65, s70
	s_xor_b64 exec, exec, s[68:69]
	s_cbranch_execz .LBB14_2381
.LBB14_3357:                            ;   in Loop: Header=BB14_17 Depth=1
	v_cmp_ne_u16_e32 vcc, 0, v14
	s_andn2_b64 s[60:61], s[66:67], exec
	s_and_b64 vcc, vcc, exec
	v_mov_b32_e32 v65, 0
	s_or_b64 s[66:67], s[60:61], vcc
	s_or_b64 exec, exec, s[68:69]
	s_and_saveexec_b64 s[68:69], s[66:67]
	s_cbranch_execnz .LBB14_2382
	s_branch .LBB14_2383
.LBB14_3358:                            ;   in Loop: Header=BB14_17 Depth=1
	s_movk_i32 vcc_lo, 0x80
	v_cmp_eq_u16_e32 vcc, vcc_lo, v14
	s_mov_b64 s[66:67], -1
                                        ; implicit-def: $sgpr70
	s_and_saveexec_b64 s[60:61], vcc
; %bb.3359:                             ;   in Loop: Header=BB14_17 Depth=1
	s_mov_b32 s70, 0x7f800001
	s_xor_b64 s[66:67], exec, -1
; %bb.3360:                             ;   in Loop: Header=BB14_17 Depth=1
	s_or_b64 exec, exec, s[60:61]
	s_and_b64 s[66:67], s[66:67], exec
	s_or_saveexec_b64 s[68:69], s[68:69]
	v_mov_b32_e32 v66, s70
	s_xor_b64 exec, exec, s[68:69]
	s_cbranch_execz .LBB14_2481
.LBB14_3361:                            ;   in Loop: Header=BB14_17 Depth=1
	v_cmp_ne_u16_e32 vcc, 0, v14
	s_andn2_b64 s[60:61], s[66:67], exec
	s_and_b64 vcc, vcc, exec
	v_mov_b32_e32 v66, 0
	s_or_b64 s[66:67], s[60:61], vcc
	s_or_b64 exec, exec, s[68:69]
	s_and_saveexec_b64 s[68:69], s[66:67]
	s_cbranch_execnz .LBB14_2482
	s_branch .LBB14_2483
.LBB14_3362:                            ;   in Loop: Header=BB14_17 Depth=1
	v_cmp_gt_i16_sdwa vcc, v7, v19 src0_sel:BYTE_0 src1_sel:DWORD
	s_mov_b64 s[78:79], 0
                                        ; implicit-def: $sgpr80_sgpr81
                                        ; implicit-def: $sgpr86_sgpr87
                                        ; implicit-def: $vgpr66
	s_and_saveexec_b64 s[60:61], vcc
	s_xor_b64 s[92:93], exec, s[60:61]
	s_cbranch_execz .LBB14_3394
; %bb.3363:                             ;   in Loop: Header=BB14_17 Depth=1
	v_cmp_gt_i16_sdwa vcc, v7, v20 src0_sel:BYTE_0 src1_sel:DWORD
                                        ; implicit-def: $sgpr72_sgpr73
                                        ; implicit-def: $sgpr86_sgpr87
                                        ; implicit-def: $vgpr66
	s_and_saveexec_b64 s[60:61], vcc
	s_xor_b64 s[80:81], exec, s[60:61]
	s_cbranch_execz .LBB14_3379
; %bb.3364:                             ;   in Loop: Header=BB14_17 Depth=1
	v_cmp_gt_i16_sdwa s[60:61], v7, v21 src0_sel:BYTE_0 src1_sel:DWORD
	s_mov_b64 s[74:75], 0
                                        ; implicit-def: $vcc
                                        ; implicit-def: $sgpr86_sgpr87
                                        ; implicit-def: $vgpr66
	s_and_saveexec_b64 s[62:63], s[60:61]
	s_xor_b64 s[72:73], exec, s[62:63]
	s_cbranch_execz .LBB14_3374
; %bb.3365:                             ;   in Loop: Header=BB14_17 Depth=1
	v_cmp_gt_i16_sdwa vcc, v7, v22 src0_sel:BYTE_0 src1_sel:DWORD
                                        ; implicit-def: $sgpr86_sgpr87
                                        ; implicit-def: $sgpr74_sgpr75
                                        ; implicit-def: $vgpr66
	s_and_saveexec_b64 s[60:61], vcc
	s_xor_b64 vcc, exec, s[60:61]
	s_cbranch_execz .LBB14_3369
; %bb.3366:                             ;   in Loop: Header=BB14_17 Depth=1
	v_cmp_eq_u16_sdwa s[62:63], v7, v23 src0_sel:BYTE_0 src1_sel:DWORD
	s_mov_b64 s[86:87], 0
	s_mov_b64 s[66:67], 0
                                        ; implicit-def: $vgpr66
	s_and_saveexec_b64 s[60:61], s[62:63]
	s_cbranch_execz .LBB14_3368
; %bb.3367:                             ;   in Loop: Header=BB14_17 Depth=1
	flat_load_dword v14, v[14:15]
	s_mov_b64 s[66:67], exec
	s_waitcnt vmcnt(0) lgkmcnt(0)
	v_lshlrev_b32_e32 v66, 16, v14
.LBB14_3368:                            ;   in Loop: Header=BB14_17 Depth=1
	s_or_b64 exec, exec, s[60:61]
	s_mov_b64 s[74:75], -1
	s_and_b64 s[78:79], s[66:67], exec
                                        ; implicit-def: $vgpr14_vgpr15
.LBB14_3369:                            ;   in Loop: Header=BB14_17 Depth=1
	s_andn2_saveexec_b64 s[66:67], vcc
	s_cbranch_execz .LBB14_3373
; %bb.3370:                             ;   in Loop: Header=BB14_17 Depth=1
	v_cmp_eq_u16_sdwa s[60:61], v7, v24 src0_sel:BYTE_0 src1_sel:DWORD
	s_mov_b64 vcc, s[78:79]
                                        ; implicit-def: $vgpr66
	s_and_saveexec_b64 s[68:69], s[60:61]
	s_cbranch_execz .LBB14_3372
; %bb.3371:                             ;   in Loop: Header=BB14_17 Depth=1
	flat_load_ubyte v14, v[14:15]
	s_movk_i32 vcc_lo, 0xff
	s_waitcnt vmcnt(0) lgkmcnt(0)
	v_lshlrev_b32_e32 v15, 23, v14
	v_cmp_ne_u32_e32 vcc, vcc_lo, v14
	v_cndmask_b32_e32 v15, v25, v15, vcc
	v_cmp_ne_u32_e32 vcc, 0, v14
	v_cndmask_b32_e32 v66, v26, v15, vcc
	s_or_b64 vcc, s[78:79], exec
.LBB14_3372:                            ;   in Loop: Header=BB14_17 Depth=1
	s_or_b64 exec, exec, s[68:69]
	s_andn2_b64 s[60:61], s[78:79], exec
	s_and_b64 vcc, vcc, exec
	s_andn2_b64 s[86:87], s[86:87], exec
	s_or_b64 s[74:75], s[74:75], exec
	s_or_b64 s[78:79], s[60:61], vcc
.LBB14_3373:                            ;   in Loop: Header=BB14_17 Depth=1
	s_or_b64 exec, exec, s[66:67]
	s_and_b64 s[86:87], s[86:87], exec
	s_and_b64 vcc, s[74:75], exec
	s_and_b64 s[74:75], s[78:79], exec
                                        ; implicit-def: $vgpr14_vgpr15
.LBB14_3374:                            ;   in Loop: Header=BB14_17 Depth=1
	s_andn2_saveexec_b64 s[66:67], s[72:73]
	s_cbranch_execz .LBB14_3378
; %bb.3375:                             ;   in Loop: Header=BB14_17 Depth=1
	v_cmp_eq_u16_sdwa s[60:61], v7, v27 src0_sel:BYTE_0 src1_sel:DWORD
	s_mov_b64 s[70:71], s[74:75]
                                        ; implicit-def: $vgpr66
	s_and_saveexec_b64 s[68:69], s[60:61]
	s_cbranch_execz .LBB14_3377
; %bb.3376:                             ;   in Loop: Header=BB14_17 Depth=1
	flat_load_dwordx2 v[14:15], v[14:15]
	s_or_b64 s[70:71], s[74:75], exec
	s_waitcnt vmcnt(0) lgkmcnt(0)
	v_ffbh_u32_e32 v64, v15
	v_min_u32_e32 v64, 32, v64
	v_lshlrev_b64 v[14:15], v64, v[14:15]
	v_min_u32_e32 v14, 1, v14
	v_or_b32_e32 v14, v15, v14
	v_cvt_f32_u32_e32 v14, v14
	v_sub_u32_e32 v15, 32, v64
	v_ldexp_f32 v66, v14, v15
.LBB14_3377:                            ;   in Loop: Header=BB14_17 Depth=1
	s_or_b64 exec, exec, s[68:69]
	s_andn2_b64 s[60:61], s[74:75], exec
	s_and_b64 s[62:63], s[70:71], exec
	s_andn2_b64 s[86:87], s[86:87], exec
	s_or_b64 vcc, vcc, exec
	s_or_b64 s[74:75], s[60:61], s[62:63]
.LBB14_3378:                            ;   in Loop: Header=BB14_17 Depth=1
	s_or_b64 exec, exec, s[66:67]
	s_and_b64 s[86:87], s[86:87], exec
	s_and_b64 s[72:73], vcc, exec
	s_and_b64 s[78:79], s[74:75], exec
                                        ; implicit-def: $vgpr14_vgpr15
.LBB14_3379:                            ;   in Loop: Header=BB14_17 Depth=1
	s_andn2_saveexec_b64 s[80:81], s[80:81]
	s_cbranch_execz .LBB14_3393
; %bb.3380:                             ;   in Loop: Header=BB14_17 Depth=1
	v_cmp_gt_i16_sdwa vcc, v7, v28 src0_sel:BYTE_0 src1_sel:DWORD
                                        ; implicit-def: $vgpr66
	s_and_saveexec_b64 s[60:61], vcc
	s_xor_b64 vcc, exec, s[60:61]
	s_cbranch_execz .LBB14_3386
; %bb.3381:                             ;   in Loop: Header=BB14_17 Depth=1
	v_cmp_gt_i16_sdwa s[60:61], v7, v29 src0_sel:BYTE_0 src1_sel:DWORD
                                        ; implicit-def: $vgpr66
	s_and_saveexec_b64 s[62:63], s[60:61]
	s_xor_b64 s[60:61], exec, s[62:63]
	s_cbranch_execz .LBB14_3383
; %bb.3382:                             ;   in Loop: Header=BB14_17 Depth=1
	flat_load_dword v14, v[14:15]
	s_waitcnt vmcnt(0) lgkmcnt(0)
	v_cvt_f32_u32_e32 v66, v14
                                        ; implicit-def: $vgpr14_vgpr15
.LBB14_3383:                            ;   in Loop: Header=BB14_17 Depth=1
	s_andn2_saveexec_b64 s[60:61], s[60:61]
	s_cbranch_execz .LBB14_3385
; %bb.3384:                             ;   in Loop: Header=BB14_17 Depth=1
	flat_load_ushort v14, v[14:15]
	s_waitcnt vmcnt(0) lgkmcnt(0)
	v_cvt_f32_u32_e32 v66, v14
.LBB14_3385:                            ;   in Loop: Header=BB14_17 Depth=1
	s_or_b64 exec, exec, s[60:61]
                                        ; implicit-def: $vgpr14_vgpr15
.LBB14_3386:                            ;   in Loop: Header=BB14_17 Depth=1
	s_andn2_saveexec_b64 s[74:75], vcc
	s_cbranch_execz .LBB14_3392
; %bb.3387:                             ;   in Loop: Header=BB14_17 Depth=1
	flat_load_ubyte v14, v[14:15]
	s_movk_i32 vcc_lo, 0x7f
	s_mov_b64 s[66:67], 0
                                        ; implicit-def: $sgpr70
	s_waitcnt vmcnt(0) lgkmcnt(0)
	v_cmp_lt_i16_e32 vcc, vcc_lo, v14
	s_and_saveexec_b64 s[60:61], vcc
	s_xor_b64 s[68:69], exec, s[60:61]
	s_cbranch_execnz .LBB14_3630
; %bb.3388:                             ;   in Loop: Header=BB14_17 Depth=1
	s_or_saveexec_b64 s[68:69], s[68:69]
	v_mov_b32_e32 v66, s70
	s_xor_b64 exec, exec, s[68:69]
	s_cbranch_execnz .LBB14_3633
.LBB14_3389:                            ;   in Loop: Header=BB14_17 Depth=1
	s_or_b64 exec, exec, s[68:69]
	s_and_saveexec_b64 s[68:69], s[66:67]
	s_cbranch_execz .LBB14_3391
.LBB14_3390:                            ;   in Loop: Header=BB14_17 Depth=1
	v_lshlrev_b32_e32 v15, 24, v14
	v_and_b32_e32 v14, 0xffff, v14
	v_and_b32_e32 v64, 7, v14
	v_ffbh_u32_e32 v67, v64
	v_min_u32_e32 v67, 32, v67
	v_subrev_u32_e32 v68, 28, v67
	v_bfe_u32 v66, v14, 3, 4
	v_lshlrev_b32_e32 v14, v68, v14
	v_sub_u32_e32 v67, 29, v67
	v_and_b32_e32 v14, 7, v14
	v_cmp_eq_u32_e32 vcc, 0, v66
	v_cndmask_b32_e32 v66, v66, v67, vcc
	v_cndmask_b32_e32 v14, v64, v14, vcc
	v_lshlrev_b32_e32 v14, 20, v14
	v_and_b32_e32 v15, 0x80000000, v15
	v_lshl_add_u32 v64, v66, 23, v30
	v_or3_b32 v66, v15, v64, v14
.LBB14_3391:                            ;   in Loop: Header=BB14_17 Depth=1
	s_or_b64 exec, exec, s[68:69]
.LBB14_3392:                            ;   in Loop: Header=BB14_17 Depth=1
	s_or_b64 exec, exec, s[74:75]
	s_andn2_b64 s[86:87], s[86:87], exec
	s_andn2_b64 s[72:73], s[72:73], exec
	s_or_b64 s[78:79], s[78:79], exec
.LBB14_3393:                            ;   in Loop: Header=BB14_17 Depth=1
	s_or_b64 exec, exec, s[80:81]
	s_and_b64 s[86:87], s[86:87], exec
	s_and_b64 s[80:81], s[72:73], exec
	;; [unrolled: 1-line block ×3, first 2 shown]
                                        ; implicit-def: $vgpr14_vgpr15
.LBB14_3394:                            ;   in Loop: Header=BB14_17 Depth=1
	s_andn2_saveexec_b64 s[92:93], s[92:93]
	s_cbranch_execz .LBB14_3420
; %bb.3395:                             ;   in Loop: Header=BB14_17 Depth=1
	v_cmp_gt_i16_sdwa vcc, v7, v31 src0_sel:BYTE_0 src1_sel:DWORD
	s_mov_b64 s[74:75], s[78:79]
                                        ; implicit-def: $vgpr66
	s_and_saveexec_b64 s[60:61], vcc
	s_xor_b64 s[72:73], exec, s[60:61]
	s_cbranch_execz .LBB14_3409
; %bb.3396:                             ;   in Loop: Header=BB14_17 Depth=1
	v_cmp_gt_i16_sdwa vcc, v7, v32 src0_sel:BYTE_0 src1_sel:DWORD
                                        ; implicit-def: $vgpr66
	s_and_saveexec_b64 s[60:61], vcc
	s_xor_b64 s[62:63], exec, s[60:61]
	s_cbranch_execz .LBB14_3406
; %bb.3397:                             ;   in Loop: Header=BB14_17 Depth=1
	v_cmp_gt_i16_sdwa vcc, v7, v33 src0_sel:BYTE_0 src1_sel:DWORD
                                        ; implicit-def: $vgpr66
	s_and_saveexec_b64 s[60:61], vcc
	s_xor_b64 s[74:75], exec, s[60:61]
	s_cbranch_execz .LBB14_3403
; %bb.3398:                             ;   in Loop: Header=BB14_17 Depth=1
	flat_load_ubyte v14, v[14:15]
	s_movk_i32 vcc_lo, 0x7f
	s_mov_b64 s[66:67], 0
                                        ; implicit-def: $sgpr70
	s_waitcnt vmcnt(0) lgkmcnt(0)
	v_cmp_lt_i16_e32 vcc, vcc_lo, v14
	s_and_saveexec_b64 s[60:61], vcc
	s_xor_b64 s[68:69], exec, s[60:61]
	s_cbranch_execnz .LBB14_3638
; %bb.3399:                             ;   in Loop: Header=BB14_17 Depth=1
	s_or_saveexec_b64 s[68:69], s[68:69]
	v_mov_b32_e32 v66, s70
	s_xor_b64 exec, exec, s[68:69]
	s_cbranch_execnz .LBB14_3641
.LBB14_3400:                            ;   in Loop: Header=BB14_17 Depth=1
	s_or_b64 exec, exec, s[68:69]
	s_and_saveexec_b64 s[68:69], s[66:67]
	s_cbranch_execz .LBB14_3402
.LBB14_3401:                            ;   in Loop: Header=BB14_17 Depth=1
	v_lshlrev_b32_e32 v15, 24, v14
	v_and_b32_e32 v14, 0xffff, v14
	v_and_b32_e32 v64, 3, v14
	v_ffbh_u32_e32 v67, v64
	v_min_u32_e32 v67, 32, v67
	v_subrev_u32_e32 v68, 29, v67
	v_bfe_u32 v66, v14, 2, 5
	v_lshlrev_b32_e32 v14, v68, v14
	v_sub_u32_e32 v67, 30, v67
	v_and_b32_e32 v14, 3, v14
	v_cmp_eq_u32_e32 vcc, 0, v66
	v_cndmask_b32_e32 v66, v66, v67, vcc
	v_cndmask_b32_e32 v14, v64, v14, vcc
	v_lshlrev_b32_e32 v14, 21, v14
	v_and_b32_e32 v15, 0x80000000, v15
	v_lshl_add_u32 v64, v66, 23, v34
	v_or3_b32 v66, v15, v64, v14
.LBB14_3402:                            ;   in Loop: Header=BB14_17 Depth=1
	s_or_b64 exec, exec, s[68:69]
                                        ; implicit-def: $vgpr14_vgpr15
.LBB14_3403:                            ;   in Loop: Header=BB14_17 Depth=1
	s_andn2_saveexec_b64 s[66:67], s[74:75]
	s_cbranch_execz .LBB14_3405
; %bb.3404:                             ;   in Loop: Header=BB14_17 Depth=1
	flat_load_ubyte v14, v[14:15]
	s_mov_b32 vcc_lo, 0x7f800000
	s_waitcnt vmcnt(0) lgkmcnt(0)
	v_lshlrev_b32_e32 v14, 24, v14
	v_and_b32_e32 v15, 0x7f000000, v14
	v_ffbh_u32_e32 v64, v15
	v_min_u32_e32 v64, 32, v64
	v_sub_u32_e64 v64, v64, 4 clamp
	v_lshlrev_b32_e32 v67, v64, v15
	v_lshlrev_b32_e32 v64, 23, v64
	v_lshrrev_b32_e32 v67, 4, v67
	v_add_u32_e32 v66, 0x1000000, v15
	v_sub_u32_e32 v64, v67, v64
	v_ashrrev_i32_e32 v66, 8, v66
	v_add_u32_e32 v64, 0x3c000000, v64
	v_and_or_b32 v64, v66, vcc_lo, v64
	v_cmp_ne_u32_e32 vcc, 0, v15
	v_cndmask_b32_e32 v15, 0, v64, vcc
	s_brev_b32 vcc_lo, 1
	v_and_or_b32 v66, v14, vcc_lo, v15
.LBB14_3405:                            ;   in Loop: Header=BB14_17 Depth=1
	s_or_b64 exec, exec, s[66:67]
                                        ; implicit-def: $vgpr14_vgpr15
.LBB14_3406:                            ;   in Loop: Header=BB14_17 Depth=1
	s_andn2_saveexec_b64 s[66:67], s[62:63]
	s_cbranch_execz .LBB14_3408
; %bb.3407:                             ;   in Loop: Header=BB14_17 Depth=1
	flat_load_ubyte v14, v[14:15]
	s_movk_i32 vcc_lo, 0x7f00
	s_waitcnt vmcnt(0) lgkmcnt(0)
	v_lshlrev_b16_e32 v15, 8, v14
	v_lshlrev_b32_e32 v14, 25, v14
	v_lshrrev_b32_e32 v64, 4, v14
	v_and_or_b32 v66, v15, vcc_lo, 0.5
	v_or_b32_e32 v64, 0x70000000, v64
	s_brev_b32 vcc_lo, 16
	v_add_f32_e32 v66, -0.5, v66
	v_mul_f32_e32 v64, 0x7800000, v64
	v_cmp_gt_u32_e32 vcc, vcc_lo, v14
	v_cndmask_b32_e32 v14, v64, v66, vcc
	v_bfe_i32 v15, v15, 0, 16
	s_brev_b32 vcc_lo, 1
	v_and_or_b32 v66, v15, vcc_lo, v14
.LBB14_3408:                            ;   in Loop: Header=BB14_17 Depth=1
	s_or_b64 exec, exec, s[66:67]
	s_or_b64 s[74:75], s[78:79], exec
                                        ; implicit-def: $vgpr14_vgpr15
.LBB14_3409:                            ;   in Loop: Header=BB14_17 Depth=1
	s_or_saveexec_b64 s[72:73], s[72:73]
                                        ; implicit-def: $vcc
                                        ; implicit-def: $sgpr68_sgpr69
	s_xor_b64 exec, exec, s[72:73]
	s_cbranch_execz .LBB14_3419
; %bb.3410:                             ;   in Loop: Header=BB14_17 Depth=1
	v_cmp_gt_i16_sdwa vcc, v7, v35 src0_sel:BYTE_0 src1_sel:DWORD
	s_mov_b64 s[66:67], s[74:75]
                                        ; implicit-def: $sgpr68_sgpr69
                                        ; implicit-def: $sgpr76_sgpr77
                                        ; implicit-def: $vgpr66
	s_and_saveexec_b64 s[60:61], vcc
	s_xor_b64 vcc, exec, s[60:61]
	s_cbranch_execz .LBB14_3414
; %bb.3411:                             ;   in Loop: Header=BB14_17 Depth=1
	v_cmp_eq_u16_sdwa s[62:63], v7, v36 src0_sel:BYTE_0 src1_sel:DWORD
	s_mov_b64 s[66:67], s[74:75]
                                        ; implicit-def: $vgpr66
	s_and_saveexec_b64 s[60:61], s[62:63]
	s_cbranch_execz .LBB14_3413
; %bb.3412:                             ;   in Loop: Header=BB14_17 Depth=1
	flat_load_ushort v14, v[14:15]
	s_or_b64 s[66:67], s[74:75], exec
	s_waitcnt vmcnt(0) lgkmcnt(0)
	v_lshlrev_b32_e32 v66, 16, v14
.LBB14_3413:                            ;   in Loop: Header=BB14_17 Depth=1
	s_or_b64 exec, exec, s[60:61]
	s_andn2_b64 s[60:61], s[74:75], exec
	s_and_b64 s[62:63], s[66:67], exec
	s_mov_b64 s[76:77], -1
	s_mov_b64 s[68:69], 0
	s_or_b64 s[66:67], s[60:61], s[62:63]
                                        ; implicit-def: $vgpr14_vgpr15
.LBB14_3414:                            ;   in Loop: Header=BB14_17 Depth=1
	s_andn2_saveexec_b64 s[70:71], vcc
	s_cbranch_execz .LBB14_3418
; %bb.3415:                             ;   in Loop: Header=BB14_17 Depth=1
	v_cmp_eq_u16_sdwa s[62:63], v7, v37 src0_sel:BYTE_0 src1_sel:DWORD
	s_mov_b64 vcc, s[66:67]
                                        ; implicit-def: $vgpr66
	s_and_saveexec_b64 s[60:61], s[62:63]
	s_cbranch_execz .LBB14_3417
; %bb.3416:                             ;   in Loop: Header=BB14_17 Depth=1
	flat_load_ubyte v14, v[14:15]
	s_waitcnt vmcnt(0) lgkmcnt(0)
	v_cmp_ne_u16_e32 vcc, 0, v14
	v_cndmask_b32_e64 v66, 0, 1.0, vcc
	s_or_b64 vcc, s[66:67], exec
.LBB14_3417:                            ;   in Loop: Header=BB14_17 Depth=1
	s_or_b64 exec, exec, s[60:61]
	s_andn2_b64 s[60:61], s[66:67], exec
	s_and_b64 vcc, vcc, exec
	s_andn2_b64 s[68:69], s[68:69], exec
	s_or_b64 s[76:77], s[76:77], exec
	s_or_b64 s[66:67], s[60:61], vcc
.LBB14_3418:                            ;   in Loop: Header=BB14_17 Depth=1
	s_or_b64 exec, exec, s[70:71]
	s_andn2_b64 s[60:61], s[74:75], exec
	s_and_b64 s[62:63], s[66:67], exec
	s_and_b64 s[68:69], s[68:69], exec
	s_and_b64 vcc, s[76:77], exec
	s_or_b64 s[74:75], s[60:61], s[62:63]
.LBB14_3419:                            ;   in Loop: Header=BB14_17 Depth=1
	s_or_b64 exec, exec, s[72:73]
	s_andn2_b64 s[60:61], s[86:87], exec
	s_and_b64 s[62:63], s[68:69], exec
	s_or_b64 s[86:87], s[60:61], s[62:63]
	s_andn2_b64 s[60:61], s[80:81], exec
	s_and_b64 vcc, vcc, exec
	s_or_b64 s[80:81], s[60:61], vcc
	s_andn2_b64 vcc, s[78:79], exec
	s_and_b64 s[60:61], s[74:75], exec
	s_or_b64 s[78:79], vcc, s[60:61]
.LBB14_3420:                            ;   in Loop: Header=BB14_17 Depth=1
	s_or_b64 exec, exec, s[92:93]
	s_and_b64 s[92:93], s[86:87], exec
	s_and_b64 s[76:77], s[80:81], exec
	s_and_b64 vcc, s[78:79], exec
                                        ; implicit-def: $vgpr14_vgpr15
	s_andn2_saveexec_b64 s[78:79], s[84:85]
	s_cbranch_execz .LBB14_3345
.LBB14_3421:                            ;   in Loop: Header=BB14_17 Depth=1
	v_cmp_gt_i16_sdwa s[60:61], v7, v38 src0_sel:BYTE_0 src1_sel:DWORD
                                        ; implicit-def: $vgpr66
	s_and_saveexec_b64 s[62:63], s[60:61]
	s_xor_b64 s[72:73], exec, s[62:63]
	s_cbranch_execz .LBB14_3443
; %bb.3422:                             ;   in Loop: Header=BB14_17 Depth=1
	v_cmp_gt_i16_sdwa s[60:61], v7, v39 src0_sel:BYTE_0 src1_sel:DWORD
                                        ; implicit-def: $vgpr66
	s_and_saveexec_b64 s[62:63], s[60:61]
	s_xor_b64 s[66:67], exec, s[62:63]
	s_cbranch_execz .LBB14_3432
; %bb.3423:                             ;   in Loop: Header=BB14_17 Depth=1
	;; [unrolled: 6-line block ×4, first 2 shown]
	flat_load_dwordx2 v[14:15], v[14:15]
	s_waitcnt vmcnt(0) lgkmcnt(0)
	v_cvt_f32_f64_e32 v66, v[14:15]
                                        ; implicit-def: $vgpr14_vgpr15
.LBB14_3426:                            ;   in Loop: Header=BB14_17 Depth=1
	s_andn2_saveexec_b64 s[60:61], s[60:61]
	s_cbranch_execz .LBB14_3428
; %bb.3427:                             ;   in Loop: Header=BB14_17 Depth=1
	flat_load_dword v66, v[14:15]
.LBB14_3428:                            ;   in Loop: Header=BB14_17 Depth=1
	s_or_b64 exec, exec, s[60:61]
                                        ; implicit-def: $vgpr14_vgpr15
.LBB14_3429:                            ;   in Loop: Header=BB14_17 Depth=1
	s_andn2_saveexec_b64 s[60:61], s[68:69]
	s_cbranch_execz .LBB14_3431
; %bb.3430:                             ;   in Loop: Header=BB14_17 Depth=1
	flat_load_dword v14, v[14:15]
	s_waitcnt vmcnt(0) lgkmcnt(0)
	v_cvt_f32_f16_e32 v66, v14
.LBB14_3431:                            ;   in Loop: Header=BB14_17 Depth=1
	s_or_b64 exec, exec, s[60:61]
                                        ; implicit-def: $vgpr14_vgpr15
.LBB14_3432:                            ;   in Loop: Header=BB14_17 Depth=1
	s_andn2_saveexec_b64 s[66:67], s[66:67]
	s_cbranch_execz .LBB14_3442
; %bb.3433:                             ;   in Loop: Header=BB14_17 Depth=1
	v_cmp_gt_i16_sdwa s[60:61], v7, v50 src0_sel:BYTE_0 src1_sel:DWORD
                                        ; implicit-def: $vgpr66
	s_and_saveexec_b64 s[62:63], s[60:61]
	s_xor_b64 s[68:69], exec, s[62:63]
	s_cbranch_execz .LBB14_3439
; %bb.3434:                             ;   in Loop: Header=BB14_17 Depth=1
	v_cmp_gt_i16_sdwa s[60:61], v7, v51 src0_sel:BYTE_0 src1_sel:DWORD
                                        ; implicit-def: $vgpr66
	s_and_saveexec_b64 s[62:63], s[60:61]
	s_xor_b64 s[60:61], exec, s[62:63]
	s_cbranch_execz .LBB14_3436
; %bb.3435:                             ;   in Loop: Header=BB14_17 Depth=1
	flat_load_dwordx2 v[14:15], v[14:15]
	s_waitcnt vmcnt(0) lgkmcnt(0)
	v_cvt_f32_f64_e32 v66, v[14:15]
                                        ; implicit-def: $vgpr14_vgpr15
.LBB14_3436:                            ;   in Loop: Header=BB14_17 Depth=1
	s_andn2_saveexec_b64 s[60:61], s[60:61]
	s_cbranch_execz .LBB14_3438
; %bb.3437:                             ;   in Loop: Header=BB14_17 Depth=1
	s_waitcnt vmcnt(0) lgkmcnt(0)
	flat_load_dword v66, v[14:15]
.LBB14_3438:                            ;   in Loop: Header=BB14_17 Depth=1
	s_or_b64 exec, exec, s[60:61]
                                        ; implicit-def: $vgpr14_vgpr15
.LBB14_3439:                            ;   in Loop: Header=BB14_17 Depth=1
	s_andn2_saveexec_b64 s[60:61], s[68:69]
	s_cbranch_execz .LBB14_3441
; %bb.3440:                             ;   in Loop: Header=BB14_17 Depth=1
	flat_load_ushort v14, v[14:15]
	s_waitcnt vmcnt(0) lgkmcnt(0)
	v_cvt_f32_f16_e32 v66, v14
.LBB14_3441:                            ;   in Loop: Header=BB14_17 Depth=1
	s_or_b64 exec, exec, s[60:61]
.LBB14_3442:                            ;   in Loop: Header=BB14_17 Depth=1
	s_or_b64 exec, exec, s[66:67]
                                        ; implicit-def: $vgpr14_vgpr15
.LBB14_3443:                            ;   in Loop: Header=BB14_17 Depth=1
	s_andn2_saveexec_b64 s[72:73], s[72:73]
	s_cbranch_execz .LBB14_3461
; %bb.3444:                             ;   in Loop: Header=BB14_17 Depth=1
	v_cmp_gt_i16_sdwa s[60:61], v7, v52 src0_sel:BYTE_0 src1_sel:DWORD
                                        ; implicit-def: $vgpr66
	s_and_saveexec_b64 s[62:63], s[60:61]
	s_xor_b64 s[74:75], exec, s[62:63]
	s_cbranch_execz .LBB14_3454
; %bb.3445:                             ;   in Loop: Header=BB14_17 Depth=1
	v_cmp_gt_i16_sdwa s[60:61], v7, v53 src0_sel:BYTE_0 src1_sel:DWORD
                                        ; implicit-def: $vgpr66
	s_and_saveexec_b64 s[62:63], s[60:61]
	s_xor_b64 s[66:67], exec, s[62:63]
	;; [unrolled: 6-line block ×3, first 2 shown]
	s_cbranch_execz .LBB14_3448
; %bb.3447:                             ;   in Loop: Header=BB14_17 Depth=1
	flat_load_dwordx2 v[14:15], v[14:15]
	s_waitcnt vmcnt(0) lgkmcnt(0)
	v_xor_b32_e32 v66, v14, v15
	v_ffbh_i32_e32 v64, v15
	v_ashrrev_i32_e32 v66, 31, v66
	v_add_u32_e32 v64, -1, v64
	v_add_u32_e32 v66, 32, v66
	v_min_u32_e32 v64, v64, v66
	v_lshlrev_b64 v[14:15], v64, v[14:15]
	v_min_u32_e32 v14, 1, v14
	v_or_b32_e32 v14, v15, v14
	v_cvt_f32_i32_e32 v14, v14
	v_sub_u32_e32 v15, 32, v64
	v_ldexp_f32 v66, v14, v15
                                        ; implicit-def: $vgpr14_vgpr15
.LBB14_3448:                            ;   in Loop: Header=BB14_17 Depth=1
	s_andn2_saveexec_b64 s[60:61], s[68:69]
	s_cbranch_execz .LBB14_3450
; %bb.3449:                             ;   in Loop: Header=BB14_17 Depth=1
	flat_load_dword v14, v[14:15]
	s_waitcnt vmcnt(0) lgkmcnt(0)
	v_cvt_f32_i32_e32 v66, v14
.LBB14_3450:                            ;   in Loop: Header=BB14_17 Depth=1
	s_or_b64 exec, exec, s[60:61]
                                        ; implicit-def: $vgpr14_vgpr15
.LBB14_3451:                            ;   in Loop: Header=BB14_17 Depth=1
	s_andn2_saveexec_b64 s[60:61], s[66:67]
	s_cbranch_execz .LBB14_3453
; %bb.3452:                             ;   in Loop: Header=BB14_17 Depth=1
	flat_load_sshort v14, v[14:15]
	s_waitcnt vmcnt(0) lgkmcnt(0)
	v_cvt_f32_i32_e32 v66, v14
.LBB14_3453:                            ;   in Loop: Header=BB14_17 Depth=1
	s_or_b64 exec, exec, s[60:61]
                                        ; implicit-def: $vgpr14_vgpr15
.LBB14_3454:                            ;   in Loop: Header=BB14_17 Depth=1
	s_andn2_saveexec_b64 s[66:67], s[74:75]
	s_cbranch_execz .LBB14_3460
; %bb.3455:                             ;   in Loop: Header=BB14_17 Depth=1
	v_cmp_gt_i16_sdwa s[60:61], v7, v16 src0_sel:BYTE_0 src1_sel:DWORD
                                        ; implicit-def: $vgpr66
	s_and_saveexec_b64 s[62:63], s[60:61]
	s_xor_b64 s[60:61], exec, s[62:63]
	s_cbranch_execz .LBB14_3457
; %bb.3456:                             ;   in Loop: Header=BB14_17 Depth=1
	flat_load_sbyte v14, v[14:15]
	s_waitcnt vmcnt(0) lgkmcnt(0)
	v_cvt_f32_i32_e32 v66, v14
                                        ; implicit-def: $vgpr14_vgpr15
.LBB14_3457:                            ;   in Loop: Header=BB14_17 Depth=1
	s_andn2_saveexec_b64 s[60:61], s[60:61]
	s_cbranch_execz .LBB14_3459
; %bb.3458:                             ;   in Loop: Header=BB14_17 Depth=1
	flat_load_ubyte v14, v[14:15]
	s_waitcnt vmcnt(0) lgkmcnt(0)
	v_cvt_f32_ubyte0_e32 v66, v14
.LBB14_3459:                            ;   in Loop: Header=BB14_17 Depth=1
	s_or_b64 exec, exec, s[60:61]
.LBB14_3460:                            ;   in Loop: Header=BB14_17 Depth=1
	s_or_b64 exec, exec, s[66:67]
.LBB14_3461:                            ;   in Loop: Header=BB14_17 Depth=1
	s_or_b64 exec, exec, s[72:73]
	s_andn2_b64 s[92:93], s[92:93], exec
	s_andn2_b64 s[76:77], s[76:77], exec
	s_or_b64 vcc, vcc, exec
	s_or_b64 exec, exec, s[78:79]
	s_mov_b64 s[70:71], 0
	s_and_saveexec_b64 s[84:85], vcc
	s_cbranch_execz .LBB14_3467
.LBB14_3462:                            ;   in Loop: Header=BB14_17 Depth=1
	v_mul_lo_u32 v14, v65, v10
	v_readlane_b32 s60, v44, 0
	v_add_co_u32_e32 v14, vcc, v4, v14
	v_add_u32_e32 v64, s60, v17
	v_addc_co_u32_e32 v15, vcc, 0, v5, vcc
	v_cmp_gt_i16_sdwa s[60:61], v8, v18 src0_sel:BYTE_0 src1_sel:DWORD
	s_mov_b64 s[78:79], 0
	s_waitcnt vmcnt(0) lgkmcnt(0)
	buffer_store_dword v66, v64, s[0:3], 0 offen offset:124
                                        ; implicit-def: $vcc
                                        ; implicit-def: $sgpr86_sgpr87
                                        ; implicit-def: $vgpr65
	s_and_saveexec_b64 s[62:63], s[60:61]
	s_xor_b64 s[62:63], exec, s[62:63]
	s_cbranch_execnz .LBB14_3486
; %bb.3463:                             ;   in Loop: Header=BB14_17 Depth=1
	s_andn2_saveexec_b64 s[80:81], s[62:63]
	s_cbranch_execnz .LBB14_3545
.LBB14_3464:                            ;   in Loop: Header=BB14_17 Depth=1
	s_or_b64 exec, exec, s[80:81]
	s_mov_b64 s[66:67], 0
	s_and_saveexec_b64 s[68:69], s[78:79]
	s_cbranch_execz .LBB14_3466
.LBB14_3465:                            ;   in Loop: Header=BB14_17 Depth=1
	s_mov_b64 s[66:67], exec
	v_add_u32_e32 v55, 0x200, v55
	s_andn2_b64 s[86:87], s[86:87], exec
	s_andn2_b64 vcc, vcc, exec
	s_waitcnt vmcnt(0) lgkmcnt(0)
	buffer_store_dword v65, v64, s[0:3], 0 offen offset:120
.LBB14_3466:                            ;   in Loop: Header=BB14_17 Depth=1
	s_or_b64 exec, exec, s[68:69]
	s_andn2_b64 s[60:61], s[92:93], exec
	s_and_b64 s[62:63], s[86:87], exec
	s_or_b64 s[92:93], s[60:61], s[62:63]
	s_andn2_b64 s[60:61], s[76:77], exec
	s_and_b64 vcc, vcc, exec
	s_or_b64 s[76:77], s[60:61], vcc
	s_and_b64 s[70:71], s[66:67], exec
.LBB14_3467:                            ;   in Loop: Header=BB14_17 Depth=1
	s_or_b64 exec, exec, s[84:85]
	s_and_b64 s[68:69], s[92:93], exec
	s_and_b64 s[66:67], s[76:77], exec
	s_orn2_b64 s[70:71], s[70:71], exec
.LBB14_3468:                            ;   in Loop: Header=BB14_17 Depth=1
	s_or_b64 exec, exec, s[90:91]
	s_and_saveexec_b64 vcc, s[70:71]
	s_cbranch_execz .LBB14_1
; %bb.3469:                             ;   in Loop: Header=BB14_17 Depth=1
	v_readlane_b32 s60, v44, 0
	s_addk_i32 s60, 0x80
	s_cmpk_eq_i32 s60, 0x100
	v_writelane_b32 v44, s60, 0
	s_cselect_b64 s[60:61], -1, 0
	s_orn2_b64 s[60:61], s[60:61], exec
	s_andn2_b64 s[68:69], s[68:69], exec
	s_andn2_b64 s[66:67], s[66:67], exec
	v_writelane_b32 v44, s60, 46
	v_writelane_b32 v44, s61, 47
	s_branch .LBB14_1
.LBB14_3470:                            ;   in Loop: Header=BB14_17 Depth=1
	s_movk_i32 vcc_lo, 0x80
	v_cmp_eq_u16_e32 vcc, vcc_lo, v14
	s_mov_b64 s[66:67], -1
                                        ; implicit-def: $sgpr70
	s_and_saveexec_b64 s[60:61], vcc
; %bb.3471:                             ;   in Loop: Header=BB14_17 Depth=1
	s_mov_b32 s70, 0x7f800001
	s_xor_b64 s[66:67], exec, -1
; %bb.3472:                             ;   in Loop: Header=BB14_17 Depth=1
	s_or_b64 exec, exec, s[60:61]
	s_and_b64 s[66:67], s[66:67], exec
	s_or_saveexec_b64 s[68:69], s[68:69]
	v_mov_b32_e32 v65, s70
	s_xor_b64 exec, exec, s[68:69]
	s_cbranch_execz .LBB14_2392
.LBB14_3473:                            ;   in Loop: Header=BB14_17 Depth=1
	v_cmp_ne_u16_e32 vcc, 0, v14
	s_andn2_b64 s[60:61], s[66:67], exec
	s_and_b64 vcc, vcc, exec
	v_mov_b32_e32 v65, 0
	s_or_b64 s[66:67], s[60:61], vcc
	s_or_b64 exec, exec, s[68:69]
	s_and_saveexec_b64 s[68:69], s[66:67]
	s_cbranch_execnz .LBB14_2393
	s_branch .LBB14_2394
.LBB14_3474:                            ;   in Loop: Header=BB14_17 Depth=1
	s_movk_i32 vcc_lo, 0x80
	v_cmp_eq_u16_e32 vcc, vcc_lo, v14
	s_mov_b64 s[66:67], -1
                                        ; implicit-def: $sgpr70
	s_and_saveexec_b64 s[60:61], vcc
; %bb.3475:                             ;   in Loop: Header=BB14_17 Depth=1
	s_mov_b32 s70, 0x7f800001
	s_xor_b64 s[66:67], exec, -1
; %bb.3476:                             ;   in Loop: Header=BB14_17 Depth=1
	s_or_b64 exec, exec, s[60:61]
	s_and_b64 s[66:67], s[66:67], exec
	s_or_saveexec_b64 s[68:69], s[68:69]
	v_mov_b32_e32 v66, s70
	s_xor_b64 exec, exec, s[68:69]
	s_cbranch_execz .LBB14_2492
.LBB14_3477:                            ;   in Loop: Header=BB14_17 Depth=1
	v_cmp_ne_u16_e32 vcc, 0, v14
	s_andn2_b64 s[60:61], s[66:67], exec
	s_and_b64 vcc, vcc, exec
	v_mov_b32_e32 v66, 0
	s_or_b64 s[66:67], s[60:61], vcc
	s_or_b64 exec, exec, s[68:69]
	s_and_saveexec_b64 s[68:69], s[66:67]
	s_cbranch_execnz .LBB14_2493
	s_branch .LBB14_2494
.LBB14_3478:                            ;   in Loop: Header=BB14_17 Depth=1
	s_movk_i32 vcc_lo, 0x80
	v_cmp_eq_u16_e32 vcc, vcc_lo, v14
	s_mov_b64 s[66:67], -1
                                        ; implicit-def: $sgpr70
	s_and_saveexec_b64 s[60:61], vcc
; %bb.3479:                             ;   in Loop: Header=BB14_17 Depth=1
	s_mov_b32 s70, 0x7f800001
	s_xor_b64 s[66:67], exec, -1
; %bb.3480:                             ;   in Loop: Header=BB14_17 Depth=1
	s_or_b64 exec, exec, s[60:61]
	s_and_b64 s[66:67], s[66:67], exec
	s_or_saveexec_b64 s[68:69], s[68:69]
	v_mov_b32_e32 v65, s70
	s_xor_b64 exec, exec, s[68:69]
	s_cbranch_execz .LBB14_2608
.LBB14_3481:                            ;   in Loop: Header=BB14_17 Depth=1
	v_cmp_ne_u16_e32 vcc, 0, v14
	s_andn2_b64 s[60:61], s[66:67], exec
	s_and_b64 vcc, vcc, exec
	v_mov_b32_e32 v65, 0
	s_or_b64 s[66:67], s[60:61], vcc
	s_or_b64 exec, exec, s[68:69]
	s_and_saveexec_b64 s[68:69], s[66:67]
	s_cbranch_execnz .LBB14_2609
	s_branch .LBB14_2610
.LBB14_3482:                            ;   in Loop: Header=BB14_17 Depth=1
	s_movk_i32 vcc_lo, 0x80
	v_cmp_eq_u16_e32 vcc, vcc_lo, v14
	s_mov_b64 s[66:67], -1
                                        ; implicit-def: $sgpr70
	s_and_saveexec_b64 s[60:61], vcc
; %bb.3483:                             ;   in Loop: Header=BB14_17 Depth=1
	s_mov_b32 s70, 0x7f800001
	s_xor_b64 s[66:67], exec, -1
; %bb.3484:                             ;   in Loop: Header=BB14_17 Depth=1
	s_or_b64 exec, exec, s[60:61]
	s_and_b64 s[66:67], s[66:67], exec
	s_or_saveexec_b64 s[68:69], s[68:69]
	v_mov_b32_e32 v66, s70
	s_xor_b64 exec, exec, s[68:69]
	s_cbranch_execz .LBB14_2708
.LBB14_3485:                            ;   in Loop: Header=BB14_17 Depth=1
	v_cmp_ne_u16_e32 vcc, 0, v14
	s_andn2_b64 s[60:61], s[66:67], exec
	s_and_b64 vcc, vcc, exec
	v_mov_b32_e32 v66, 0
	s_or_b64 s[66:67], s[60:61], vcc
	s_or_b64 exec, exec, s[68:69]
	s_and_saveexec_b64 s[68:69], s[66:67]
	s_cbranch_execnz .LBB14_2709
	s_branch .LBB14_2710
.LBB14_3486:                            ;   in Loop: Header=BB14_17 Depth=1
	v_cmp_gt_i16_sdwa vcc, v8, v19 src0_sel:BYTE_0 src1_sel:DWORD
                                        ; implicit-def: $sgpr66_sgpr67
                                        ; implicit-def: $sgpr86_sgpr87
                                        ; implicit-def: $vgpr65
	s_and_saveexec_b64 s[60:61], vcc
	s_xor_b64 s[60:61], exec, s[60:61]
	v_writelane_b32 v44, s62, 48
	v_writelane_b32 v44, s63, 49
	s_cbranch_execz .LBB14_3518
; %bb.3487:                             ;   in Loop: Header=BB14_17 Depth=1
	v_writelane_b32 v44, s60, 50
	v_cmp_gt_i16_sdwa vcc, v8, v20 src0_sel:BYTE_0 src1_sel:DWORD
	v_writelane_b32 v44, s61, 51
                                        ; implicit-def: $sgpr72_sgpr73
                                        ; implicit-def: $sgpr86_sgpr87
                                        ; implicit-def: $vgpr65
	s_and_saveexec_b64 s[60:61], vcc
	s_xor_b64 s[80:81], exec, s[60:61]
	s_cbranch_execz .LBB14_3503
; %bb.3488:                             ;   in Loop: Header=BB14_17 Depth=1
	v_cmp_gt_i16_sdwa s[60:61], v8, v21 src0_sel:BYTE_0 src1_sel:DWORD
	s_mov_b64 s[74:75], 0
                                        ; implicit-def: $vcc
                                        ; implicit-def: $sgpr86_sgpr87
                                        ; implicit-def: $vgpr65
	s_and_saveexec_b64 s[62:63], s[60:61]
	s_xor_b64 s[72:73], exec, s[62:63]
	s_cbranch_execz .LBB14_3498
; %bb.3489:                             ;   in Loop: Header=BB14_17 Depth=1
	v_cmp_gt_i16_sdwa vcc, v8, v22 src0_sel:BYTE_0 src1_sel:DWORD
                                        ; implicit-def: $sgpr86_sgpr87
                                        ; implicit-def: $sgpr74_sgpr75
                                        ; implicit-def: $vgpr65
	s_and_saveexec_b64 s[60:61], vcc
	s_xor_b64 vcc, exec, s[60:61]
	s_cbranch_execz .LBB14_3493
; %bb.3490:                             ;   in Loop: Header=BB14_17 Depth=1
	v_cmp_eq_u16_sdwa s[62:63], v8, v23 src0_sel:BYTE_0 src1_sel:DWORD
	s_mov_b64 s[74:75], 0
	s_mov_b64 s[66:67], 0
                                        ; implicit-def: $vgpr65
	s_and_saveexec_b64 s[60:61], s[62:63]
	s_cbranch_execz .LBB14_3492
; %bb.3491:                             ;   in Loop: Header=BB14_17 Depth=1
	flat_load_dword v14, v[14:15]
	s_mov_b64 s[66:67], exec
	s_waitcnt vmcnt(0) lgkmcnt(0)
	v_lshlrev_b32_e32 v65, 16, v14
.LBB14_3492:                            ;   in Loop: Header=BB14_17 Depth=1
	s_or_b64 exec, exec, s[60:61]
	s_mov_b64 s[86:87], -1
	s_and_b64 s[78:79], s[66:67], exec
                                        ; implicit-def: $vgpr14_vgpr15
.LBB14_3493:                            ;   in Loop: Header=BB14_17 Depth=1
	s_andn2_saveexec_b64 s[66:67], vcc
	s_cbranch_execz .LBB14_3497
; %bb.3494:                             ;   in Loop: Header=BB14_17 Depth=1
	v_cmp_eq_u16_sdwa s[60:61], v8, v24 src0_sel:BYTE_0 src1_sel:DWORD
	s_mov_b64 vcc, s[78:79]
                                        ; implicit-def: $vgpr65
	s_and_saveexec_b64 s[68:69], s[60:61]
	s_cbranch_execz .LBB14_3496
; %bb.3495:                             ;   in Loop: Header=BB14_17 Depth=1
	flat_load_ubyte v14, v[14:15]
	s_movk_i32 vcc_lo, 0xff
	s_waitcnt vmcnt(0) lgkmcnt(0)
	v_lshlrev_b32_e32 v15, 23, v14
	v_cmp_ne_u32_e32 vcc, vcc_lo, v14
	v_cndmask_b32_e32 v15, v25, v15, vcc
	v_cmp_ne_u32_e32 vcc, 0, v14
	v_cndmask_b32_e32 v65, v26, v15, vcc
	s_or_b64 vcc, s[78:79], exec
.LBB14_3496:                            ;   in Loop: Header=BB14_17 Depth=1
	s_or_b64 exec, exec, s[68:69]
	s_andn2_b64 s[60:61], s[78:79], exec
	s_and_b64 vcc, vcc, exec
	s_or_b64 s[86:87], s[86:87], exec
	s_andn2_b64 s[74:75], s[74:75], exec
	s_or_b64 s[78:79], s[60:61], vcc
.LBB14_3497:                            ;   in Loop: Header=BB14_17 Depth=1
	s_or_b64 exec, exec, s[66:67]
	s_and_b64 s[86:87], s[86:87], exec
	s_and_b64 vcc, s[74:75], exec
	s_and_b64 s[74:75], s[78:79], exec
                                        ; implicit-def: $vgpr14_vgpr15
.LBB14_3498:                            ;   in Loop: Header=BB14_17 Depth=1
	s_andn2_saveexec_b64 s[66:67], s[72:73]
	s_cbranch_execz .LBB14_3502
; %bb.3499:                             ;   in Loop: Header=BB14_17 Depth=1
	v_cmp_eq_u16_sdwa s[60:61], v8, v27 src0_sel:BYTE_0 src1_sel:DWORD
	s_mov_b64 s[70:71], s[74:75]
                                        ; implicit-def: $vgpr65
	s_and_saveexec_b64 s[68:69], s[60:61]
	s_cbranch_execz .LBB14_3501
; %bb.3500:                             ;   in Loop: Header=BB14_17 Depth=1
	flat_load_dwordx2 v[14:15], v[14:15]
	s_or_b64 s[70:71], s[74:75], exec
	s_waitcnt vmcnt(0) lgkmcnt(0)
	v_ffbh_u32_e32 v65, v15
	v_min_u32_e32 v65, 32, v65
	v_lshlrev_b64 v[14:15], v65, v[14:15]
	v_min_u32_e32 v14, 1, v14
	v_or_b32_e32 v14, v15, v14
	v_cvt_f32_u32_e32 v14, v14
	v_sub_u32_e32 v15, 32, v65
	v_ldexp_f32 v65, v14, v15
.LBB14_3501:                            ;   in Loop: Header=BB14_17 Depth=1
	s_or_b64 exec, exec, s[68:69]
	s_andn2_b64 s[60:61], s[74:75], exec
	s_and_b64 s[62:63], s[70:71], exec
	s_or_b64 s[86:87], s[86:87], exec
	s_andn2_b64 vcc, vcc, exec
	s_or_b64 s[74:75], s[60:61], s[62:63]
.LBB14_3502:                            ;   in Loop: Header=BB14_17 Depth=1
	s_or_b64 exec, exec, s[66:67]
	s_and_b64 s[86:87], s[86:87], exec
	s_and_b64 s[72:73], vcc, exec
	s_and_b64 s[78:79], s[74:75], exec
                                        ; implicit-def: $vgpr14_vgpr15
.LBB14_3503:                            ;   in Loop: Header=BB14_17 Depth=1
	s_andn2_saveexec_b64 s[80:81], s[80:81]
	s_cbranch_execz .LBB14_3517
; %bb.3504:                             ;   in Loop: Header=BB14_17 Depth=1
	v_cmp_gt_i16_sdwa vcc, v8, v28 src0_sel:BYTE_0 src1_sel:DWORD
                                        ; implicit-def: $vgpr65
	s_and_saveexec_b64 s[60:61], vcc
	s_xor_b64 vcc, exec, s[60:61]
	s_cbranch_execz .LBB14_3510
; %bb.3505:                             ;   in Loop: Header=BB14_17 Depth=1
	v_cmp_gt_i16_sdwa s[60:61], v8, v29 src0_sel:BYTE_0 src1_sel:DWORD
                                        ; implicit-def: $vgpr65
	s_and_saveexec_b64 s[62:63], s[60:61]
	s_xor_b64 s[60:61], exec, s[62:63]
	s_cbranch_execz .LBB14_3507
; %bb.3506:                             ;   in Loop: Header=BB14_17 Depth=1
	flat_load_dword v14, v[14:15]
	s_waitcnt vmcnt(0) lgkmcnt(0)
	v_cvt_f32_u32_e32 v65, v14
                                        ; implicit-def: $vgpr14_vgpr15
.LBB14_3507:                            ;   in Loop: Header=BB14_17 Depth=1
	s_andn2_saveexec_b64 s[60:61], s[60:61]
	s_cbranch_execz .LBB14_3509
; %bb.3508:                             ;   in Loop: Header=BB14_17 Depth=1
	flat_load_ushort v14, v[14:15]
	s_waitcnt vmcnt(0) lgkmcnt(0)
	v_cvt_f32_u32_e32 v65, v14
.LBB14_3509:                            ;   in Loop: Header=BB14_17 Depth=1
	s_or_b64 exec, exec, s[60:61]
                                        ; implicit-def: $vgpr14_vgpr15
.LBB14_3510:                            ;   in Loop: Header=BB14_17 Depth=1
	s_andn2_saveexec_b64 s[74:75], vcc
	s_cbranch_execz .LBB14_3516
; %bb.3511:                             ;   in Loop: Header=BB14_17 Depth=1
	flat_load_ubyte v14, v[14:15]
	s_movk_i32 vcc_lo, 0x7f
	s_mov_b64 s[66:67], 0
                                        ; implicit-def: $sgpr70
	s_waitcnt vmcnt(0) lgkmcnt(0)
	v_cmp_lt_i16_e32 vcc, vcc_lo, v14
	s_and_saveexec_b64 s[60:61], vcc
	s_xor_b64 s[68:69], exec, s[60:61]
	s_cbranch_execnz .LBB14_3642
; %bb.3512:                             ;   in Loop: Header=BB14_17 Depth=1
	s_or_saveexec_b64 s[68:69], s[68:69]
	v_mov_b32_e32 v65, s70
	s_xor_b64 exec, exec, s[68:69]
	s_cbranch_execnz .LBB14_3645
.LBB14_3513:                            ;   in Loop: Header=BB14_17 Depth=1
	s_or_b64 exec, exec, s[68:69]
	s_and_saveexec_b64 s[68:69], s[66:67]
	s_cbranch_execz .LBB14_3515
.LBB14_3514:                            ;   in Loop: Header=BB14_17 Depth=1
	v_lshlrev_b32_e32 v15, 24, v14
	v_and_b32_e32 v14, 0xffff, v14
	v_and_b32_e32 v65, 7, v14
	v_ffbh_u32_e32 v67, v65
	v_min_u32_e32 v67, 32, v67
	v_subrev_u32_e32 v68, 28, v67
	v_bfe_u32 v66, v14, 3, 4
	v_lshlrev_b32_e32 v14, v68, v14
	v_sub_u32_e32 v67, 29, v67
	v_and_b32_e32 v14, 7, v14
	v_cmp_eq_u32_e32 vcc, 0, v66
	v_cndmask_b32_e32 v66, v66, v67, vcc
	v_cndmask_b32_e32 v14, v65, v14, vcc
	v_lshlrev_b32_e32 v14, 20, v14
	v_and_b32_e32 v15, 0x80000000, v15
	v_lshl_add_u32 v65, v66, 23, v30
	v_or3_b32 v65, v15, v65, v14
.LBB14_3515:                            ;   in Loop: Header=BB14_17 Depth=1
	s_or_b64 exec, exec, s[68:69]
.LBB14_3516:                            ;   in Loop: Header=BB14_17 Depth=1
	s_or_b64 exec, exec, s[74:75]
	s_andn2_b64 s[86:87], s[86:87], exec
	s_andn2_b64 s[72:73], s[72:73], exec
	s_or_b64 s[78:79], s[78:79], exec
.LBB14_3517:                            ;   in Loop: Header=BB14_17 Depth=1
	s_or_b64 exec, exec, s[80:81]
	v_readlane_b32 s62, v44, 48
	v_readlane_b32 s60, v44, 50
	s_and_b64 s[86:87], s[86:87], exec
	s_and_b64 s[66:67], s[72:73], exec
	;; [unrolled: 1-line block ×3, first 2 shown]
	v_readlane_b32 s63, v44, 49
	v_readlane_b32 s61, v44, 51
                                        ; implicit-def: $vgpr14_vgpr15
.LBB14_3518:                            ;   in Loop: Header=BB14_17 Depth=1
	s_andn2_saveexec_b64 s[80:81], s[60:61]
	s_cbranch_execz .LBB14_3544
; %bb.3519:                             ;   in Loop: Header=BB14_17 Depth=1
	v_writelane_b32 v44, s66, 52
	v_writelane_b32 v44, s67, 53
	v_writelane_b32 v44, s76, 54
	v_cmp_gt_i16_sdwa vcc, v8, v31 src0_sel:BYTE_0 src1_sel:DWORD
	s_mov_b64 s[74:75], s[78:79]
	v_writelane_b32 v44, s77, 55
                                        ; implicit-def: $vgpr65
	s_and_saveexec_b64 s[60:61], vcc
	s_xor_b64 s[72:73], exec, s[60:61]
	s_cbranch_execz .LBB14_3533
; %bb.3520:                             ;   in Loop: Header=BB14_17 Depth=1
	v_cmp_gt_i16_sdwa vcc, v8, v32 src0_sel:BYTE_0 src1_sel:DWORD
                                        ; implicit-def: $vgpr65
	s_and_saveexec_b64 s[60:61], vcc
	s_xor_b64 s[62:63], exec, s[60:61]
	s_cbranch_execz .LBB14_3530
; %bb.3521:                             ;   in Loop: Header=BB14_17 Depth=1
	v_cmp_gt_i16_sdwa vcc, v8, v33 src0_sel:BYTE_0 src1_sel:DWORD
                                        ; implicit-def: $vgpr65
	s_and_saveexec_b64 s[60:61], vcc
	s_xor_b64 s[74:75], exec, s[60:61]
	s_cbranch_execz .LBB14_3527
; %bb.3522:                             ;   in Loop: Header=BB14_17 Depth=1
	flat_load_ubyte v14, v[14:15]
	s_movk_i32 vcc_lo, 0x7f
	s_mov_b64 s[66:67], 0
                                        ; implicit-def: $sgpr70
	s_waitcnt vmcnt(0) lgkmcnt(0)
	v_cmp_lt_i16_e32 vcc, vcc_lo, v14
	s_and_saveexec_b64 s[60:61], vcc
	s_xor_b64 s[68:69], exec, s[60:61]
	s_cbranch_execnz .LBB14_3646
; %bb.3523:                             ;   in Loop: Header=BB14_17 Depth=1
	s_or_saveexec_b64 s[68:69], s[68:69]
	v_mov_b32_e32 v65, s70
	s_xor_b64 exec, exec, s[68:69]
	s_cbranch_execnz .LBB14_3649
.LBB14_3524:                            ;   in Loop: Header=BB14_17 Depth=1
	s_or_b64 exec, exec, s[68:69]
	s_and_saveexec_b64 s[68:69], s[66:67]
	s_cbranch_execz .LBB14_3526
.LBB14_3525:                            ;   in Loop: Header=BB14_17 Depth=1
	v_lshlrev_b32_e32 v15, 24, v14
	v_and_b32_e32 v14, 0xffff, v14
	v_and_b32_e32 v65, 3, v14
	v_ffbh_u32_e32 v67, v65
	v_min_u32_e32 v67, 32, v67
	v_subrev_u32_e32 v68, 29, v67
	v_bfe_u32 v66, v14, 2, 5
	v_lshlrev_b32_e32 v14, v68, v14
	v_sub_u32_e32 v67, 30, v67
	v_and_b32_e32 v14, 3, v14
	v_cmp_eq_u32_e32 vcc, 0, v66
	v_cndmask_b32_e32 v66, v66, v67, vcc
	v_cndmask_b32_e32 v14, v65, v14, vcc
	v_lshlrev_b32_e32 v14, 21, v14
	v_and_b32_e32 v15, 0x80000000, v15
	v_lshl_add_u32 v65, v66, 23, v34
	v_or3_b32 v65, v15, v65, v14
.LBB14_3526:                            ;   in Loop: Header=BB14_17 Depth=1
	s_or_b64 exec, exec, s[68:69]
                                        ; implicit-def: $vgpr14_vgpr15
.LBB14_3527:                            ;   in Loop: Header=BB14_17 Depth=1
	s_andn2_saveexec_b64 s[66:67], s[74:75]
	s_cbranch_execz .LBB14_3529
; %bb.3528:                             ;   in Loop: Header=BB14_17 Depth=1
	flat_load_ubyte v14, v[14:15]
	s_mov_b32 vcc_lo, 0x7f800000
	s_waitcnt vmcnt(0) lgkmcnt(0)
	v_lshlrev_b32_e32 v14, 24, v14
	v_and_b32_e32 v15, 0x7f000000, v14
	v_ffbh_u32_e32 v65, v15
	v_min_u32_e32 v65, 32, v65
	v_sub_u32_e64 v65, v65, 4 clamp
	v_lshlrev_b32_e32 v67, v65, v15
	v_lshlrev_b32_e32 v65, 23, v65
	v_lshrrev_b32_e32 v67, 4, v67
	v_add_u32_e32 v66, 0x1000000, v15
	v_sub_u32_e32 v65, v67, v65
	v_ashrrev_i32_e32 v66, 8, v66
	v_add_u32_e32 v65, 0x3c000000, v65
	v_and_or_b32 v65, v66, vcc_lo, v65
	v_cmp_ne_u32_e32 vcc, 0, v15
	v_cndmask_b32_e32 v15, 0, v65, vcc
	s_brev_b32 vcc_lo, 1
	v_and_or_b32 v65, v14, vcc_lo, v15
.LBB14_3529:                            ;   in Loop: Header=BB14_17 Depth=1
	s_or_b64 exec, exec, s[66:67]
                                        ; implicit-def: $vgpr14_vgpr15
.LBB14_3530:                            ;   in Loop: Header=BB14_17 Depth=1
	s_andn2_saveexec_b64 s[66:67], s[62:63]
	s_cbranch_execz .LBB14_3532
; %bb.3531:                             ;   in Loop: Header=BB14_17 Depth=1
	flat_load_ubyte v14, v[14:15]
	s_movk_i32 vcc_lo, 0x7f00
	s_waitcnt vmcnt(0) lgkmcnt(0)
	v_lshlrev_b16_e32 v15, 8, v14
	v_lshlrev_b32_e32 v14, 25, v14
	v_lshrrev_b32_e32 v65, 4, v14
	v_and_or_b32 v66, v15, vcc_lo, 0.5
	v_or_b32_e32 v65, 0x70000000, v65
	s_brev_b32 vcc_lo, 16
	v_add_f32_e32 v66, -0.5, v66
	v_mul_f32_e32 v65, 0x7800000, v65
	v_cmp_gt_u32_e32 vcc, vcc_lo, v14
	v_cndmask_b32_e32 v14, v65, v66, vcc
	v_bfe_i32 v15, v15, 0, 16
	s_brev_b32 vcc_lo, 1
	v_and_or_b32 v65, v15, vcc_lo, v14
.LBB14_3532:                            ;   in Loop: Header=BB14_17 Depth=1
	s_or_b64 exec, exec, s[66:67]
	s_or_b64 s[74:75], s[78:79], exec
                                        ; implicit-def: $vgpr14_vgpr15
.LBB14_3533:                            ;   in Loop: Header=BB14_17 Depth=1
	s_or_saveexec_b64 s[72:73], s[72:73]
                                        ; implicit-def: $vcc
                                        ; implicit-def: $sgpr68_sgpr69
	s_xor_b64 exec, exec, s[72:73]
	s_cbranch_execz .LBB14_3543
; %bb.3534:                             ;   in Loop: Header=BB14_17 Depth=1
	v_cmp_gt_i16_sdwa vcc, v8, v35 src0_sel:BYTE_0 src1_sel:DWORD
	s_mov_b64 s[66:67], s[74:75]
                                        ; implicit-def: $sgpr68_sgpr69
                                        ; implicit-def: $sgpr76_sgpr77
                                        ; implicit-def: $vgpr65
	s_and_saveexec_b64 s[60:61], vcc
	s_xor_b64 vcc, exec, s[60:61]
	s_cbranch_execz .LBB14_3538
; %bb.3535:                             ;   in Loop: Header=BB14_17 Depth=1
	v_cmp_eq_u16_sdwa s[62:63], v8, v36 src0_sel:BYTE_0 src1_sel:DWORD
	s_mov_b64 s[66:67], s[74:75]
                                        ; implicit-def: $vgpr65
	s_and_saveexec_b64 s[60:61], s[62:63]
	s_cbranch_execz .LBB14_3537
; %bb.3536:                             ;   in Loop: Header=BB14_17 Depth=1
	flat_load_ushort v14, v[14:15]
	s_or_b64 s[66:67], s[74:75], exec
	s_waitcnt vmcnt(0) lgkmcnt(0)
	v_lshlrev_b32_e32 v65, 16, v14
.LBB14_3537:                            ;   in Loop: Header=BB14_17 Depth=1
	s_or_b64 exec, exec, s[60:61]
	s_andn2_b64 s[60:61], s[74:75], exec
	s_and_b64 s[62:63], s[66:67], exec
	s_mov_b64 s[76:77], 0
	s_mov_b64 s[68:69], -1
	s_or_b64 s[66:67], s[60:61], s[62:63]
                                        ; implicit-def: $vgpr14_vgpr15
.LBB14_3538:                            ;   in Loop: Header=BB14_17 Depth=1
	s_andn2_saveexec_b64 s[70:71], vcc
	s_cbranch_execz .LBB14_3542
; %bb.3539:                             ;   in Loop: Header=BB14_17 Depth=1
	v_cmp_eq_u16_sdwa s[62:63], v8, v37 src0_sel:BYTE_0 src1_sel:DWORD
	s_mov_b64 vcc, s[66:67]
                                        ; implicit-def: $vgpr65
	s_and_saveexec_b64 s[60:61], s[62:63]
	s_cbranch_execz .LBB14_3541
; %bb.3540:                             ;   in Loop: Header=BB14_17 Depth=1
	flat_load_ubyte v14, v[14:15]
	s_waitcnt vmcnt(0) lgkmcnt(0)
	v_cmp_ne_u16_e32 vcc, 0, v14
	v_cndmask_b32_e64 v65, 0, 1.0, vcc
	s_or_b64 vcc, s[66:67], exec
.LBB14_3541:                            ;   in Loop: Header=BB14_17 Depth=1
	s_or_b64 exec, exec, s[60:61]
	s_andn2_b64 s[60:61], s[66:67], exec
	s_and_b64 vcc, vcc, exec
	s_or_b64 s[68:69], s[68:69], exec
	s_andn2_b64 s[76:77], s[76:77], exec
	s_or_b64 s[66:67], s[60:61], vcc
.LBB14_3542:                            ;   in Loop: Header=BB14_17 Depth=1
	s_or_b64 exec, exec, s[70:71]
	s_andn2_b64 s[60:61], s[74:75], exec
	s_and_b64 s[62:63], s[66:67], exec
	s_and_b64 s[68:69], s[68:69], exec
	s_and_b64 vcc, s[76:77], exec
	s_or_b64 s[74:75], s[60:61], s[62:63]
.LBB14_3543:                            ;   in Loop: Header=BB14_17 Depth=1
	s_or_b64 exec, exec, s[72:73]
	s_andn2_b64 s[60:61], s[86:87], exec
	s_and_b64 s[62:63], s[68:69], exec
	s_or_b64 s[86:87], s[60:61], s[62:63]
	v_readlane_b32 s60, v44, 52
	v_readlane_b32 s61, v44, 53
	s_andn2_b64 s[60:61], s[60:61], exec
	s_and_b64 vcc, vcc, exec
	s_or_b64 s[66:67], s[60:61], vcc
	s_andn2_b64 vcc, s[78:79], exec
	s_and_b64 s[60:61], s[74:75], exec
	v_readlane_b32 s76, v44, 54
	v_readlane_b32 s62, v44, 48
	s_or_b64 s[78:79], vcc, s[60:61]
	v_readlane_b32 s77, v44, 55
	v_readlane_b32 s63, v44, 49
.LBB14_3544:                            ;   in Loop: Header=BB14_17 Depth=1
	s_or_b64 exec, exec, s[80:81]
	s_and_b64 s[86:87], s[86:87], exec
	s_and_b64 vcc, s[66:67], exec
	s_and_b64 s[78:79], s[78:79], exec
                                        ; implicit-def: $vgpr14_vgpr15
	s_andn2_saveexec_b64 s[80:81], s[62:63]
	s_cbranch_execz .LBB14_3464
.LBB14_3545:                            ;   in Loop: Header=BB14_17 Depth=1
	v_cmp_gt_i16_sdwa s[60:61], v8, v38 src0_sel:BYTE_0 src1_sel:DWORD
                                        ; implicit-def: $vgpr65
	s_and_saveexec_b64 s[62:63], s[60:61]
	s_xor_b64 s[72:73], exec, s[62:63]
	s_cbranch_execz .LBB14_3567
; %bb.3546:                             ;   in Loop: Header=BB14_17 Depth=1
	v_cmp_gt_i16_sdwa s[60:61], v8, v39 src0_sel:BYTE_0 src1_sel:DWORD
                                        ; implicit-def: $vgpr65
	s_and_saveexec_b64 s[62:63], s[60:61]
	s_xor_b64 s[66:67], exec, s[62:63]
	s_cbranch_execz .LBB14_3556
; %bb.3547:                             ;   in Loop: Header=BB14_17 Depth=1
	;; [unrolled: 6-line block ×4, first 2 shown]
	flat_load_dwordx2 v[14:15], v[14:15]
	s_waitcnt vmcnt(0) lgkmcnt(0)
	v_cvt_f32_f64_e32 v65, v[14:15]
                                        ; implicit-def: $vgpr14_vgpr15
.LBB14_3550:                            ;   in Loop: Header=BB14_17 Depth=1
	s_andn2_saveexec_b64 s[60:61], s[60:61]
	s_cbranch_execz .LBB14_3552
; %bb.3551:                             ;   in Loop: Header=BB14_17 Depth=1
	flat_load_dword v65, v[14:15]
.LBB14_3552:                            ;   in Loop: Header=BB14_17 Depth=1
	s_or_b64 exec, exec, s[60:61]
                                        ; implicit-def: $vgpr14_vgpr15
.LBB14_3553:                            ;   in Loop: Header=BB14_17 Depth=1
	s_andn2_saveexec_b64 s[60:61], s[68:69]
	s_cbranch_execz .LBB14_3555
; %bb.3554:                             ;   in Loop: Header=BB14_17 Depth=1
	flat_load_dword v14, v[14:15]
	s_waitcnt vmcnt(0) lgkmcnt(0)
	v_cvt_f32_f16_e32 v65, v14
.LBB14_3555:                            ;   in Loop: Header=BB14_17 Depth=1
	s_or_b64 exec, exec, s[60:61]
                                        ; implicit-def: $vgpr14_vgpr15
.LBB14_3556:                            ;   in Loop: Header=BB14_17 Depth=1
	s_andn2_saveexec_b64 s[66:67], s[66:67]
	s_cbranch_execz .LBB14_3566
; %bb.3557:                             ;   in Loop: Header=BB14_17 Depth=1
	v_cmp_gt_i16_sdwa s[60:61], v8, v50 src0_sel:BYTE_0 src1_sel:DWORD
                                        ; implicit-def: $vgpr65
	s_and_saveexec_b64 s[62:63], s[60:61]
	s_xor_b64 s[68:69], exec, s[62:63]
	s_cbranch_execz .LBB14_3563
; %bb.3558:                             ;   in Loop: Header=BB14_17 Depth=1
	v_cmp_gt_i16_sdwa s[60:61], v8, v51 src0_sel:BYTE_0 src1_sel:DWORD
                                        ; implicit-def: $vgpr65
	s_and_saveexec_b64 s[62:63], s[60:61]
	s_xor_b64 s[60:61], exec, s[62:63]
	s_cbranch_execz .LBB14_3560
; %bb.3559:                             ;   in Loop: Header=BB14_17 Depth=1
	flat_load_dwordx2 v[14:15], v[14:15]
	s_waitcnt vmcnt(0) lgkmcnt(0)
	v_cvt_f32_f64_e32 v65, v[14:15]
                                        ; implicit-def: $vgpr14_vgpr15
.LBB14_3560:                            ;   in Loop: Header=BB14_17 Depth=1
	s_andn2_saveexec_b64 s[60:61], s[60:61]
	s_cbranch_execz .LBB14_3562
; %bb.3561:                             ;   in Loop: Header=BB14_17 Depth=1
	s_waitcnt vmcnt(0) lgkmcnt(0)
	flat_load_dword v65, v[14:15]
.LBB14_3562:                            ;   in Loop: Header=BB14_17 Depth=1
	s_or_b64 exec, exec, s[60:61]
                                        ; implicit-def: $vgpr14_vgpr15
.LBB14_3563:                            ;   in Loop: Header=BB14_17 Depth=1
	s_andn2_saveexec_b64 s[60:61], s[68:69]
	s_cbranch_execz .LBB14_3565
; %bb.3564:                             ;   in Loop: Header=BB14_17 Depth=1
	flat_load_ushort v14, v[14:15]
	s_waitcnt vmcnt(0) lgkmcnt(0)
	v_cvt_f32_f16_e32 v65, v14
.LBB14_3565:                            ;   in Loop: Header=BB14_17 Depth=1
	s_or_b64 exec, exec, s[60:61]
.LBB14_3566:                            ;   in Loop: Header=BB14_17 Depth=1
	s_or_b64 exec, exec, s[66:67]
                                        ; implicit-def: $vgpr14_vgpr15
.LBB14_3567:                            ;   in Loop: Header=BB14_17 Depth=1
	s_andn2_saveexec_b64 s[72:73], s[72:73]
	s_cbranch_execz .LBB14_3585
; %bb.3568:                             ;   in Loop: Header=BB14_17 Depth=1
	v_cmp_gt_i16_sdwa s[60:61], v8, v52 src0_sel:BYTE_0 src1_sel:DWORD
                                        ; implicit-def: $vgpr65
	s_and_saveexec_b64 s[62:63], s[60:61]
	s_xor_b64 s[74:75], exec, s[62:63]
	s_cbranch_execz .LBB14_3578
; %bb.3569:                             ;   in Loop: Header=BB14_17 Depth=1
	v_cmp_gt_i16_sdwa s[60:61], v8, v53 src0_sel:BYTE_0 src1_sel:DWORD
                                        ; implicit-def: $vgpr65
	s_and_saveexec_b64 s[62:63], s[60:61]
	s_xor_b64 s[66:67], exec, s[62:63]
	;; [unrolled: 6-line block ×3, first 2 shown]
	s_cbranch_execz .LBB14_3572
; %bb.3571:                             ;   in Loop: Header=BB14_17 Depth=1
	flat_load_dwordx2 v[14:15], v[14:15]
	s_waitcnt vmcnt(0) lgkmcnt(0)
	v_xor_b32_e32 v66, v14, v15
	v_ffbh_i32_e32 v65, v15
	v_ashrrev_i32_e32 v66, 31, v66
	v_add_u32_e32 v65, -1, v65
	v_add_u32_e32 v66, 32, v66
	v_min_u32_e32 v65, v65, v66
	v_lshlrev_b64 v[14:15], v65, v[14:15]
	v_min_u32_e32 v14, 1, v14
	v_or_b32_e32 v14, v15, v14
	v_cvt_f32_i32_e32 v14, v14
	v_sub_u32_e32 v15, 32, v65
	v_ldexp_f32 v65, v14, v15
                                        ; implicit-def: $vgpr14_vgpr15
.LBB14_3572:                            ;   in Loop: Header=BB14_17 Depth=1
	s_andn2_saveexec_b64 s[60:61], s[68:69]
	s_cbranch_execz .LBB14_3574
; %bb.3573:                             ;   in Loop: Header=BB14_17 Depth=1
	flat_load_dword v14, v[14:15]
	s_waitcnt vmcnt(0) lgkmcnt(0)
	v_cvt_f32_i32_e32 v65, v14
.LBB14_3574:                            ;   in Loop: Header=BB14_17 Depth=1
	s_or_b64 exec, exec, s[60:61]
                                        ; implicit-def: $vgpr14_vgpr15
.LBB14_3575:                            ;   in Loop: Header=BB14_17 Depth=1
	s_andn2_saveexec_b64 s[60:61], s[66:67]
	s_cbranch_execz .LBB14_3577
; %bb.3576:                             ;   in Loop: Header=BB14_17 Depth=1
	flat_load_sshort v14, v[14:15]
	s_waitcnt vmcnt(0) lgkmcnt(0)
	v_cvt_f32_i32_e32 v65, v14
.LBB14_3577:                            ;   in Loop: Header=BB14_17 Depth=1
	s_or_b64 exec, exec, s[60:61]
                                        ; implicit-def: $vgpr14_vgpr15
.LBB14_3578:                            ;   in Loop: Header=BB14_17 Depth=1
	s_andn2_saveexec_b64 s[66:67], s[74:75]
	s_cbranch_execz .LBB14_3584
; %bb.3579:                             ;   in Loop: Header=BB14_17 Depth=1
	v_cmp_gt_i16_sdwa s[60:61], v8, v16 src0_sel:BYTE_0 src1_sel:DWORD
                                        ; implicit-def: $vgpr65
	s_and_saveexec_b64 s[62:63], s[60:61]
	s_xor_b64 s[60:61], exec, s[62:63]
	s_cbranch_execz .LBB14_3581
; %bb.3580:                             ;   in Loop: Header=BB14_17 Depth=1
	flat_load_sbyte v14, v[14:15]
	s_waitcnt vmcnt(0) lgkmcnt(0)
	v_cvt_f32_i32_e32 v65, v14
                                        ; implicit-def: $vgpr14_vgpr15
.LBB14_3581:                            ;   in Loop: Header=BB14_17 Depth=1
	s_andn2_saveexec_b64 s[60:61], s[60:61]
	s_cbranch_execz .LBB14_3583
; %bb.3582:                             ;   in Loop: Header=BB14_17 Depth=1
	flat_load_ubyte v14, v[14:15]
	s_waitcnt vmcnt(0) lgkmcnt(0)
	v_cvt_f32_ubyte0_e32 v65, v14
.LBB14_3583:                            ;   in Loop: Header=BB14_17 Depth=1
	s_or_b64 exec, exec, s[60:61]
.LBB14_3584:                            ;   in Loop: Header=BB14_17 Depth=1
	s_or_b64 exec, exec, s[66:67]
.LBB14_3585:                            ;   in Loop: Header=BB14_17 Depth=1
	s_or_b64 exec, exec, s[72:73]
	s_andn2_b64 s[86:87], s[86:87], exec
	s_andn2_b64 vcc, vcc, exec
	s_or_b64 s[78:79], s[78:79], exec
	s_or_b64 exec, exec, s[80:81]
	s_mov_b64 s[66:67], 0
	s_and_saveexec_b64 s[68:69], s[78:79]
	s_cbranch_execnz .LBB14_3465
	s_branch .LBB14_3466
.LBB14_3586:                            ;   in Loop: Header=BB14_17 Depth=1
	s_movk_i32 vcc_lo, 0x80
	v_cmp_eq_u16_e32 vcc, vcc_lo, v14
	s_mov_b64 s[66:67], -1
                                        ; implicit-def: $sgpr70
	s_and_saveexec_b64 s[60:61], vcc
; %bb.3587:                             ;   in Loop: Header=BB14_17 Depth=1
	s_mov_b32 s70, 0x7f800001
	s_xor_b64 s[66:67], exec, -1
; %bb.3588:                             ;   in Loop: Header=BB14_17 Depth=1
	s_or_b64 exec, exec, s[60:61]
	s_and_b64 s[66:67], s[66:67], exec
	s_or_saveexec_b64 s[68:69], s[68:69]
	v_mov_b32_e32 v65, s70
	s_xor_b64 exec, exec, s[68:69]
	s_cbranch_execz .LBB14_2619
.LBB14_3589:                            ;   in Loop: Header=BB14_17 Depth=1
	v_cmp_ne_u16_e32 vcc, 0, v14
	s_andn2_b64 s[60:61], s[66:67], exec
	s_and_b64 vcc, vcc, exec
	v_mov_b32_e32 v65, 0
	s_or_b64 s[66:67], s[60:61], vcc
	s_or_b64 exec, exec, s[68:69]
	s_and_saveexec_b64 s[68:69], s[66:67]
	s_cbranch_execnz .LBB14_2620
	s_branch .LBB14_2621
.LBB14_3590:                            ;   in Loop: Header=BB14_17 Depth=1
	s_movk_i32 vcc_lo, 0x80
	v_cmp_eq_u16_e32 vcc, vcc_lo, v14
	s_mov_b64 s[66:67], -1
                                        ; implicit-def: $sgpr70
	s_and_saveexec_b64 s[60:61], vcc
; %bb.3591:                             ;   in Loop: Header=BB14_17 Depth=1
	s_mov_b32 s70, 0x7f800001
	s_xor_b64 s[66:67], exec, -1
; %bb.3592:                             ;   in Loop: Header=BB14_17 Depth=1
	s_or_b64 exec, exec, s[60:61]
	s_and_b64 s[66:67], s[66:67], exec
	s_or_saveexec_b64 s[68:69], s[68:69]
	v_mov_b32_e32 v66, s70
	s_xor_b64 exec, exec, s[68:69]
	s_cbranch_execz .LBB14_2719
.LBB14_3593:                            ;   in Loop: Header=BB14_17 Depth=1
	v_cmp_ne_u16_e32 vcc, 0, v14
	s_andn2_b64 s[60:61], s[66:67], exec
	s_and_b64 vcc, vcc, exec
	v_mov_b32_e32 v66, 0
	s_or_b64 s[66:67], s[60:61], vcc
	s_or_b64 exec, exec, s[68:69]
	s_and_saveexec_b64 s[68:69], s[66:67]
	s_cbranch_execnz .LBB14_2720
	s_branch .LBB14_2721
.LBB14_3594:                            ;   in Loop: Header=BB14_17 Depth=1
	s_movk_i32 vcc_lo, 0x80
	v_cmp_eq_u16_e32 vcc, vcc_lo, v14
	s_mov_b64 s[66:67], -1
                                        ; implicit-def: $sgpr70
	s_and_saveexec_b64 s[60:61], vcc
; %bb.3595:                             ;   in Loop: Header=BB14_17 Depth=1
	s_mov_b32 s70, 0x7f800001
	s_xor_b64 s[66:67], exec, -1
; %bb.3596:                             ;   in Loop: Header=BB14_17 Depth=1
	s_or_b64 exec, exec, s[60:61]
	s_and_b64 s[66:67], s[66:67], exec
	s_or_saveexec_b64 s[68:69], s[68:69]
	v_mov_b32_e32 v65, s70
	s_xor_b64 exec, exec, s[68:69]
	s_cbranch_execz .LBB14_2809
.LBB14_3597:                            ;   in Loop: Header=BB14_17 Depth=1
	v_cmp_ne_u16_e32 vcc, 0, v14
	s_andn2_b64 s[60:61], s[66:67], exec
	s_and_b64 vcc, vcc, exec
	v_mov_b32_e32 v65, 0
	s_or_b64 s[66:67], s[60:61], vcc
	s_or_b64 exec, exec, s[68:69]
	s_and_saveexec_b64 s[68:69], s[66:67]
	s_cbranch_execnz .LBB14_2810
	s_branch .LBB14_2811
.LBB14_3598:                            ;   in Loop: Header=BB14_17 Depth=1
	s_movk_i32 vcc_lo, 0x80
	v_cmp_eq_u16_e32 vcc, vcc_lo, v14
	s_mov_b64 s[66:67], -1
                                        ; implicit-def: $sgpr70
	s_and_saveexec_b64 s[60:61], vcc
; %bb.3599:                             ;   in Loop: Header=BB14_17 Depth=1
	s_mov_b32 s70, 0x7f800001
	s_xor_b64 s[66:67], exec, -1
; %bb.3600:                             ;   in Loop: Header=BB14_17 Depth=1
	s_or_b64 exec, exec, s[60:61]
	s_and_b64 s[66:67], s[66:67], exec
	s_or_saveexec_b64 s[68:69], s[68:69]
	v_mov_b32_e32 v66, s70
	s_xor_b64 exec, exec, s[68:69]
	s_cbranch_execz .LBB14_2935
.LBB14_3601:                            ;   in Loop: Header=BB14_17 Depth=1
	v_cmp_ne_u16_e32 vcc, 0, v14
	s_andn2_b64 s[60:61], s[66:67], exec
	s_and_b64 vcc, vcc, exec
	v_mov_b32_e32 v66, 0
	s_or_b64 s[66:67], s[60:61], vcc
	s_or_b64 exec, exec, s[68:69]
	s_and_saveexec_b64 s[68:69], s[66:67]
	s_cbranch_execnz .LBB14_2936
	s_branch .LBB14_2937
.LBB14_3602:                            ;   in Loop: Header=BB14_17 Depth=1
	s_movk_i32 vcc_lo, 0x80
	v_cmp_eq_u16_e32 vcc, vcc_lo, v14
	s_mov_b64 s[66:67], -1
                                        ; implicit-def: $sgpr70
	s_and_saveexec_b64 s[60:61], vcc
; %bb.3603:                             ;   in Loop: Header=BB14_17 Depth=1
	s_mov_b32 s70, 0x7f800001
	s_xor_b64 s[66:67], exec, -1
; %bb.3604:                             ;   in Loop: Header=BB14_17 Depth=1
	s_or_b64 exec, exec, s[60:61]
	s_and_b64 s[66:67], s[66:67], exec
	s_or_saveexec_b64 s[68:69], s[68:69]
	v_mov_b32_e32 v65, s70
	s_xor_b64 exec, exec, s[68:69]
	s_cbranch_execz .LBB14_2820
.LBB14_3605:                            ;   in Loop: Header=BB14_17 Depth=1
	v_cmp_ne_u16_e32 vcc, 0, v14
	s_andn2_b64 s[60:61], s[66:67], exec
	s_and_b64 vcc, vcc, exec
	v_mov_b32_e32 v65, 0
	s_or_b64 s[66:67], s[60:61], vcc
	s_or_b64 exec, exec, s[68:69]
	s_and_saveexec_b64 s[68:69], s[66:67]
	s_cbranch_execnz .LBB14_2821
	s_branch .LBB14_2822
.LBB14_3606:                            ;   in Loop: Header=BB14_17 Depth=1
	s_movk_i32 vcc_lo, 0x80
	v_cmp_eq_u16_e32 vcc, vcc_lo, v14
	s_mov_b64 s[66:67], -1
                                        ; implicit-def: $sgpr70
	s_and_saveexec_b64 s[60:61], vcc
; %bb.3607:                             ;   in Loop: Header=BB14_17 Depth=1
	s_mov_b32 s70, 0x7f800001
	s_xor_b64 s[66:67], exec, -1
; %bb.3608:                             ;   in Loop: Header=BB14_17 Depth=1
	s_or_b64 exec, exec, s[60:61]
	s_and_b64 s[66:67], s[66:67], exec
	s_or_saveexec_b64 s[68:69], s[68:69]
	v_mov_b32_e32 v66, s70
	s_xor_b64 exec, exec, s[68:69]
	s_cbranch_execz .LBB14_2946
.LBB14_3609:                            ;   in Loop: Header=BB14_17 Depth=1
	v_cmp_ne_u16_e32 vcc, 0, v14
	s_andn2_b64 s[60:61], s[66:67], exec
	s_and_b64 vcc, vcc, exec
	v_mov_b32_e32 v66, 0
	s_or_b64 s[66:67], s[60:61], vcc
	s_or_b64 exec, exec, s[68:69]
	s_and_saveexec_b64 s[68:69], s[66:67]
	s_cbranch_execnz .LBB14_2947
	s_branch .LBB14_2948
.LBB14_3610:                            ;   in Loop: Header=BB14_17 Depth=1
	s_movk_i32 vcc_lo, 0x80
	v_cmp_eq_u16_e32 vcc, vcc_lo, v14
	s_mov_b64 s[66:67], -1
                                        ; implicit-def: $sgpr70
	s_and_saveexec_b64 s[60:61], vcc
; %bb.3611:                             ;   in Loop: Header=BB14_17 Depth=1
	s_mov_b32 s70, 0x7f800001
	s_xor_b64 s[66:67], exec, -1
; %bb.3612:                             ;   in Loop: Header=BB14_17 Depth=1
	s_or_b64 exec, exec, s[60:61]
	s_and_b64 s[66:67], s[66:67], exec
	s_or_saveexec_b64 s[68:69], s[68:69]
	v_mov_b32_e32 v65, s70
	s_xor_b64 exec, exec, s[68:69]
	s_cbranch_execz .LBB14_3036
.LBB14_3613:                            ;   in Loop: Header=BB14_17 Depth=1
	v_cmp_ne_u16_e32 vcc, 0, v14
	s_andn2_b64 s[60:61], s[66:67], exec
	s_and_b64 vcc, vcc, exec
	v_mov_b32_e32 v65, 0
	s_or_b64 s[66:67], s[60:61], vcc
	s_or_b64 exec, exec, s[68:69]
	s_and_saveexec_b64 s[68:69], s[66:67]
	s_cbranch_execnz .LBB14_3037
	s_branch .LBB14_3038
.LBB14_3614:                            ;   in Loop: Header=BB14_17 Depth=1
	s_movk_i32 vcc_lo, 0x80
	v_cmp_eq_u16_e32 vcc, vcc_lo, v14
	s_mov_b64 s[66:67], -1
                                        ; implicit-def: $sgpr70
	s_and_saveexec_b64 s[60:61], vcc
; %bb.3615:                             ;   in Loop: Header=BB14_17 Depth=1
	s_mov_b32 s70, 0x7f800001
	s_xor_b64 s[66:67], exec, -1
; %bb.3616:                             ;   in Loop: Header=BB14_17 Depth=1
	s_or_b64 exec, exec, s[60:61]
	s_and_b64 s[66:67], s[66:67], exec
	s_or_saveexec_b64 s[68:69], s[68:69]
	v_mov_b32_e32 v66, s70
	s_xor_b64 exec, exec, s[68:69]
	s_cbranch_execz .LBB14_3162
.LBB14_3617:                            ;   in Loop: Header=BB14_17 Depth=1
	v_cmp_ne_u16_e32 vcc, 0, v14
	s_andn2_b64 s[60:61], s[66:67], exec
	s_and_b64 vcc, vcc, exec
	v_mov_b32_e32 v66, 0
	s_or_b64 s[66:67], s[60:61], vcc
	s_or_b64 exec, exec, s[68:69]
	s_and_saveexec_b64 s[68:69], s[66:67]
	s_cbranch_execnz .LBB14_3163
	s_branch .LBB14_3164
.LBB14_3618:                            ;   in Loop: Header=BB14_17 Depth=1
	s_movk_i32 vcc_lo, 0x80
	v_cmp_eq_u16_e32 vcc, vcc_lo, v14
	s_mov_b64 s[66:67], -1
                                        ; implicit-def: $sgpr70
	s_and_saveexec_b64 s[60:61], vcc
; %bb.3619:                             ;   in Loop: Header=BB14_17 Depth=1
	s_mov_b32 s70, 0x7f800001
	s_xor_b64 s[66:67], exec, -1
; %bb.3620:                             ;   in Loop: Header=BB14_17 Depth=1
	s_or_b64 exec, exec, s[60:61]
	s_and_b64 s[66:67], s[66:67], exec
	s_or_saveexec_b64 s[68:69], s[68:69]
	v_mov_b32_e32 v65, s70
	s_xor_b64 exec, exec, s[68:69]
	s_cbranch_execz .LBB14_3047
.LBB14_3621:                            ;   in Loop: Header=BB14_17 Depth=1
	v_cmp_ne_u16_e32 vcc, 0, v14
	s_andn2_b64 s[60:61], s[66:67], exec
	s_and_b64 vcc, vcc, exec
	v_mov_b32_e32 v65, 0
	s_or_b64 s[66:67], s[60:61], vcc
	s_or_b64 exec, exec, s[68:69]
	s_and_saveexec_b64 s[68:69], s[66:67]
	s_cbranch_execnz .LBB14_3048
	s_branch .LBB14_3049
.LBB14_3622:                            ;   in Loop: Header=BB14_17 Depth=1
	s_movk_i32 vcc_lo, 0x80
	v_cmp_eq_u16_e32 vcc, vcc_lo, v14
	s_mov_b64 s[66:67], -1
                                        ; implicit-def: $sgpr70
	s_and_saveexec_b64 s[60:61], vcc
; %bb.3623:                             ;   in Loop: Header=BB14_17 Depth=1
	s_mov_b32 s70, 0x7f800001
	s_xor_b64 s[66:67], exec, -1
; %bb.3624:                             ;   in Loop: Header=BB14_17 Depth=1
	s_or_b64 exec, exec, s[60:61]
	s_and_b64 s[66:67], s[66:67], exec
	s_or_saveexec_b64 s[68:69], s[68:69]
	v_mov_b32_e32 v66, s70
	s_xor_b64 exec, exec, s[68:69]
	s_cbranch_execz .LBB14_3173
.LBB14_3625:                            ;   in Loop: Header=BB14_17 Depth=1
	v_cmp_ne_u16_e32 vcc, 0, v14
	s_andn2_b64 s[60:61], s[66:67], exec
	s_and_b64 vcc, vcc, exec
	v_mov_b32_e32 v66, 0
	s_or_b64 s[66:67], s[60:61], vcc
	s_or_b64 exec, exec, s[68:69]
	s_and_saveexec_b64 s[68:69], s[66:67]
	s_cbranch_execnz .LBB14_3174
	s_branch .LBB14_3175
.LBB14_3626:                            ;   in Loop: Header=BB14_17 Depth=1
	s_movk_i32 vcc_lo, 0x80
	v_cmp_eq_u16_e32 vcc, vcc_lo, v14
	s_mov_b64 s[66:67], -1
                                        ; implicit-def: $sgpr70
	s_and_saveexec_b64 s[60:61], vcc
; %bb.3627:                             ;   in Loop: Header=BB14_17 Depth=1
	s_mov_b32 s70, 0x7f800001
	s_xor_b64 s[66:67], exec, -1
; %bb.3628:                             ;   in Loop: Header=BB14_17 Depth=1
	s_or_b64 exec, exec, s[60:61]
	s_and_b64 s[66:67], s[66:67], exec
	s_or_saveexec_b64 s[68:69], s[68:69]
	v_mov_b32_e32 v65, s70
	s_xor_b64 exec, exec, s[68:69]
	s_cbranch_execz .LBB14_3263
.LBB14_3629:                            ;   in Loop: Header=BB14_17 Depth=1
	v_cmp_ne_u16_e32 vcc, 0, v14
	s_andn2_b64 s[60:61], s[66:67], exec
	s_and_b64 vcc, vcc, exec
	v_mov_b32_e32 v65, 0
	s_or_b64 s[66:67], s[60:61], vcc
	s_or_b64 exec, exec, s[68:69]
	s_and_saveexec_b64 s[68:69], s[66:67]
	s_cbranch_execnz .LBB14_3264
	s_branch .LBB14_3265
.LBB14_3630:                            ;   in Loop: Header=BB14_17 Depth=1
	s_movk_i32 vcc_lo, 0x80
	v_cmp_eq_u16_e32 vcc, vcc_lo, v14
	s_mov_b64 s[66:67], -1
                                        ; implicit-def: $sgpr70
	s_and_saveexec_b64 s[60:61], vcc
; %bb.3631:                             ;   in Loop: Header=BB14_17 Depth=1
	s_mov_b32 s70, 0x7f800001
	s_xor_b64 s[66:67], exec, -1
; %bb.3632:                             ;   in Loop: Header=BB14_17 Depth=1
	s_or_b64 exec, exec, s[60:61]
	s_and_b64 s[66:67], s[66:67], exec
	s_or_saveexec_b64 s[68:69], s[68:69]
	v_mov_b32_e32 v66, s70
	s_xor_b64 exec, exec, s[68:69]
	s_cbranch_execz .LBB14_3389
.LBB14_3633:                            ;   in Loop: Header=BB14_17 Depth=1
	v_cmp_ne_u16_e32 vcc, 0, v14
	s_andn2_b64 s[60:61], s[66:67], exec
	s_and_b64 vcc, vcc, exec
	v_mov_b32_e32 v66, 0
	s_or_b64 s[66:67], s[60:61], vcc
	s_or_b64 exec, exec, s[68:69]
	s_and_saveexec_b64 s[68:69], s[66:67]
	s_cbranch_execnz .LBB14_3390
	s_branch .LBB14_3391
.LBB14_3634:                            ;   in Loop: Header=BB14_17 Depth=1
	s_movk_i32 vcc_lo, 0x80
	v_cmp_eq_u16_e32 vcc, vcc_lo, v14
	s_mov_b64 s[66:67], -1
                                        ; implicit-def: $sgpr70
	s_and_saveexec_b64 s[60:61], vcc
; %bb.3635:                             ;   in Loop: Header=BB14_17 Depth=1
	s_mov_b32 s70, 0x7f800001
	s_xor_b64 s[66:67], exec, -1
; %bb.3636:                             ;   in Loop: Header=BB14_17 Depth=1
	s_or_b64 exec, exec, s[60:61]
	s_and_b64 s[66:67], s[66:67], exec
	s_or_saveexec_b64 s[68:69], s[68:69]
	v_mov_b32_e32 v65, s70
	s_xor_b64 exec, exec, s[68:69]
	s_cbranch_execz .LBB14_3274
.LBB14_3637:                            ;   in Loop: Header=BB14_17 Depth=1
	v_cmp_ne_u16_e32 vcc, 0, v14
	s_andn2_b64 s[60:61], s[66:67], exec
	s_and_b64 vcc, vcc, exec
	v_mov_b32_e32 v65, 0
	s_or_b64 s[66:67], s[60:61], vcc
	s_or_b64 exec, exec, s[68:69]
	s_and_saveexec_b64 s[68:69], s[66:67]
	s_cbranch_execnz .LBB14_3275
	s_branch .LBB14_3276
.LBB14_3638:                            ;   in Loop: Header=BB14_17 Depth=1
	s_movk_i32 vcc_lo, 0x80
	v_cmp_eq_u16_e32 vcc, vcc_lo, v14
	s_mov_b64 s[66:67], -1
                                        ; implicit-def: $sgpr70
	s_and_saveexec_b64 s[60:61], vcc
; %bb.3639:                             ;   in Loop: Header=BB14_17 Depth=1
	s_mov_b32 s70, 0x7f800001
	s_xor_b64 s[66:67], exec, -1
; %bb.3640:                             ;   in Loop: Header=BB14_17 Depth=1
	s_or_b64 exec, exec, s[60:61]
	s_and_b64 s[66:67], s[66:67], exec
	s_or_saveexec_b64 s[68:69], s[68:69]
	v_mov_b32_e32 v66, s70
	s_xor_b64 exec, exec, s[68:69]
	s_cbranch_execz .LBB14_3400
.LBB14_3641:                            ;   in Loop: Header=BB14_17 Depth=1
	v_cmp_ne_u16_e32 vcc, 0, v14
	s_andn2_b64 s[60:61], s[66:67], exec
	s_and_b64 vcc, vcc, exec
	v_mov_b32_e32 v66, 0
	s_or_b64 s[66:67], s[60:61], vcc
	s_or_b64 exec, exec, s[68:69]
	s_and_saveexec_b64 s[68:69], s[66:67]
	s_cbranch_execnz .LBB14_3401
	s_branch .LBB14_3402
.LBB14_3642:                            ;   in Loop: Header=BB14_17 Depth=1
	s_movk_i32 vcc_lo, 0x80
	v_cmp_eq_u16_e32 vcc, vcc_lo, v14
	s_mov_b64 s[66:67], -1
                                        ; implicit-def: $sgpr70
	s_and_saveexec_b64 s[60:61], vcc
; %bb.3643:                             ;   in Loop: Header=BB14_17 Depth=1
	s_mov_b32 s70, 0x7f800001
	s_xor_b64 s[66:67], exec, -1
; %bb.3644:                             ;   in Loop: Header=BB14_17 Depth=1
	s_or_b64 exec, exec, s[60:61]
	s_and_b64 s[66:67], s[66:67], exec
	s_or_saveexec_b64 s[68:69], s[68:69]
	v_mov_b32_e32 v65, s70
	s_xor_b64 exec, exec, s[68:69]
	s_cbranch_execz .LBB14_3513
.LBB14_3645:                            ;   in Loop: Header=BB14_17 Depth=1
	v_cmp_ne_u16_e32 vcc, 0, v14
	s_andn2_b64 s[60:61], s[66:67], exec
	s_and_b64 vcc, vcc, exec
	v_mov_b32_e32 v65, 0
	s_or_b64 s[66:67], s[60:61], vcc
	s_or_b64 exec, exec, s[68:69]
	s_and_saveexec_b64 s[68:69], s[66:67]
	s_cbranch_execnz .LBB14_3514
	s_branch .LBB14_3515
.LBB14_3646:                            ;   in Loop: Header=BB14_17 Depth=1
	s_movk_i32 vcc_lo, 0x80
	v_cmp_eq_u16_e32 vcc, vcc_lo, v14
	s_mov_b64 s[66:67], -1
                                        ; implicit-def: $sgpr70
	s_and_saveexec_b64 s[60:61], vcc
; %bb.3647:                             ;   in Loop: Header=BB14_17 Depth=1
	s_mov_b32 s70, 0x7f800001
	s_xor_b64 s[66:67], exec, -1
; %bb.3648:                             ;   in Loop: Header=BB14_17 Depth=1
	s_or_b64 exec, exec, s[60:61]
	s_and_b64 s[66:67], s[66:67], exec
	s_or_saveexec_b64 s[68:69], s[68:69]
	v_mov_b32_e32 v65, s70
	s_xor_b64 exec, exec, s[68:69]
	s_cbranch_execz .LBB14_3524
.LBB14_3649:                            ;   in Loop: Header=BB14_17 Depth=1
	v_cmp_ne_u16_e32 vcc, 0, v14
	s_andn2_b64 s[60:61], s[66:67], exec
	s_and_b64 vcc, vcc, exec
	v_mov_b32_e32 v65, 0
	s_or_b64 s[66:67], s[60:61], vcc
	s_or_b64 exec, exec, s[68:69]
	s_and_saveexec_b64 s[68:69], s[66:67]
	s_cbranch_execnz .LBB14_3525
	s_branch .LBB14_3526
.LBB14_3650:
	s_or_b64 exec, exec, s[4:5]
	s_xor_b64 s[8:9], s[8:9], -1
	s_xor_b64 s[6:7], s[6:7], -1
	s_mov_b64 s[4:5], 0
	s_and_saveexec_b64 s[10:11], s[6:7]
	s_xor_b64 s[6:7], exec, s[10:11]
	s_cbranch_execnz .LBB14_3655
; %bb.3651:
	s_andn2_saveexec_b64 s[6:7], s[6:7]
	s_cbranch_execnz .LBB14_4829
.LBB14_3652:
	s_or_b64 exec, exec, s[6:7]
	s_and_saveexec_b64 s[6:7], s[4:5]
.LBB14_3653:
	; divergent unreachable
.LBB14_3654:
	s_or_b64 exec, exec, s[6:7]
	v_readlane_b32 s30, v41, 0
	v_readlane_b32 s31, v41, 1
	;; [unrolled: 1-line block ×66, first 2 shown]
	s_or_saveexec_b64 s[4:5], -1
	buffer_load_dword v40, off, s[0:3], s32 offset:256 ; 4-byte Folded Reload
	buffer_load_dword v41, off, s[0:3], s32 offset:260 ; 4-byte Folded Reload
	;; [unrolled: 1-line block ×5, first 2 shown]
	s_mov_b64 exec, s[4:5]
	s_waitcnt vmcnt(0) lgkmcnt(0)
	s_setpc_b64 s[30:31]
.LBB14_3655:
	s_and_saveexec_b64 s[10:11], s[8:9]
	s_xor_b64 s[8:9], exec, s[10:11]
	s_cbranch_execz .LBB14_4827
; %bb.3656:
	v_cmp_lt_i32_e64 s[4:5], v13, v6
                                        ; implicit-def: $vgpr102
	s_and_saveexec_b64 s[10:11], s[4:5]
	s_cbranch_execz .LBB14_3658
; %bb.3657:
	buffer_load_dword v2, off, s[0:3], s32
	buffer_load_dword v3, off, s[0:3], s32 offset:4
	s_mov_b32 s14, 0x800000
	v_mov_b32_e32 v4, 0x800000
	s_mov_b32 s15, 0x3f7ffffe
	v_mov_b32_e32 v8, 0x3f7ffffe
	s_waitcnt vmcnt(0)
	v_div_scale_f32 v5, s[12:13], v2, v2, v3
	v_rcp_f32_e32 v7, v5
	v_div_scale_f32 v9, vcc, v3, v2, v3
	v_fma_f32 v10, -v5, v7, 1.0
	v_fmac_f32_e32 v7, v10, v7
	v_mul_f32_e32 v10, v9, v7
	v_fma_f32 v14, -v5, v10, v9
	v_fmac_f32_e32 v10, v14, v7
	v_fma_f32 v5, -v5, v10, v9
	v_div_fmas_f32 v5, v5, v7, v10
	v_div_fixup_f32 v2, v5, v2, v3
	v_cmp_ngt_f32_e32 vcc, s14, v2
	v_cndmask_b32_e32 v2, v4, v2, vcc
	v_cmp_nlt_f32_e32 vcc, s15, v2
	v_cndmask_b32_e32 v102, v8, v2, vcc
.LBB14_3658:
	s_or_b64 exec, exec, s[10:11]
	v_add_u32_e32 v3, 0x200, v13
	v_cmp_lt_i32_e32 vcc, v3, v6
                                        ; implicit-def: $vgpr100
	s_and_saveexec_b64 s[10:11], vcc
	s_cbranch_execz .LBB14_3660
; %bb.3659:
	buffer_load_dword v2, off, s[0:3], s32 offset:8
	buffer_load_dword v4, off, s[0:3], s32 offset:12
	s_mov_b32 s14, 0x800000
	v_mov_b32_e32 v5, 0x800000
	s_mov_b32 s15, 0x3f7ffffe
	v_mov_b32_e32 v9, 0x3f7ffffe
	s_waitcnt vmcnt(0)
	v_div_scale_f32 v7, s[12:13], v2, v2, v4
	v_rcp_f32_e32 v8, v7
	v_div_scale_f32 v10, vcc, v4, v2, v4
	v_fma_f32 v14, -v7, v8, 1.0
	v_fmac_f32_e32 v8, v14, v8
	v_mul_f32_e32 v14, v10, v8
	v_fma_f32 v15, -v7, v14, v10
	v_fmac_f32_e32 v14, v15, v8
	v_fma_f32 v7, -v7, v14, v10
	v_div_fmas_f32 v7, v7, v8, v14
	v_div_fixup_f32 v2, v7, v2, v4
	v_cmp_ngt_f32_e32 vcc, s14, v2
	v_cndmask_b32_e32 v2, v5, v2, vcc
	v_cmp_nlt_f32_e32 vcc, s15, v2
	v_cndmask_b32_e32 v100, v9, v2, vcc
.LBB14_3660:
	s_or_b64 exec, exec, s[10:11]
	v_or_b32_e32 v2, 0x400, v13
	v_cmp_lt_i32_e32 vcc, v2, v6
                                        ; implicit-def: $vgpr98
	s_and_saveexec_b64 s[10:11], vcc
	s_cbranch_execz .LBB14_3662
; %bb.3661:
	buffer_load_dword v2, off, s[0:3], s32 offset:16
	buffer_load_dword v4, off, s[0:3], s32 offset:20
	s_mov_b32 s14, 0x800000
	v_mov_b32_e32 v5, 0x800000
	s_mov_b32 s15, 0x3f7ffffe
	v_mov_b32_e32 v9, 0x3f7ffffe
	s_waitcnt vmcnt(0)
	v_div_scale_f32 v7, s[12:13], v2, v2, v4
	v_rcp_f32_e32 v8, v7
	v_div_scale_f32 v10, vcc, v4, v2, v4
	v_fma_f32 v14, -v7, v8, 1.0
	v_fmac_f32_e32 v8, v14, v8
	v_mul_f32_e32 v14, v10, v8
	v_fma_f32 v15, -v7, v14, v10
	v_fmac_f32_e32 v14, v15, v8
	v_fma_f32 v7, -v7, v14, v10
	v_div_fmas_f32 v7, v7, v8, v14
	v_div_fixup_f32 v2, v7, v2, v4
	v_cmp_ngt_f32_e32 vcc, s14, v2
	v_cndmask_b32_e32 v2, v5, v2, vcc
	v_cmp_nlt_f32_e32 vcc, s15, v2
	v_cndmask_b32_e32 v98, v9, v2, vcc
.LBB14_3662:
	s_or_b64 exec, exec, s[10:11]
	v_add_u32_e32 v2, 0x600, v13
	v_cmp_lt_i32_e32 vcc, v2, v6
                                        ; implicit-def: $vgpr96
	s_and_saveexec_b64 s[10:11], vcc
	s_cbranch_execz .LBB14_3664
; %bb.3663:
	buffer_load_dword v2, off, s[0:3], s32 offset:24
	buffer_load_dword v4, off, s[0:3], s32 offset:28
	s_mov_b32 s14, 0x800000
	v_mov_b32_e32 v5, 0x800000
	s_mov_b32 s15, 0x3f7ffffe
	v_mov_b32_e32 v9, 0x3f7ffffe
	s_waitcnt vmcnt(0)
	v_div_scale_f32 v7, s[12:13], v2, v2, v4
	v_rcp_f32_e32 v8, v7
	v_div_scale_f32 v10, vcc, v4, v2, v4
	v_fma_f32 v14, -v7, v8, 1.0
	v_fmac_f32_e32 v8, v14, v8
	v_mul_f32_e32 v14, v10, v8
	v_fma_f32 v15, -v7, v14, v10
	v_fmac_f32_e32 v14, v15, v8
	v_fma_f32 v7, -v7, v14, v10
	v_div_fmas_f32 v7, v7, v8, v14
	v_div_fixup_f32 v2, v7, v2, v4
	v_cmp_ngt_f32_e32 vcc, s14, v2
	v_cndmask_b32_e32 v2, v5, v2, vcc
	v_cmp_nlt_f32_e32 vcc, s15, v2
	v_cndmask_b32_e32 v96, v9, v2, vcc
.LBB14_3664:
	s_or_b64 exec, exec, s[10:11]
	v_or_b32_e32 v2, 0x800, v13
	v_cmp_lt_i32_e32 vcc, v2, v6
                                        ; implicit-def: $vgpr86
	s_and_saveexec_b64 s[10:11], vcc
	s_cbranch_execz .LBB14_3666
; %bb.3665:
	buffer_load_dword v2, off, s[0:3], s32 offset:32
	buffer_load_dword v4, off, s[0:3], s32 offset:36
	s_mov_b32 s14, 0x800000
	v_mov_b32_e32 v5, 0x800000
	s_mov_b32 s15, 0x3f7ffffe
	v_mov_b32_e32 v9, 0x3f7ffffe
	s_waitcnt vmcnt(0)
	v_div_scale_f32 v7, s[12:13], v2, v2, v4
	v_rcp_f32_e32 v8, v7
	v_div_scale_f32 v10, vcc, v4, v2, v4
	v_fma_f32 v14, -v7, v8, 1.0
	v_fmac_f32_e32 v8, v14, v8
	v_mul_f32_e32 v14, v10, v8
	v_fma_f32 v15, -v7, v14, v10
	v_fmac_f32_e32 v14, v15, v8
	v_fma_f32 v7, -v7, v14, v10
	v_div_fmas_f32 v7, v7, v8, v14
	v_div_fixup_f32 v2, v7, v2, v4
	v_cmp_ngt_f32_e32 vcc, s14, v2
	v_cndmask_b32_e32 v2, v5, v2, vcc
	v_cmp_nlt_f32_e32 vcc, s15, v2
	v_cndmask_b32_e32 v86, v9, v2, vcc
.LBB14_3666:
	s_or_b64 exec, exec, s[10:11]
	v_add_u32_e32 v2, 0xa00, v13
	v_cmp_lt_i32_e32 vcc, v2, v6
                                        ; implicit-def: $vgpr84
	s_and_saveexec_b64 s[10:11], vcc
	s_cbranch_execz .LBB14_3668
; %bb.3667:
	buffer_load_dword v2, off, s[0:3], s32 offset:40
	buffer_load_dword v4, off, s[0:3], s32 offset:44
	s_mov_b32 s14, 0x800000
	v_mov_b32_e32 v5, 0x800000
	s_mov_b32 s15, 0x3f7ffffe
	v_mov_b32_e32 v9, 0x3f7ffffe
	s_waitcnt vmcnt(0)
	v_div_scale_f32 v7, s[12:13], v2, v2, v4
	v_rcp_f32_e32 v8, v7
	v_div_scale_f32 v10, vcc, v4, v2, v4
	v_fma_f32 v14, -v7, v8, 1.0
	v_fmac_f32_e32 v8, v14, v8
	v_mul_f32_e32 v14, v10, v8
	v_fma_f32 v15, -v7, v14, v10
	v_fmac_f32_e32 v14, v15, v8
	v_fma_f32 v7, -v7, v14, v10
	v_div_fmas_f32 v7, v7, v8, v14
	v_div_fixup_f32 v2, v7, v2, v4
	v_cmp_ngt_f32_e32 vcc, s14, v2
	v_cndmask_b32_e32 v2, v5, v2, vcc
	v_cmp_nlt_f32_e32 vcc, s15, v2
	v_cndmask_b32_e32 v84, v9, v2, vcc
.LBB14_3668:
	s_or_b64 exec, exec, s[10:11]
	v_or_b32_e32 v2, 0xc00, v13
	v_cmp_lt_i32_e32 vcc, v2, v6
                                        ; implicit-def: $vgpr82
	s_and_saveexec_b64 s[10:11], vcc
	s_cbranch_execz .LBB14_3670
; %bb.3669:
	buffer_load_dword v2, off, s[0:3], s32 offset:48
	buffer_load_dword v4, off, s[0:3], s32 offset:52
	s_mov_b32 s14, 0x800000
	v_mov_b32_e32 v5, 0x800000
	s_mov_b32 s15, 0x3f7ffffe
	v_mov_b32_e32 v9, 0x3f7ffffe
	s_waitcnt vmcnt(0)
	v_div_scale_f32 v7, s[12:13], v2, v2, v4
	v_rcp_f32_e32 v8, v7
	v_div_scale_f32 v10, vcc, v4, v2, v4
	v_fma_f32 v14, -v7, v8, 1.0
	v_fmac_f32_e32 v8, v14, v8
	v_mul_f32_e32 v14, v10, v8
	v_fma_f32 v15, -v7, v14, v10
	v_fmac_f32_e32 v14, v15, v8
	v_fma_f32 v7, -v7, v14, v10
	v_div_fmas_f32 v7, v7, v8, v14
	v_div_fixup_f32 v2, v7, v2, v4
	v_cmp_ngt_f32_e32 vcc, s14, v2
	v_cndmask_b32_e32 v2, v5, v2, vcc
	v_cmp_nlt_f32_e32 vcc, s15, v2
	v_cndmask_b32_e32 v82, v9, v2, vcc
.LBB14_3670:
	s_or_b64 exec, exec, s[10:11]
	v_add_u32_e32 v2, 0xe00, v13
	v_cmp_lt_i32_e32 vcc, v2, v6
                                        ; implicit-def: $vgpr80
	s_and_saveexec_b64 s[10:11], vcc
	s_cbranch_execz .LBB14_3672
; %bb.3671:
	buffer_load_dword v2, off, s[0:3], s32 offset:56
	buffer_load_dword v4, off, s[0:3], s32 offset:60
	s_mov_b32 s14, 0x800000
	v_mov_b32_e32 v5, 0x800000
	s_mov_b32 s15, 0x3f7ffffe
	v_mov_b32_e32 v9, 0x3f7ffffe
	s_waitcnt vmcnt(0)
	v_div_scale_f32 v7, s[12:13], v2, v2, v4
	v_rcp_f32_e32 v8, v7
	v_div_scale_f32 v10, vcc, v4, v2, v4
	v_fma_f32 v14, -v7, v8, 1.0
	v_fmac_f32_e32 v8, v14, v8
	v_mul_f32_e32 v14, v10, v8
	v_fma_f32 v15, -v7, v14, v10
	v_fmac_f32_e32 v14, v15, v8
	v_fma_f32 v7, -v7, v14, v10
	v_div_fmas_f32 v7, v7, v8, v14
	v_div_fixup_f32 v2, v7, v2, v4
	v_cmp_ngt_f32_e32 vcc, s14, v2
	v_cndmask_b32_e32 v2, v5, v2, vcc
	v_cmp_nlt_f32_e32 vcc, s15, v2
	v_cndmask_b32_e32 v80, v9, v2, vcc
.LBB14_3672:
	s_or_b64 exec, exec, s[10:11]
	v_or_b32_e32 v2, 0x1000, v13
	v_cmp_lt_i32_e32 vcc, v2, v6
                                        ; implicit-def: $vgpr70
	s_and_saveexec_b64 s[10:11], vcc
	s_cbranch_execz .LBB14_3674
; %bb.3673:
	buffer_load_dword v2, off, s[0:3], s32 offset:64
	buffer_load_dword v4, off, s[0:3], s32 offset:68
	s_mov_b32 s14, 0x800000
	v_mov_b32_e32 v5, 0x800000
	s_mov_b32 s15, 0x3f7ffffe
	v_mov_b32_e32 v9, 0x3f7ffffe
	s_waitcnt vmcnt(0)
	v_div_scale_f32 v7, s[12:13], v2, v2, v4
	v_rcp_f32_e32 v8, v7
	v_div_scale_f32 v10, vcc, v4, v2, v4
	v_fma_f32 v14, -v7, v8, 1.0
	v_fmac_f32_e32 v8, v14, v8
	v_mul_f32_e32 v14, v10, v8
	v_fma_f32 v15, -v7, v14, v10
	v_fmac_f32_e32 v14, v15, v8
	v_fma_f32 v7, -v7, v14, v10
	v_div_fmas_f32 v7, v7, v8, v14
	v_div_fixup_f32 v2, v7, v2, v4
	v_cmp_ngt_f32_e32 vcc, s14, v2
	v_cndmask_b32_e32 v2, v5, v2, vcc
	v_cmp_nlt_f32_e32 vcc, s15, v2
	v_cndmask_b32_e32 v70, v9, v2, vcc
.LBB14_3674:
	s_or_b64 exec, exec, s[10:11]
	v_add_u32_e32 v2, 0x1200, v13
	v_cmp_lt_i32_e32 vcc, v2, v6
                                        ; implicit-def: $vgpr68
	s_and_saveexec_b64 s[10:11], vcc
	s_cbranch_execz .LBB14_3676
; %bb.3675:
	buffer_load_dword v2, off, s[0:3], s32 offset:72
	buffer_load_dword v4, off, s[0:3], s32 offset:76
	s_mov_b32 s14, 0x800000
	v_mov_b32_e32 v5, 0x800000
	s_mov_b32 s15, 0x3f7ffffe
	v_mov_b32_e32 v9, 0x3f7ffffe
	s_waitcnt vmcnt(0)
	v_div_scale_f32 v7, s[12:13], v2, v2, v4
	v_rcp_f32_e32 v8, v7
	v_div_scale_f32 v10, vcc, v4, v2, v4
	v_fma_f32 v14, -v7, v8, 1.0
	v_fmac_f32_e32 v8, v14, v8
	v_mul_f32_e32 v14, v10, v8
	v_fma_f32 v15, -v7, v14, v10
	v_fmac_f32_e32 v14, v15, v8
	v_fma_f32 v7, -v7, v14, v10
	v_div_fmas_f32 v7, v7, v8, v14
	v_div_fixup_f32 v2, v7, v2, v4
	v_cmp_ngt_f32_e32 vcc, s14, v2
	v_cndmask_b32_e32 v2, v5, v2, vcc
	v_cmp_nlt_f32_e32 vcc, s15, v2
	v_cndmask_b32_e32 v68, v9, v2, vcc
.LBB14_3676:
	s_or_b64 exec, exec, s[10:11]
	v_or_b32_e32 v2, 0x1400, v13
	v_cmp_lt_i32_e32 vcc, v2, v6
                                        ; implicit-def: $vgpr66
	s_and_saveexec_b64 s[10:11], vcc
	s_cbranch_execz .LBB14_3678
; %bb.3677:
	buffer_load_dword v2, off, s[0:3], s32 offset:80
	buffer_load_dword v4, off, s[0:3], s32 offset:84
	s_mov_b32 s14, 0x800000
	v_mov_b32_e32 v5, 0x800000
	s_mov_b32 s15, 0x3f7ffffe
	v_mov_b32_e32 v9, 0x3f7ffffe
	s_waitcnt vmcnt(0)
	v_div_scale_f32 v7, s[12:13], v2, v2, v4
	v_rcp_f32_e32 v8, v7
	v_div_scale_f32 v10, vcc, v4, v2, v4
	v_fma_f32 v14, -v7, v8, 1.0
	v_fmac_f32_e32 v8, v14, v8
	v_mul_f32_e32 v14, v10, v8
	v_fma_f32 v15, -v7, v14, v10
	v_fmac_f32_e32 v14, v15, v8
	v_fma_f32 v7, -v7, v14, v10
	v_div_fmas_f32 v7, v7, v8, v14
	v_div_fixup_f32 v2, v7, v2, v4
	v_cmp_ngt_f32_e32 vcc, s14, v2
	v_cndmask_b32_e32 v2, v5, v2, vcc
	v_cmp_nlt_f32_e32 vcc, s15, v2
	s_waitcnt lgkmcnt(0)
	v_cndmask_b32_e32 v66, v9, v2, vcc
.LBB14_3678:
	s_or_b64 exec, exec, s[10:11]
	v_add_u32_e32 v2, 0x1600, v13
	v_cmp_lt_i32_e32 vcc, v2, v6
                                        ; implicit-def: $vgpr64
	s_and_saveexec_b64 s[10:11], vcc
	s_cbranch_execz .LBB14_3680
; %bb.3679:
	buffer_load_dword v2, off, s[0:3], s32 offset:88
	buffer_load_dword v4, off, s[0:3], s32 offset:92
	s_mov_b32 s14, 0x800000
	v_mov_b32_e32 v5, 0x800000
	s_mov_b32 s15, 0x3f7ffffe
	v_mov_b32_e32 v9, 0x3f7ffffe
	s_waitcnt vmcnt(0)
	v_div_scale_f32 v7, s[12:13], v2, v2, v4
	v_rcp_f32_e32 v8, v7
	v_div_scale_f32 v10, vcc, v4, v2, v4
	v_fma_f32 v14, -v7, v8, 1.0
	v_fmac_f32_e32 v8, v14, v8
	v_mul_f32_e32 v14, v10, v8
	v_fma_f32 v15, -v7, v14, v10
	v_fmac_f32_e32 v14, v15, v8
	v_fma_f32 v7, -v7, v14, v10
	v_div_fmas_f32 v7, v7, v8, v14
	v_div_fixup_f32 v2, v7, v2, v4
	v_cmp_ngt_f32_e32 vcc, s14, v2
	v_cndmask_b32_e32 v2, v5, v2, vcc
	v_cmp_nlt_f32_e32 vcc, s15, v2
	s_waitcnt lgkmcnt(0)
	v_cndmask_b32_e32 v64, v9, v2, vcc
.LBB14_3680:
	s_or_b64 exec, exec, s[10:11]
	v_or_b32_e32 v2, 0x1800, v13
	v_cmp_lt_i32_e32 vcc, v2, v6
                                        ; implicit-def: $vgpr54
	s_and_saveexec_b64 s[10:11], vcc
	s_cbranch_execz .LBB14_3682
; %bb.3681:
	buffer_load_dword v2, off, s[0:3], s32 offset:96
	buffer_load_dword v4, off, s[0:3], s32 offset:100
	s_mov_b32 s14, 0x800000
	v_mov_b32_e32 v5, 0x800000
	s_mov_b32 s15, 0x3f7ffffe
	v_mov_b32_e32 v9, 0x3f7ffffe
	s_waitcnt vmcnt(0)
	v_div_scale_f32 v7, s[12:13], v2, v2, v4
	v_rcp_f32_e32 v8, v7
	v_div_scale_f32 v10, vcc, v4, v2, v4
	v_fma_f32 v14, -v7, v8, 1.0
	v_fmac_f32_e32 v8, v14, v8
	v_mul_f32_e32 v14, v10, v8
	v_fma_f32 v15, -v7, v14, v10
	v_fmac_f32_e32 v14, v15, v8
	v_fma_f32 v7, -v7, v14, v10
	v_div_fmas_f32 v7, v7, v8, v14
	v_div_fixup_f32 v2, v7, v2, v4
	v_cmp_ngt_f32_e32 vcc, s14, v2
	v_cndmask_b32_e32 v2, v5, v2, vcc
	v_cmp_nlt_f32_e32 vcc, s15, v2
	v_cndmask_b32_e32 v54, v9, v2, vcc
.LBB14_3682:
	s_or_b64 exec, exec, s[10:11]
	v_add_u32_e32 v2, 0x1a00, v13
	v_cmp_lt_i32_e32 vcc, v2, v6
                                        ; implicit-def: $vgpr52
	s_and_saveexec_b64 s[10:11], vcc
	s_cbranch_execz .LBB14_3684
; %bb.3683:
	buffer_load_dword v2, off, s[0:3], s32 offset:104
	buffer_load_dword v4, off, s[0:3], s32 offset:108
	s_mov_b32 s14, 0x800000
	v_mov_b32_e32 v5, 0x800000
	s_mov_b32 s15, 0x3f7ffffe
	v_mov_b32_e32 v9, 0x3f7ffffe
	s_waitcnt vmcnt(0)
	v_div_scale_f32 v7, s[12:13], v2, v2, v4
	v_rcp_f32_e32 v8, v7
	v_div_scale_f32 v10, vcc, v4, v2, v4
	v_fma_f32 v14, -v7, v8, 1.0
	v_fmac_f32_e32 v8, v14, v8
	v_mul_f32_e32 v14, v10, v8
	v_fma_f32 v15, -v7, v14, v10
	v_fmac_f32_e32 v14, v15, v8
	v_fma_f32 v7, -v7, v14, v10
	v_div_fmas_f32 v7, v7, v8, v14
	v_div_fixup_f32 v2, v7, v2, v4
	v_cmp_ngt_f32_e32 vcc, s14, v2
	v_cndmask_b32_e32 v2, v5, v2, vcc
	v_cmp_nlt_f32_e32 vcc, s15, v2
	v_cndmask_b32_e32 v52, v9, v2, vcc
.LBB14_3684:
	s_or_b64 exec, exec, s[10:11]
	v_or_b32_e32 v2, 0x1c00, v13
	v_cmp_lt_i32_e32 vcc, v2, v6
                                        ; implicit-def: $vgpr50
	s_and_saveexec_b64 s[10:11], vcc
	s_cbranch_execz .LBB14_3686
; %bb.3685:
	buffer_load_dword v2, off, s[0:3], s32 offset:112
	buffer_load_dword v4, off, s[0:3], s32 offset:116
	s_mov_b32 s14, 0x800000
	v_mov_b32_e32 v5, 0x800000
	s_mov_b32 s15, 0x3f7ffffe
	v_mov_b32_e32 v9, 0x3f7ffffe
	s_waitcnt vmcnt(0)
	v_div_scale_f32 v7, s[12:13], v2, v2, v4
	v_rcp_f32_e32 v8, v7
	v_div_scale_f32 v10, vcc, v4, v2, v4
	v_fma_f32 v14, -v7, v8, 1.0
	v_fmac_f32_e32 v8, v14, v8
	v_mul_f32_e32 v14, v10, v8
	v_fma_f32 v15, -v7, v14, v10
	v_fmac_f32_e32 v14, v15, v8
	v_fma_f32 v7, -v7, v14, v10
	v_div_fmas_f32 v7, v7, v8, v14
	v_div_fixup_f32 v2, v7, v2, v4
	v_cmp_ngt_f32_e32 vcc, s14, v2
	v_cndmask_b32_e32 v2, v5, v2, vcc
	v_cmp_nlt_f32_e32 vcc, s15, v2
	v_cndmask_b32_e32 v50, v9, v2, vcc
.LBB14_3686:
	s_or_b64 exec, exec, s[10:11]
	v_add_u32_e32 v2, 0x1e00, v13
	v_cmp_lt_i32_e32 vcc, v2, v6
                                        ; implicit-def: $vgpr48
	s_and_saveexec_b64 s[10:11], vcc
	s_cbranch_execz .LBB14_3688
; %bb.3687:
	buffer_load_dword v2, off, s[0:3], s32 offset:120
	buffer_load_dword v4, off, s[0:3], s32 offset:124
	s_mov_b32 s14, 0x800000
	v_mov_b32_e32 v5, 0x800000
	s_mov_b32 s15, 0x3f7ffffe
	v_mov_b32_e32 v9, 0x3f7ffffe
	s_waitcnt vmcnt(0)
	v_div_scale_f32 v7, s[12:13], v2, v2, v4
	v_rcp_f32_e32 v8, v7
	v_div_scale_f32 v10, vcc, v4, v2, v4
	v_fma_f32 v14, -v7, v8, 1.0
	v_fmac_f32_e32 v8, v14, v8
	v_mul_f32_e32 v14, v10, v8
	v_fma_f32 v15, -v7, v14, v10
	v_fmac_f32_e32 v14, v15, v8
	v_fma_f32 v7, -v7, v14, v10
	v_div_fmas_f32 v7, v7, v8, v14
	v_div_fixup_f32 v2, v7, v2, v4
	v_cmp_ngt_f32_e32 vcc, s14, v2
	v_cndmask_b32_e32 v2, v5, v2, vcc
	v_cmp_nlt_f32_e32 vcc, s15, v2
	v_cndmask_b32_e32 v48, v9, v2, vcc
.LBB14_3688:
	s_or_b64 exec, exec, s[10:11]
	v_or_b32_e32 v2, 0x2000, v13
	v_cmp_lt_i32_e32 vcc, v2, v6
                                        ; implicit-def: $vgpr38
	s_and_saveexec_b64 s[10:11], vcc
	s_cbranch_execz .LBB14_3690
; %bb.3689:
	buffer_load_dword v2, off, s[0:3], s32 offset:128
	buffer_load_dword v4, off, s[0:3], s32 offset:132
	s_mov_b32 s14, 0x800000
	v_mov_b32_e32 v5, 0x800000
	s_mov_b32 s15, 0x3f7ffffe
	v_mov_b32_e32 v9, 0x3f7ffffe
	s_waitcnt vmcnt(0)
	v_div_scale_f32 v7, s[12:13], v2, v2, v4
	v_rcp_f32_e32 v8, v7
	v_div_scale_f32 v10, vcc, v4, v2, v4
	v_fma_f32 v14, -v7, v8, 1.0
	v_fmac_f32_e32 v8, v14, v8
	v_mul_f32_e32 v14, v10, v8
	v_fma_f32 v15, -v7, v14, v10
	v_fmac_f32_e32 v14, v15, v8
	v_fma_f32 v7, -v7, v14, v10
	v_div_fmas_f32 v7, v7, v8, v14
	v_div_fixup_f32 v2, v7, v2, v4
	v_cmp_ngt_f32_e32 vcc, s14, v2
	v_cndmask_b32_e32 v2, v5, v2, vcc
	v_cmp_nlt_f32_e32 vcc, s15, v2
	v_cndmask_b32_e32 v38, v9, v2, vcc
.LBB14_3690:
	s_or_b64 exec, exec, s[10:11]
	v_add_u32_e32 v2, 0x2200, v13
	v_cmp_lt_i32_e32 vcc, v2, v6
                                        ; implicit-def: $vgpr36
	s_and_saveexec_b64 s[10:11], vcc
	s_cbranch_execz .LBB14_3692
; %bb.3691:
	buffer_load_dword v2, off, s[0:3], s32 offset:136
	buffer_load_dword v4, off, s[0:3], s32 offset:140
	s_mov_b32 s14, 0x800000
	v_mov_b32_e32 v5, 0x800000
	s_mov_b32 s15, 0x3f7ffffe
	v_mov_b32_e32 v9, 0x3f7ffffe
	s_waitcnt vmcnt(0)
	v_div_scale_f32 v7, s[12:13], v2, v2, v4
	v_rcp_f32_e32 v8, v7
	v_div_scale_f32 v10, vcc, v4, v2, v4
	v_fma_f32 v14, -v7, v8, 1.0
	v_fmac_f32_e32 v8, v14, v8
	v_mul_f32_e32 v14, v10, v8
	v_fma_f32 v15, -v7, v14, v10
	v_fmac_f32_e32 v14, v15, v8
	v_fma_f32 v7, -v7, v14, v10
	v_div_fmas_f32 v7, v7, v8, v14
	v_div_fixup_f32 v2, v7, v2, v4
	v_cmp_ngt_f32_e32 vcc, s14, v2
	v_cndmask_b32_e32 v2, v5, v2, vcc
	v_cmp_nlt_f32_e32 vcc, s15, v2
	v_cndmask_b32_e32 v36, v9, v2, vcc
.LBB14_3692:
	s_or_b64 exec, exec, s[10:11]
	v_or_b32_e32 v2, 0x2400, v13
	v_cmp_lt_i32_e32 vcc, v2, v6
                                        ; implicit-def: $vgpr34
	s_and_saveexec_b64 s[10:11], vcc
	s_cbranch_execz .LBB14_3694
; %bb.3693:
	buffer_load_dword v2, off, s[0:3], s32 offset:144
	buffer_load_dword v4, off, s[0:3], s32 offset:148
	s_mov_b32 s14, 0x800000
	v_mov_b32_e32 v5, 0x800000
	s_mov_b32 s15, 0x3f7ffffe
	v_mov_b32_e32 v9, 0x3f7ffffe
	s_waitcnt vmcnt(0)
	v_div_scale_f32 v7, s[12:13], v2, v2, v4
	v_rcp_f32_e32 v8, v7
	v_div_scale_f32 v10, vcc, v4, v2, v4
	v_fma_f32 v14, -v7, v8, 1.0
	v_fmac_f32_e32 v8, v14, v8
	v_mul_f32_e32 v14, v10, v8
	v_fma_f32 v15, -v7, v14, v10
	v_fmac_f32_e32 v14, v15, v8
	v_fma_f32 v7, -v7, v14, v10
	v_div_fmas_f32 v7, v7, v8, v14
	v_div_fixup_f32 v2, v7, v2, v4
	v_cmp_ngt_f32_e32 vcc, s14, v2
	v_cndmask_b32_e32 v2, v5, v2, vcc
	v_cmp_nlt_f32_e32 vcc, s15, v2
	v_cndmask_b32_e32 v34, v9, v2, vcc
.LBB14_3694:
	s_or_b64 exec, exec, s[10:11]
	v_add_u32_e32 v2, 0x2600, v13
	v_cmp_lt_i32_e32 vcc, v2, v6
                                        ; implicit-def: $vgpr32
	s_and_saveexec_b64 s[10:11], vcc
	s_cbranch_execz .LBB14_3696
; %bb.3695:
	buffer_load_dword v2, off, s[0:3], s32 offset:152
	buffer_load_dword v4, off, s[0:3], s32 offset:156
	s_mov_b32 s14, 0x800000
	v_mov_b32_e32 v5, 0x800000
	s_mov_b32 s15, 0x3f7ffffe
	v_mov_b32_e32 v9, 0x3f7ffffe
	s_waitcnt vmcnt(0)
	v_div_scale_f32 v7, s[12:13], v2, v2, v4
	v_rcp_f32_e32 v8, v7
	v_div_scale_f32 v10, vcc, v4, v2, v4
	v_fma_f32 v14, -v7, v8, 1.0
	v_fmac_f32_e32 v8, v14, v8
	v_mul_f32_e32 v14, v10, v8
	v_fma_f32 v15, -v7, v14, v10
	v_fmac_f32_e32 v14, v15, v8
	v_fma_f32 v7, -v7, v14, v10
	v_div_fmas_f32 v7, v7, v8, v14
	v_div_fixup_f32 v2, v7, v2, v4
	v_cmp_ngt_f32_e32 vcc, s14, v2
	v_cndmask_b32_e32 v2, v5, v2, vcc
	v_cmp_nlt_f32_e32 vcc, s15, v2
	v_cndmask_b32_e32 v32, v9, v2, vcc
.LBB14_3696:
	s_or_b64 exec, exec, s[10:11]
	v_or_b32_e32 v2, 0x2800, v13
	v_cmp_lt_i32_e32 vcc, v2, v6
                                        ; implicit-def: $vgpr30
	s_and_saveexec_b64 s[10:11], vcc
	s_cbranch_execz .LBB14_3698
; %bb.3697:
	buffer_load_dword v2, off, s[0:3], s32 offset:160
	buffer_load_dword v4, off, s[0:3], s32 offset:164
	s_mov_b32 s14, 0x800000
	v_mov_b32_e32 v5, 0x800000
	s_mov_b32 s15, 0x3f7ffffe
	v_mov_b32_e32 v9, 0x3f7ffffe
	s_waitcnt vmcnt(0)
	v_div_scale_f32 v7, s[12:13], v2, v2, v4
	v_rcp_f32_e32 v8, v7
	v_div_scale_f32 v10, vcc, v4, v2, v4
	v_fma_f32 v14, -v7, v8, 1.0
	v_fmac_f32_e32 v8, v14, v8
	v_mul_f32_e32 v14, v10, v8
	v_fma_f32 v15, -v7, v14, v10
	v_fmac_f32_e32 v14, v15, v8
	v_fma_f32 v7, -v7, v14, v10
	v_div_fmas_f32 v7, v7, v8, v14
	v_div_fixup_f32 v2, v7, v2, v4
	v_cmp_ngt_f32_e32 vcc, s14, v2
	v_cndmask_b32_e32 v2, v5, v2, vcc
	v_cmp_nlt_f32_e32 vcc, s15, v2
	v_cndmask_b32_e32 v30, v9, v2, vcc
.LBB14_3698:
	s_or_b64 exec, exec, s[10:11]
	v_add_u32_e32 v2, 0x2a00, v13
	v_cmp_lt_i32_e32 vcc, v2, v6
                                        ; implicit-def: $vgpr28
	s_and_saveexec_b64 s[10:11], vcc
	s_cbranch_execz .LBB14_3700
; %bb.3699:
	buffer_load_dword v2, off, s[0:3], s32 offset:168
	buffer_load_dword v4, off, s[0:3], s32 offset:172
	s_mov_b32 s14, 0x800000
	v_mov_b32_e32 v5, 0x800000
	s_mov_b32 s15, 0x3f7ffffe
	v_mov_b32_e32 v9, 0x3f7ffffe
	s_waitcnt vmcnt(0)
	v_div_scale_f32 v7, s[12:13], v2, v2, v4
	v_rcp_f32_e32 v8, v7
	v_div_scale_f32 v10, vcc, v4, v2, v4
	v_fma_f32 v14, -v7, v8, 1.0
	v_fmac_f32_e32 v8, v14, v8
	v_mul_f32_e32 v14, v10, v8
	v_fma_f32 v15, -v7, v14, v10
	v_fmac_f32_e32 v14, v15, v8
	v_fma_f32 v7, -v7, v14, v10
	v_div_fmas_f32 v7, v7, v8, v14
	v_div_fixup_f32 v2, v7, v2, v4
	v_cmp_ngt_f32_e32 vcc, s14, v2
	v_cndmask_b32_e32 v2, v5, v2, vcc
	v_cmp_nlt_f32_e32 vcc, s15, v2
	v_cndmask_b32_e32 v28, v9, v2, vcc
.LBB14_3700:
	s_or_b64 exec, exec, s[10:11]
	v_or_b32_e32 v2, 0x2c00, v13
	v_cmp_lt_i32_e32 vcc, v2, v6
                                        ; implicit-def: $vgpr26
	s_and_saveexec_b64 s[10:11], vcc
	s_cbranch_execz .LBB14_3702
; %bb.3701:
	buffer_load_dword v2, off, s[0:3], s32 offset:176
	buffer_load_dword v4, off, s[0:3], s32 offset:180
	s_mov_b32 s14, 0x800000
	v_mov_b32_e32 v5, 0x800000
	s_mov_b32 s15, 0x3f7ffffe
	v_mov_b32_e32 v9, 0x3f7ffffe
	s_waitcnt vmcnt(0)
	v_div_scale_f32 v7, s[12:13], v2, v2, v4
	v_rcp_f32_e32 v8, v7
	v_div_scale_f32 v10, vcc, v4, v2, v4
	v_fma_f32 v14, -v7, v8, 1.0
	v_fmac_f32_e32 v8, v14, v8
	v_mul_f32_e32 v14, v10, v8
	v_fma_f32 v15, -v7, v14, v10
	v_fmac_f32_e32 v14, v15, v8
	v_fma_f32 v7, -v7, v14, v10
	v_div_fmas_f32 v7, v7, v8, v14
	v_div_fixup_f32 v2, v7, v2, v4
	v_cmp_ngt_f32_e32 vcc, s14, v2
	v_cndmask_b32_e32 v2, v5, v2, vcc
	v_cmp_nlt_f32_e32 vcc, s15, v2
	v_cndmask_b32_e32 v26, v9, v2, vcc
.LBB14_3702:
	s_or_b64 exec, exec, s[10:11]
	v_add_u32_e32 v2, 0x2e00, v13
	v_cmp_lt_i32_e32 vcc, v2, v6
                                        ; implicit-def: $vgpr24
	s_and_saveexec_b64 s[10:11], vcc
	s_cbranch_execz .LBB14_3704
; %bb.3703:
	buffer_load_dword v2, off, s[0:3], s32 offset:184
	buffer_load_dword v4, off, s[0:3], s32 offset:188
	s_mov_b32 s14, 0x800000
	v_mov_b32_e32 v5, 0x800000
	s_mov_b32 s15, 0x3f7ffffe
	v_mov_b32_e32 v9, 0x3f7ffffe
	s_waitcnt vmcnt(0)
	v_div_scale_f32 v7, s[12:13], v2, v2, v4
	v_rcp_f32_e32 v8, v7
	v_div_scale_f32 v10, vcc, v4, v2, v4
	v_fma_f32 v14, -v7, v8, 1.0
	v_fmac_f32_e32 v8, v14, v8
	v_mul_f32_e32 v14, v10, v8
	v_fma_f32 v15, -v7, v14, v10
	v_fmac_f32_e32 v14, v15, v8
	v_fma_f32 v7, -v7, v14, v10
	v_div_fmas_f32 v7, v7, v8, v14
	v_div_fixup_f32 v2, v7, v2, v4
	v_cmp_ngt_f32_e32 vcc, s14, v2
	v_cndmask_b32_e32 v2, v5, v2, vcc
	v_cmp_nlt_f32_e32 vcc, s15, v2
	v_cndmask_b32_e32 v24, v9, v2, vcc
.LBB14_3704:
	s_or_b64 exec, exec, s[10:11]
	v_or_b32_e32 v2, 0x3000, v13
	v_cmp_lt_i32_e32 vcc, v2, v6
                                        ; implicit-def: $vgpr22
	s_and_saveexec_b64 s[10:11], vcc
	s_cbranch_execz .LBB14_3706
; %bb.3705:
	buffer_load_dword v2, off, s[0:3], s32 offset:192
	buffer_load_dword v4, off, s[0:3], s32 offset:196
	s_mov_b32 s14, 0x800000
	v_mov_b32_e32 v5, 0x800000
	s_mov_b32 s15, 0x3f7ffffe
	v_mov_b32_e32 v9, 0x3f7ffffe
	s_waitcnt vmcnt(0)
	v_div_scale_f32 v7, s[12:13], v2, v2, v4
	v_rcp_f32_e32 v8, v7
	v_div_scale_f32 v10, vcc, v4, v2, v4
	v_fma_f32 v14, -v7, v8, 1.0
	v_fmac_f32_e32 v8, v14, v8
	v_mul_f32_e32 v14, v10, v8
	v_fma_f32 v15, -v7, v14, v10
	v_fmac_f32_e32 v14, v15, v8
	v_fma_f32 v7, -v7, v14, v10
	v_div_fmas_f32 v7, v7, v8, v14
	v_div_fixup_f32 v2, v7, v2, v4
	v_cmp_ngt_f32_e32 vcc, s14, v2
	v_cndmask_b32_e32 v2, v5, v2, vcc
	v_cmp_nlt_f32_e32 vcc, s15, v2
	v_cndmask_b32_e32 v22, v9, v2, vcc
.LBB14_3706:
	s_or_b64 exec, exec, s[10:11]
	v_add_u32_e32 v2, 0x3200, v13
	v_cmp_lt_i32_e32 vcc, v2, v6
                                        ; implicit-def: $vgpr20
	s_and_saveexec_b64 s[10:11], vcc
	s_cbranch_execz .LBB14_3708
; %bb.3707:
	buffer_load_dword v2, off, s[0:3], s32 offset:200
	buffer_load_dword v4, off, s[0:3], s32 offset:204
	s_mov_b32 s14, 0x800000
	v_mov_b32_e32 v5, 0x800000
	s_mov_b32 s15, 0x3f7ffffe
	v_mov_b32_e32 v9, 0x3f7ffffe
	s_waitcnt vmcnt(0)
	v_div_scale_f32 v7, s[12:13], v2, v2, v4
	v_rcp_f32_e32 v8, v7
	v_div_scale_f32 v10, vcc, v4, v2, v4
	v_fma_f32 v14, -v7, v8, 1.0
	v_fmac_f32_e32 v8, v14, v8
	v_mul_f32_e32 v14, v10, v8
	v_fma_f32 v15, -v7, v14, v10
	v_fmac_f32_e32 v14, v15, v8
	v_fma_f32 v7, -v7, v14, v10
	v_div_fmas_f32 v7, v7, v8, v14
	v_div_fixup_f32 v2, v7, v2, v4
	v_cmp_ngt_f32_e32 vcc, s14, v2
	v_cndmask_b32_e32 v2, v5, v2, vcc
	v_cmp_nlt_f32_e32 vcc, s15, v2
	v_cndmask_b32_e32 v20, v9, v2, vcc
.LBB14_3708:
	s_or_b64 exec, exec, s[10:11]
	v_or_b32_e32 v2, 0x3400, v13
	v_cmp_lt_i32_e32 vcc, v2, v6
                                        ; implicit-def: $vgpr18
	s_and_saveexec_b64 s[10:11], vcc
	s_cbranch_execz .LBB14_3710
; %bb.3709:
	buffer_load_dword v2, off, s[0:3], s32 offset:208
	buffer_load_dword v4, off, s[0:3], s32 offset:212
	s_mov_b32 s14, 0x800000
	v_mov_b32_e32 v5, 0x800000
	s_mov_b32 s15, 0x3f7ffffe
	v_mov_b32_e32 v9, 0x3f7ffffe
	s_waitcnt vmcnt(0)
	v_div_scale_f32 v7, s[12:13], v2, v2, v4
	v_rcp_f32_e32 v8, v7
	v_div_scale_f32 v10, vcc, v4, v2, v4
	v_fma_f32 v14, -v7, v8, 1.0
	v_fmac_f32_e32 v8, v14, v8
	v_mul_f32_e32 v14, v10, v8
	v_fma_f32 v15, -v7, v14, v10
	v_fmac_f32_e32 v14, v15, v8
	v_fma_f32 v7, -v7, v14, v10
	v_div_fmas_f32 v7, v7, v8, v14
	v_div_fixup_f32 v2, v7, v2, v4
	v_cmp_ngt_f32_e32 vcc, s14, v2
	v_cndmask_b32_e32 v2, v5, v2, vcc
	v_cmp_nlt_f32_e32 vcc, s15, v2
	v_cndmask_b32_e32 v18, v9, v2, vcc
.LBB14_3710:
	s_or_b64 exec, exec, s[10:11]
	v_add_u32_e32 v2, 0x3600, v13
	v_cmp_lt_i32_e32 vcc, v2, v6
                                        ; implicit-def: $vgpr16
	s_and_saveexec_b64 s[10:11], vcc
	s_cbranch_execz .LBB14_3712
; %bb.3711:
	buffer_load_dword v2, off, s[0:3], s32 offset:216
	buffer_load_dword v4, off, s[0:3], s32 offset:220
	s_mov_b32 s14, 0x800000
	v_mov_b32_e32 v5, 0x800000
	s_mov_b32 s15, 0x3f7ffffe
	v_mov_b32_e32 v9, 0x3f7ffffe
	s_waitcnt vmcnt(0)
	v_div_scale_f32 v7, s[12:13], v2, v2, v4
	v_rcp_f32_e32 v8, v7
	v_div_scale_f32 v10, vcc, v4, v2, v4
	v_fma_f32 v14, -v7, v8, 1.0
	v_fmac_f32_e32 v8, v14, v8
	v_mul_f32_e32 v14, v10, v8
	v_fma_f32 v15, -v7, v14, v10
	v_fmac_f32_e32 v14, v15, v8
	v_fma_f32 v7, -v7, v14, v10
	v_div_fmas_f32 v7, v7, v8, v14
	v_div_fixup_f32 v2, v7, v2, v4
	v_cmp_ngt_f32_e32 vcc, s14, v2
	v_cndmask_b32_e32 v2, v5, v2, vcc
	v_cmp_nlt_f32_e32 vcc, s15, v2
	v_cndmask_b32_e32 v16, v9, v2, vcc
.LBB14_3712:
	s_or_b64 exec, exec, s[10:11]
	v_or_b32_e32 v2, 0x3800, v13
	v_cmp_lt_i32_e32 vcc, v2, v6
                                        ; implicit-def: $vgpr14
	s_and_saveexec_b64 s[10:11], vcc
	s_cbranch_execz .LBB14_3714
; %bb.3713:
	buffer_load_dword v2, off, s[0:3], s32 offset:224
	buffer_load_dword v4, off, s[0:3], s32 offset:228
	s_mov_b32 s14, 0x800000
	v_mov_b32_e32 v5, 0x800000
	s_mov_b32 s15, 0x3f7ffffe
	v_mov_b32_e32 v9, 0x3f7ffffe
	s_waitcnt vmcnt(0)
	v_div_scale_f32 v7, s[12:13], v2, v2, v4
	v_rcp_f32_e32 v8, v7
	v_div_scale_f32 v10, vcc, v4, v2, v4
	v_fma_f32 v14, -v7, v8, 1.0
	v_fmac_f32_e32 v8, v14, v8
	v_mul_f32_e32 v14, v10, v8
	v_fma_f32 v15, -v7, v14, v10
	v_fmac_f32_e32 v14, v15, v8
	v_fma_f32 v7, -v7, v14, v10
	v_div_fmas_f32 v7, v7, v8, v14
	v_div_fixup_f32 v2, v7, v2, v4
	v_cmp_ngt_f32_e32 vcc, s14, v2
	v_cndmask_b32_e32 v2, v5, v2, vcc
	v_cmp_nlt_f32_e32 vcc, s15, v2
	v_cndmask_b32_e32 v14, v9, v2, vcc
.LBB14_3714:
	s_or_b64 exec, exec, s[10:11]
	v_add_u32_e32 v2, 0x3a00, v13
	v_cmp_lt_i32_e32 vcc, v2, v6
                                        ; implicit-def: $vgpr8
	s_and_saveexec_b64 s[10:11], vcc
	s_cbranch_execz .LBB14_3716
; %bb.3715:
	buffer_load_dword v2, off, s[0:3], s32 offset:232
	buffer_load_dword v4, off, s[0:3], s32 offset:236
	s_mov_b32 s14, 0x800000
	v_mov_b32_e32 v5, 0x800000
	s_mov_b32 s15, 0x3f7ffffe
	v_mov_b32_e32 v9, 0x3f7ffffe
	s_waitcnt vmcnt(0)
	v_div_scale_f32 v7, s[12:13], v2, v2, v4
	v_rcp_f32_e32 v8, v7
	v_div_scale_f32 v10, vcc, v4, v2, v4
	v_fma_f32 v15, -v7, v8, 1.0
	v_fmac_f32_e32 v8, v15, v8
	v_mul_f32_e32 v15, v10, v8
	v_fma_f32 v17, -v7, v15, v10
	v_fmac_f32_e32 v15, v17, v8
	v_fma_f32 v7, -v7, v15, v10
	v_div_fmas_f32 v7, v7, v8, v15
	v_div_fixup_f32 v2, v7, v2, v4
	v_cmp_ngt_f32_e32 vcc, s14, v2
	v_cndmask_b32_e32 v2, v5, v2, vcc
	v_cmp_nlt_f32_e32 vcc, s15, v2
	v_cndmask_b32_e32 v8, v9, v2, vcc
.LBB14_3716:
	s_or_b64 exec, exec, s[10:11]
	v_or_b32_e32 v2, 0x3c00, v13
	v_cmp_lt_i32_e32 vcc, v2, v6
                                        ; implicit-def: $vgpr4
	s_and_saveexec_b64 s[10:11], vcc
	s_cbranch_execz .LBB14_3718
; %bb.3717:
	buffer_load_dword v2, off, s[0:3], s32 offset:240
	buffer_load_dword v4, off, s[0:3], s32 offset:244
	s_mov_b32 s14, 0x800000
	v_mov_b32_e32 v5, 0x800000
	s_mov_b32 s15, 0x3f7ffffe
	v_mov_b32_e32 v10, 0x3f7ffffe
	s_waitcnt vmcnt(0)
	v_div_scale_f32 v7, s[12:13], v2, v2, v4
	v_rcp_f32_e32 v9, v7
	v_div_scale_f32 v15, vcc, v4, v2, v4
	v_fma_f32 v17, -v7, v9, 1.0
	v_fmac_f32_e32 v9, v17, v9
	v_mul_f32_e32 v17, v15, v9
	v_fma_f32 v19, -v7, v17, v15
	v_fmac_f32_e32 v17, v19, v9
	v_fma_f32 v7, -v7, v17, v15
	v_div_fmas_f32 v7, v7, v9, v17
	v_div_fixup_f32 v2, v7, v2, v4
	v_cmp_ngt_f32_e32 vcc, s14, v2
	v_cndmask_b32_e32 v2, v5, v2, vcc
	v_cmp_nlt_f32_e32 vcc, s15, v2
	v_cndmask_b32_e32 v4, v10, v2, vcc
.LBB14_3718:
	s_or_b64 exec, exec, s[10:11]
	v_add_u32_e32 v2, 0x3e00, v13
	v_cmp_lt_i32_e32 vcc, v2, v6
                                        ; implicit-def: $vgpr2
	s_and_saveexec_b64 s[10:11], vcc
	s_cbranch_execz .LBB14_3720
; %bb.3719:
	buffer_load_dword v2, off, s[0:3], s32 offset:248
	buffer_load_dword v5, off, s[0:3], s32 offset:252
	s_mov_b32 s14, 0x800000
	v_mov_b32_e32 v7, 0x800000
	s_mov_b32 s15, 0x3f7ffffe
	v_mov_b32_e32 v15, 0x3f7ffffe
	s_waitcnt vmcnt(0)
	v_div_scale_f32 v9, s[12:13], v2, v2, v5
	v_rcp_f32_e32 v10, v9
	v_div_scale_f32 v17, vcc, v5, v2, v5
	v_fma_f32 v19, -v9, v10, 1.0
	v_fmac_f32_e32 v10, v19, v10
	v_mul_f32_e32 v19, v17, v10
	v_fma_f32 v21, -v9, v19, v17
	v_fmac_f32_e32 v19, v21, v10
	v_fma_f32 v9, -v9, v19, v17
	v_div_fmas_f32 v9, v9, v10, v19
	v_div_fixup_f32 v2, v9, v2, v5
	v_cmp_ngt_f32_e32 vcc, s14, v2
	v_cndmask_b32_e32 v2, v7, v2, vcc
	v_cmp_nlt_f32_e32 vcc, s15, v2
	v_cndmask_b32_e32 v2, v15, v2, vcc
.LBB14_3720:
	s_or_b64 exec, exec, s[10:11]
	s_mov_b64 s[14:15], -1
	s_mov_b64 s[16:17], 0
	s_mov_b64 s[10:11], 0
	s_and_saveexec_b64 s[12:13], s[4:5]
	s_xor_b64 s[12:13], exec, s[12:13]
	s_cbranch_execz .LBB14_3846
; %bb.3721:
	v_readlane_b32 s4, v44, 1
	v_or_b32_e32 v5, s4, v13
	v_mul_lo_u32 v5, v5, v12
	v_add_co_u32_e32 v112, vcc, v0, v5
	v_mov_b32_e32 v5, 10
	v_addc_co_u32_e32 v113, vcc, 0, v1, vcc
	v_cmp_gt_i16_sdwa s[10:11], v11, v5 src0_sel:BYTE_0 src1_sel:DWORD
	s_mov_b64 s[4:5], 0
	s_mov_b64 s[14:15], 0
	s_and_saveexec_b64 s[18:19], s[10:11]
	s_xor_b64 s[10:11], exec, s[18:19]
	s_cbranch_execz .LBB14_3803
; %bb.3722:
	v_mov_b32_e32 v5, 25
	v_cmp_gt_i16_sdwa s[18:19], v11, v5 src0_sel:BYTE_0 src1_sel:DWORD
	s_and_saveexec_b64 s[20:21], s[18:19]
	s_xor_b64 s[18:19], exec, s[20:21]
	s_cbranch_execz .LBB14_3758
; %bb.3723:
	v_mov_b32_e32 v5, 28
	v_cmp_gt_i16_sdwa s[14:15], v11, v5 src0_sel:BYTE_0 src1_sel:DWORD
	s_mov_b64 s[20:21], 0
	s_and_saveexec_b64 s[22:23], s[14:15]
	s_xor_b64 s[14:15], exec, s[22:23]
	s_cbranch_execz .LBB14_3741
; %bb.3724:
	v_mov_b32_e32 v5, 43
	v_cmp_gt_i16_sdwa s[20:21], v11, v5 src0_sel:BYTE_0 src1_sel:DWORD
	s_mov_b64 s[24:25], 0
	;; [unrolled: 7-line block ×3, first 2 shown]
	s_and_saveexec_b64 s[26:27], s[4:5]
	s_xor_b64 s[4:5], exec, s[26:27]
	s_cbranch_execz .LBB14_3729
; %bb.3726:
	v_mov_b32_e32 v5, 46
	v_cmp_eq_u16_sdwa s[28:29], v11, v5 src0_sel:BYTE_0 src1_sel:DWORD
	s_mov_b64 s[26:27], -1
	s_and_saveexec_b64 s[24:25], s[28:29]
	s_cbranch_execz .LBB14_3728
; %bb.3727:
	v_bfe_u32 v5, v102, 16, 1
	s_movk_i32 s26, 0x7fff
	v_add3_u32 v5, v102, v5, s26
	v_lshrrev_b32_e32 v5, 16, v5
	v_mov_b32_e32 v7, 0x7fc0
	v_cmp_o_f32_e32 vcc, v102, v102
	v_cndmask_b32_e32 v5, v7, v5, vcc
	s_mov_b64 s[22:23], exec
	flat_store_dword v[112:113], v5
	s_xor_b64 s[26:27], exec, -1
.LBB14_3728:
	s_or_b64 exec, exec, s[24:25]
	s_and_b64 s[24:25], s[26:27], exec
	s_and_b64 s[22:23], s[22:23], exec
                                        ; implicit-def: $vgpr112_vgpr113
                                        ; implicit-def: $vgpr102
.LBB14_3729:
	s_andn2_saveexec_b64 s[26:27], s[4:5]
	s_cbranch_execz .LBB14_3735
; %bb.3730:
	v_mov_b32_e32 v5, 44
	v_cmp_eq_u16_sdwa s[30:31], v11, v5 src0_sel:BYTE_0 src1_sel:DWORD
	s_mov_b64 vcc, -1
	s_mov_b64 s[4:5], s[22:23]
	s_and_saveexec_b64 s[28:29], s[30:31]
	s_cbranch_execz .LBB14_3734
; %bb.3731:
	v_bfe_u32 v5, v102, 23, 8
	s_movk_i32 s4, 0xff
	v_cmp_ne_u32_e32 vcc, s4, v5
	v_mov_b32_e32 v7, 0xff
	s_and_saveexec_b64 s[30:31], vcc
; %bb.3732:
	s_mov_b32 s4, 0x3fffff
	v_and_b32_e32 v9, 0x400000, v102
	v_and_or_b32 v5, v102, s4, v5
	v_cmp_ne_u32_e32 vcc, 0, v9
	v_cmp_ne_u32_e64 s[4:5], 0, v5
	s_and_b64 s[4:5], vcc, s[4:5]
	v_lshrrev_b32_e32 v7, 23, v102
	v_cndmask_b32_e64 v5, 0, 1, s[4:5]
	v_add_u32_e32 v7, v7, v5
; %bb.3733:
	s_or_b64 exec, exec, s[30:31]
	s_xor_b64 vcc, exec, -1
	s_or_b64 s[4:5], s[22:23], exec
	flat_store_byte v[112:113], v7
.LBB14_3734:
	s_or_b64 exec, exec, s[28:29]
	s_andn2_b64 s[24:25], s[24:25], exec
	s_and_b64 s[28:29], vcc, exec
	s_andn2_b64 s[22:23], s[22:23], exec
	s_and_b64 s[4:5], s[4:5], exec
	s_or_b64 s[24:25], s[24:25], s[28:29]
	s_or_b64 s[22:23], s[22:23], s[4:5]
.LBB14_3735:
	s_or_b64 exec, exec, s[26:27]
	s_and_b64 s[24:25], s[24:25], exec
	s_and_b64 s[4:5], s[22:23], exec
                                        ; implicit-def: $vgpr102
                                        ; implicit-def: $vgpr112_vgpr113
.LBB14_3736:
	s_andn2_saveexec_b64 s[20:21], s[20:21]
	s_cbranch_execz .LBB14_3740
; %bb.3737:
	v_mov_b32_e32 v5, 29
	v_cmp_eq_u16_sdwa vcc, v11, v5 src0_sel:BYTE_0 src1_sel:DWORD
	s_mov_b64 s[28:29], -1
	s_mov_b64 s[26:27], s[4:5]
	s_and_saveexec_b64 s[22:23], vcc
	s_cbranch_execz .LBB14_3739
; %bb.3738:
	v_trunc_f32_e32 v5, v102
	v_mul_f32_e32 v7, 0x2f800000, v5
	v_floor_f32_e32 v7, v7
	v_fmac_f32_e32 v5, 0xcf800000, v7
	v_cvt_u32_f32_e32 v103, v7
	v_cvt_u32_f32_e32 v102, v5
	s_xor_b64 s[28:29], exec, -1
	s_or_b64 s[26:27], s[4:5], exec
	flat_store_dwordx2 v[112:113], v[102:103]
.LBB14_3739:
	s_or_b64 exec, exec, s[22:23]
	s_andn2_b64 s[22:23], s[24:25], exec
	s_and_b64 s[24:25], s[28:29], exec
	s_or_b64 s[24:25], s[22:23], s[24:25]
	s_andn2_b64 s[4:5], s[4:5], exec
	s_and_b64 s[22:23], s[26:27], exec
	s_or_b64 s[4:5], s[4:5], s[22:23]
.LBB14_3740:
	s_or_b64 exec, exec, s[20:21]
	s_and_b64 s[20:21], s[24:25], exec
	s_and_b64 s[4:5], s[4:5], exec
                                        ; implicit-def: $vgpr112_vgpr113
                                        ; implicit-def: $vgpr102
.LBB14_3741:
	s_andn2_saveexec_b64 s[14:15], s[14:15]
	s_cbranch_execz .LBB14_3757
; %bb.3742:
	v_mov_b32_e32 v5, 26
	v_cmp_gt_i16_sdwa s[22:23], v11, v5 src0_sel:BYTE_0 src1_sel:DWORD
	s_and_saveexec_b64 s[24:25], s[22:23]
	s_xor_b64 s[22:23], exec, s[24:25]
	s_cbranch_execz .LBB14_3748
; %bb.3743:
	v_cvt_u32_f32_e32 v5, v102
	v_mov_b32_e32 v7, 27
	v_cmp_gt_i16_sdwa s[24:25], v11, v7 src0_sel:BYTE_0 src1_sel:DWORD
	s_and_saveexec_b64 s[26:27], s[24:25]
	s_xor_b64 s[24:25], exec, s[26:27]
	s_cbranch_execz .LBB14_3745
; %bb.3744:
	flat_store_dword v[112:113], v5
                                        ; implicit-def: $vgpr112_vgpr113
                                        ; implicit-def: $vgpr5
.LBB14_3745:
	s_andn2_saveexec_b64 s[24:25], s[24:25]
	s_cbranch_execz .LBB14_3747
; %bb.3746:
	flat_store_short v[112:113], v5
.LBB14_3747:
	s_or_b64 exec, exec, s[24:25]
                                        ; implicit-def: $vgpr112_vgpr113
                                        ; implicit-def: $vgpr102
.LBB14_3748:
	s_andn2_saveexec_b64 s[22:23], s[22:23]
	s_cbranch_execz .LBB14_3756
; %bb.3749:
	v_and_b32_e32 v5, 0x7fffffff, v102
	s_mov_b32 s24, 0x43800000
	v_cmp_gt_u32_e32 vcc, s24, v5
	v_mov_b32_e32 v7, 0x80
	s_and_saveexec_b64 s[24:25], vcc
	s_cbranch_execz .LBB14_3755
; %bb.3750:
	s_mov_b32 s26, 0x3bffffff
	v_cmp_lt_u32_e32 vcc, s26, v5
	s_mov_b64 s[26:27], 0
                                        ; implicit-def: $vgpr5
	s_and_saveexec_b64 s[28:29], vcc
	s_xor_b64 s[28:29], exec, s[28:29]
	s_cbranch_execnz .LBB14_5319
; %bb.3751:
	s_or_saveexec_b64 s[28:29], s[28:29]
                                        ; implicit-def: $sgpr30
	s_xor_b64 exec, exec, s[28:29]
	s_cbranch_execnz .LBB14_5320
.LBB14_3752:
	s_or_b64 exec, exec, s[28:29]
	v_mov_b32_e32 v7, s30
	s_and_saveexec_b64 s[28:29], s[26:27]
.LBB14_3753:
	v_lshrrev_b32_e32 v7, 24, v102
	s_movk_i32 s26, 0x80
	v_and_or_b32 v7, v7, s26, v5
.LBB14_3754:
	s_or_b64 exec, exec, s[28:29]
.LBB14_3755:
	s_or_b64 exec, exec, s[24:25]
	flat_store_byte v[112:113], v7
.LBB14_3756:
	s_or_b64 exec, exec, s[22:23]
	s_or_b64 s[4:5], s[4:5], exec
.LBB14_3757:
	s_or_b64 exec, exec, s[14:15]
	s_and_b64 s[14:15], s[20:21], exec
	s_and_b64 s[4:5], s[4:5], exec
                                        ; implicit-def: $vgpr102
                                        ; implicit-def: $vgpr112_vgpr113
.LBB14_3758:
	s_andn2_saveexec_b64 s[18:19], s[18:19]
	s_cbranch_execz .LBB14_3802
; %bb.3759:
	v_mov_b32_e32 v5, 22
	v_cmp_gt_i16_sdwa s[20:21], v11, v5 src0_sel:BYTE_0 src1_sel:DWORD
	s_mov_b64 s[22:23], s[4:5]
	s_and_saveexec_b64 s[24:25], s[20:21]
	s_xor_b64 s[20:21], exec, s[24:25]
	s_cbranch_execz .LBB14_3791
; %bb.3760:
	v_mov_b32_e32 v5, 23
	v_cmp_gt_i16_sdwa s[22:23], v11, v5 src0_sel:BYTE_0 src1_sel:DWORD
	s_and_saveexec_b64 s[24:25], s[22:23]
	s_xor_b64 s[22:23], exec, s[24:25]
	s_cbranch_execz .LBB14_3780
; %bb.3761:
	v_mov_b32_e32 v5, 24
	v_cmp_gt_i16_sdwa s[24:25], v11, v5 src0_sel:BYTE_0 src1_sel:DWORD
	s_and_saveexec_b64 s[26:27], s[24:25]
	s_xor_b64 s[24:25], exec, s[26:27]
	s_cbranch_execz .LBB14_3769
; %bb.3762:
	v_and_b32_e32 v5, 0x7fffffff, v102
	s_mov_b32 s26, 0x47800000
	v_cmp_gt_u32_e32 vcc, s26, v5
	v_mov_b32_e32 v7, 0x80
	s_and_saveexec_b64 s[26:27], vcc
	s_cbranch_execz .LBB14_3768
; %bb.3763:
	s_mov_b32 s28, 0x37ffffff
	v_cmp_lt_u32_e32 vcc, s28, v5
	s_mov_b64 s[28:29], 0
                                        ; implicit-def: $vgpr5
	s_and_saveexec_b64 s[30:31], vcc
	s_xor_b64 vcc, exec, s[30:31]
	s_cbranch_execnz .LBB14_5443
; %bb.3764:
	s_or_saveexec_b64 s[30:31], vcc
                                        ; implicit-def: $sgpr34
	s_xor_b64 exec, exec, s[30:31]
	s_cbranch_execnz .LBB14_5444
.LBB14_3765:
	s_or_b64 exec, exec, s[30:31]
	v_mov_b32_e32 v7, s34
	s_and_saveexec_b64 vcc, s[28:29]
.LBB14_3766:
	v_lshrrev_b32_e32 v7, 24, v102
	s_movk_i32 s28, 0x80
	v_and_or_b32 v7, v7, s28, v5
.LBB14_3767:
	s_or_b64 exec, exec, vcc
.LBB14_3768:
	s_or_b64 exec, exec, s[26:27]
	flat_store_byte v[112:113], v7
                                        ; implicit-def: $vgpr102
                                        ; implicit-def: $vgpr112_vgpr113
.LBB14_3769:
	s_andn2_saveexec_b64 s[24:25], s[24:25]
	s_cbranch_execz .LBB14_3779
; %bb.3770:
	v_and_b32_e32 v7, 0x7fffffff, v102
	s_mov_b32 s26, 0x43f00000
	v_cmp_gt_u32_e32 vcc, s26, v7
                                        ; implicit-def: $vgpr5
	s_and_saveexec_b64 s[26:27], vcc
	s_xor_b64 s[26:27], exec, s[26:27]
	s_cbranch_execz .LBB14_3776
; %bb.3771:
	s_mov_b32 s28, 0x3c7fffff
	v_cmp_lt_u32_e32 vcc, s28, v7
                                        ; implicit-def: $vgpr5
	s_and_saveexec_b64 s[28:29], vcc
	s_xor_b64 s[28:29], exec, s[28:29]
; %bb.3772:
	v_bfe_u32 v5, v102, 20, 1
	s_mov_b32 vcc_lo, 0x407ffff
	v_add3_u32 v5, v102, v5, vcc_lo
	v_lshrrev_b32_e32 v7, 20, v5
	v_and_b32_e32 v5, 0xff00000, v5
	s_mov_b32 vcc_lo, 0x7f00000
	v_mov_b32_e32 v9, 0x7e
	v_cmp_ne_u32_e32 vcc, vcc_lo, v5
	v_cndmask_b32_e32 v5, v9, v7, vcc
; %bb.3773:
	s_andn2_saveexec_b64 s[28:29], s[28:29]
; %bb.3774:
	s_mov_b32 s30, 0x46800000
	v_add_f32_e64 v5, |v102|, s30
; %bb.3775:
	s_or_b64 exec, exec, s[28:29]
                                        ; implicit-def: $vgpr7
.LBB14_3776:
	s_andn2_saveexec_b64 s[26:27], s[26:27]
; %bb.3777:
	s_mov_b32 s28, 0x7f800000
	v_mov_b32_e32 v5, 0x7e
	v_mov_b32_e32 v9, 0x7f
	v_cmp_lt_u32_e32 vcc, s28, v7
	v_cndmask_b32_e32 v5, v5, v9, vcc
; %bb.3778:
	s_or_b64 exec, exec, s[26:27]
	v_lshrrev_b32_e32 v7, 24, v102
	s_movk_i32 s26, 0x80
	v_and_or_b32 v5, v7, s26, v5
	flat_store_byte v[112:113], v5
.LBB14_3779:
	s_or_b64 exec, exec, s[24:25]
                                        ; implicit-def: $vgpr102
                                        ; implicit-def: $vgpr112_vgpr113
.LBB14_3780:
	s_andn2_saveexec_b64 s[22:23], s[22:23]
	s_cbranch_execz .LBB14_3790
; %bb.3781:
	v_and_b32_e32 v7, 0x7fffffff, v102
	s_mov_b32 s24, 0x47800000
	v_cmp_gt_u32_e32 vcc, s24, v7
                                        ; implicit-def: $vgpr5
	s_and_saveexec_b64 s[24:25], vcc
	s_xor_b64 s[24:25], exec, s[24:25]
	s_cbranch_execz .LBB14_3787
; %bb.3782:
	s_mov_b32 s26, 0x387fffff
	v_cmp_lt_u32_e32 vcc, s26, v7
                                        ; implicit-def: $vgpr5
	s_and_saveexec_b64 s[26:27], vcc
	s_xor_b64 s[26:27], exec, s[26:27]
; %bb.3783:
	v_bfe_u32 v5, v102, 21, 1
	s_mov_b32 s28, 0x80fffff
	v_add3_u32 v5, v102, v5, s28
	v_lshrrev_b32_e32 v5, 21, v5
; %bb.3784:
	s_andn2_saveexec_b64 s[26:27], s[26:27]
; %bb.3785:
	s_mov_b32 s28, 0x43000000
	v_add_f32_e64 v5, |v102|, s28
; %bb.3786:
	s_or_b64 exec, exec, s[26:27]
                                        ; implicit-def: $vgpr7
.LBB14_3787:
	s_andn2_saveexec_b64 s[24:25], s[24:25]
; %bb.3788:
	s_mov_b32 s26, 0x7f800000
	v_mov_b32_e32 v5, 0x7c
	v_mov_b32_e32 v9, 0x7f
	v_cmp_lt_u32_e32 vcc, s26, v7
	v_cndmask_b32_e32 v5, v5, v9, vcc
; %bb.3789:
	s_or_b64 exec, exec, s[24:25]
	v_lshrrev_b32_e32 v7, 24, v102
	s_movk_i32 s24, 0x80
	v_and_or_b32 v5, v7, s24, v5
	flat_store_byte v[112:113], v5
.LBB14_3790:
	s_or_b64 exec, exec, s[22:23]
	s_or_b64 s[22:23], s[4:5], exec
                                        ; implicit-def: $vgpr112_vgpr113
                                        ; implicit-def: $vgpr102
.LBB14_3791:
	s_or_saveexec_b64 s[20:21], s[20:21]
	s_mov_b64 s[26:27], s[14:15]
	s_xor_b64 exec, exec, s[20:21]
	s_cbranch_execz .LBB14_3801
; %bb.3792:
	v_mov_b32_e32 v5, 14
	v_cmp_gt_i16_sdwa s[28:29], v11, v5 src0_sel:BYTE_0 src1_sel:DWORD
	s_mov_b64 s[24:25], s[22:23]
	s_mov_b64 s[26:27], s[14:15]
	s_and_saveexec_b64 vcc, s[28:29]
	s_xor_b64 s[28:29], exec, vcc
	s_cbranch_execz .LBB14_3796
; %bb.3793:
	v_mov_b32_e32 v5, 15
	v_cmp_eq_u16_sdwa s[30:31], v11, v5 src0_sel:BYTE_0 src1_sel:DWORD
	s_mov_b64 s[26:27], -1
	s_mov_b64 vcc, s[22:23]
	s_and_saveexec_b64 s[24:25], s[30:31]
	s_cbranch_execz .LBB14_3795
; %bb.3794:
	v_bfe_u32 v5, v102, 16, 1
	s_movk_i32 s26, 0x7fff
	v_add3_u32 v5, v102, v5, s26
	v_lshrrev_b32_e32 v5, 16, v5
	v_mov_b32_e32 v7, 0x7fc0
	v_cmp_o_f32_e32 vcc, v102, v102
	v_cndmask_b32_e32 v5, v7, v5, vcc
	flat_store_short v[112:113], v5
	s_xor_b64 s[26:27], exec, -1
	s_or_b64 vcc, s[22:23], exec
.LBB14_3795:
	s_or_b64 exec, exec, s[24:25]
	s_andn2_b64 s[24:25], s[14:15], exec
	s_and_b64 s[26:27], s[26:27], exec
	s_or_b64 s[26:27], s[24:25], s[26:27]
	s_andn2_b64 s[24:25], s[22:23], exec
	s_and_b64 vcc, vcc, exec
	s_or_b64 s[24:25], s[24:25], vcc
                                        ; implicit-def: $vgpr112_vgpr113
.LBB14_3796:
	s_andn2_saveexec_b64 s[28:29], s[28:29]
	s_cbranch_execz .LBB14_3800
; %bb.3797:
	v_mov_b32_e32 v5, 11
	v_cmp_eq_u16_sdwa s[36:37], v11, v5 src0_sel:BYTE_0 src1_sel:DWORD
	s_mov_b64 s[30:31], -1
	s_mov_b64 vcc, s[24:25]
	s_and_saveexec_b64 s[34:35], s[36:37]
	s_cbranch_execz .LBB14_3799
; %bb.3798:
	v_mov_b32_e32 v5, 1
	flat_store_byte v[112:113], v5
	s_xor_b64 s[30:31], exec, -1
	s_or_b64 vcc, s[24:25], exec
.LBB14_3799:
	s_or_b64 exec, exec, s[34:35]
	s_andn2_b64 s[26:27], s[26:27], exec
	s_and_b64 s[30:31], s[30:31], exec
	s_andn2_b64 s[24:25], s[24:25], exec
	s_and_b64 vcc, vcc, exec
	s_or_b64 s[26:27], s[26:27], s[30:31]
	s_or_b64 s[24:25], s[24:25], vcc
.LBB14_3800:
	s_or_b64 exec, exec, s[28:29]
	s_andn2_b64 s[28:29], s[14:15], exec
	s_and_b64 s[26:27], s[26:27], exec
	s_andn2_b64 s[22:23], s[22:23], exec
	s_and_b64 s[24:25], s[24:25], exec
	s_or_b64 s[26:27], s[28:29], s[26:27]
	s_or_b64 s[22:23], s[22:23], s[24:25]
.LBB14_3801:
	s_or_b64 exec, exec, s[20:21]
	s_andn2_b64 s[14:15], s[14:15], exec
	s_and_b64 s[20:21], s[26:27], exec
	s_or_b64 s[14:15], s[14:15], s[20:21]
	s_andn2_b64 s[4:5], s[4:5], exec
	s_and_b64 s[20:21], s[22:23], exec
	s_or_b64 s[4:5], s[4:5], s[20:21]
.LBB14_3802:
	s_or_b64 exec, exec, s[18:19]
	s_and_b64 s[14:15], s[14:15], exec
	s_and_b64 s[4:5], s[4:5], exec
                                        ; implicit-def: $vgpr102
                                        ; implicit-def: $vgpr112_vgpr113
.LBB14_3803:
	s_andn2_saveexec_b64 s[10:11], s[10:11]
	s_cbranch_execz .LBB14_3845
; %bb.3804:
	v_mov_b32_e32 v5, 4
	v_cmp_gt_i16_sdwa s[18:19], v11, v5 src0_sel:BYTE_0 src1_sel:DWORD
	s_and_saveexec_b64 s[20:21], s[18:19]
	s_xor_b64 s[18:19], exec, s[20:21]
	s_cbranch_execz .LBB14_3826
; %bb.3805:
	v_mov_b32_e32 v5, 7
	v_cmp_gt_i16_sdwa s[20:21], v11, v5 src0_sel:BYTE_0 src1_sel:DWORD
	s_and_saveexec_b64 s[22:23], s[20:21]
	s_xor_b64 s[20:21], exec, s[22:23]
	;; [unrolled: 6-line block ×4, first 2 shown]
	s_cbranch_execz .LBB14_3809
; %bb.3808:
	v_mov_b32_e32 v116, 0
	v_cvt_f64_f32_e32 v[114:115], v102
	v_mov_b32_e32 v117, v116
	flat_store_dwordx4 v[112:113], v[114:117]
                                        ; implicit-def: $vgpr102
                                        ; implicit-def: $vgpr112_vgpr113
.LBB14_3809:
	s_andn2_saveexec_b64 s[24:25], s[24:25]
	s_cbranch_execz .LBB14_3811
; %bb.3810:
	v_mov_b32_e32 v103, 0
	flat_store_dwordx2 v[112:113], v[102:103]
.LBB14_3811:
	s_or_b64 exec, exec, s[24:25]
                                        ; implicit-def: $vgpr102
                                        ; implicit-def: $vgpr112_vgpr113
.LBB14_3812:
	s_andn2_saveexec_b64 s[22:23], s[22:23]
	s_cbranch_execz .LBB14_3814
; %bb.3813:
	v_cvt_f16_f32_e32 v5, v102
	flat_store_dword v[112:113], v5
.LBB14_3814:
	s_or_b64 exec, exec, s[22:23]
                                        ; implicit-def: $vgpr102
                                        ; implicit-def: $vgpr112_vgpr113
.LBB14_3815:
	s_andn2_saveexec_b64 s[20:21], s[20:21]
	s_cbranch_execz .LBB14_3825
; %bb.3816:
	v_mov_b32_e32 v5, 5
	v_cmp_gt_i16_sdwa s[22:23], v11, v5 src0_sel:BYTE_0 src1_sel:DWORD
	s_and_saveexec_b64 s[24:25], s[22:23]
	s_xor_b64 s[22:23], exec, s[24:25]
	s_cbranch_execz .LBB14_3822
; %bb.3817:
	v_mov_b32_e32 v5, 6
	v_cmp_gt_i16_sdwa s[24:25], v11, v5 src0_sel:BYTE_0 src1_sel:DWORD
	s_and_saveexec_b64 s[26:27], s[24:25]
	s_xor_b64 s[24:25], exec, s[26:27]
	s_cbranch_execz .LBB14_3819
; %bb.3818:
	v_cvt_f64_f32_e32 v[102:103], v102
	flat_store_dwordx2 v[112:113], v[102:103]
                                        ; implicit-def: $vgpr112_vgpr113
                                        ; implicit-def: $vgpr102
.LBB14_3819:
	s_andn2_saveexec_b64 s[24:25], s[24:25]
	s_cbranch_execz .LBB14_3821
; %bb.3820:
	flat_store_dword v[112:113], v102
.LBB14_3821:
	s_or_b64 exec, exec, s[24:25]
                                        ; implicit-def: $vgpr102
                                        ; implicit-def: $vgpr112_vgpr113
.LBB14_3822:
	s_andn2_saveexec_b64 s[22:23], s[22:23]
	s_cbranch_execz .LBB14_3824
; %bb.3823:
	v_cvt_f16_f32_e32 v5, v102
	flat_store_short v[112:113], v5
.LBB14_3824:
	s_or_b64 exec, exec, s[22:23]
.LBB14_3825:
	s_or_b64 exec, exec, s[20:21]
                                        ; implicit-def: $vgpr102
                                        ; implicit-def: $vgpr112_vgpr113
.LBB14_3826:
	s_andn2_saveexec_b64 s[18:19], s[18:19]
	s_cbranch_execz .LBB14_3844
; %bb.3827:
	v_mov_b32_e32 v5, 1
	v_cmp_gt_i16_sdwa s[20:21], v11, v5 src0_sel:BYTE_0 src1_sel:DWORD
	s_and_saveexec_b64 s[22:23], s[20:21]
	s_xor_b64 s[20:21], exec, s[22:23]
	s_cbranch_execz .LBB14_3837
; %bb.3828:
	v_mov_b32_e32 v5, 2
	v_cmp_gt_i16_sdwa s[22:23], v11, v5 src0_sel:BYTE_0 src1_sel:DWORD
	s_and_saveexec_b64 s[24:25], s[22:23]
	s_xor_b64 s[22:23], exec, s[24:25]
	;; [unrolled: 6-line block ×3, first 2 shown]
	s_cbranch_execz .LBB14_3831
; %bb.3830:
	v_trunc_f32_e32 v5, v102
	s_mov_b32 s26, 0x2f800000
	v_mul_f32_e64 v7, |v5|, s26
	v_floor_f32_e32 v7, v7
	s_mov_b32 s26, 0xcf800000
	v_cvt_u32_f32_e32 v9, v7
	v_fma_f32 v7, v7, s26, |v5|
	v_cvt_u32_f32_e32 v7, v7
	v_ashrrev_i32_e32 v5, 31, v5
	v_xor_b32_e32 v9, v9, v5
	v_xor_b32_e32 v7, v7, v5
	v_sub_co_u32_e32 v102, vcc, v7, v5
	v_subb_co_u32_e32 v103, vcc, v9, v5, vcc
	flat_store_dwordx2 v[112:113], v[102:103]
                                        ; implicit-def: $vgpr102
                                        ; implicit-def: $vgpr112_vgpr113
.LBB14_3831:
	s_andn2_saveexec_b64 s[24:25], s[24:25]
	s_cbranch_execz .LBB14_3833
; %bb.3832:
	v_cvt_i32_f32_e32 v5, v102
	flat_store_dword v[112:113], v5
.LBB14_3833:
	s_or_b64 exec, exec, s[24:25]
                                        ; implicit-def: $vgpr102
                                        ; implicit-def: $vgpr112_vgpr113
.LBB14_3834:
	s_andn2_saveexec_b64 s[22:23], s[22:23]
	s_cbranch_execz .LBB14_3836
; %bb.3835:
	v_cvt_i32_f32_e32 v5, v102
	flat_store_short v[112:113], v5
.LBB14_3836:
	s_or_b64 exec, exec, s[22:23]
                                        ; implicit-def: $vgpr102
                                        ; implicit-def: $vgpr112_vgpr113
.LBB14_3837:
	s_andn2_saveexec_b64 s[20:21], s[20:21]
	s_cbranch_execz .LBB14_3843
; %bb.3838:
	v_mov_b32_e32 v5, 0
	v_cmp_gt_i16_sdwa s[22:23], v11, v5 src0_sel:BYTE_0 src1_sel:DWORD
	s_and_saveexec_b64 s[24:25], s[22:23]
	s_xor_b64 s[22:23], exec, s[24:25]
	s_cbranch_execz .LBB14_3840
; %bb.3839:
	v_cvt_i32_f32_e32 v5, v102
                                        ; implicit-def: $vgpr102
	flat_store_byte v[112:113], v5
                                        ; implicit-def: $vgpr112_vgpr113
.LBB14_3840:
	s_andn2_saveexec_b64 s[22:23], s[22:23]
	s_cbranch_execz .LBB14_3842
; %bb.3841:
	v_trunc_f32_e32 v5, v102
	s_mov_b32 s24, 0x2f800000
	v_mul_f32_e64 v7, |v5|, s24
	v_floor_f32_e32 v7, v7
	s_mov_b32 s24, 0xcf800000
	v_fma_f32 v7, v7, s24, |v5|
	v_cvt_u32_f32_e32 v7, v7
	v_ashrrev_i32_e32 v5, 31, v5
	v_xor_b32_e32 v7, v7, v5
	v_sub_u32_e32 v5, v7, v5
	flat_store_byte v[112:113], v5
.LBB14_3842:
	s_or_b64 exec, exec, s[22:23]
.LBB14_3843:
	s_or_b64 exec, exec, s[20:21]
.LBB14_3844:
	s_or_b64 exec, exec, s[18:19]
	s_or_b64 s[4:5], s[4:5], exec
.LBB14_3845:
	s_or_b64 exec, exec, s[10:11]
	s_and_b64 s[10:11], s[14:15], exec
	s_orn2_b64 s[14:15], s[4:5], exec
	v_mov_b32_e32 v13, v3
.LBB14_3846:
	s_or_b64 exec, exec, s[12:13]
	s_mov_b64 s[18:19], 0
	s_mov_b64 s[4:5], 0
                                        ; implicit-def: $vgpr5
                                        ; implicit-def: $vgpr102_vgpr103
	s_and_saveexec_b64 s[12:13], s[14:15]
	s_cbranch_execnz .LBB14_3850
; %bb.3847:
	s_or_b64 exec, exec, s[12:13]
	s_mov_b64 s[12:13], 0
	s_and_saveexec_b64 s[14:15], s[10:11]
	s_cbranch_execnz .LBB14_4783
.LBB14_3848:
	s_or_b64 exec, exec, s[14:15]
	s_and_saveexec_b64 s[10:11], s[16:17]
	s_xor_b64 s[10:11], exec, s[10:11]
	s_cbranch_execnz .LBB14_4784
.LBB14_3849:
	s_or_b64 exec, exec, s[10:11]
	s_and_saveexec_b64 s[10:11], s[18:19]
	s_cbranch_execnz .LBB14_4785
	s_branch .LBB14_4826
.LBB14_3850:
	v_cmp_lt_i32_e32 vcc, v13, v6
	s_mov_b64 s[4:5], -1
	s_mov_b64 s[14:15], s[10:11]
	s_and_saveexec_b64 s[16:17], vcc
	s_cbranch_execz .LBB14_3856
; %bb.3851:
	v_readlane_b32 s4, v44, 1
	v_add_u32_e32 v3, s4, v13
	v_mul_lo_u32 v3, v3, v12
	v_add_co_u32_e32 v102, vcc, v0, v3
	v_mov_b32_e32 v3, 10
	v_addc_co_u32_e32 v103, vcc, 0, v1, vcc
	v_cmp_gt_i16_sdwa s[14:15], v11, v3 src0_sel:BYTE_0 src1_sel:DWORD
	s_mov_b64 s[4:5], 0
	s_mov_b64 s[18:19], s[10:11]
	s_and_saveexec_b64 s[20:21], s[14:15]
	s_xor_b64 s[14:15], exec, s[20:21]
	s_cbranch_execnz .LBB14_4830
; %bb.3852:
	s_andn2_saveexec_b64 s[14:15], s[14:15]
	s_cbranch_execnz .LBB14_4911
.LBB14_3853:
	s_or_b64 exec, exec, s[14:15]
	s_mov_b64 s[20:21], 0
	s_and_saveexec_b64 s[14:15], s[4:5]
.LBB14_3854:
	s_mov_b64 s[20:21], exec
	v_add_u32_e32 v13, 0x200, v13
.LBB14_3855:
	s_or_b64 exec, exec, s[14:15]
	s_andn2_b64 s[4:5], s[10:11], exec
	s_and_b64 s[14:15], s[18:19], exec
	s_or_b64 s[14:15], s[4:5], s[14:15]
	s_orn2_b64 s[4:5], s[20:21], exec
.LBB14_3856:
	s_or_b64 exec, exec, s[16:17]
	s_mov_b64 s[20:21], 0
	s_mov_b64 s[22:23], 0
	;; [unrolled: 1-line block ×3, first 2 shown]
                                        ; implicit-def: $vgpr5
                                        ; implicit-def: $vgpr102_vgpr103
	s_and_saveexec_b64 s[16:17], s[4:5]
	s_cbranch_execz .LBB14_4782
; %bb.3857:
	v_cmp_lt_i32_e32 vcc, v13, v6
	s_mov_b64 s[22:23], -1
	s_mov_b64 s[18:19], s[14:15]
	s_and_saveexec_b64 s[20:21], vcc
	s_cbranch_execz .LBB14_3863
; %bb.3858:
	v_readlane_b32 s4, v44, 1
	v_add_u32_e32 v3, s4, v13
	v_mul_lo_u32 v3, v3, v12
	v_add_co_u32_e32 v100, vcc, v0, v3
	v_mov_b32_e32 v3, 10
	v_addc_co_u32_e32 v101, vcc, 0, v1, vcc
	v_cmp_gt_i16_sdwa s[18:19], v11, v3 src0_sel:BYTE_0 src1_sel:DWORD
	s_mov_b64 s[4:5], 0
	s_mov_b64 s[22:23], s[14:15]
	s_and_saveexec_b64 s[24:25], s[18:19]
	s_xor_b64 s[18:19], exec, s[24:25]
	s_cbranch_execnz .LBB14_4953
; %bb.3859:
	s_andn2_saveexec_b64 s[18:19], s[18:19]
	s_cbranch_execnz .LBB14_5034
.LBB14_3860:
	s_or_b64 exec, exec, s[18:19]
	s_mov_b64 s[24:25], 0
	s_and_saveexec_b64 s[18:19], s[4:5]
.LBB14_3861:
	s_mov_b64 s[24:25], exec
	v_add_u32_e32 v13, 0x200, v13
.LBB14_3862:
	s_or_b64 exec, exec, s[18:19]
	s_andn2_b64 s[4:5], s[14:15], exec
	s_and_b64 s[18:19], s[22:23], exec
	s_or_b64 s[18:19], s[4:5], s[18:19]
	s_orn2_b64 s[22:23], s[24:25], exec
.LBB14_3863:
	s_or_b64 exec, exec, s[20:21]
	s_mov_b64 s[4:5], 0
	s_mov_b64 s[24:25], 0
	;; [unrolled: 1-line block ×3, first 2 shown]
                                        ; implicit-def: $vgpr5
                                        ; implicit-def: $vgpr102_vgpr103
	s_and_saveexec_b64 s[20:21], s[22:23]
	s_cbranch_execz .LBB14_4781
; %bb.3864:
	v_cmp_lt_i32_e32 vcc, v13, v6
	s_mov_b64 s[26:27], -1
	s_mov_b64 s[22:23], s[18:19]
	s_and_saveexec_b64 s[24:25], vcc
	s_cbranch_execz .LBB14_3870
; %bb.3865:
	v_readlane_b32 s4, v44, 1
	v_add_u32_e32 v3, s4, v13
	v_mul_lo_u32 v3, v3, v12
	v_add_co_u32_e32 v98, vcc, v0, v3
	v_mov_b32_e32 v3, 10
	v_addc_co_u32_e32 v99, vcc, 0, v1, vcc
	v_cmp_gt_i16_sdwa s[22:23], v11, v3 src0_sel:BYTE_0 src1_sel:DWORD
	s_mov_b64 s[4:5], 0
	s_mov_b64 s[26:27], s[18:19]
	s_and_saveexec_b64 s[28:29], s[22:23]
	s_xor_b64 s[22:23], exec, s[28:29]
	s_cbranch_execnz .LBB14_5075
; %bb.3866:
	s_andn2_saveexec_b64 s[22:23], s[22:23]
	s_cbranch_execnz .LBB14_5156
.LBB14_3867:
	s_or_b64 exec, exec, s[22:23]
	s_mov_b64 s[28:29], 0
	s_and_saveexec_b64 s[22:23], s[4:5]
.LBB14_3868:
	s_mov_b64 s[28:29], exec
	v_add_u32_e32 v13, 0x200, v13
.LBB14_3869:
	s_or_b64 exec, exec, s[22:23]
	s_andn2_b64 s[4:5], s[18:19], exec
	s_and_b64 s[22:23], s[26:27], exec
	s_or_b64 s[22:23], s[4:5], s[22:23]
	s_orn2_b64 s[26:27], s[28:29], exec
.LBB14_3870:
	s_or_b64 exec, exec, s[24:25]
	s_mov_b64 s[4:5], 0
	s_mov_b64 s[28:29], 0
	s_mov_b64 s[34:35], 0
                                        ; implicit-def: $vgpr5
                                        ; implicit-def: $vgpr102_vgpr103
	s_and_saveexec_b64 s[24:25], s[26:27]
	s_cbranch_execz .LBB14_4780
; %bb.3871:
	v_cmp_lt_i32_e32 vcc, v13, v6
	s_mov_b64 s[4:5], -1
	s_mov_b64 s[26:27], s[22:23]
	s_and_saveexec_b64 s[28:29], vcc
	s_cbranch_execz .LBB14_3877
; %bb.3872:
	v_readlane_b32 s4, v44, 1
	v_add_u32_e32 v3, s4, v13
	v_mul_lo_u32 v3, v3, v12
	v_add_co_u32_e32 v96, vcc, v0, v3
	v_mov_b32_e32 v3, 10
	v_addc_co_u32_e32 v97, vcc, 0, v1, vcc
	v_cmp_gt_i16_sdwa s[26:27], v11, v3 src0_sel:BYTE_0 src1_sel:DWORD
	s_mov_b64 s[4:5], 0
	s_mov_b64 s[30:31], s[22:23]
	s_and_saveexec_b64 vcc, s[26:27]
	s_xor_b64 s[26:27], exec, vcc
	s_cbranch_execnz .LBB14_5197
; %bb.3873:
	s_andn2_saveexec_b64 s[26:27], s[26:27]
	s_cbranch_execnz .LBB14_5278
.LBB14_3874:
	s_or_b64 exec, exec, s[26:27]
	s_mov_b64 vcc, 0
	s_and_saveexec_b64 s[26:27], s[4:5]
.LBB14_3875:
	s_mov_b64 vcc, exec
	v_add_u32_e32 v13, 0x200, v13
.LBB14_3876:
	s_or_b64 exec, exec, s[26:27]
	s_andn2_b64 s[4:5], s[22:23], exec
	s_and_b64 s[26:27], s[30:31], exec
	s_or_b64 s[26:27], s[4:5], s[26:27]
	s_orn2_b64 s[4:5], vcc, exec
.LBB14_3877:
	s_or_b64 exec, exec, s[28:29]
	s_mov_b64 vcc, 0
	s_mov_b64 s[30:31], 0
	s_mov_b64 s[34:35], 0
                                        ; implicit-def: $vgpr5
                                        ; implicit-def: $vgpr102_vgpr103
	s_and_saveexec_b64 s[28:29], s[4:5]
	s_cbranch_execz .LBB14_4779
; %bb.3878:
	v_cmp_lt_i32_e32 vcc, v13, v6
	s_mov_b64 s[34:35], -1
	s_mov_b64 s[4:5], s[26:27]
	s_and_saveexec_b64 s[30:31], vcc
	s_cbranch_execz .LBB14_3884
; %bb.3879:
	v_readlane_b32 s4, v44, 1
	v_add_u32_e32 v3, s4, v13
	v_mul_lo_u32 v3, v3, v12
	v_add_co_u32_e32 v86, vcc, v0, v3
	v_addc_co_u32_e32 v87, vcc, 0, v1, vcc
	v_mov_b32_e32 v3, 10
	v_cmp_gt_i16_sdwa vcc, v11, v3 src0_sel:BYTE_0 src1_sel:DWORD
	s_mov_b64 s[4:5], 0
	s_mov_b64 s[36:37], s[26:27]
	s_and_saveexec_b64 s[34:35], vcc
	s_xor_b64 s[34:35], exec, s[34:35]
	s_cbranch_execnz .LBB14_5321
; %bb.3880:
	s_andn2_saveexec_b64 s[34:35], s[34:35]
	s_cbranch_execnz .LBB14_5402
.LBB14_3881:
	s_or_b64 exec, exec, s[34:35]
	s_mov_b64 vcc, 0
	s_and_saveexec_b64 s[34:35], s[4:5]
.LBB14_3882:
	s_mov_b64 vcc, exec
	v_add_u32_e32 v13, 0x200, v13
.LBB14_3883:
	s_or_b64 exec, exec, s[34:35]
	s_andn2_b64 s[4:5], s[26:27], exec
	s_and_b64 s[34:35], s[36:37], exec
	s_or_b64 s[4:5], s[4:5], s[34:35]
	s_orn2_b64 s[34:35], vcc, exec
.LBB14_3884:
	s_or_b64 exec, exec, s[30:31]
	s_mov_b64 vcc, 0
	s_mov_b64 s[36:37], 0
	s_mov_b64 s[38:39], 0
                                        ; implicit-def: $vgpr5
                                        ; implicit-def: $vgpr102_vgpr103
	s_and_saveexec_b64 s[30:31], s[34:35]
	s_cbranch_execz .LBB14_4778
; %bb.3885:
	v_cmp_lt_i32_e32 vcc, v13, v6
	s_mov_b64 s[38:39], -1
	s_mov_b64 s[34:35], s[4:5]
	s_and_saveexec_b64 s[36:37], vcc
	s_cbranch_execz .LBB14_3891
; %bb.3886:
	v_readlane_b32 vcc_lo, v44, 1
	v_add_u32_e32 v3, vcc_lo, v13
	v_mul_lo_u32 v3, v3, v12
	v_add_co_u32_e32 v84, vcc, v0, v3
	v_addc_co_u32_e32 v85, vcc, 0, v1, vcc
	v_mov_b32_e32 v3, 10
	v_cmp_gt_i16_sdwa vcc, v11, v3 src0_sel:BYTE_0 src1_sel:DWORD
	s_mov_b64 s[38:39], 0
	s_mov_b64 s[40:41], s[4:5]
	s_and_saveexec_b64 s[34:35], vcc
	s_xor_b64 s[34:35], exec, s[34:35]
	s_cbranch_execnz .LBB14_5445
; %bb.3887:
	s_andn2_saveexec_b64 s[34:35], s[34:35]
	s_cbranch_execnz .LBB14_5526
.LBB14_3888:
	s_or_b64 exec, exec, s[34:35]
	s_mov_b64 vcc, 0
	s_and_saveexec_b64 s[34:35], s[38:39]
.LBB14_3889:
	s_mov_b64 vcc, exec
	v_add_u32_e32 v13, 0x200, v13
.LBB14_3890:
	s_or_b64 exec, exec, s[34:35]
	s_andn2_b64 s[34:35], s[4:5], exec
	s_and_b64 s[38:39], s[40:41], exec
	s_or_b64 s[34:35], s[34:35], s[38:39]
	s_orn2_b64 s[38:39], vcc, exec
.LBB14_3891:
	s_or_b64 exec, exec, s[36:37]
	s_mov_b64 vcc, 0
	s_mov_b64 s[42:43], 0
	s_mov_b64 s[44:45], 0
                                        ; implicit-def: $vgpr5
                                        ; implicit-def: $vgpr102_vgpr103
	s_and_saveexec_b64 s[36:37], s[38:39]
	s_cbranch_execz .LBB14_4777
; %bb.3892:
	v_cmp_lt_i32_e32 vcc, v13, v6
	s_mov_b64 s[46:47], -1
	s_mov_b64 s[38:39], s[34:35]
	s_and_saveexec_b64 s[40:41], vcc
	s_cbranch_execz .LBB14_3898
; %bb.3893:
	v_readlane_b32 vcc_lo, v44, 1
	v_add_u32_e32 v3, vcc_lo, v13
	v_mul_lo_u32 v3, v3, v12
	v_add_co_u32_e32 v82, vcc, v0, v3
	v_addc_co_u32_e32 v83, vcc, 0, v1, vcc
	v_mov_b32_e32 v3, 10
	v_cmp_gt_i16_sdwa vcc, v11, v3 src0_sel:BYTE_0 src1_sel:DWORD
	s_mov_b64 s[44:45], s[34:35]
	s_and_saveexec_b64 s[38:39], vcc
	s_xor_b64 s[38:39], exec, s[38:39]
	s_cbranch_execnz .LBB14_5569
; %bb.3894:
	s_andn2_saveexec_b64 s[38:39], s[38:39]
	s_cbranch_execnz .LBB14_5650
.LBB14_3895:
	s_or_b64 exec, exec, s[38:39]
	s_mov_b64 vcc, 0
	s_and_saveexec_b64 s[38:39], s[42:43]
.LBB14_3896:
	s_mov_b64 vcc, exec
	v_add_u32_e32 v13, 0x200, v13
.LBB14_3897:
	s_or_b64 exec, exec, s[38:39]
	s_andn2_b64 s[38:39], s[34:35], exec
	s_and_b64 s[42:43], s[44:45], exec
	s_or_b64 s[38:39], s[38:39], s[42:43]
	s_orn2_b64 s[46:47], vcc, exec
.LBB14_3898:
	s_or_b64 exec, exec, s[40:41]
	s_mov_b64 s[40:41], 0
	s_mov_b64 s[42:43], 0
	;; [unrolled: 1-line block ×3, first 2 shown]
                                        ; implicit-def: $vgpr5
                                        ; implicit-def: $vgpr102_vgpr103
	s_and_saveexec_b64 vcc, s[46:47]
	s_cbranch_execz .LBB14_4776
; %bb.3899:
	v_writelane_b32 v44, vcc_lo, 56
	v_writelane_b32 v44, vcc_hi, 57
	v_cmp_lt_i32_e32 vcc, v13, v6
	s_mov_b64 s[44:45], -1
	v_writelane_b32 v44, s38, 58
	v_writelane_b32 v44, s39, 59
	s_and_saveexec_b64 s[40:41], vcc
	s_cbranch_execz .LBB14_3905
; %bb.3900:
	v_readlane_b32 vcc_lo, v44, 1
	v_add_u32_e32 v3, vcc_lo, v13
	v_mul_lo_u32 v3, v3, v12
	v_add_co_u32_e32 v80, vcc, v0, v3
	v_addc_co_u32_e32 v81, vcc, 0, v1, vcc
	v_mov_b32_e32 v3, 10
	v_cmp_gt_i16_sdwa vcc, v11, v3 src0_sel:BYTE_0 src1_sel:DWORD
	s_mov_b64 s[44:45], 0
	s_mov_b64 s[46:47], s[38:39]
	s_and_saveexec_b64 s[42:43], vcc
	s_xor_b64 s[42:43], exec, s[42:43]
	s_cbranch_execnz .LBB14_5695
; %bb.3901:
	s_andn2_saveexec_b64 s[42:43], s[42:43]
	s_cbranch_execnz .LBB14_5776
.LBB14_3902:
	s_or_b64 exec, exec, s[42:43]
	s_mov_b64 vcc, 0
	s_and_saveexec_b64 s[42:43], s[44:45]
.LBB14_3903:
	s_mov_b64 vcc, exec
	v_add_u32_e32 v13, 0x200, v13
.LBB14_3904:
	s_or_b64 exec, exec, s[42:43]
	s_andn2_b64 s[42:43], s[38:39], exec
	s_and_b64 s[44:45], s[46:47], exec
	s_or_b64 s[42:43], s[42:43], s[44:45]
	v_writelane_b32 v44, s42, 58
	v_writelane_b32 v44, s43, 59
	s_orn2_b64 s[44:45], vcc, exec
.LBB14_3905:
	s_or_b64 exec, exec, s[40:41]
	s_mov_b64 s[40:41], 0
	s_mov_b64 s[46:47], 0
	s_mov_b64 s[50:51], 0
                                        ; implicit-def: $vgpr5
                                        ; implicit-def: $vgpr102_vgpr103
	s_and_saveexec_b64 s[42:43], s[44:45]
	v_readlane_b32 vcc_lo, v44, 56
	v_readlane_b32 vcc_hi, v44, 57
	s_cbranch_execz .LBB14_4775
; %bb.3906:
	v_writelane_b32 v44, s42, 60
	v_writelane_b32 v44, s43, 61
	v_readlane_b32 s40, v44, 58
	v_readlane_b32 s41, v44, 59
	v_cmp_lt_i32_e32 vcc, v13, v6
	s_mov_b64 s[42:43], -1
	v_writelane_b32 v44, s40, 62
	v_writelane_b32 v44, s41, 63
	s_and_saveexec_b64 s[40:41], vcc
	s_cbranch_execz .LBB14_3912
; %bb.3907:
	v_readlane_b32 vcc_lo, v44, 1
	v_add_u32_e32 v3, vcc_lo, v13
	v_mul_lo_u32 v3, v3, v12
	v_add_co_u32_e32 v70, vcc, v0, v3
	v_addc_co_u32_e32 v71, vcc, 0, v1, vcc
	v_readlane_b32 vcc_lo, v44, 58
	v_mov_b32_e32 v3, 10
	v_readlane_b32 vcc_hi, v44, 59
	v_cmp_gt_i16_sdwa s[42:43], v11, v3 src0_sel:BYTE_0 src1_sel:DWORD
	s_mov_b64 s[44:45], 0
	s_mov_b64 s[46:47], vcc
	s_and_saveexec_b64 s[48:49], s[42:43]
	s_xor_b64 s[42:43], exec, s[48:49]
	s_cbranch_execnz .LBB14_5821
; %bb.3908:
	s_andn2_saveexec_b64 s[42:43], s[42:43]
	s_cbranch_execnz .LBB14_5902
.LBB14_3909:
	s_or_b64 exec, exec, s[42:43]
	s_mov_b64 s[42:43], 0
	s_and_saveexec_b64 s[48:49], s[44:45]
.LBB14_3910:
	s_mov_b64 s[42:43], exec
	v_add_u32_e32 v13, 0x200, v13
.LBB14_3911:
	s_or_b64 exec, exec, s[48:49]
	s_andn2_b64 vcc, vcc, exec
	s_and_b64 s[44:45], s[46:47], exec
	s_or_b64 vcc, vcc, s[44:45]
	v_writelane_b32 v44, vcc_lo, 62
	v_writelane_b32 v44, vcc_hi, 63
	s_orn2_b64 s[42:43], s[42:43], exec
.LBB14_3912:
	s_or_b64 exec, exec, s[40:41]
	s_mov_b64 s[44:45], 0
	s_mov_b64 s[48:49], 0
	;; [unrolled: 1-line block ×3, first 2 shown]
                                        ; implicit-def: $vgpr5
                                        ; implicit-def: $vgpr102_vgpr103
	s_and_saveexec_b64 s[46:47], s[42:43]
	v_readlane_b32 vcc_lo, v44, 56
	v_readlane_b32 s42, v44, 60
	v_readlane_b32 vcc_hi, v44, 57
	v_readlane_b32 s43, v44, 61
	s_cbranch_execz .LBB14_4774
; %bb.3913:
                                        ; implicit-def: $vgpr43 : SGPR spill to VGPR lane
	v_readlane_b32 s40, v44, 62
	v_writelane_b32 v43, s46, 0
	v_writelane_b32 v43, s47, 1
	v_cmp_lt_i32_e32 vcc, v13, v6
	s_mov_b64 s[46:47], -1
	v_readlane_b32 s41, v44, 63
	s_and_saveexec_b64 s[42:43], vcc
	s_cbranch_execz .LBB14_3919
; %bb.3914:
	v_readlane_b32 vcc_lo, v44, 1
	v_add_u32_e32 v3, vcc_lo, v13
	v_mul_lo_u32 v3, v3, v12
	v_add_co_u32_e32 v68, vcc, v0, v3
	v_addc_co_u32_e32 v69, vcc, 0, v1, vcc
	v_readlane_b32 vcc_lo, v44, 62
	v_mov_b32_e32 v3, 10
	v_readlane_b32 vcc_hi, v44, 63
	v_cmp_gt_i16_sdwa s[40:41], v11, v3 src0_sel:BYTE_0 src1_sel:DWORD
	s_mov_b64 s[46:47], vcc
	s_and_saveexec_b64 s[44:45], s[40:41]
	s_xor_b64 s[40:41], exec, s[44:45]
	s_cbranch_execnz .LBB14_5947
; %bb.3915:
	s_andn2_saveexec_b64 s[40:41], s[40:41]
	s_cbranch_execnz .LBB14_6028
.LBB14_3916:
	s_or_b64 exec, exec, s[40:41]
	s_mov_b64 s[44:45], 0
	s_and_saveexec_b64 s[40:41], s[48:49]
.LBB14_3917:
	s_mov_b64 s[44:45], exec
	v_add_u32_e32 v13, 0x200, v13
.LBB14_3918:
	s_or_b64 exec, exec, s[40:41]
	s_andn2_b64 vcc, vcc, exec
	s_and_b64 s[40:41], s[46:47], exec
	s_or_b64 s[40:41], vcc, s[40:41]
	s_orn2_b64 s[46:47], s[44:45], exec
.LBB14_3919:
	s_or_b64 exec, exec, s[42:43]
	s_mov_b64 s[44:45], 0
	s_mov_b64 s[48:49], 0
	;; [unrolled: 1-line block ×3, first 2 shown]
                                        ; implicit-def: $vgpr5
                                        ; implicit-def: $vgpr102_vgpr103
	s_and_saveexec_b64 s[52:53], s[46:47]
	v_readlane_b32 vcc_lo, v44, 56
	v_readlane_b32 s42, v44, 60
	v_readlane_b32 s46, v43, 0
	v_readlane_b32 vcc_hi, v44, 57
	v_readlane_b32 s43, v44, 61
	v_readlane_b32 s47, v43, 1
	s_cbranch_execz .LBB14_4773
; %bb.3920:
	v_writelane_b32 v43, s52, 2
	v_writelane_b32 v43, s53, 3
	v_cmp_lt_i32_e32 vcc, v13, v6
	s_mov_b64 s[48:49], -1
	v_writelane_b32 v43, s40, 4
	v_writelane_b32 v43, s41, 5
	s_and_saveexec_b64 s[42:43], vcc
	s_cbranch_execz .LBB14_3926
; %bb.3921:
	s_mov_b64 s[44:45], s[4:5]
	v_readlane_b32 s4, v44, 1
	v_add_u32_e32 v3, s4, v13
	v_mul_lo_u32 v3, v3, v12
	s_waitcnt vmcnt(0) lgkmcnt(0)
	v_add_co_u32_e32 v66, vcc, v0, v3
	v_addc_co_u32_e32 v67, vcc, 0, v1, vcc
	v_mov_b32_e32 v3, 10
	v_cmp_gt_i16_sdwa vcc, v11, v3 src0_sel:BYTE_0 src1_sel:DWORD
	s_mov_b64 s[4:5], 0
	s_mov_b64 s[48:49], s[40:41]
	s_and_saveexec_b64 s[46:47], vcc
	s_xor_b64 s[46:47], exec, s[46:47]
	s_cbranch_execnz .LBB14_6073
; %bb.3922:
	s_andn2_saveexec_b64 s[46:47], s[46:47]
	s_cbranch_execnz .LBB14_6154
.LBB14_3923:
	s_or_b64 exec, exec, s[46:47]
	s_mov_b64 vcc, 0
	s_and_saveexec_b64 s[46:47], s[4:5]
.LBB14_3924:
	s_mov_b64 vcc, exec
	v_add_u32_e32 v13, 0x200, v13
.LBB14_3925:
	s_or_b64 exec, exec, s[46:47]
	s_andn2_b64 s[4:5], s[40:41], exec
	s_and_b64 s[46:47], s[48:49], exec
	s_or_b64 s[4:5], s[4:5], s[46:47]
	v_writelane_b32 v43, s4, 4
	v_writelane_b32 v43, s5, 5
	s_orn2_b64 s[48:49], vcc, exec
	s_mov_b64 s[4:5], s[44:45]
.LBB14_3926:
	s_or_b64 exec, exec, s[42:43]
	s_mov_b64 vcc, 0
	s_mov_b64 s[44:45], 0
	s_mov_b64 s[46:47], 0
                                        ; implicit-def: $vgpr5
                                        ; implicit-def: $vgpr102_vgpr103
	s_and_saveexec_b64 s[50:51], s[48:49]
	v_readlane_b32 s42, v43, 4
	v_readlane_b32 s43, v43, 5
	s_cbranch_execz .LBB14_4772
; %bb.3927:
	v_writelane_b32 v43, s50, 6
	v_writelane_b32 v43, s51, 7
	;; [unrolled: 1-line block ×3, first 2 shown]
	v_cmp_lt_i32_e32 vcc, v13, v6
	s_mov_b64 s[46:47], -1
	v_writelane_b32 v43, s5, 9
	s_and_saveexec_b64 s[44:45], vcc
	s_cbranch_execz .LBB14_3933
; %bb.3928:
	v_readlane_b32 s4, v44, 1
	v_add_u32_e32 v3, s4, v13
	v_mul_lo_u32 v3, v3, v12
	s_waitcnt vmcnt(0) lgkmcnt(0)
	v_add_co_u32_e32 v64, vcc, v0, v3
	v_addc_co_u32_e32 v65, vcc, 0, v1, vcc
	v_mov_b32_e32 v3, 10
	v_readlane_b32 s46, v43, 4
	v_cmp_gt_i16_sdwa vcc, v11, v3 src0_sel:BYTE_0 src1_sel:DWORD
	s_mov_b64 s[4:5], 0
	v_readlane_b32 s47, v43, 5
	s_and_saveexec_b64 s[42:43], vcc
	s_xor_b64 s[42:43], exec, s[42:43]
	s_cbranch_execnz .LBB14_6199
; %bb.3929:
	s_andn2_saveexec_b64 s[42:43], s[42:43]
	s_cbranch_execnz .LBB14_6280
.LBB14_3930:
	s_or_b64 exec, exec, s[42:43]
	s_mov_b64 vcc, 0
	s_and_saveexec_b64 s[42:43], s[4:5]
.LBB14_3931:
	s_mov_b64 vcc, exec
	v_add_u32_e32 v13, 0x200, v13
.LBB14_3932:
	s_or_b64 exec, exec, s[42:43]
	v_readlane_b32 s4, v43, 4
	v_readlane_b32 s5, v43, 5
	s_andn2_b64 s[4:5], s[4:5], exec
	s_and_b64 s[42:43], s[46:47], exec
	s_or_b64 s[42:43], s[4:5], s[42:43]
	s_orn2_b64 s[46:47], vcc, exec
.LBB14_3933:
	s_or_b64 exec, exec, s[44:45]
	s_mov_b64 s[4:5], 0
	s_mov_b64 vcc, 0
	s_mov_b64 s[48:49], 0
                                        ; implicit-def: $vgpr5
                                        ; implicit-def: $vgpr102_vgpr103
	s_and_saveexec_b64 s[44:45], s[46:47]
	s_cbranch_execz .LBB14_4771
; %bb.3934:
	v_cmp_lt_i32_e32 vcc, v13, v6
	s_mov_b64 s[50:51], -1
	s_mov_b64 s[46:47], s[42:43]
	s_and_saveexec_b64 s[48:49], vcc
	s_cbranch_execz .LBB14_3940
; %bb.3935:
	v_readlane_b32 s4, v44, 1
	v_add_u32_e32 v3, s4, v13
	v_mul_lo_u32 v3, v3, v12
	v_add_co_u32_e32 v54, vcc, v0, v3
	v_addc_co_u32_e32 v55, vcc, 0, v1, vcc
	v_mov_b32_e32 v3, 10
	v_cmp_gt_i16_sdwa vcc, v11, v3 src0_sel:BYTE_0 src1_sel:DWORD
	s_mov_b64 s[4:5], 0
	s_mov_b64 s[50:51], s[42:43]
	s_and_saveexec_b64 s[46:47], vcc
	s_xor_b64 s[46:47], exec, s[46:47]
	s_cbranch_execnz .LBB14_6325
; %bb.3936:
	s_andn2_saveexec_b64 s[46:47], s[46:47]
	s_cbranch_execnz .LBB14_6406
.LBB14_3937:
	s_or_b64 exec, exec, s[46:47]
	s_mov_b64 vcc, 0
	s_and_saveexec_b64 s[46:47], s[4:5]
.LBB14_3938:
	s_mov_b64 vcc, exec
	v_add_u32_e32 v13, 0x200, v13
.LBB14_3939:
	s_or_b64 exec, exec, s[46:47]
	s_andn2_b64 s[4:5], s[42:43], exec
	s_and_b64 s[46:47], s[50:51], exec
	s_or_b64 s[46:47], s[4:5], s[46:47]
	s_orn2_b64 s[50:51], vcc, exec
.LBB14_3940:
	s_or_b64 exec, exec, s[48:49]
	s_mov_b64 s[4:5], 0
	s_mov_b64 vcc, 0
	s_mov_b64 s[52:53], 0
                                        ; implicit-def: $vgpr5
                                        ; implicit-def: $vgpr102_vgpr103
	s_and_saveexec_b64 s[48:49], s[50:51]
	s_cbranch_execz .LBB14_4770
; %bb.3941:
	v_cmp_lt_i32_e32 vcc, v13, v6
	s_mov_b64 s[54:55], -1
	s_mov_b64 s[50:51], s[46:47]
	s_and_saveexec_b64 s[52:53], vcc
	s_cbranch_execz .LBB14_3947
; %bb.3942:
	v_readlane_b32 s4, v44, 1
	v_add_u32_e32 v3, s4, v13
	v_mul_lo_u32 v3, v3, v12
	v_add_co_u32_e32 v52, vcc, v0, v3
	v_addc_co_u32_e32 v53, vcc, 0, v1, vcc
	v_mov_b32_e32 v3, 10
	v_cmp_gt_i16_sdwa vcc, v11, v3 src0_sel:BYTE_0 src1_sel:DWORD
	s_mov_b64 s[4:5], 0
	s_mov_b64 s[54:55], s[46:47]
	s_and_saveexec_b64 s[50:51], vcc
	s_xor_b64 s[50:51], exec, s[50:51]
	s_cbranch_execnz .LBB14_6451
; %bb.3943:
	s_andn2_saveexec_b64 s[50:51], s[50:51]
	s_cbranch_execnz .LBB14_6532
.LBB14_3944:
	s_or_b64 exec, exec, s[50:51]
	s_mov_b64 vcc, 0
	s_and_saveexec_b64 s[50:51], s[4:5]
.LBB14_3945:
	s_mov_b64 vcc, exec
	v_add_u32_e32 v13, 0x200, v13
.LBB14_3946:
	s_or_b64 exec, exec, s[50:51]
	s_andn2_b64 s[4:5], s[46:47], exec
	s_and_b64 s[50:51], s[54:55], exec
	s_or_b64 s[50:51], s[4:5], s[50:51]
	s_orn2_b64 s[54:55], vcc, exec
.LBB14_3947:
	s_or_b64 exec, exec, s[52:53]
	s_mov_b64 s[4:5], 0
	s_mov_b64 vcc, 0
	s_mov_b64 s[56:57], 0
                                        ; implicit-def: $vgpr5
                                        ; implicit-def: $vgpr102_vgpr103
	s_and_saveexec_b64 s[52:53], s[54:55]
	s_cbranch_execz .LBB14_4769
; %bb.3948:
	v_cmp_lt_i32_e32 vcc, v13, v6
	s_mov_b64 s[58:59], -1
	s_mov_b64 s[54:55], s[50:51]
	s_and_saveexec_b64 s[56:57], vcc
	s_cbranch_execz .LBB14_3954
; %bb.3949:
	v_readlane_b32 s4, v44, 1
	v_add_u32_e32 v3, s4, v13
	v_mul_lo_u32 v3, v3, v12
	v_add_co_u32_e32 v50, vcc, v0, v3
	v_addc_co_u32_e32 v51, vcc, 0, v1, vcc
	v_mov_b32_e32 v3, 10
	v_cmp_gt_i16_sdwa vcc, v11, v3 src0_sel:BYTE_0 src1_sel:DWORD
	s_mov_b64 s[4:5], 0
	s_mov_b64 s[58:59], s[50:51]
	s_and_saveexec_b64 s[54:55], vcc
	s_xor_b64 s[54:55], exec, s[54:55]
	s_cbranch_execnz .LBB14_6577
; %bb.3950:
	s_andn2_saveexec_b64 s[54:55], s[54:55]
	s_cbranch_execnz .LBB14_6658
.LBB14_3951:
	s_or_b64 exec, exec, s[54:55]
	s_mov_b64 vcc, 0
	s_and_saveexec_b64 s[54:55], s[4:5]
.LBB14_3952:
	s_mov_b64 vcc, exec
	v_add_u32_e32 v13, 0x200, v13
.LBB14_3953:
	s_or_b64 exec, exec, s[54:55]
	s_andn2_b64 s[4:5], s[50:51], exec
	s_and_b64 s[54:55], s[58:59], exec
	s_or_b64 s[54:55], s[4:5], s[54:55]
	s_orn2_b64 s[58:59], vcc, exec
.LBB14_3954:
	s_or_b64 exec, exec, s[56:57]
	s_mov_b64 s[4:5], 0
	s_mov_b64 vcc, 0
	s_mov_b64 s[60:61], 0
                                        ; implicit-def: $vgpr5
                                        ; implicit-def: $vgpr102_vgpr103
	s_and_saveexec_b64 s[56:57], s[58:59]
	s_cbranch_execz .LBB14_4768
; %bb.3955:
	v_cmp_lt_i32_e32 vcc, v13, v6
	s_mov_b64 s[62:63], -1
	s_mov_b64 s[58:59], s[54:55]
	s_and_saveexec_b64 s[60:61], vcc
	s_cbranch_execz .LBB14_3961
; %bb.3956:
	v_readlane_b32 s4, v44, 1
	v_add_u32_e32 v3, s4, v13
	v_mul_lo_u32 v3, v3, v12
	v_add_co_u32_e32 v48, vcc, v0, v3
	v_addc_co_u32_e32 v49, vcc, 0, v1, vcc
	v_mov_b32_e32 v3, 10
	v_cmp_gt_i16_sdwa vcc, v11, v3 src0_sel:BYTE_0 src1_sel:DWORD
	s_mov_b64 s[4:5], 0
	s_mov_b64 s[62:63], s[54:55]
	s_and_saveexec_b64 s[58:59], vcc
	s_xor_b64 s[58:59], exec, s[58:59]
	s_cbranch_execnz .LBB14_6703
; %bb.3957:
	s_andn2_saveexec_b64 s[58:59], s[58:59]
	s_cbranch_execnz .LBB14_6784
.LBB14_3958:
	s_or_b64 exec, exec, s[58:59]
	s_mov_b64 vcc, 0
	s_and_saveexec_b64 s[58:59], s[4:5]
.LBB14_3959:
	s_mov_b64 vcc, exec
	v_add_u32_e32 v13, 0x200, v13
.LBB14_3960:
	s_or_b64 exec, exec, s[58:59]
	s_andn2_b64 s[4:5], s[54:55], exec
	s_and_b64 s[58:59], s[62:63], exec
	s_or_b64 s[58:59], s[4:5], s[58:59]
	s_orn2_b64 s[62:63], vcc, exec
.LBB14_3961:
	s_or_b64 exec, exec, s[60:61]
	s_mov_b64 s[4:5], 0
	s_mov_b64 vcc, 0
	s_mov_b64 s[64:65], 0
                                        ; implicit-def: $vgpr5
                                        ; implicit-def: $vgpr102_vgpr103
	s_and_saveexec_b64 s[60:61], s[62:63]
	s_cbranch_execz .LBB14_4767
; %bb.3962:
	v_cmp_lt_i32_e32 vcc, v13, v6
	s_mov_b64 s[66:67], -1
	s_mov_b64 s[62:63], s[58:59]
	s_and_saveexec_b64 s[64:65], vcc
	s_cbranch_execz .LBB14_3968
; %bb.3963:
	v_readlane_b32 s4, v44, 1
	v_add_u32_e32 v3, s4, v13
	v_mul_lo_u32 v3, v3, v12
	v_add_co_u32_e32 v38, vcc, v0, v3
	v_addc_co_u32_e32 v39, vcc, 0, v1, vcc
	v_mov_b32_e32 v3, 10
	v_cmp_gt_i16_sdwa vcc, v11, v3 src0_sel:BYTE_0 src1_sel:DWORD
	s_mov_b64 s[4:5], 0
	s_mov_b64 s[66:67], s[58:59]
	s_and_saveexec_b64 s[62:63], vcc
	s_xor_b64 s[62:63], exec, s[62:63]
	s_cbranch_execnz .LBB14_6829
; %bb.3964:
	s_andn2_saveexec_b64 s[62:63], s[62:63]
	s_cbranch_execnz .LBB14_6910
.LBB14_3965:
	s_or_b64 exec, exec, s[62:63]
	s_mov_b64 vcc, 0
	s_and_saveexec_b64 s[62:63], s[4:5]
.LBB14_3966:
	s_mov_b64 vcc, exec
	v_add_u32_e32 v13, 0x200, v13
.LBB14_3967:
	s_or_b64 exec, exec, s[62:63]
	s_andn2_b64 s[4:5], s[58:59], exec
	s_and_b64 s[62:63], s[66:67], exec
	s_or_b64 s[62:63], s[4:5], s[62:63]
	s_orn2_b64 s[66:67], vcc, exec
.LBB14_3968:
	s_or_b64 exec, exec, s[64:65]
	s_mov_b64 s[4:5], 0
	s_mov_b64 vcc, 0
	s_mov_b64 s[68:69], 0
                                        ; implicit-def: $vgpr5
                                        ; implicit-def: $vgpr102_vgpr103
	s_and_saveexec_b64 s[64:65], s[66:67]
	s_cbranch_execz .LBB14_4766
; %bb.3969:
	v_cmp_lt_i32_e32 vcc, v13, v6
	s_mov_b64 s[70:71], -1
	s_mov_b64 s[66:67], s[62:63]
	s_and_saveexec_b64 s[68:69], vcc
	s_cbranch_execz .LBB14_3975
; %bb.3970:
	v_readlane_b32 s4, v44, 1
	v_add_u32_e32 v3, s4, v13
	v_mul_lo_u32 v3, v3, v12
	v_add_co_u32_e32 v36, vcc, v0, v3
	v_addc_co_u32_e32 v37, vcc, 0, v1, vcc
	v_mov_b32_e32 v3, 10
	v_cmp_gt_i16_sdwa vcc, v11, v3 src0_sel:BYTE_0 src1_sel:DWORD
	s_mov_b64 s[4:5], 0
	s_mov_b64 s[70:71], s[62:63]
	s_and_saveexec_b64 s[66:67], vcc
	s_xor_b64 s[66:67], exec, s[66:67]
	s_cbranch_execnz .LBB14_6955
; %bb.3971:
	s_andn2_saveexec_b64 s[66:67], s[66:67]
	s_cbranch_execnz .LBB14_7036
.LBB14_3972:
	s_or_b64 exec, exec, s[66:67]
	s_mov_b64 vcc, 0
	s_and_saveexec_b64 s[66:67], s[4:5]
.LBB14_3973:
	s_mov_b64 vcc, exec
	v_add_u32_e32 v13, 0x200, v13
.LBB14_3974:
	s_or_b64 exec, exec, s[66:67]
	s_andn2_b64 s[4:5], s[62:63], exec
	s_and_b64 s[66:67], s[70:71], exec
	s_or_b64 s[66:67], s[4:5], s[66:67]
	s_orn2_b64 s[70:71], vcc, exec
.LBB14_3975:
	s_or_b64 exec, exec, s[68:69]
	s_mov_b64 s[4:5], 0
	s_mov_b64 vcc, 0
	s_mov_b64 s[72:73], 0
                                        ; implicit-def: $vgpr5
                                        ; implicit-def: $vgpr102_vgpr103
	s_and_saveexec_b64 s[68:69], s[70:71]
	s_cbranch_execz .LBB14_4765
; %bb.3976:
	v_cmp_lt_i32_e32 vcc, v13, v6
	s_mov_b64 s[74:75], -1
	s_mov_b64 s[70:71], s[66:67]
	s_and_saveexec_b64 s[72:73], vcc
	s_cbranch_execz .LBB14_3982
; %bb.3977:
	v_readlane_b32 s4, v44, 1
	v_add_u32_e32 v3, s4, v13
	v_mul_lo_u32 v3, v3, v12
	v_add_co_u32_e32 v34, vcc, v0, v3
	v_addc_co_u32_e32 v35, vcc, 0, v1, vcc
	v_mov_b32_e32 v3, 10
	v_cmp_gt_i16_sdwa vcc, v11, v3 src0_sel:BYTE_0 src1_sel:DWORD
	s_mov_b64 s[4:5], 0
	s_mov_b64 s[74:75], s[66:67]
	s_and_saveexec_b64 s[70:71], vcc
	s_xor_b64 s[70:71], exec, s[70:71]
	s_cbranch_execnz .LBB14_7081
; %bb.3978:
	s_andn2_saveexec_b64 s[70:71], s[70:71]
	s_cbranch_execnz .LBB14_7162
.LBB14_3979:
	s_or_b64 exec, exec, s[70:71]
	s_mov_b64 vcc, 0
	s_and_saveexec_b64 s[70:71], s[4:5]
.LBB14_3980:
	s_mov_b64 vcc, exec
	v_add_u32_e32 v13, 0x200, v13
.LBB14_3981:
	s_or_b64 exec, exec, s[70:71]
	s_andn2_b64 s[4:5], s[66:67], exec
	s_and_b64 s[70:71], s[74:75], exec
	s_or_b64 s[70:71], s[4:5], s[70:71]
	s_orn2_b64 s[74:75], vcc, exec
.LBB14_3982:
	s_or_b64 exec, exec, s[72:73]
	s_mov_b64 s[4:5], 0
	s_mov_b64 vcc, 0
	s_mov_b64 s[76:77], 0
                                        ; implicit-def: $vgpr5
                                        ; implicit-def: $vgpr102_vgpr103
	s_and_saveexec_b64 s[72:73], s[74:75]
	s_cbranch_execz .LBB14_4764
; %bb.3983:
	v_cmp_lt_i32_e32 vcc, v13, v6
	s_mov_b64 s[78:79], -1
	v_writelane_b32 v43, s70, 10
	v_writelane_b32 v43, s71, 11
	s_and_saveexec_b64 s[76:77], vcc
	s_cbranch_execz .LBB14_3989
; %bb.3984:
	v_readlane_b32 s4, v44, 1
	v_add_u32_e32 v3, s4, v13
	v_mul_lo_u32 v3, v3, v12
	v_add_co_u32_e32 v32, vcc, v0, v3
	v_addc_co_u32_e32 v33, vcc, 0, v1, vcc
	v_mov_b32_e32 v3, 10
	v_cmp_gt_i16_sdwa vcc, v11, v3 src0_sel:BYTE_0 src1_sel:DWORD
	s_mov_b64 s[4:5], 0
	s_mov_b64 s[78:79], s[70:71]
	s_and_saveexec_b64 s[74:75], vcc
	s_xor_b64 s[74:75], exec, s[74:75]
	s_cbranch_execnz .LBB14_7207
; %bb.3985:
	s_andn2_saveexec_b64 s[74:75], s[74:75]
	s_cbranch_execnz .LBB14_7288
.LBB14_3986:
	s_or_b64 exec, exec, s[74:75]
	s_mov_b64 vcc, 0
	s_and_saveexec_b64 s[74:75], s[4:5]
.LBB14_3987:
	s_mov_b64 vcc, exec
	v_add_u32_e32 v13, 0x200, v13
.LBB14_3988:
	s_or_b64 exec, exec, s[74:75]
	s_andn2_b64 s[4:5], s[70:71], exec
	s_and_b64 s[74:75], s[78:79], exec
	s_or_b64 s[4:5], s[4:5], s[74:75]
	v_writelane_b32 v43, s4, 10
	v_writelane_b32 v43, s5, 11
	s_orn2_b64 s[78:79], vcc, exec
.LBB14_3989:
	s_or_b64 exec, exec, s[76:77]
	s_mov_b64 s[4:5], 0
	s_mov_b64 vcc, 0
	s_mov_b64 s[80:81], 0
                                        ; implicit-def: $vgpr5
                                        ; implicit-def: $vgpr102_vgpr103
	s_mov_b64 s[74:75], exec
	v_writelane_b32 v43, s74, 12
	s_and_b64 s[76:77], s[74:75], s[78:79]
	v_writelane_b32 v43, s75, 13
	s_mov_b64 exec, s[76:77]
	s_cbranch_execz .LBB14_4763
; %bb.3990:
	v_readlane_b32 s4, v43, 10
	v_readlane_b32 s5, v43, 11
	v_cmp_lt_i32_e32 vcc, v13, v6
	s_mov_b64 s[82:83], -1
	v_writelane_b32 v43, s4, 14
	v_writelane_b32 v43, s5, 15
	s_and_saveexec_b64 s[80:81], vcc
	s_cbranch_execz .LBB14_3996
; %bb.3991:
	v_readlane_b32 s4, v44, 1
	v_add_u32_e32 v3, s4, v13
	v_mul_lo_u32 v3, v3, v12
	v_add_co_u32_e32 v30, vcc, v0, v3
	v_addc_co_u32_e32 v31, vcc, 0, v1, vcc
	v_mov_b32_e32 v3, 10
	v_readlane_b32 s82, v43, 10
	v_cmp_gt_i16_sdwa vcc, v11, v3 src0_sel:BYTE_0 src1_sel:DWORD
	s_mov_b64 s[4:5], 0
	v_readlane_b32 s83, v43, 11
	s_and_saveexec_b64 s[76:77], vcc
	s_xor_b64 s[78:79], exec, s[76:77]
	s_cbranch_execnz .LBB14_7333
; %bb.3992:
	s_andn2_saveexec_b64 s[78:79], s[78:79]
	s_cbranch_execnz .LBB14_7414
.LBB14_3993:
	s_or_b64 exec, exec, s[78:79]
	s_mov_b64 vcc, 0
	s_and_saveexec_b64 s[76:77], s[4:5]
.LBB14_3994:
	s_mov_b64 vcc, exec
	v_add_u32_e32 v13, 0x200, v13
.LBB14_3995:
	s_or_b64 exec, exec, s[76:77]
	v_readlane_b32 s4, v43, 10
	v_readlane_b32 s5, v43, 11
	s_andn2_b64 s[4:5], s[4:5], exec
	s_and_b64 s[74:75], s[82:83], exec
	s_or_b64 s[4:5], s[4:5], s[74:75]
	v_writelane_b32 v43, s4, 14
	v_writelane_b32 v43, s5, 15
	s_orn2_b64 s[82:83], vcc, exec
.LBB14_3996:
	s_or_b64 exec, exec, s[80:81]
	s_mov_b64 s[4:5], 0
	s_mov_b64 vcc, 0
	s_mov_b64 s[80:81], 0
                                        ; implicit-def: $vgpr5
                                        ; implicit-def: $vgpr102_vgpr103
	s_mov_b64 s[74:75], exec
	v_writelane_b32 v43, s74, 16
	s_and_b64 s[76:77], s[74:75], s[82:83]
	v_writelane_b32 v43, s75, 17
	s_mov_b64 exec, s[76:77]
	s_cbranch_execz .LBB14_4762
; %bb.3997:
	v_readlane_b32 s4, v43, 14
	v_readlane_b32 s5, v43, 15
	v_cmp_lt_i32_e32 vcc, v13, v6
	s_mov_b64 s[82:83], -1
	v_writelane_b32 v43, s4, 18
	v_writelane_b32 v43, s5, 19
	s_and_saveexec_b64 s[84:85], vcc
	s_cbranch_execz .LBB14_4003
; %bb.3998:
	v_readlane_b32 s4, v44, 1
	v_add_u32_e32 v3, s4, v13
	v_mul_lo_u32 v3, v3, v12
	v_add_co_u32_e32 v28, vcc, v0, v3
	v_addc_co_u32_e32 v29, vcc, 0, v1, vcc
	v_mov_b32_e32 v3, 10
	v_readlane_b32 s86, v43, 14
	v_cmp_gt_i16_sdwa vcc, v11, v3 src0_sel:BYTE_0 src1_sel:DWORD
	s_mov_b64 s[4:5], 0
	v_readlane_b32 s87, v43, 15
	s_and_saveexec_b64 s[74:75], vcc
	s_xor_b64 s[82:83], exec, s[74:75]
	s_cbranch_execnz .LBB14_7459
; %bb.3999:
	s_andn2_saveexec_b64 s[82:83], s[82:83]
	s_cbranch_execnz .LBB14_7540
.LBB14_4000:
	s_or_b64 exec, exec, s[82:83]
	s_mov_b64 vcc, 0
	s_and_saveexec_b64 s[76:77], s[4:5]
.LBB14_4001:
	s_mov_b64 vcc, exec
	v_add_u32_e32 v13, 0x200, v13
.LBB14_4002:
	s_or_b64 exec, exec, s[76:77]
	v_readlane_b32 s4, v43, 14
	v_readlane_b32 s5, v43, 15
	s_andn2_b64 s[4:5], s[4:5], exec
	s_and_b64 s[74:75], s[86:87], exec
	s_or_b64 s[4:5], s[4:5], s[74:75]
	v_writelane_b32 v43, s4, 18
	v_writelane_b32 v43, s5, 19
	s_orn2_b64 s[82:83], vcc, exec
.LBB14_4003:
	s_or_b64 exec, exec, s[84:85]
	s_mov_b64 s[4:5], 0
	s_mov_b64 vcc, 0
	s_mov_b64 s[80:81], 0
                                        ; implicit-def: $vgpr5
                                        ; implicit-def: $vgpr102_vgpr103
	s_mov_b64 s[74:75], exec
	v_writelane_b32 v43, s74, 20
	v_writelane_b32 v43, s75, 21
	s_and_b64 s[74:75], s[74:75], s[82:83]
	s_mov_b64 exec, s[74:75]
	s_cbranch_execz .LBB14_4761
; %bb.4004:
	v_readlane_b32 s4, v43, 18
	v_readlane_b32 s5, v43, 19
	v_cmp_lt_i32_e32 vcc, v13, v6
	s_mov_b64 s[82:83], -1
	v_writelane_b32 v43, s4, 22
	v_writelane_b32 v43, s5, 23
	s_and_saveexec_b64 s[88:89], vcc
	s_cbranch_execz .LBB14_4010
; %bb.4005:
	v_readlane_b32 s4, v44, 1
	v_add_u32_e32 v3, s4, v13
	v_mul_lo_u32 v3, v3, v12
	v_add_co_u32_e32 v26, vcc, v0, v3
	v_addc_co_u32_e32 v27, vcc, 0, v1, vcc
	v_mov_b32_e32 v3, 10
	v_readlane_b32 s90, v43, 18
	v_cmp_gt_i16_sdwa vcc, v11, v3 src0_sel:BYTE_0 src1_sel:DWORD
	s_mov_b64 s[4:5], 0
	v_readlane_b32 s91, v43, 19
	s_and_saveexec_b64 s[74:75], vcc
	s_xor_b64 s[86:87], exec, s[74:75]
	s_cbranch_execnz .LBB14_7585
; %bb.4006:
	s_andn2_saveexec_b64 s[86:87], s[86:87]
	s_cbranch_execnz .LBB14_7666
.LBB14_4007:
	s_or_b64 exec, exec, s[86:87]
	s_mov_b64 vcc, 0
	s_and_saveexec_b64 s[76:77], s[4:5]
.LBB14_4008:
	s_mov_b64 vcc, exec
	v_add_u32_e32 v13, 0x200, v13
.LBB14_4009:
	s_or_b64 exec, exec, s[76:77]
	v_readlane_b32 s4, v43, 18
	v_readlane_b32 s5, v43, 19
	s_andn2_b64 s[4:5], s[4:5], exec
	s_and_b64 s[74:75], s[90:91], exec
	s_or_b64 s[4:5], s[4:5], s[74:75]
	v_writelane_b32 v43, s4, 22
	v_writelane_b32 v43, s5, 23
	s_orn2_b64 s[82:83], vcc, exec
.LBB14_4010:
	s_or_b64 exec, exec, s[88:89]
	s_mov_b64 s[4:5], 0
	s_mov_b64 vcc, 0
	s_mov_b64 s[80:81], 0
                                        ; implicit-def: $vgpr5
                                        ; implicit-def: $vgpr102_vgpr103
	s_mov_b64 s[74:75], exec
	v_writelane_b32 v43, s74, 24
	v_writelane_b32 v43, s75, 25
	s_and_b64 s[74:75], s[74:75], s[82:83]
	s_mov_b64 exec, s[74:75]
	s_cbranch_execz .LBB14_4760
; %bb.4011:
	v_readlane_b32 s94, v43, 22
	v_cmp_lt_i32_e32 vcc, v13, v6
	s_mov_b64 s[82:83], -1
	v_readlane_b32 s95, v43, 23
	s_and_saveexec_b64 s[92:93], vcc
	s_cbranch_execz .LBB14_4017
; %bb.4012:
	v_readlane_b32 s4, v44, 1
	v_add_u32_e32 v3, s4, v13
	v_mul_lo_u32 v3, v3, v12
	v_add_co_u32_e32 v24, vcc, v0, v3
	v_addc_co_u32_e32 v25, vcc, 0, v1, vcc
	v_mov_b32_e32 v3, 10
	v_readlane_b32 s94, v43, 22
	v_cmp_gt_i16_sdwa vcc, v11, v3 src0_sel:BYTE_0 src1_sel:DWORD
	s_mov_b64 s[4:5], 0
	v_readlane_b32 s95, v43, 23
	s_and_saveexec_b64 s[74:75], vcc
	s_xor_b64 s[90:91], exec, s[74:75]
	s_cbranch_execnz .LBB14_7711
; %bb.4013:
	s_andn2_saveexec_b64 s[90:91], s[90:91]
	s_cbranch_execnz .LBB14_7792
.LBB14_4014:
	s_or_b64 exec, exec, s[90:91]
	s_mov_b64 vcc, 0
	s_and_saveexec_b64 s[76:77], s[4:5]
.LBB14_4015:
	s_mov_b64 vcc, exec
	v_add_u32_e32 v13, 0x200, v13
.LBB14_4016:
	s_or_b64 exec, exec, s[76:77]
	v_readlane_b32 s4, v43, 22
	v_readlane_b32 s5, v43, 23
	s_andn2_b64 s[4:5], s[4:5], exec
	s_and_b64 s[74:75], s[94:95], exec
	s_or_b64 s[94:95], s[4:5], s[74:75]
	s_orn2_b64 s[82:83], vcc, exec
.LBB14_4017:
	s_or_b64 exec, exec, s[92:93]
	s_mov_b64 s[4:5], 0
	s_mov_b64 vcc, 0
	s_mov_b64 s[80:81], 0
                                        ; implicit-def: $vgpr5
                                        ; implicit-def: $vgpr102_vgpr103
	s_mov_b64 s[74:75], exec
	v_writelane_b32 v43, s74, 26
	v_writelane_b32 v43, s75, 27
	s_and_b64 s[74:75], s[74:75], s[82:83]
	s_mov_b64 exec, s[74:75]
	s_cbranch_execz .LBB14_4759
; %bb.4018:
	v_cmp_lt_i32_e32 vcc, v13, v6
	s_mov_b64 s[82:83], -1
	v_writelane_b32 v43, s94, 30
	v_writelane_b32 v43, s95, 31
	s_and_saveexec_b64 s[96:97], vcc
	s_cbranch_execz .LBB14_4146
; %bb.4019:
	v_readlane_b32 s4, v44, 1
	v_add_u32_e32 v3, s4, v13
	v_mul_lo_u32 v3, v3, v12
	v_add_co_u32_e32 v22, vcc, v0, v3
	v_addc_co_u32_e32 v23, vcc, 0, v1, vcc
	v_mov_b32_e32 v3, 10
	v_cmp_gt_i16_sdwa vcc, v11, v3 src0_sel:BYTE_0 src1_sel:DWORD
	s_mov_b64 s[4:5], 0
	s_mov_b64 s[90:91], s[94:95]
	s_and_saveexec_b64 s[74:75], vcc
	s_xor_b64 s[74:75], exec, s[74:75]
	v_writelane_b32 v43, s74, 34
	v_writelane_b32 v43, s75, 35
	s_cbranch_execz .LBB14_4101
; %bb.4020:
	v_mov_b32_e32 v3, 25
	v_cmp_gt_i16_sdwa s[4:5], v11, v3 src0_sel:BYTE_0 src1_sel:DWORD
	s_mov_b64 s[88:89], 0
	s_mov_b64 s[90:91], s[94:95]
	s_and_saveexec_b64 vcc, s[4:5]
	s_xor_b64 s[92:93], exec, vcc
	s_cbranch_execz .LBB14_4056
; %bb.4021:
	v_mov_b32_e32 v3, 28
	v_cmp_gt_i16_sdwa vcc, v11, v3 src0_sel:BYTE_0 src1_sel:DWORD
	s_mov_b64 s[4:5], 0
	s_mov_b64 s[90:91], s[94:95]
	s_and_saveexec_b64 s[74:75], vcc
	s_xor_b64 s[88:89], exec, s[74:75]
	s_cbranch_execz .LBB14_4039
; %bb.4022:
	v_mov_b32_e32 v3, 43
	v_cmp_gt_i16_sdwa s[74:75], v11, v3 src0_sel:BYTE_0 src1_sel:DWORD
	s_mov_b64 vcc, s[94:95]
	s_and_saveexec_b64 s[76:77], s[74:75]
	s_xor_b64 s[76:77], exec, s[76:77]
	s_cbranch_execz .LBB14_4034
; %bb.4023:
	v_mov_b32_e32 v3, 45
	v_cmp_gt_i16_sdwa s[4:5], v11, v3 src0_sel:BYTE_0 src1_sel:DWORD
	s_mov_b64 s[86:87], 0
	s_mov_b64 s[84:85], s[94:95]
	s_and_saveexec_b64 vcc, s[4:5]
	s_xor_b64 s[4:5], exec, vcc
	s_cbranch_execz .LBB14_4027
; %bb.4024:
	v_mov_b32_e32 v3, 46
	v_cmp_eq_u16_sdwa s[74:75], v11, v3 src0_sel:BYTE_0 src1_sel:DWORD
	s_mov_b64 vcc, -1
	s_and_saveexec_b64 s[82:83], s[74:75]
	s_cbranch_execz .LBB14_4026
; %bb.4025:
	v_bfe_u32 v3, v20, 16, 1
	s_movk_i32 vcc_lo, 0x7fff
	v_add3_u32 v3, v20, v3, vcc_lo
	v_lshrrev_b32_e32 v3, 16, v3
	v_mov_b32_e32 v5, 0x7fc0
	v_cmp_o_f32_e32 vcc, v20, v20
	v_cndmask_b32_e32 v3, v5, v3, vcc
	s_mov_b64 s[80:81], exec
	flat_store_dword v[22:23], v3
	s_xor_b64 vcc, exec, -1
.LBB14_4026:
	s_or_b64 exec, exec, s[82:83]
	s_andn2_b64 s[74:75], s[94:95], exec
	s_and_b64 vcc, vcc, exec
	s_or_b64 s[84:85], s[74:75], vcc
	s_and_b64 s[86:87], s[80:81], exec
                                        ; implicit-def: $vgpr22_vgpr23
                                        ; implicit-def: $vgpr20
.LBB14_4027:
	s_andn2_saveexec_b64 s[90:91], s[4:5]
	s_cbranch_execz .LBB14_4033
; %bb.4028:
	v_mov_b32_e32 v3, 44
	v_cmp_eq_u16_sdwa s[74:75], v11, v3 src0_sel:BYTE_0 src1_sel:DWORD
	s_mov_b64 vcc, -1
	s_mov_b64 s[4:5], s[86:87]
	s_and_saveexec_b64 s[80:81], s[74:75]
	s_cbranch_execz .LBB14_4032
; %bb.4029:
	v_bfe_u32 v3, v20, 23, 8
	s_movk_i32 s4, 0xff
	v_cmp_ne_u32_e32 vcc, s4, v3
	v_mov_b32_e32 v5, 0xff
	s_and_saveexec_b64 s[82:83], vcc
; %bb.4030:
	s_mov_b32 s4, 0x3fffff
	v_and_b32_e32 v7, 0x400000, v20
	v_and_or_b32 v3, v20, s4, v3
	v_cmp_ne_u32_e32 vcc, 0, v7
	v_cmp_ne_u32_e64 s[4:5], 0, v3
	s_and_b64 s[4:5], vcc, s[4:5]
	v_lshrrev_b32_e32 v5, 23, v20
	v_cndmask_b32_e64 v3, 0, 1, s[4:5]
	v_add_u32_e32 v5, v5, v3
; %bb.4031:
	s_or_b64 exec, exec, s[82:83]
	s_xor_b64 vcc, exec, -1
	s_or_b64 s[4:5], s[86:87], exec
	flat_store_byte v[22:23], v5
.LBB14_4032:
	s_or_b64 exec, exec, s[80:81]
	s_andn2_b64 s[74:75], s[84:85], exec
	s_and_b64 vcc, vcc, exec
	s_or_b64 s[84:85], s[74:75], vcc
	s_andn2_b64 vcc, s[86:87], exec
	s_and_b64 s[4:5], s[4:5], exec
	s_or_b64 s[86:87], vcc, s[4:5]
.LBB14_4033:
	s_or_b64 exec, exec, s[90:91]
	s_andn2_b64 s[4:5], s[94:95], exec
	s_and_b64 vcc, s[84:85], exec
	s_or_b64 vcc, s[4:5], vcc
	s_and_b64 s[4:5], s[86:87], exec
                                        ; implicit-def: $vgpr20
                                        ; implicit-def: $vgpr22_vgpr23
.LBB14_4034:
	s_andn2_saveexec_b64 s[84:85], s[76:77]
	s_cbranch_execz .LBB14_4038
; %bb.4035:
	v_mov_b32_e32 v3, 29
	v_cmp_eq_u16_sdwa s[74:75], v11, v3 src0_sel:BYTE_0 src1_sel:DWORD
	s_mov_b64 s[86:87], -1
	s_mov_b64 s[82:83], s[4:5]
	s_and_saveexec_b64 s[80:81], s[74:75]
	s_cbranch_execz .LBB14_4037
; %bb.4036:
	v_trunc_f32_e32 v3, v20
	v_mul_f32_e32 v5, 0x2f800000, v3
	v_floor_f32_e32 v5, v5
	v_fmac_f32_e32 v3, 0xcf800000, v5
	v_cvt_u32_f32_e32 v21, v5
	v_cvt_u32_f32_e32 v20, v3
	s_xor_b64 s[86:87], exec, -1
	s_or_b64 s[82:83], s[4:5], exec
	flat_store_dwordx2 v[22:23], v[20:21]
.LBB14_4037:
	s_or_b64 exec, exec, s[80:81]
	s_andn2_b64 vcc, vcc, exec
	s_and_b64 s[74:75], s[86:87], exec
	s_or_b64 vcc, vcc, s[74:75]
	s_andn2_b64 s[4:5], s[4:5], exec
	s_and_b64 s[74:75], s[82:83], exec
	s_or_b64 s[4:5], s[4:5], s[74:75]
.LBB14_4038:
	s_or_b64 exec, exec, s[84:85]
	s_andn2_b64 s[74:75], s[94:95], exec
	s_and_b64 vcc, vcc, exec
	s_or_b64 s[90:91], s[74:75], vcc
	s_and_b64 s[4:5], s[4:5], exec
                                        ; implicit-def: $vgpr22_vgpr23
                                        ; implicit-def: $vgpr20
.LBB14_4039:
	s_andn2_saveexec_b64 s[88:89], s[88:89]
	s_cbranch_execz .LBB14_4055
; %bb.4040:
	v_mov_b32_e32 v3, 26
	v_cmp_gt_i16_sdwa vcc, v11, v3 src0_sel:BYTE_0 src1_sel:DWORD
	s_and_saveexec_b64 s[74:75], vcc
	s_xor_b64 vcc, exec, s[74:75]
	s_cbranch_execz .LBB14_4046
; %bb.4041:
	v_cvt_u32_f32_e32 v3, v20
	v_mov_b32_e32 v5, 27
	v_cmp_gt_i16_sdwa s[74:75], v11, v5 src0_sel:BYTE_0 src1_sel:DWORD
	s_and_saveexec_b64 s[76:77], s[74:75]
	s_xor_b64 s[76:77], exec, s[76:77]
	s_cbranch_execz .LBB14_4043
; %bb.4042:
	flat_store_dword v[22:23], v3
                                        ; implicit-def: $vgpr22_vgpr23
                                        ; implicit-def: $vgpr3
.LBB14_4043:
	s_andn2_saveexec_b64 s[76:77], s[76:77]
	s_cbranch_execz .LBB14_4045
; %bb.4044:
	flat_store_short v[22:23], v3
.LBB14_4045:
	s_or_b64 exec, exec, s[76:77]
                                        ; implicit-def: $vgpr22_vgpr23
                                        ; implicit-def: $vgpr20
.LBB14_4046:
	s_andn2_saveexec_b64 s[86:87], vcc
	s_cbranch_execz .LBB14_4054
; %bb.4047:
	v_and_b32_e32 v3, 0x7fffffff, v20
	s_mov_b32 vcc_lo, 0x43800000
	v_cmp_gt_u32_e32 vcc, vcc_lo, v3
	v_mov_b32_e32 v5, 0x80
	s_and_saveexec_b64 s[84:85], vcc
	s_cbranch_execz .LBB14_4053
; %bb.4048:
	s_mov_b32 vcc_lo, 0x3bffffff
	v_cmp_lt_u32_e32 vcc, vcc_lo, v3
	s_mov_b64 s[78:79], 0
                                        ; implicit-def: $vgpr3
	s_and_saveexec_b64 s[74:75], vcc
	s_xor_b64 vcc, exec, s[74:75]
	s_cbranch_execnz .LBB14_7857
; %bb.4049:
	s_or_saveexec_b64 s[80:81], vcc
                                        ; implicit-def: $sgpr76
	s_xor_b64 exec, exec, s[80:81]
	s_cbranch_execnz .LBB14_7858
.LBB14_4050:
	s_or_b64 exec, exec, s[80:81]
	v_mov_b32_e32 v5, s76
	s_and_saveexec_b64 vcc, s[78:79]
.LBB14_4051:
	v_lshrrev_b32_e32 v5, 24, v20
	s_movk_i32 s74, 0x80
	v_and_or_b32 v5, v5, s74, v3
.LBB14_4052:
	s_or_b64 exec, exec, vcc
.LBB14_4053:
	s_or_b64 exec, exec, s[84:85]
	flat_store_byte v[22:23], v5
.LBB14_4054:
	s_or_b64 exec, exec, s[86:87]
	s_or_b64 s[4:5], s[4:5], exec
.LBB14_4055:
	s_or_b64 exec, exec, s[88:89]
	s_andn2_b64 vcc, s[94:95], exec
	s_and_b64 s[74:75], s[90:91], exec
	s_or_b64 s[90:91], vcc, s[74:75]
	s_and_b64 s[88:89], s[4:5], exec
                                        ; implicit-def: $vgpr20
                                        ; implicit-def: $vgpr22_vgpr23
.LBB14_4056:
	s_andn2_saveexec_b64 s[92:93], s[92:93]
	s_cbranch_execz .LBB14_4100
; %bb.4057:
	v_mov_b32_e32 v3, 22
	v_cmp_gt_i16_sdwa vcc, v11, v3 src0_sel:BYTE_0 src1_sel:DWORD
	s_mov_b64 s[4:5], s[88:89]
	s_and_saveexec_b64 s[74:75], vcc
	s_xor_b64 s[74:75], exec, s[74:75]
	v_writelane_b32 v43, s74, 36
	v_writelane_b32 v43, s75, 37
	s_cbranch_execz .LBB14_4089
; %bb.4058:
	v_mov_b32_e32 v3, 23
	v_cmp_gt_i16_sdwa s[4:5], v11, v3 src0_sel:BYTE_0 src1_sel:DWORD
	s_and_saveexec_b64 vcc, s[4:5]
	s_xor_b64 s[82:83], exec, vcc
	s_cbranch_execz .LBB14_4078
; %bb.4059:
	v_mov_b32_e32 v3, 24
	v_cmp_gt_i16_sdwa s[4:5], v11, v3 src0_sel:BYTE_0 src1_sel:DWORD
	s_and_saveexec_b64 vcc, s[4:5]
	s_xor_b64 s[4:5], exec, vcc
	s_cbranch_execz .LBB14_4067
; %bb.4060:
	v_and_b32_e32 v3, 0x7fffffff, v20
	s_mov_b32 vcc_lo, 0x47800000
	v_cmp_gt_u32_e32 vcc, vcc_lo, v3
	v_mov_b32_e32 v5, 0x80
	s_and_saveexec_b64 s[84:85], vcc
	s_cbranch_execz .LBB14_4066
; %bb.4061:
	s_mov_b32 vcc_lo, 0x37ffffff
	v_cmp_lt_u32_e32 vcc, vcc_lo, v3
	s_mov_b64 s[86:87], 0
                                        ; implicit-def: $vgpr3
	s_and_saveexec_b64 s[74:75], vcc
	s_xor_b64 vcc, exec, s[74:75]
	s_cbranch_execnz .LBB14_7983
; %bb.4062:
	s_or_saveexec_b64 s[80:81], vcc
                                        ; implicit-def: $sgpr76
	s_xor_b64 exec, exec, s[80:81]
	s_cbranch_execnz .LBB14_7984
.LBB14_4063:
	s_or_b64 exec, exec, s[80:81]
	v_mov_b32_e32 v5, s76
	s_and_saveexec_b64 vcc, s[86:87]
.LBB14_4064:
	v_lshrrev_b32_e32 v5, 24, v20
	s_movk_i32 s74, 0x80
	v_and_or_b32 v5, v5, s74, v3
.LBB14_4065:
	s_or_b64 exec, exec, vcc
.LBB14_4066:
	s_or_b64 exec, exec, s[84:85]
	flat_store_byte v[22:23], v5
                                        ; implicit-def: $vgpr20
                                        ; implicit-def: $vgpr22_vgpr23
.LBB14_4067:
	s_andn2_saveexec_b64 s[4:5], s[4:5]
	s_cbranch_execz .LBB14_4077
; %bb.4068:
	v_and_b32_e32 v5, 0x7fffffff, v20
	s_mov_b32 vcc_lo, 0x43f00000
	v_cmp_gt_u32_e32 vcc, vcc_lo, v5
                                        ; implicit-def: $vgpr3
	s_and_saveexec_b64 s[74:75], vcc
	s_xor_b64 s[84:85], exec, s[74:75]
	s_cbranch_execz .LBB14_4074
; %bb.4069:
	s_mov_b32 vcc_lo, 0x3c7fffff
	v_cmp_lt_u32_e32 vcc, vcc_lo, v5
                                        ; implicit-def: $vgpr3
	s_and_saveexec_b64 s[74:75], vcc
	s_xor_b64 s[78:79], exec, s[74:75]
; %bb.4070:
	v_bfe_u32 v3, v20, 20, 1
	s_mov_b32 vcc_lo, 0x407ffff
	v_add3_u32 v3, v20, v3, vcc_lo
	v_lshrrev_b32_e32 v5, 20, v3
	v_and_b32_e32 v3, 0xff00000, v3
	s_mov_b32 vcc_lo, 0x7f00000
	v_mov_b32_e32 v7, 0x7e
	v_cmp_ne_u32_e32 vcc, vcc_lo, v3
	v_cndmask_b32_e32 v3, v7, v5, vcc
; %bb.4071:
	s_andn2_saveexec_b64 vcc, s[78:79]
; %bb.4072:
	s_mov_b32 s74, 0x46800000
	v_add_f32_e64 v3, |v20|, s74
; %bb.4073:
	s_or_b64 exec, exec, vcc
                                        ; implicit-def: $vgpr5
.LBB14_4074:
	s_andn2_saveexec_b64 s[80:81], s[84:85]
; %bb.4075:
	s_mov_b32 vcc_lo, 0x7f800000
	v_mov_b32_e32 v3, 0x7e
	v_mov_b32_e32 v7, 0x7f
	v_cmp_lt_u32_e32 vcc, vcc_lo, v5
	v_cndmask_b32_e32 v3, v3, v7, vcc
; %bb.4076:
	s_or_b64 exec, exec, s[80:81]
	v_lshrrev_b32_e32 v5, 24, v20
	s_movk_i32 vcc_lo, 0x80
	v_and_or_b32 v3, v5, vcc_lo, v3
	flat_store_byte v[22:23], v3
.LBB14_4077:
	s_or_b64 exec, exec, s[4:5]
                                        ; implicit-def: $vgpr20
                                        ; implicit-def: $vgpr22_vgpr23
.LBB14_4078:
	s_andn2_saveexec_b64 s[4:5], s[82:83]
	s_cbranch_execz .LBB14_4088
; %bb.4079:
	v_and_b32_e32 v5, 0x7fffffff, v20
	s_mov_b32 vcc_lo, 0x47800000
	v_cmp_gt_u32_e32 vcc, vcc_lo, v5
                                        ; implicit-def: $vgpr3
	s_and_saveexec_b64 s[74:75], vcc
	s_xor_b64 s[82:83], exec, s[74:75]
	s_cbranch_execz .LBB14_4085
; %bb.4080:
	s_mov_b32 vcc_lo, 0x387fffff
	v_cmp_lt_u32_e32 vcc, vcc_lo, v5
                                        ; implicit-def: $vgpr3
	s_and_saveexec_b64 s[74:75], vcc
	s_xor_b64 vcc, exec, s[74:75]
; %bb.4081:
	v_bfe_u32 v3, v20, 21, 1
	s_mov_b32 s74, 0x80fffff
	v_add3_u32 v3, v20, v3, s74
	v_lshrrev_b32_e32 v3, 21, v3
; %bb.4082:
	s_andn2_saveexec_b64 vcc, vcc
; %bb.4083:
	s_mov_b32 s74, 0x43000000
	v_add_f32_e64 v3, |v20|, s74
; %bb.4084:
	s_or_b64 exec, exec, vcc
                                        ; implicit-def: $vgpr5
.LBB14_4085:
	s_andn2_saveexec_b64 s[80:81], s[82:83]
; %bb.4086:
	s_mov_b32 vcc_lo, 0x7f800000
	v_mov_b32_e32 v3, 0x7c
	v_mov_b32_e32 v7, 0x7f
	v_cmp_lt_u32_e32 vcc, vcc_lo, v5
	v_cndmask_b32_e32 v3, v3, v7, vcc
; %bb.4087:
	s_or_b64 exec, exec, s[80:81]
	v_lshrrev_b32_e32 v5, 24, v20
	s_movk_i32 vcc_lo, 0x80
	v_and_or_b32 v3, v5, vcc_lo, v3
	flat_store_byte v[22:23], v3
.LBB14_4088:
	s_or_b64 exec, exec, s[4:5]
	s_or_b64 s[4:5], s[88:89], exec
                                        ; implicit-def: $vgpr22_vgpr23
                                        ; implicit-def: $vgpr20
.LBB14_4089:
	v_readlane_b32 vcc_lo, v43, 36
	v_readlane_b32 vcc_hi, v43, 37
	s_or_saveexec_b64 s[86:87], vcc
	s_mov_b64 s[78:79], s[90:91]
	s_xor_b64 exec, exec, s[86:87]
	s_cbranch_execz .LBB14_4099
; %bb.4090:
	v_mov_b32_e32 v3, 14
	v_cmp_gt_i16_sdwa s[74:75], v11, v3 src0_sel:BYTE_0 src1_sel:DWORD
	s_mov_b64 vcc, s[4:5]
	s_mov_b64 s[84:85], s[90:91]
	s_and_saveexec_b64 s[76:77], s[74:75]
	s_xor_b64 s[82:83], exec, s[76:77]
	s_cbranch_execz .LBB14_4094
; %bb.4091:
	v_mov_b32_e32 v3, 15
	v_cmp_eq_u16_sdwa s[74:75], v11, v3 src0_sel:BYTE_0 src1_sel:DWORD
	s_mov_b64 s[78:79], -1
	s_mov_b64 vcc, s[4:5]
	s_and_saveexec_b64 s[80:81], s[74:75]
	s_cbranch_execz .LBB14_4093
; %bb.4092:
	v_bfe_u32 v3, v20, 16, 1
	s_movk_i32 vcc_lo, 0x7fff
	v_add3_u32 v3, v20, v3, vcc_lo
	v_lshrrev_b32_e32 v3, 16, v3
	v_mov_b32_e32 v5, 0x7fc0
	v_cmp_o_f32_e32 vcc, v20, v20
	v_cndmask_b32_e32 v3, v5, v3, vcc
	flat_store_short v[22:23], v3
	s_xor_b64 s[78:79], exec, -1
	s_or_b64 vcc, s[4:5], exec
.LBB14_4093:
	s_or_b64 exec, exec, s[80:81]
	s_andn2_b64 s[74:75], s[90:91], exec
	s_and_b64 s[76:77], s[78:79], exec
	s_or_b64 s[84:85], s[74:75], s[76:77]
	s_andn2_b64 s[74:75], s[4:5], exec
	s_and_b64 vcc, vcc, exec
	s_or_b64 vcc, s[74:75], vcc
                                        ; implicit-def: $vgpr22_vgpr23
.LBB14_4094:
	s_andn2_saveexec_b64 s[82:83], s[82:83]
	s_cbranch_execz .LBB14_4098
; %bb.4095:
	v_mov_b32_e32 v3, 11
	v_cmp_eq_u16_sdwa s[74:75], v11, v3 src0_sel:BYTE_0 src1_sel:DWORD
	s_mov_b64 s[78:79], -1
	s_mov_b64 s[80:81], vcc
	s_and_saveexec_b64 s[76:77], s[74:75]
	s_cbranch_execz .LBB14_4097
; %bb.4096:
	v_mov_b32_e32 v3, 1
	flat_store_byte v[22:23], v3
	s_xor_b64 s[78:79], exec, -1
	s_or_b64 s[80:81], vcc, exec
.LBB14_4097:
	s_or_b64 exec, exec, s[76:77]
	s_andn2_b64 s[74:75], s[84:85], exec
	s_and_b64 s[76:77], s[78:79], exec
	s_or_b64 s[84:85], s[74:75], s[76:77]
	s_andn2_b64 vcc, vcc, exec
	s_and_b64 s[74:75], s[80:81], exec
	s_or_b64 vcc, vcc, s[74:75]
.LBB14_4098:
	s_or_b64 exec, exec, s[82:83]
	s_andn2_b64 s[74:75], s[90:91], exec
	s_and_b64 s[76:77], s[84:85], exec
	s_andn2_b64 s[4:5], s[4:5], exec
	s_and_b64 vcc, vcc, exec
	s_or_b64 s[78:79], s[74:75], s[76:77]
	s_or_b64 s[4:5], s[4:5], vcc
.LBB14_4099:
	s_or_b64 exec, exec, s[86:87]
	s_andn2_b64 vcc, s[90:91], exec
	s_and_b64 s[74:75], s[78:79], exec
	s_or_b64 s[90:91], vcc, s[74:75]
	s_andn2_b64 vcc, s[88:89], exec
	s_and_b64 s[4:5], s[4:5], exec
	s_or_b64 s[88:89], vcc, s[4:5]
.LBB14_4100:
	s_or_b64 exec, exec, s[92:93]
	s_andn2_b64 s[4:5], s[94:95], exec
	s_and_b64 vcc, s[90:91], exec
	s_or_b64 s[90:91], s[4:5], vcc
	s_and_b64 s[4:5], s[88:89], exec
                                        ; implicit-def: $vgpr20
                                        ; implicit-def: $vgpr22_vgpr23
.LBB14_4101:
	v_readlane_b32 vcc_lo, v43, 34
	v_readlane_b32 vcc_hi, v43, 35
	s_andn2_saveexec_b64 s[92:93], vcc
	s_cbranch_execz .LBB14_4143
; %bb.4102:
	v_mov_b32_e32 v3, 4
	v_cmp_gt_i16_sdwa vcc, v11, v3 src0_sel:BYTE_0 src1_sel:DWORD
	s_and_saveexec_b64 s[74:75], vcc
	s_xor_b64 vcc, exec, s[74:75]
	s_cbranch_execz .LBB14_4124
; %bb.4103:
	v_mov_b32_e32 v3, 7
	v_cmp_gt_i16_sdwa s[74:75], v11, v3 src0_sel:BYTE_0 src1_sel:DWORD
	s_and_saveexec_b64 s[76:77], s[74:75]
	s_xor_b64 s[84:85], exec, s[76:77]
	s_cbranch_execz .LBB14_4113
; %bb.4104:
	v_mov_b32_e32 v3, 8
	v_cmp_gt_i16_sdwa s[74:75], v11, v3 src0_sel:BYTE_0 src1_sel:DWORD
	s_and_saveexec_b64 s[76:77], s[74:75]
	s_xor_b64 s[86:87], exec, s[76:77]
	;; [unrolled: 6-line block ×3, first 2 shown]
	s_cbranch_execz .LBB14_4107
; %bb.4106:
	v_mov_b32_e32 v26, 0
	v_cvt_f64_f32_e32 v[24:25], v20
	v_mov_b32_e32 v27, v26
	flat_store_dwordx4 v[22:23], v[24:27]
                                        ; implicit-def: $vgpr20
                                        ; implicit-def: $vgpr22_vgpr23
.LBB14_4107:
	s_andn2_saveexec_b64 s[76:77], s[78:79]
	s_cbranch_execz .LBB14_4109
; %bb.4108:
	v_mov_b32_e32 v21, 0
	flat_store_dwordx2 v[22:23], v[20:21]
.LBB14_4109:
	s_or_b64 exec, exec, s[76:77]
                                        ; implicit-def: $vgpr20
                                        ; implicit-def: $vgpr22_vgpr23
.LBB14_4110:
	s_andn2_saveexec_b64 s[76:77], s[86:87]
	s_cbranch_execz .LBB14_4112
; %bb.4111:
	v_cvt_f16_f32_e32 v3, v20
	flat_store_dword v[22:23], v3
.LBB14_4112:
	s_or_b64 exec, exec, s[76:77]
                                        ; implicit-def: $vgpr20
                                        ; implicit-def: $vgpr22_vgpr23
.LBB14_4113:
	s_andn2_saveexec_b64 s[84:85], s[84:85]
	s_cbranch_execz .LBB14_4123
; %bb.4114:
	v_mov_b32_e32 v3, 5
	v_cmp_gt_i16_sdwa s[74:75], v11, v3 src0_sel:BYTE_0 src1_sel:DWORD
	s_and_saveexec_b64 s[76:77], s[74:75]
	s_xor_b64 s[80:81], exec, s[76:77]
	s_cbranch_execz .LBB14_4120
; %bb.4115:
	v_mov_b32_e32 v3, 6
	v_cmp_gt_i16_sdwa s[74:75], v11, v3 src0_sel:BYTE_0 src1_sel:DWORD
	s_and_saveexec_b64 s[76:77], s[74:75]
	s_xor_b64 s[76:77], exec, s[76:77]
	s_cbranch_execz .LBB14_4117
; %bb.4116:
	v_cvt_f64_f32_e32 v[20:21], v20
	flat_store_dwordx2 v[22:23], v[20:21]
                                        ; implicit-def: $vgpr22_vgpr23
                                        ; implicit-def: $vgpr20
.LBB14_4117:
	s_andn2_saveexec_b64 s[76:77], s[76:77]
	s_cbranch_execz .LBB14_4119
; %bb.4118:
	flat_store_dword v[22:23], v20
.LBB14_4119:
	s_or_b64 exec, exec, s[76:77]
                                        ; implicit-def: $vgpr20
                                        ; implicit-def: $vgpr22_vgpr23
.LBB14_4120:
	s_andn2_saveexec_b64 s[76:77], s[80:81]
	s_cbranch_execz .LBB14_4122
; %bb.4121:
	v_cvt_f16_f32_e32 v3, v20
	flat_store_short v[22:23], v3
.LBB14_4122:
	s_or_b64 exec, exec, s[76:77]
.LBB14_4123:
	s_or_b64 exec, exec, s[84:85]
                                        ; implicit-def: $vgpr20
                                        ; implicit-def: $vgpr22_vgpr23
.LBB14_4124:
	s_andn2_saveexec_b64 s[88:89], vcc
	s_cbranch_execz .LBB14_4142
; %bb.4125:
	v_mov_b32_e32 v3, 1
	v_cmp_gt_i16_sdwa vcc, v11, v3 src0_sel:BYTE_0 src1_sel:DWORD
	s_and_saveexec_b64 s[74:75], vcc
	s_xor_b64 s[84:85], exec, s[74:75]
	s_cbranch_execz .LBB14_4135
; %bb.4126:
	v_mov_b32_e32 v3, 2
	v_cmp_gt_i16_sdwa vcc, v11, v3 src0_sel:BYTE_0 src1_sel:DWORD
	s_and_saveexec_b64 s[74:75], vcc
	s_xor_b64 s[86:87], exec, s[74:75]
	;; [unrolled: 6-line block ×3, first 2 shown]
	s_cbranch_execz .LBB14_4129
; %bb.4128:
	v_trunc_f32_e32 v3, v20
	s_mov_b32 s74, 0x2f800000
	v_mul_f32_e64 v5, |v3|, s74
	v_floor_f32_e32 v5, v5
	s_mov_b32 s74, 0xcf800000
	v_cvt_u32_f32_e32 v7, v5
	v_fma_f32 v5, v5, s74, |v3|
	v_cvt_u32_f32_e32 v5, v5
	v_ashrrev_i32_e32 v3, 31, v3
	v_xor_b32_e32 v7, v7, v3
	v_xor_b32_e32 v5, v5, v3
	v_sub_co_u32_e32 v20, vcc, v5, v3
	v_subb_co_u32_e32 v21, vcc, v7, v3, vcc
	flat_store_dwordx2 v[22:23], v[20:21]
                                        ; implicit-def: $vgpr20
                                        ; implicit-def: $vgpr22_vgpr23
.LBB14_4129:
	s_andn2_saveexec_b64 vcc, s[80:81]
	s_cbranch_execz .LBB14_4131
; %bb.4130:
	v_cvt_i32_f32_e32 v3, v20
	flat_store_dword v[22:23], v3
.LBB14_4131:
	s_or_b64 exec, exec, vcc
                                        ; implicit-def: $vgpr20
                                        ; implicit-def: $vgpr22_vgpr23
.LBB14_4132:
	s_andn2_saveexec_b64 vcc, s[86:87]
	s_cbranch_execz .LBB14_4134
; %bb.4133:
	v_cvt_i32_f32_e32 v3, v20
	flat_store_short v[22:23], v3
.LBB14_4134:
	s_or_b64 exec, exec, vcc
                                        ; implicit-def: $vgpr20
                                        ; implicit-def: $vgpr22_vgpr23
.LBB14_4135:
	s_andn2_saveexec_b64 vcc, s[84:85]
	s_cbranch_execz .LBB14_4141
; %bb.4136:
	v_mov_b32_e32 v3, 0
	v_cmp_gt_i16_sdwa s[74:75], v11, v3 src0_sel:BYTE_0 src1_sel:DWORD
	s_and_saveexec_b64 s[76:77], s[74:75]
	s_xor_b64 s[76:77], exec, s[76:77]
	s_cbranch_execz .LBB14_4138
; %bb.4137:
	v_cvt_i32_f32_e32 v3, v20
                                        ; implicit-def: $vgpr20
	flat_store_byte v[22:23], v3
                                        ; implicit-def: $vgpr22_vgpr23
.LBB14_4138:
	s_andn2_saveexec_b64 s[80:81], s[76:77]
	s_cbranch_execz .LBB14_4140
; %bb.4139:
	v_trunc_f32_e32 v3, v20
	s_mov_b32 s74, 0x2f800000
	v_mul_f32_e64 v5, |v3|, s74
	v_floor_f32_e32 v5, v5
	s_mov_b32 s74, 0xcf800000
	v_fma_f32 v5, v5, s74, |v3|
	v_cvt_u32_f32_e32 v5, v5
	v_ashrrev_i32_e32 v3, 31, v3
	v_xor_b32_e32 v5, v5, v3
	v_sub_u32_e32 v3, v5, v3
	flat_store_byte v[22:23], v3
.LBB14_4140:
	s_or_b64 exec, exec, s[80:81]
.LBB14_4141:
	s_or_b64 exec, exec, vcc
.LBB14_4142:
	s_or_b64 exec, exec, s[88:89]
	s_or_b64 s[4:5], s[4:5], exec
.LBB14_4143:
	s_or_b64 exec, exec, s[92:93]
	s_mov_b64 vcc, 0
	s_and_saveexec_b64 s[76:77], s[4:5]
; %bb.4144:
	s_mov_b64 vcc, exec
	v_add_u32_e32 v13, 0x200, v13
; %bb.4145:
	s_or_b64 exec, exec, s[76:77]
	s_andn2_b64 s[4:5], s[94:95], exec
	s_and_b64 s[74:75], s[90:91], exec
	s_or_b64 s[4:5], s[4:5], s[74:75]
	v_writelane_b32 v43, s4, 30
	v_writelane_b32 v43, s5, 31
	s_orn2_b64 s[82:83], vcc, exec
.LBB14_4146:
	s_or_b64 exec, exec, s[96:97]
	s_mov_b64 s[4:5], 0
	s_mov_b64 vcc, 0
	s_mov_b64 s[80:81], 0
                                        ; implicit-def: $vgpr5
                                        ; implicit-def: $vgpr102_vgpr103
	s_mov_b64 s[74:75], exec
	v_writelane_b32 v43, s74, 32
	v_writelane_b32 v43, s75, 33
	s_and_b64 s[74:75], s[74:75], s[82:83]
	s_mov_b64 exec, s[74:75]
	s_cbranch_execz .LBB14_4758
; %bb.4147:
	v_readlane_b32 s4, v43, 30
	v_readlane_b32 s5, v43, 31
	v_cmp_lt_i32_e32 vcc, v13, v6
	s_mov_b64 s[82:83], -1
	v_writelane_b32 v43, s4, 38
	v_writelane_b32 v43, s5, 39
	s_and_saveexec_b64 s[96:97], vcc
	s_cbranch_execz .LBB14_4275
; %bb.4148:
	v_readlane_b32 s4, v44, 1
	v_add_u32_e32 v3, s4, v13
	v_mul_lo_u32 v3, v3, v12
	v_add_co_u32_e32 v20, vcc, v0, v3
	v_addc_co_u32_e32 v21, vcc, 0, v1, vcc
	v_mov_b32_e32 v3, 10
	v_readlane_b32 s90, v43, 30
	v_cmp_gt_i16_sdwa vcc, v11, v3 src0_sel:BYTE_0 src1_sel:DWORD
	s_mov_b64 s[4:5], 0
	v_readlane_b32 s91, v43, 31
	s_and_saveexec_b64 s[74:75], vcc
	s_xor_b64 s[74:75], exec, s[74:75]
	v_writelane_b32 v43, s74, 42
	v_writelane_b32 v43, s75, 43
	s_cbranch_execz .LBB14_4230
; %bb.4149:
	v_mov_b32_e32 v3, 25
	v_readlane_b32 s92, v43, 30
	v_cmp_gt_i16_sdwa s[4:5], v11, v3 src0_sel:BYTE_0 src1_sel:DWORD
	s_mov_b64 s[88:89], 0
	v_readlane_b32 s93, v43, 31
	s_and_saveexec_b64 vcc, s[4:5]
	s_xor_b64 s[90:91], exec, vcc
	s_cbranch_execz .LBB14_4185
; %bb.4150:
	v_mov_b32_e32 v3, 28
	v_readlane_b32 s92, v43, 30
	v_cmp_gt_i16_sdwa vcc, v11, v3 src0_sel:BYTE_0 src1_sel:DWORD
	s_mov_b64 s[4:5], 0
	v_readlane_b32 s93, v43, 31
	s_and_saveexec_b64 s[74:75], vcc
	s_xor_b64 s[88:89], exec, s[74:75]
	s_cbranch_execz .LBB14_4168
; %bb.4151:
	v_mov_b32_e32 v3, 43
	v_readlane_b32 vcc_lo, v43, 30
	v_cmp_gt_i16_sdwa s[74:75], v11, v3 src0_sel:BYTE_0 src1_sel:DWORD
	v_readlane_b32 vcc_hi, v43, 31
	s_and_saveexec_b64 s[76:77], s[74:75]
	s_xor_b64 s[76:77], exec, s[76:77]
	s_cbranch_execz .LBB14_4163
; %bb.4152:
	v_mov_b32_e32 v3, 45
	v_readlane_b32 s84, v43, 30
	v_cmp_gt_i16_sdwa s[4:5], v11, v3 src0_sel:BYTE_0 src1_sel:DWORD
	s_mov_b64 s[86:87], 0
	v_readlane_b32 s85, v43, 31
	s_and_saveexec_b64 vcc, s[4:5]
	s_xor_b64 s[4:5], exec, vcc
	s_cbranch_execz .LBB14_4156
; %bb.4153:
	v_mov_b32_e32 v3, 46
	v_cmp_eq_u16_sdwa s[74:75], v11, v3 src0_sel:BYTE_0 src1_sel:DWORD
	s_mov_b64 vcc, -1
	s_and_saveexec_b64 s[82:83], s[74:75]
	s_cbranch_execz .LBB14_4155
; %bb.4154:
	v_bfe_u32 v3, v18, 16, 1
	s_movk_i32 vcc_lo, 0x7fff
	v_add3_u32 v3, v18, v3, vcc_lo
	v_lshrrev_b32_e32 v3, 16, v3
	v_mov_b32_e32 v5, 0x7fc0
	v_cmp_o_f32_e32 vcc, v18, v18
	v_cndmask_b32_e32 v3, v5, v3, vcc
	s_mov_b64 s[80:81], exec
	flat_store_dword v[20:21], v3
	s_xor_b64 vcc, exec, -1
.LBB14_4155:
	s_or_b64 exec, exec, s[82:83]
	v_readlane_b32 s74, v43, 30
	v_readlane_b32 s75, v43, 31
	s_andn2_b64 s[74:75], s[74:75], exec
	s_and_b64 vcc, vcc, exec
	s_or_b64 s[84:85], s[74:75], vcc
	s_and_b64 s[86:87], s[80:81], exec
                                        ; implicit-def: $vgpr20_vgpr21
                                        ; implicit-def: $vgpr18
.LBB14_4156:
	s_andn2_saveexec_b64 s[92:93], s[4:5]
	s_cbranch_execz .LBB14_4162
; %bb.4157:
	v_mov_b32_e32 v3, 44
	v_cmp_eq_u16_sdwa s[74:75], v11, v3 src0_sel:BYTE_0 src1_sel:DWORD
	s_mov_b64 vcc, -1
	s_mov_b64 s[4:5], s[86:87]
	s_and_saveexec_b64 s[80:81], s[74:75]
	s_cbranch_execz .LBB14_4161
; %bb.4158:
	v_bfe_u32 v3, v18, 23, 8
	s_movk_i32 s4, 0xff
	v_cmp_ne_u32_e32 vcc, s4, v3
	v_mov_b32_e32 v5, 0xff
	s_and_saveexec_b64 s[82:83], vcc
; %bb.4159:
	s_mov_b32 s4, 0x3fffff
	v_and_b32_e32 v7, 0x400000, v18
	v_and_or_b32 v3, v18, s4, v3
	v_cmp_ne_u32_e32 vcc, 0, v7
	v_cmp_ne_u32_e64 s[4:5], 0, v3
	s_and_b64 s[4:5], vcc, s[4:5]
	v_lshrrev_b32_e32 v5, 23, v18
	v_cndmask_b32_e64 v3, 0, 1, s[4:5]
	v_add_u32_e32 v5, v5, v3
; %bb.4160:
	s_or_b64 exec, exec, s[82:83]
	s_xor_b64 vcc, exec, -1
	s_or_b64 s[4:5], s[86:87], exec
	flat_store_byte v[20:21], v5
.LBB14_4161:
	s_or_b64 exec, exec, s[80:81]
	s_andn2_b64 s[74:75], s[84:85], exec
	s_and_b64 vcc, vcc, exec
	s_or_b64 s[84:85], s[74:75], vcc
	s_andn2_b64 vcc, s[86:87], exec
	s_and_b64 s[4:5], s[4:5], exec
	s_or_b64 s[86:87], vcc, s[4:5]
.LBB14_4162:
	s_or_b64 exec, exec, s[92:93]
	v_readlane_b32 s4, v43, 30
	v_readlane_b32 s5, v43, 31
	s_andn2_b64 s[4:5], s[4:5], exec
	s_and_b64 vcc, s[84:85], exec
	s_or_b64 vcc, s[4:5], vcc
	s_and_b64 s[4:5], s[86:87], exec
                                        ; implicit-def: $vgpr18
                                        ; implicit-def: $vgpr20_vgpr21
.LBB14_4163:
	s_andn2_saveexec_b64 s[84:85], s[76:77]
	s_cbranch_execz .LBB14_4167
; %bb.4164:
	v_mov_b32_e32 v3, 29
	v_cmp_eq_u16_sdwa s[74:75], v11, v3 src0_sel:BYTE_0 src1_sel:DWORD
	s_mov_b64 s[86:87], -1
	s_mov_b64 s[82:83], s[4:5]
	s_and_saveexec_b64 s[80:81], s[74:75]
	s_cbranch_execz .LBB14_4166
; %bb.4165:
	v_trunc_f32_e32 v3, v18
	v_mul_f32_e32 v5, 0x2f800000, v3
	v_floor_f32_e32 v5, v5
	v_fmac_f32_e32 v3, 0xcf800000, v5
	v_cvt_u32_f32_e32 v19, v5
	v_cvt_u32_f32_e32 v18, v3
	s_xor_b64 s[86:87], exec, -1
	s_or_b64 s[82:83], s[4:5], exec
	flat_store_dwordx2 v[20:21], v[18:19]
.LBB14_4166:
	s_or_b64 exec, exec, s[80:81]
	s_andn2_b64 vcc, vcc, exec
	s_and_b64 s[74:75], s[86:87], exec
	s_or_b64 vcc, vcc, s[74:75]
	s_andn2_b64 s[4:5], s[4:5], exec
	s_and_b64 s[74:75], s[82:83], exec
	s_or_b64 s[4:5], s[4:5], s[74:75]
.LBB14_4167:
	s_or_b64 exec, exec, s[84:85]
	v_readlane_b32 s74, v43, 30
	v_readlane_b32 s75, v43, 31
	s_andn2_b64 s[74:75], s[74:75], exec
	s_and_b64 vcc, vcc, exec
	s_or_b64 s[92:93], s[74:75], vcc
	s_and_b64 s[4:5], s[4:5], exec
                                        ; implicit-def: $vgpr20_vgpr21
                                        ; implicit-def: $vgpr18
.LBB14_4168:
	s_andn2_saveexec_b64 s[88:89], s[88:89]
	s_cbranch_execz .LBB14_4184
; %bb.4169:
	v_mov_b32_e32 v3, 26
	v_cmp_gt_i16_sdwa vcc, v11, v3 src0_sel:BYTE_0 src1_sel:DWORD
	s_and_saveexec_b64 s[74:75], vcc
	s_xor_b64 vcc, exec, s[74:75]
	s_cbranch_execz .LBB14_4175
; %bb.4170:
	v_cvt_u32_f32_e32 v3, v18
	v_mov_b32_e32 v5, 27
	v_cmp_gt_i16_sdwa s[74:75], v11, v5 src0_sel:BYTE_0 src1_sel:DWORD
	s_and_saveexec_b64 s[76:77], s[74:75]
	s_xor_b64 s[76:77], exec, s[76:77]
	s_cbranch_execz .LBB14_4172
; %bb.4171:
	flat_store_dword v[20:21], v3
                                        ; implicit-def: $vgpr20_vgpr21
                                        ; implicit-def: $vgpr3
.LBB14_4172:
	s_andn2_saveexec_b64 s[76:77], s[76:77]
	s_cbranch_execz .LBB14_4174
; %bb.4173:
	flat_store_short v[20:21], v3
.LBB14_4174:
	s_or_b64 exec, exec, s[76:77]
                                        ; implicit-def: $vgpr20_vgpr21
                                        ; implicit-def: $vgpr18
.LBB14_4175:
	s_andn2_saveexec_b64 s[86:87], vcc
	s_cbranch_execz .LBB14_4183
; %bb.4176:
	v_and_b32_e32 v3, 0x7fffffff, v18
	s_mov_b32 vcc_lo, 0x43800000
	v_cmp_gt_u32_e32 vcc, vcc_lo, v3
	v_mov_b32_e32 v5, 0x80
	s_and_saveexec_b64 s[84:85], vcc
	s_cbranch_execz .LBB14_4182
; %bb.4177:
	s_mov_b32 vcc_lo, 0x3bffffff
	v_cmp_lt_u32_e32 vcc, vcc_lo, v3
	s_mov_b64 s[78:79], 0
                                        ; implicit-def: $vgpr3
	s_and_saveexec_b64 s[74:75], vcc
	s_xor_b64 vcc, exec, s[74:75]
	s_cbranch_execnz .LBB14_7985
; %bb.4178:
	s_or_saveexec_b64 s[80:81], vcc
                                        ; implicit-def: $sgpr76
	s_xor_b64 exec, exec, s[80:81]
	s_cbranch_execnz .LBB14_7986
.LBB14_4179:
	s_or_b64 exec, exec, s[80:81]
	v_mov_b32_e32 v5, s76
	s_and_saveexec_b64 vcc, s[78:79]
.LBB14_4180:
	v_lshrrev_b32_e32 v5, 24, v18
	s_movk_i32 s74, 0x80
	v_and_or_b32 v5, v5, s74, v3
.LBB14_4181:
	s_or_b64 exec, exec, vcc
.LBB14_4182:
	s_or_b64 exec, exec, s[84:85]
	flat_store_byte v[20:21], v5
.LBB14_4183:
	s_or_b64 exec, exec, s[86:87]
	s_or_b64 s[4:5], s[4:5], exec
.LBB14_4184:
	s_or_b64 exec, exec, s[88:89]
	v_readlane_b32 vcc_lo, v43, 30
	v_readlane_b32 vcc_hi, v43, 31
	s_andn2_b64 vcc, vcc, exec
	s_and_b64 s[74:75], s[92:93], exec
	s_or_b64 s[92:93], vcc, s[74:75]
	s_and_b64 s[88:89], s[4:5], exec
                                        ; implicit-def: $vgpr18
                                        ; implicit-def: $vgpr20_vgpr21
.LBB14_4185:
	s_andn2_saveexec_b64 s[90:91], s[90:91]
	s_cbranch_execz .LBB14_4229
; %bb.4186:
	v_mov_b32_e32 v3, 22
	v_cmp_gt_i16_sdwa vcc, v11, v3 src0_sel:BYTE_0 src1_sel:DWORD
	s_mov_b64 s[4:5], s[88:89]
	s_and_saveexec_b64 s[74:75], vcc
	s_xor_b64 s[74:75], exec, s[74:75]
	v_writelane_b32 v43, s74, 44
	v_writelane_b32 v43, s75, 45
	s_cbranch_execz .LBB14_4218
; %bb.4187:
	v_mov_b32_e32 v3, 23
	v_cmp_gt_i16_sdwa s[4:5], v11, v3 src0_sel:BYTE_0 src1_sel:DWORD
	s_and_saveexec_b64 vcc, s[4:5]
	s_xor_b64 s[82:83], exec, vcc
	s_cbranch_execz .LBB14_4207
; %bb.4188:
	v_mov_b32_e32 v3, 24
	v_cmp_gt_i16_sdwa s[4:5], v11, v3 src0_sel:BYTE_0 src1_sel:DWORD
	s_and_saveexec_b64 vcc, s[4:5]
	s_xor_b64 s[4:5], exec, vcc
	s_cbranch_execz .LBB14_4196
; %bb.4189:
	v_and_b32_e32 v3, 0x7fffffff, v18
	s_mov_b32 vcc_lo, 0x47800000
	v_cmp_gt_u32_e32 vcc, vcc_lo, v3
	v_mov_b32_e32 v5, 0x80
	s_and_saveexec_b64 s[84:85], vcc
	s_cbranch_execz .LBB14_4195
; %bb.4190:
	s_mov_b32 vcc_lo, 0x37ffffff
	v_cmp_lt_u32_e32 vcc, vcc_lo, v3
	s_mov_b64 s[86:87], 0
                                        ; implicit-def: $vgpr3
	s_and_saveexec_b64 s[74:75], vcc
	s_xor_b64 vcc, exec, s[74:75]
	s_cbranch_execnz .LBB14_7987
; %bb.4191:
	s_or_saveexec_b64 s[80:81], vcc
                                        ; implicit-def: $sgpr76
	s_xor_b64 exec, exec, s[80:81]
	s_cbranch_execnz .LBB14_7988
.LBB14_4192:
	s_or_b64 exec, exec, s[80:81]
	v_mov_b32_e32 v5, s76
	s_and_saveexec_b64 vcc, s[86:87]
.LBB14_4193:
	v_lshrrev_b32_e32 v5, 24, v18
	s_movk_i32 s74, 0x80
	v_and_or_b32 v5, v5, s74, v3
.LBB14_4194:
	s_or_b64 exec, exec, vcc
.LBB14_4195:
	s_or_b64 exec, exec, s[84:85]
	flat_store_byte v[20:21], v5
                                        ; implicit-def: $vgpr18
                                        ; implicit-def: $vgpr20_vgpr21
.LBB14_4196:
	s_andn2_saveexec_b64 s[4:5], s[4:5]
	s_cbranch_execz .LBB14_4206
; %bb.4197:
	v_and_b32_e32 v5, 0x7fffffff, v18
	s_mov_b32 vcc_lo, 0x43f00000
	v_cmp_gt_u32_e32 vcc, vcc_lo, v5
                                        ; implicit-def: $vgpr3
	s_and_saveexec_b64 s[74:75], vcc
	s_xor_b64 s[84:85], exec, s[74:75]
	s_cbranch_execz .LBB14_4203
; %bb.4198:
	s_mov_b32 vcc_lo, 0x3c7fffff
	v_cmp_lt_u32_e32 vcc, vcc_lo, v5
                                        ; implicit-def: $vgpr3
	s_and_saveexec_b64 s[74:75], vcc
	s_xor_b64 s[78:79], exec, s[74:75]
; %bb.4199:
	v_bfe_u32 v3, v18, 20, 1
	s_mov_b32 vcc_lo, 0x407ffff
	v_add3_u32 v3, v18, v3, vcc_lo
	v_lshrrev_b32_e32 v5, 20, v3
	v_and_b32_e32 v3, 0xff00000, v3
	s_mov_b32 vcc_lo, 0x7f00000
	v_mov_b32_e32 v7, 0x7e
	v_cmp_ne_u32_e32 vcc, vcc_lo, v3
	v_cndmask_b32_e32 v3, v7, v5, vcc
; %bb.4200:
	s_andn2_saveexec_b64 vcc, s[78:79]
; %bb.4201:
	s_mov_b32 s74, 0x46800000
	v_add_f32_e64 v3, |v18|, s74
; %bb.4202:
	s_or_b64 exec, exec, vcc
                                        ; implicit-def: $vgpr5
.LBB14_4203:
	s_andn2_saveexec_b64 s[80:81], s[84:85]
; %bb.4204:
	s_mov_b32 vcc_lo, 0x7f800000
	v_mov_b32_e32 v3, 0x7e
	v_mov_b32_e32 v7, 0x7f
	v_cmp_lt_u32_e32 vcc, vcc_lo, v5
	v_cndmask_b32_e32 v3, v3, v7, vcc
; %bb.4205:
	s_or_b64 exec, exec, s[80:81]
	v_lshrrev_b32_e32 v5, 24, v18
	s_movk_i32 vcc_lo, 0x80
	v_and_or_b32 v3, v5, vcc_lo, v3
	flat_store_byte v[20:21], v3
.LBB14_4206:
	s_or_b64 exec, exec, s[4:5]
                                        ; implicit-def: $vgpr18
                                        ; implicit-def: $vgpr20_vgpr21
.LBB14_4207:
	s_andn2_saveexec_b64 s[4:5], s[82:83]
	s_cbranch_execz .LBB14_4217
; %bb.4208:
	v_and_b32_e32 v5, 0x7fffffff, v18
	s_mov_b32 vcc_lo, 0x47800000
	v_cmp_gt_u32_e32 vcc, vcc_lo, v5
                                        ; implicit-def: $vgpr3
	s_and_saveexec_b64 s[74:75], vcc
	s_xor_b64 s[82:83], exec, s[74:75]
	s_cbranch_execz .LBB14_4214
; %bb.4209:
	s_mov_b32 vcc_lo, 0x387fffff
	v_cmp_lt_u32_e32 vcc, vcc_lo, v5
                                        ; implicit-def: $vgpr3
	s_and_saveexec_b64 s[74:75], vcc
	s_xor_b64 vcc, exec, s[74:75]
; %bb.4210:
	v_bfe_u32 v3, v18, 21, 1
	s_mov_b32 s74, 0x80fffff
	v_add3_u32 v3, v18, v3, s74
	v_lshrrev_b32_e32 v3, 21, v3
; %bb.4211:
	s_andn2_saveexec_b64 vcc, vcc
; %bb.4212:
	s_mov_b32 s74, 0x43000000
	v_add_f32_e64 v3, |v18|, s74
; %bb.4213:
	s_or_b64 exec, exec, vcc
                                        ; implicit-def: $vgpr5
.LBB14_4214:
	s_andn2_saveexec_b64 s[80:81], s[82:83]
; %bb.4215:
	s_mov_b32 vcc_lo, 0x7f800000
	v_mov_b32_e32 v3, 0x7c
	v_mov_b32_e32 v7, 0x7f
	v_cmp_lt_u32_e32 vcc, vcc_lo, v5
	v_cndmask_b32_e32 v3, v3, v7, vcc
; %bb.4216:
	s_or_b64 exec, exec, s[80:81]
	v_lshrrev_b32_e32 v5, 24, v18
	s_movk_i32 vcc_lo, 0x80
	v_and_or_b32 v3, v5, vcc_lo, v3
	flat_store_byte v[20:21], v3
.LBB14_4217:
	s_or_b64 exec, exec, s[4:5]
	s_or_b64 s[4:5], s[88:89], exec
                                        ; implicit-def: $vgpr20_vgpr21
                                        ; implicit-def: $vgpr18
.LBB14_4218:
	v_readlane_b32 vcc_lo, v43, 44
	v_readlane_b32 vcc_hi, v43, 45
	s_or_saveexec_b64 s[86:87], vcc
	s_mov_b64 s[78:79], s[92:93]
	s_xor_b64 exec, exec, s[86:87]
	s_cbranch_execz .LBB14_4228
; %bb.4219:
	v_mov_b32_e32 v3, 14
	v_cmp_gt_i16_sdwa s[74:75], v11, v3 src0_sel:BYTE_0 src1_sel:DWORD
	s_mov_b64 vcc, s[4:5]
	s_mov_b64 s[84:85], s[92:93]
	s_and_saveexec_b64 s[76:77], s[74:75]
	s_xor_b64 s[82:83], exec, s[76:77]
	s_cbranch_execz .LBB14_4223
; %bb.4220:
	v_mov_b32_e32 v3, 15
	v_cmp_eq_u16_sdwa s[74:75], v11, v3 src0_sel:BYTE_0 src1_sel:DWORD
	s_mov_b64 s[78:79], -1
	s_mov_b64 vcc, s[4:5]
	s_and_saveexec_b64 s[80:81], s[74:75]
	s_cbranch_execz .LBB14_4222
; %bb.4221:
	v_bfe_u32 v3, v18, 16, 1
	s_movk_i32 vcc_lo, 0x7fff
	v_add3_u32 v3, v18, v3, vcc_lo
	v_lshrrev_b32_e32 v3, 16, v3
	v_mov_b32_e32 v5, 0x7fc0
	v_cmp_o_f32_e32 vcc, v18, v18
	v_cndmask_b32_e32 v3, v5, v3, vcc
	flat_store_short v[20:21], v3
	s_xor_b64 s[78:79], exec, -1
	s_or_b64 vcc, s[4:5], exec
.LBB14_4222:
	s_or_b64 exec, exec, s[80:81]
	s_andn2_b64 s[74:75], s[92:93], exec
	s_and_b64 s[76:77], s[78:79], exec
	s_or_b64 s[84:85], s[74:75], s[76:77]
	s_andn2_b64 s[74:75], s[4:5], exec
	s_and_b64 vcc, vcc, exec
	s_or_b64 vcc, s[74:75], vcc
                                        ; implicit-def: $vgpr20_vgpr21
.LBB14_4223:
	s_andn2_saveexec_b64 s[82:83], s[82:83]
	s_cbranch_execz .LBB14_4227
; %bb.4224:
	v_mov_b32_e32 v3, 11
	v_cmp_eq_u16_sdwa s[74:75], v11, v3 src0_sel:BYTE_0 src1_sel:DWORD
	s_mov_b64 s[78:79], -1
	s_mov_b64 s[80:81], vcc
	s_and_saveexec_b64 s[76:77], s[74:75]
	s_cbranch_execz .LBB14_4226
; %bb.4225:
	v_mov_b32_e32 v3, 1
	flat_store_byte v[20:21], v3
	s_xor_b64 s[78:79], exec, -1
	s_or_b64 s[80:81], vcc, exec
.LBB14_4226:
	s_or_b64 exec, exec, s[76:77]
	s_andn2_b64 s[74:75], s[84:85], exec
	s_and_b64 s[76:77], s[78:79], exec
	s_or_b64 s[84:85], s[74:75], s[76:77]
	s_andn2_b64 vcc, vcc, exec
	s_and_b64 s[74:75], s[80:81], exec
	s_or_b64 vcc, vcc, s[74:75]
.LBB14_4227:
	s_or_b64 exec, exec, s[82:83]
	s_andn2_b64 s[74:75], s[92:93], exec
	s_and_b64 s[76:77], s[84:85], exec
	s_andn2_b64 s[4:5], s[4:5], exec
	s_and_b64 vcc, vcc, exec
	s_or_b64 s[78:79], s[74:75], s[76:77]
	s_or_b64 s[4:5], s[4:5], vcc
.LBB14_4228:
	s_or_b64 exec, exec, s[86:87]
	s_andn2_b64 vcc, s[92:93], exec
	s_and_b64 s[74:75], s[78:79], exec
	s_or_b64 s[92:93], vcc, s[74:75]
	s_andn2_b64 vcc, s[88:89], exec
	s_and_b64 s[4:5], s[4:5], exec
	s_or_b64 s[88:89], vcc, s[4:5]
.LBB14_4229:
	s_or_b64 exec, exec, s[90:91]
	v_readlane_b32 s4, v43, 30
	v_readlane_b32 s5, v43, 31
	s_andn2_b64 s[4:5], s[4:5], exec
	s_and_b64 vcc, s[92:93], exec
	s_or_b64 s[90:91], s[4:5], vcc
	s_and_b64 s[4:5], s[88:89], exec
                                        ; implicit-def: $vgpr18
                                        ; implicit-def: $vgpr20_vgpr21
.LBB14_4230:
	v_readlane_b32 vcc_lo, v43, 42
	v_readlane_b32 vcc_hi, v43, 43
	s_andn2_saveexec_b64 s[92:93], vcc
	s_cbranch_execz .LBB14_4272
; %bb.4231:
	v_mov_b32_e32 v3, 4
	v_cmp_gt_i16_sdwa vcc, v11, v3 src0_sel:BYTE_0 src1_sel:DWORD
	s_and_saveexec_b64 s[74:75], vcc
	s_xor_b64 vcc, exec, s[74:75]
	s_cbranch_execz .LBB14_4253
; %bb.4232:
	v_mov_b32_e32 v3, 7
	v_cmp_gt_i16_sdwa s[74:75], v11, v3 src0_sel:BYTE_0 src1_sel:DWORD
	s_and_saveexec_b64 s[76:77], s[74:75]
	s_xor_b64 s[84:85], exec, s[76:77]
	s_cbranch_execz .LBB14_4242
; %bb.4233:
	v_mov_b32_e32 v3, 8
	v_cmp_gt_i16_sdwa s[74:75], v11, v3 src0_sel:BYTE_0 src1_sel:DWORD
	s_and_saveexec_b64 s[76:77], s[74:75]
	s_xor_b64 s[86:87], exec, s[76:77]
	;; [unrolled: 6-line block ×3, first 2 shown]
	s_cbranch_execz .LBB14_4236
; %bb.4235:
	v_mov_b32_e32 v24, 0
	v_cvt_f64_f32_e32 v[22:23], v18
	v_mov_b32_e32 v25, v24
	flat_store_dwordx4 v[20:21], v[22:25]
                                        ; implicit-def: $vgpr18
                                        ; implicit-def: $vgpr20_vgpr21
.LBB14_4236:
	s_andn2_saveexec_b64 s[76:77], s[78:79]
	s_cbranch_execz .LBB14_4238
; %bb.4237:
	v_mov_b32_e32 v19, 0
	flat_store_dwordx2 v[20:21], v[18:19]
.LBB14_4238:
	s_or_b64 exec, exec, s[76:77]
                                        ; implicit-def: $vgpr18
                                        ; implicit-def: $vgpr20_vgpr21
.LBB14_4239:
	s_andn2_saveexec_b64 s[76:77], s[86:87]
	s_cbranch_execz .LBB14_4241
; %bb.4240:
	v_cvt_f16_f32_e32 v3, v18
	flat_store_dword v[20:21], v3
.LBB14_4241:
	s_or_b64 exec, exec, s[76:77]
                                        ; implicit-def: $vgpr18
                                        ; implicit-def: $vgpr20_vgpr21
.LBB14_4242:
	s_andn2_saveexec_b64 s[84:85], s[84:85]
	s_cbranch_execz .LBB14_4252
; %bb.4243:
	v_mov_b32_e32 v3, 5
	v_cmp_gt_i16_sdwa s[74:75], v11, v3 src0_sel:BYTE_0 src1_sel:DWORD
	s_and_saveexec_b64 s[76:77], s[74:75]
	s_xor_b64 s[80:81], exec, s[76:77]
	s_cbranch_execz .LBB14_4249
; %bb.4244:
	v_mov_b32_e32 v3, 6
	v_cmp_gt_i16_sdwa s[74:75], v11, v3 src0_sel:BYTE_0 src1_sel:DWORD
	s_and_saveexec_b64 s[76:77], s[74:75]
	s_xor_b64 s[76:77], exec, s[76:77]
	s_cbranch_execz .LBB14_4246
; %bb.4245:
	v_cvt_f64_f32_e32 v[18:19], v18
	flat_store_dwordx2 v[20:21], v[18:19]
                                        ; implicit-def: $vgpr20_vgpr21
                                        ; implicit-def: $vgpr18
.LBB14_4246:
	s_andn2_saveexec_b64 s[76:77], s[76:77]
	s_cbranch_execz .LBB14_4248
; %bb.4247:
	flat_store_dword v[20:21], v18
.LBB14_4248:
	s_or_b64 exec, exec, s[76:77]
                                        ; implicit-def: $vgpr18
                                        ; implicit-def: $vgpr20_vgpr21
.LBB14_4249:
	s_andn2_saveexec_b64 s[76:77], s[80:81]
	s_cbranch_execz .LBB14_4251
; %bb.4250:
	v_cvt_f16_f32_e32 v3, v18
	flat_store_short v[20:21], v3
.LBB14_4251:
	s_or_b64 exec, exec, s[76:77]
.LBB14_4252:
	s_or_b64 exec, exec, s[84:85]
                                        ; implicit-def: $vgpr18
                                        ; implicit-def: $vgpr20_vgpr21
.LBB14_4253:
	s_andn2_saveexec_b64 s[88:89], vcc
	s_cbranch_execz .LBB14_4271
; %bb.4254:
	v_mov_b32_e32 v3, 1
	v_cmp_gt_i16_sdwa vcc, v11, v3 src0_sel:BYTE_0 src1_sel:DWORD
	s_and_saveexec_b64 s[74:75], vcc
	s_xor_b64 s[84:85], exec, s[74:75]
	s_cbranch_execz .LBB14_4264
; %bb.4255:
	v_mov_b32_e32 v3, 2
	v_cmp_gt_i16_sdwa vcc, v11, v3 src0_sel:BYTE_0 src1_sel:DWORD
	s_and_saveexec_b64 s[74:75], vcc
	s_xor_b64 s[86:87], exec, s[74:75]
	;; [unrolled: 6-line block ×3, first 2 shown]
	s_cbranch_execz .LBB14_4258
; %bb.4257:
	v_trunc_f32_e32 v3, v18
	s_mov_b32 s74, 0x2f800000
	v_mul_f32_e64 v5, |v3|, s74
	v_floor_f32_e32 v5, v5
	s_mov_b32 s74, 0xcf800000
	v_cvt_u32_f32_e32 v7, v5
	v_fma_f32 v5, v5, s74, |v3|
	v_cvt_u32_f32_e32 v5, v5
	v_ashrrev_i32_e32 v3, 31, v3
	v_xor_b32_e32 v7, v7, v3
	v_xor_b32_e32 v5, v5, v3
	v_sub_co_u32_e32 v18, vcc, v5, v3
	v_subb_co_u32_e32 v19, vcc, v7, v3, vcc
	flat_store_dwordx2 v[20:21], v[18:19]
                                        ; implicit-def: $vgpr18
                                        ; implicit-def: $vgpr20_vgpr21
.LBB14_4258:
	s_andn2_saveexec_b64 vcc, s[80:81]
	s_cbranch_execz .LBB14_4260
; %bb.4259:
	v_cvt_i32_f32_e32 v3, v18
	flat_store_dword v[20:21], v3
.LBB14_4260:
	s_or_b64 exec, exec, vcc
                                        ; implicit-def: $vgpr18
                                        ; implicit-def: $vgpr20_vgpr21
.LBB14_4261:
	s_andn2_saveexec_b64 vcc, s[86:87]
	s_cbranch_execz .LBB14_4263
; %bb.4262:
	v_cvt_i32_f32_e32 v3, v18
	flat_store_short v[20:21], v3
.LBB14_4263:
	s_or_b64 exec, exec, vcc
                                        ; implicit-def: $vgpr18
                                        ; implicit-def: $vgpr20_vgpr21
.LBB14_4264:
	s_andn2_saveexec_b64 vcc, s[84:85]
	s_cbranch_execz .LBB14_4270
; %bb.4265:
	v_mov_b32_e32 v3, 0
	v_cmp_gt_i16_sdwa s[74:75], v11, v3 src0_sel:BYTE_0 src1_sel:DWORD
	s_and_saveexec_b64 s[76:77], s[74:75]
	s_xor_b64 s[76:77], exec, s[76:77]
	s_cbranch_execz .LBB14_4267
; %bb.4266:
	v_cvt_i32_f32_e32 v3, v18
                                        ; implicit-def: $vgpr18
	flat_store_byte v[20:21], v3
                                        ; implicit-def: $vgpr20_vgpr21
.LBB14_4267:
	s_andn2_saveexec_b64 s[80:81], s[76:77]
	s_cbranch_execz .LBB14_4269
; %bb.4268:
	v_trunc_f32_e32 v3, v18
	s_mov_b32 s74, 0x2f800000
	v_mul_f32_e64 v5, |v3|, s74
	v_floor_f32_e32 v5, v5
	s_mov_b32 s74, 0xcf800000
	v_fma_f32 v5, v5, s74, |v3|
	v_cvt_u32_f32_e32 v5, v5
	v_ashrrev_i32_e32 v3, 31, v3
	v_xor_b32_e32 v5, v5, v3
	v_sub_u32_e32 v3, v5, v3
	flat_store_byte v[20:21], v3
.LBB14_4269:
	s_or_b64 exec, exec, s[80:81]
.LBB14_4270:
	s_or_b64 exec, exec, vcc
.LBB14_4271:
	s_or_b64 exec, exec, s[88:89]
	s_or_b64 s[4:5], s[4:5], exec
.LBB14_4272:
	s_or_b64 exec, exec, s[92:93]
	s_mov_b64 vcc, 0
	s_and_saveexec_b64 s[76:77], s[4:5]
; %bb.4273:
	s_mov_b64 vcc, exec
	v_add_u32_e32 v13, 0x200, v13
; %bb.4274:
	s_or_b64 exec, exec, s[76:77]
	v_readlane_b32 s4, v43, 30
	v_readlane_b32 s5, v43, 31
	s_andn2_b64 s[4:5], s[4:5], exec
	s_and_b64 s[74:75], s[90:91], exec
	s_or_b64 s[4:5], s[4:5], s[74:75]
	v_writelane_b32 v43, s4, 38
	v_writelane_b32 v43, s5, 39
	s_orn2_b64 s[82:83], vcc, exec
.LBB14_4275:
	s_or_b64 exec, exec, s[96:97]
	s_mov_b64 s[4:5], 0
	s_mov_b64 vcc, 0
	s_mov_b64 s[80:81], 0
                                        ; implicit-def: $vgpr5
                                        ; implicit-def: $vgpr102_vgpr103
	s_mov_b64 s[74:75], exec
	v_writelane_b32 v43, s74, 40
	v_writelane_b32 v43, s75, 41
	s_and_b64 s[74:75], s[74:75], s[82:83]
	s_mov_b64 exec, s[74:75]
	s_cbranch_execz .LBB14_4757
; %bb.4276:
	v_readlane_b32 s4, v43, 38
	v_readlane_b32 s5, v43, 39
	v_cmp_lt_i32_e32 vcc, v13, v6
	s_mov_b64 s[82:83], -1
	v_writelane_b32 v43, s4, 46
	v_writelane_b32 v43, s5, 47
	s_and_saveexec_b64 s[96:97], vcc
	s_cbranch_execz .LBB14_4404
; %bb.4277:
	v_readlane_b32 s4, v44, 1
	v_add_u32_e32 v3, s4, v13
	v_mul_lo_u32 v3, v3, v12
	v_add_co_u32_e32 v18, vcc, v0, v3
	v_addc_co_u32_e32 v19, vcc, 0, v1, vcc
	v_mov_b32_e32 v3, 10
	v_readlane_b32 s90, v43, 38
	v_cmp_gt_i16_sdwa vcc, v11, v3 src0_sel:BYTE_0 src1_sel:DWORD
	s_mov_b64 s[4:5], 0
	v_readlane_b32 s91, v43, 39
	s_and_saveexec_b64 s[74:75], vcc
	s_xor_b64 s[74:75], exec, s[74:75]
	v_writelane_b32 v43, s74, 50
	v_writelane_b32 v43, s75, 51
	s_cbranch_execz .LBB14_4359
; %bb.4278:
	v_mov_b32_e32 v3, 25
	v_readlane_b32 s92, v43, 38
	v_cmp_gt_i16_sdwa s[4:5], v11, v3 src0_sel:BYTE_0 src1_sel:DWORD
	s_mov_b64 s[88:89], 0
	v_readlane_b32 s93, v43, 39
	s_and_saveexec_b64 vcc, s[4:5]
	s_xor_b64 s[90:91], exec, vcc
	s_cbranch_execz .LBB14_4314
; %bb.4279:
	v_mov_b32_e32 v3, 28
	v_readlane_b32 s92, v43, 38
	v_cmp_gt_i16_sdwa vcc, v11, v3 src0_sel:BYTE_0 src1_sel:DWORD
	s_mov_b64 s[4:5], 0
	v_readlane_b32 s93, v43, 39
	s_and_saveexec_b64 s[74:75], vcc
	s_xor_b64 s[88:89], exec, s[74:75]
	s_cbranch_execz .LBB14_4297
; %bb.4280:
	v_mov_b32_e32 v3, 43
	v_readlane_b32 vcc_lo, v43, 38
	v_cmp_gt_i16_sdwa s[74:75], v11, v3 src0_sel:BYTE_0 src1_sel:DWORD
	v_readlane_b32 vcc_hi, v43, 39
	s_and_saveexec_b64 s[76:77], s[74:75]
	s_xor_b64 s[76:77], exec, s[76:77]
	s_cbranch_execz .LBB14_4292
; %bb.4281:
	v_mov_b32_e32 v3, 45
	v_readlane_b32 s84, v43, 38
	v_cmp_gt_i16_sdwa s[4:5], v11, v3 src0_sel:BYTE_0 src1_sel:DWORD
	s_mov_b64 s[86:87], 0
	v_readlane_b32 s85, v43, 39
	s_and_saveexec_b64 vcc, s[4:5]
	s_xor_b64 s[4:5], exec, vcc
	s_cbranch_execz .LBB14_4285
; %bb.4282:
	v_mov_b32_e32 v3, 46
	v_cmp_eq_u16_sdwa s[74:75], v11, v3 src0_sel:BYTE_0 src1_sel:DWORD
	s_mov_b64 vcc, -1
	s_and_saveexec_b64 s[82:83], s[74:75]
	s_cbranch_execz .LBB14_4284
; %bb.4283:
	v_bfe_u32 v3, v16, 16, 1
	s_movk_i32 vcc_lo, 0x7fff
	v_add3_u32 v3, v16, v3, vcc_lo
	v_lshrrev_b32_e32 v3, 16, v3
	v_mov_b32_e32 v5, 0x7fc0
	v_cmp_o_f32_e32 vcc, v16, v16
	v_cndmask_b32_e32 v3, v5, v3, vcc
	s_mov_b64 s[80:81], exec
	flat_store_dword v[18:19], v3
	s_xor_b64 vcc, exec, -1
.LBB14_4284:
	s_or_b64 exec, exec, s[82:83]
	v_readlane_b32 s74, v43, 38
	v_readlane_b32 s75, v43, 39
	s_andn2_b64 s[74:75], s[74:75], exec
	s_and_b64 vcc, vcc, exec
	s_or_b64 s[84:85], s[74:75], vcc
	s_and_b64 s[86:87], s[80:81], exec
                                        ; implicit-def: $vgpr18_vgpr19
                                        ; implicit-def: $vgpr16
.LBB14_4285:
	s_andn2_saveexec_b64 s[92:93], s[4:5]
	s_cbranch_execz .LBB14_4291
; %bb.4286:
	v_mov_b32_e32 v3, 44
	v_cmp_eq_u16_sdwa s[74:75], v11, v3 src0_sel:BYTE_0 src1_sel:DWORD
	s_mov_b64 vcc, -1
	s_mov_b64 s[4:5], s[86:87]
	s_and_saveexec_b64 s[80:81], s[74:75]
	s_cbranch_execz .LBB14_4290
; %bb.4287:
	v_bfe_u32 v3, v16, 23, 8
	s_movk_i32 s4, 0xff
	v_cmp_ne_u32_e32 vcc, s4, v3
	v_mov_b32_e32 v5, 0xff
	s_and_saveexec_b64 s[82:83], vcc
; %bb.4288:
	s_mov_b32 s4, 0x3fffff
	v_and_b32_e32 v7, 0x400000, v16
	v_and_or_b32 v3, v16, s4, v3
	v_cmp_ne_u32_e32 vcc, 0, v7
	v_cmp_ne_u32_e64 s[4:5], 0, v3
	s_and_b64 s[4:5], vcc, s[4:5]
	v_lshrrev_b32_e32 v5, 23, v16
	v_cndmask_b32_e64 v3, 0, 1, s[4:5]
	v_add_u32_e32 v5, v5, v3
; %bb.4289:
	s_or_b64 exec, exec, s[82:83]
	s_xor_b64 vcc, exec, -1
	s_or_b64 s[4:5], s[86:87], exec
	flat_store_byte v[18:19], v5
.LBB14_4290:
	s_or_b64 exec, exec, s[80:81]
	s_andn2_b64 s[74:75], s[84:85], exec
	s_and_b64 vcc, vcc, exec
	s_or_b64 s[84:85], s[74:75], vcc
	s_andn2_b64 vcc, s[86:87], exec
	s_and_b64 s[4:5], s[4:5], exec
	s_or_b64 s[86:87], vcc, s[4:5]
.LBB14_4291:
	s_or_b64 exec, exec, s[92:93]
	v_readlane_b32 s4, v43, 38
	v_readlane_b32 s5, v43, 39
	s_andn2_b64 s[4:5], s[4:5], exec
	s_and_b64 vcc, s[84:85], exec
	s_or_b64 vcc, s[4:5], vcc
	s_and_b64 s[4:5], s[86:87], exec
                                        ; implicit-def: $vgpr16
                                        ; implicit-def: $vgpr18_vgpr19
.LBB14_4292:
	s_andn2_saveexec_b64 s[84:85], s[76:77]
	s_cbranch_execz .LBB14_4296
; %bb.4293:
	v_mov_b32_e32 v3, 29
	v_cmp_eq_u16_sdwa s[74:75], v11, v3 src0_sel:BYTE_0 src1_sel:DWORD
	s_mov_b64 s[86:87], -1
	s_mov_b64 s[82:83], s[4:5]
	s_and_saveexec_b64 s[80:81], s[74:75]
	s_cbranch_execz .LBB14_4295
; %bb.4294:
	v_trunc_f32_e32 v3, v16
	v_mul_f32_e32 v5, 0x2f800000, v3
	v_floor_f32_e32 v5, v5
	v_fmac_f32_e32 v3, 0xcf800000, v5
	v_cvt_u32_f32_e32 v17, v5
	v_cvt_u32_f32_e32 v16, v3
	s_xor_b64 s[86:87], exec, -1
	s_or_b64 s[82:83], s[4:5], exec
	flat_store_dwordx2 v[18:19], v[16:17]
.LBB14_4295:
	s_or_b64 exec, exec, s[80:81]
	s_andn2_b64 vcc, vcc, exec
	s_and_b64 s[74:75], s[86:87], exec
	s_or_b64 vcc, vcc, s[74:75]
	s_andn2_b64 s[4:5], s[4:5], exec
	s_and_b64 s[74:75], s[82:83], exec
	s_or_b64 s[4:5], s[4:5], s[74:75]
.LBB14_4296:
	s_or_b64 exec, exec, s[84:85]
	v_readlane_b32 s74, v43, 38
	v_readlane_b32 s75, v43, 39
	s_andn2_b64 s[74:75], s[74:75], exec
	s_and_b64 vcc, vcc, exec
	s_or_b64 s[92:93], s[74:75], vcc
	s_and_b64 s[4:5], s[4:5], exec
                                        ; implicit-def: $vgpr18_vgpr19
                                        ; implicit-def: $vgpr16
.LBB14_4297:
	s_andn2_saveexec_b64 s[88:89], s[88:89]
	s_cbranch_execz .LBB14_4313
; %bb.4298:
	v_mov_b32_e32 v3, 26
	v_cmp_gt_i16_sdwa vcc, v11, v3 src0_sel:BYTE_0 src1_sel:DWORD
	s_and_saveexec_b64 s[74:75], vcc
	s_xor_b64 vcc, exec, s[74:75]
	s_cbranch_execz .LBB14_4304
; %bb.4299:
	v_cvt_u32_f32_e32 v3, v16
	v_mov_b32_e32 v5, 27
	v_cmp_gt_i16_sdwa s[74:75], v11, v5 src0_sel:BYTE_0 src1_sel:DWORD
	s_and_saveexec_b64 s[76:77], s[74:75]
	s_xor_b64 s[76:77], exec, s[76:77]
	s_cbranch_execz .LBB14_4301
; %bb.4300:
	flat_store_dword v[18:19], v3
                                        ; implicit-def: $vgpr18_vgpr19
                                        ; implicit-def: $vgpr3
.LBB14_4301:
	s_andn2_saveexec_b64 s[76:77], s[76:77]
	s_cbranch_execz .LBB14_4303
; %bb.4302:
	flat_store_short v[18:19], v3
.LBB14_4303:
	s_or_b64 exec, exec, s[76:77]
                                        ; implicit-def: $vgpr18_vgpr19
                                        ; implicit-def: $vgpr16
.LBB14_4304:
	s_andn2_saveexec_b64 s[86:87], vcc
	s_cbranch_execz .LBB14_4312
; %bb.4305:
	v_and_b32_e32 v3, 0x7fffffff, v16
	s_mov_b32 vcc_lo, 0x43800000
	v_cmp_gt_u32_e32 vcc, vcc_lo, v3
	v_mov_b32_e32 v5, 0x80
	s_and_saveexec_b64 s[84:85], vcc
	s_cbranch_execz .LBB14_4311
; %bb.4306:
	s_mov_b32 vcc_lo, 0x3bffffff
	v_cmp_lt_u32_e32 vcc, vcc_lo, v3
	s_mov_b64 s[78:79], 0
                                        ; implicit-def: $vgpr3
	s_and_saveexec_b64 s[74:75], vcc
	s_xor_b64 vcc, exec, s[74:75]
	s_cbranch_execnz .LBB14_7989
; %bb.4307:
	s_or_saveexec_b64 s[80:81], vcc
                                        ; implicit-def: $sgpr76
	s_xor_b64 exec, exec, s[80:81]
	s_cbranch_execnz .LBB14_7990
.LBB14_4308:
	s_or_b64 exec, exec, s[80:81]
	v_mov_b32_e32 v5, s76
	s_and_saveexec_b64 vcc, s[78:79]
.LBB14_4309:
	v_lshrrev_b32_e32 v5, 24, v16
	s_movk_i32 s74, 0x80
	v_and_or_b32 v5, v5, s74, v3
.LBB14_4310:
	s_or_b64 exec, exec, vcc
.LBB14_4311:
	s_or_b64 exec, exec, s[84:85]
	flat_store_byte v[18:19], v5
.LBB14_4312:
	s_or_b64 exec, exec, s[86:87]
	s_or_b64 s[4:5], s[4:5], exec
.LBB14_4313:
	s_or_b64 exec, exec, s[88:89]
	v_readlane_b32 vcc_lo, v43, 38
	v_readlane_b32 vcc_hi, v43, 39
	s_andn2_b64 vcc, vcc, exec
	s_and_b64 s[74:75], s[92:93], exec
	s_or_b64 s[92:93], vcc, s[74:75]
	s_and_b64 s[88:89], s[4:5], exec
                                        ; implicit-def: $vgpr16
                                        ; implicit-def: $vgpr18_vgpr19
.LBB14_4314:
	s_andn2_saveexec_b64 s[90:91], s[90:91]
	s_cbranch_execz .LBB14_4358
; %bb.4315:
	v_mov_b32_e32 v3, 22
	v_cmp_gt_i16_sdwa vcc, v11, v3 src0_sel:BYTE_0 src1_sel:DWORD
	s_mov_b64 s[4:5], s[88:89]
	s_and_saveexec_b64 s[74:75], vcc
	s_xor_b64 s[74:75], exec, s[74:75]
	v_writelane_b32 v43, s74, 52
	v_writelane_b32 v43, s75, 53
	s_cbranch_execz .LBB14_4347
; %bb.4316:
	v_mov_b32_e32 v3, 23
	v_cmp_gt_i16_sdwa s[4:5], v11, v3 src0_sel:BYTE_0 src1_sel:DWORD
	s_and_saveexec_b64 vcc, s[4:5]
	s_xor_b64 s[82:83], exec, vcc
	s_cbranch_execz .LBB14_4336
; %bb.4317:
	v_mov_b32_e32 v3, 24
	v_cmp_gt_i16_sdwa s[4:5], v11, v3 src0_sel:BYTE_0 src1_sel:DWORD
	s_and_saveexec_b64 vcc, s[4:5]
	s_xor_b64 s[4:5], exec, vcc
	s_cbranch_execz .LBB14_4325
; %bb.4318:
	v_and_b32_e32 v3, 0x7fffffff, v16
	s_mov_b32 vcc_lo, 0x47800000
	v_cmp_gt_u32_e32 vcc, vcc_lo, v3
	v_mov_b32_e32 v5, 0x80
	s_and_saveexec_b64 s[84:85], vcc
	s_cbranch_execz .LBB14_4324
; %bb.4319:
	s_mov_b32 vcc_lo, 0x37ffffff
	v_cmp_lt_u32_e32 vcc, vcc_lo, v3
	s_mov_b64 s[86:87], 0
                                        ; implicit-def: $vgpr3
	s_and_saveexec_b64 s[74:75], vcc
	s_xor_b64 vcc, exec, s[74:75]
	s_cbranch_execnz .LBB14_7991
; %bb.4320:
	s_or_saveexec_b64 s[80:81], vcc
                                        ; implicit-def: $sgpr76
	s_xor_b64 exec, exec, s[80:81]
	s_cbranch_execnz .LBB14_7992
.LBB14_4321:
	s_or_b64 exec, exec, s[80:81]
	v_mov_b32_e32 v5, s76
	s_and_saveexec_b64 vcc, s[86:87]
.LBB14_4322:
	v_lshrrev_b32_e32 v5, 24, v16
	s_movk_i32 s74, 0x80
	v_and_or_b32 v5, v5, s74, v3
.LBB14_4323:
	s_or_b64 exec, exec, vcc
.LBB14_4324:
	s_or_b64 exec, exec, s[84:85]
	flat_store_byte v[18:19], v5
                                        ; implicit-def: $vgpr16
                                        ; implicit-def: $vgpr18_vgpr19
.LBB14_4325:
	s_andn2_saveexec_b64 s[4:5], s[4:5]
	s_cbranch_execz .LBB14_4335
; %bb.4326:
	v_and_b32_e32 v5, 0x7fffffff, v16
	s_mov_b32 vcc_lo, 0x43f00000
	v_cmp_gt_u32_e32 vcc, vcc_lo, v5
                                        ; implicit-def: $vgpr3
	s_and_saveexec_b64 s[74:75], vcc
	s_xor_b64 s[84:85], exec, s[74:75]
	s_cbranch_execz .LBB14_4332
; %bb.4327:
	s_mov_b32 vcc_lo, 0x3c7fffff
	v_cmp_lt_u32_e32 vcc, vcc_lo, v5
                                        ; implicit-def: $vgpr3
	s_and_saveexec_b64 s[74:75], vcc
	s_xor_b64 s[78:79], exec, s[74:75]
; %bb.4328:
	v_bfe_u32 v3, v16, 20, 1
	s_mov_b32 vcc_lo, 0x407ffff
	v_add3_u32 v3, v16, v3, vcc_lo
	v_lshrrev_b32_e32 v5, 20, v3
	v_and_b32_e32 v3, 0xff00000, v3
	s_mov_b32 vcc_lo, 0x7f00000
	v_mov_b32_e32 v7, 0x7e
	v_cmp_ne_u32_e32 vcc, vcc_lo, v3
	v_cndmask_b32_e32 v3, v7, v5, vcc
; %bb.4329:
	s_andn2_saveexec_b64 vcc, s[78:79]
; %bb.4330:
	s_mov_b32 s74, 0x46800000
	v_add_f32_e64 v3, |v16|, s74
; %bb.4331:
	s_or_b64 exec, exec, vcc
                                        ; implicit-def: $vgpr5
.LBB14_4332:
	s_andn2_saveexec_b64 s[80:81], s[84:85]
; %bb.4333:
	s_mov_b32 vcc_lo, 0x7f800000
	v_mov_b32_e32 v3, 0x7e
	v_mov_b32_e32 v7, 0x7f
	v_cmp_lt_u32_e32 vcc, vcc_lo, v5
	v_cndmask_b32_e32 v3, v3, v7, vcc
; %bb.4334:
	s_or_b64 exec, exec, s[80:81]
	v_lshrrev_b32_e32 v5, 24, v16
	s_movk_i32 vcc_lo, 0x80
	v_and_or_b32 v3, v5, vcc_lo, v3
	flat_store_byte v[18:19], v3
.LBB14_4335:
	s_or_b64 exec, exec, s[4:5]
                                        ; implicit-def: $vgpr16
                                        ; implicit-def: $vgpr18_vgpr19
.LBB14_4336:
	s_andn2_saveexec_b64 s[4:5], s[82:83]
	s_cbranch_execz .LBB14_4346
; %bb.4337:
	v_and_b32_e32 v5, 0x7fffffff, v16
	s_mov_b32 vcc_lo, 0x47800000
	v_cmp_gt_u32_e32 vcc, vcc_lo, v5
                                        ; implicit-def: $vgpr3
	s_and_saveexec_b64 s[74:75], vcc
	s_xor_b64 s[82:83], exec, s[74:75]
	s_cbranch_execz .LBB14_4343
; %bb.4338:
	s_mov_b32 vcc_lo, 0x387fffff
	v_cmp_lt_u32_e32 vcc, vcc_lo, v5
                                        ; implicit-def: $vgpr3
	s_and_saveexec_b64 s[74:75], vcc
	s_xor_b64 vcc, exec, s[74:75]
; %bb.4339:
	v_bfe_u32 v3, v16, 21, 1
	s_mov_b32 s74, 0x80fffff
	v_add3_u32 v3, v16, v3, s74
	v_lshrrev_b32_e32 v3, 21, v3
; %bb.4340:
	s_andn2_saveexec_b64 vcc, vcc
; %bb.4341:
	s_mov_b32 s74, 0x43000000
	v_add_f32_e64 v3, |v16|, s74
; %bb.4342:
	s_or_b64 exec, exec, vcc
                                        ; implicit-def: $vgpr5
.LBB14_4343:
	s_andn2_saveexec_b64 s[80:81], s[82:83]
; %bb.4344:
	s_mov_b32 vcc_lo, 0x7f800000
	v_mov_b32_e32 v3, 0x7c
	v_mov_b32_e32 v7, 0x7f
	v_cmp_lt_u32_e32 vcc, vcc_lo, v5
	v_cndmask_b32_e32 v3, v3, v7, vcc
; %bb.4345:
	s_or_b64 exec, exec, s[80:81]
	v_lshrrev_b32_e32 v5, 24, v16
	s_movk_i32 vcc_lo, 0x80
	v_and_or_b32 v3, v5, vcc_lo, v3
	flat_store_byte v[18:19], v3
.LBB14_4346:
	s_or_b64 exec, exec, s[4:5]
	s_or_b64 s[4:5], s[88:89], exec
                                        ; implicit-def: $vgpr18_vgpr19
                                        ; implicit-def: $vgpr16
.LBB14_4347:
	v_readlane_b32 vcc_lo, v43, 52
	v_readlane_b32 vcc_hi, v43, 53
	s_or_saveexec_b64 s[86:87], vcc
	s_mov_b64 s[78:79], s[92:93]
	s_xor_b64 exec, exec, s[86:87]
	s_cbranch_execz .LBB14_4357
; %bb.4348:
	v_mov_b32_e32 v3, 14
	v_cmp_gt_i16_sdwa s[74:75], v11, v3 src0_sel:BYTE_0 src1_sel:DWORD
	s_mov_b64 vcc, s[4:5]
	s_mov_b64 s[84:85], s[92:93]
	s_and_saveexec_b64 s[76:77], s[74:75]
	s_xor_b64 s[82:83], exec, s[76:77]
	s_cbranch_execz .LBB14_4352
; %bb.4349:
	v_mov_b32_e32 v3, 15
	v_cmp_eq_u16_sdwa s[74:75], v11, v3 src0_sel:BYTE_0 src1_sel:DWORD
	s_mov_b64 s[78:79], -1
	s_mov_b64 vcc, s[4:5]
	s_and_saveexec_b64 s[80:81], s[74:75]
	s_cbranch_execz .LBB14_4351
; %bb.4350:
	v_bfe_u32 v3, v16, 16, 1
	s_movk_i32 vcc_lo, 0x7fff
	v_add3_u32 v3, v16, v3, vcc_lo
	v_lshrrev_b32_e32 v3, 16, v3
	v_mov_b32_e32 v5, 0x7fc0
	v_cmp_o_f32_e32 vcc, v16, v16
	v_cndmask_b32_e32 v3, v5, v3, vcc
	flat_store_short v[18:19], v3
	s_xor_b64 s[78:79], exec, -1
	s_or_b64 vcc, s[4:5], exec
.LBB14_4351:
	s_or_b64 exec, exec, s[80:81]
	s_andn2_b64 s[74:75], s[92:93], exec
	s_and_b64 s[76:77], s[78:79], exec
	s_or_b64 s[84:85], s[74:75], s[76:77]
	s_andn2_b64 s[74:75], s[4:5], exec
	s_and_b64 vcc, vcc, exec
	s_or_b64 vcc, s[74:75], vcc
                                        ; implicit-def: $vgpr18_vgpr19
.LBB14_4352:
	s_andn2_saveexec_b64 s[82:83], s[82:83]
	s_cbranch_execz .LBB14_4356
; %bb.4353:
	v_mov_b32_e32 v3, 11
	v_cmp_eq_u16_sdwa s[74:75], v11, v3 src0_sel:BYTE_0 src1_sel:DWORD
	s_mov_b64 s[78:79], -1
	s_mov_b64 s[80:81], vcc
	s_and_saveexec_b64 s[76:77], s[74:75]
	s_cbranch_execz .LBB14_4355
; %bb.4354:
	v_mov_b32_e32 v3, 1
	flat_store_byte v[18:19], v3
	s_xor_b64 s[78:79], exec, -1
	s_or_b64 s[80:81], vcc, exec
.LBB14_4355:
	s_or_b64 exec, exec, s[76:77]
	s_andn2_b64 s[74:75], s[84:85], exec
	s_and_b64 s[76:77], s[78:79], exec
	s_or_b64 s[84:85], s[74:75], s[76:77]
	s_andn2_b64 vcc, vcc, exec
	s_and_b64 s[74:75], s[80:81], exec
	s_or_b64 vcc, vcc, s[74:75]
.LBB14_4356:
	s_or_b64 exec, exec, s[82:83]
	s_andn2_b64 s[74:75], s[92:93], exec
	s_and_b64 s[76:77], s[84:85], exec
	s_andn2_b64 s[4:5], s[4:5], exec
	s_and_b64 vcc, vcc, exec
	s_or_b64 s[78:79], s[74:75], s[76:77]
	s_or_b64 s[4:5], s[4:5], vcc
.LBB14_4357:
	s_or_b64 exec, exec, s[86:87]
	s_andn2_b64 vcc, s[92:93], exec
	s_and_b64 s[74:75], s[78:79], exec
	s_or_b64 s[92:93], vcc, s[74:75]
	s_andn2_b64 vcc, s[88:89], exec
	s_and_b64 s[4:5], s[4:5], exec
	s_or_b64 s[88:89], vcc, s[4:5]
.LBB14_4358:
	s_or_b64 exec, exec, s[90:91]
	v_readlane_b32 s4, v43, 38
	v_readlane_b32 s5, v43, 39
	s_andn2_b64 s[4:5], s[4:5], exec
	s_and_b64 vcc, s[92:93], exec
	s_or_b64 s[90:91], s[4:5], vcc
	s_and_b64 s[4:5], s[88:89], exec
                                        ; implicit-def: $vgpr16
                                        ; implicit-def: $vgpr18_vgpr19
.LBB14_4359:
	v_readlane_b32 vcc_lo, v43, 50
	v_readlane_b32 vcc_hi, v43, 51
	s_andn2_saveexec_b64 s[92:93], vcc
	s_cbranch_execz .LBB14_4401
; %bb.4360:
	v_mov_b32_e32 v3, 4
	v_cmp_gt_i16_sdwa vcc, v11, v3 src0_sel:BYTE_0 src1_sel:DWORD
	s_and_saveexec_b64 s[74:75], vcc
	s_xor_b64 vcc, exec, s[74:75]
	s_cbranch_execz .LBB14_4382
; %bb.4361:
	v_mov_b32_e32 v3, 7
	v_cmp_gt_i16_sdwa s[74:75], v11, v3 src0_sel:BYTE_0 src1_sel:DWORD
	s_and_saveexec_b64 s[76:77], s[74:75]
	s_xor_b64 s[84:85], exec, s[76:77]
	s_cbranch_execz .LBB14_4371
; %bb.4362:
	v_mov_b32_e32 v3, 8
	v_cmp_gt_i16_sdwa s[74:75], v11, v3 src0_sel:BYTE_0 src1_sel:DWORD
	s_and_saveexec_b64 s[76:77], s[74:75]
	s_xor_b64 s[86:87], exec, s[76:77]
	;; [unrolled: 6-line block ×3, first 2 shown]
	s_cbranch_execz .LBB14_4365
; %bb.4364:
	v_mov_b32_e32 v22, 0
	v_cvt_f64_f32_e32 v[20:21], v16
	v_mov_b32_e32 v23, v22
	flat_store_dwordx4 v[18:19], v[20:23]
                                        ; implicit-def: $vgpr16
                                        ; implicit-def: $vgpr18_vgpr19
.LBB14_4365:
	s_andn2_saveexec_b64 s[76:77], s[78:79]
	s_cbranch_execz .LBB14_4367
; %bb.4366:
	v_mov_b32_e32 v17, 0
	flat_store_dwordx2 v[18:19], v[16:17]
.LBB14_4367:
	s_or_b64 exec, exec, s[76:77]
                                        ; implicit-def: $vgpr16
                                        ; implicit-def: $vgpr18_vgpr19
.LBB14_4368:
	s_andn2_saveexec_b64 s[76:77], s[86:87]
	s_cbranch_execz .LBB14_4370
; %bb.4369:
	v_cvt_f16_f32_e32 v3, v16
	flat_store_dword v[18:19], v3
.LBB14_4370:
	s_or_b64 exec, exec, s[76:77]
                                        ; implicit-def: $vgpr16
                                        ; implicit-def: $vgpr18_vgpr19
.LBB14_4371:
	s_andn2_saveexec_b64 s[84:85], s[84:85]
	s_cbranch_execz .LBB14_4381
; %bb.4372:
	v_mov_b32_e32 v3, 5
	v_cmp_gt_i16_sdwa s[74:75], v11, v3 src0_sel:BYTE_0 src1_sel:DWORD
	s_and_saveexec_b64 s[76:77], s[74:75]
	s_xor_b64 s[80:81], exec, s[76:77]
	s_cbranch_execz .LBB14_4378
; %bb.4373:
	v_mov_b32_e32 v3, 6
	v_cmp_gt_i16_sdwa s[74:75], v11, v3 src0_sel:BYTE_0 src1_sel:DWORD
	s_and_saveexec_b64 s[76:77], s[74:75]
	s_xor_b64 s[76:77], exec, s[76:77]
	s_cbranch_execz .LBB14_4375
; %bb.4374:
	v_cvt_f64_f32_e32 v[16:17], v16
	flat_store_dwordx2 v[18:19], v[16:17]
                                        ; implicit-def: $vgpr18_vgpr19
                                        ; implicit-def: $vgpr16
.LBB14_4375:
	s_andn2_saveexec_b64 s[76:77], s[76:77]
	s_cbranch_execz .LBB14_4377
; %bb.4376:
	flat_store_dword v[18:19], v16
.LBB14_4377:
	s_or_b64 exec, exec, s[76:77]
                                        ; implicit-def: $vgpr16
                                        ; implicit-def: $vgpr18_vgpr19
.LBB14_4378:
	s_andn2_saveexec_b64 s[76:77], s[80:81]
	s_cbranch_execz .LBB14_4380
; %bb.4379:
	v_cvt_f16_f32_e32 v3, v16
	flat_store_short v[18:19], v3
.LBB14_4380:
	s_or_b64 exec, exec, s[76:77]
.LBB14_4381:
	s_or_b64 exec, exec, s[84:85]
                                        ; implicit-def: $vgpr16
                                        ; implicit-def: $vgpr18_vgpr19
.LBB14_4382:
	s_andn2_saveexec_b64 s[88:89], vcc
	s_cbranch_execz .LBB14_4400
; %bb.4383:
	v_mov_b32_e32 v3, 1
	v_cmp_gt_i16_sdwa vcc, v11, v3 src0_sel:BYTE_0 src1_sel:DWORD
	s_and_saveexec_b64 s[74:75], vcc
	s_xor_b64 s[84:85], exec, s[74:75]
	s_cbranch_execz .LBB14_4393
; %bb.4384:
	v_mov_b32_e32 v3, 2
	v_cmp_gt_i16_sdwa vcc, v11, v3 src0_sel:BYTE_0 src1_sel:DWORD
	s_and_saveexec_b64 s[74:75], vcc
	s_xor_b64 s[86:87], exec, s[74:75]
	;; [unrolled: 6-line block ×3, first 2 shown]
	s_cbranch_execz .LBB14_4387
; %bb.4386:
	v_trunc_f32_e32 v3, v16
	s_mov_b32 s74, 0x2f800000
	v_mul_f32_e64 v5, |v3|, s74
	v_floor_f32_e32 v5, v5
	s_mov_b32 s74, 0xcf800000
	v_cvt_u32_f32_e32 v7, v5
	v_fma_f32 v5, v5, s74, |v3|
	v_cvt_u32_f32_e32 v5, v5
	v_ashrrev_i32_e32 v3, 31, v3
	v_xor_b32_e32 v7, v7, v3
	v_xor_b32_e32 v5, v5, v3
	v_sub_co_u32_e32 v16, vcc, v5, v3
	v_subb_co_u32_e32 v17, vcc, v7, v3, vcc
	flat_store_dwordx2 v[18:19], v[16:17]
                                        ; implicit-def: $vgpr16
                                        ; implicit-def: $vgpr18_vgpr19
.LBB14_4387:
	s_andn2_saveexec_b64 vcc, s[80:81]
	s_cbranch_execz .LBB14_4389
; %bb.4388:
	v_cvt_i32_f32_e32 v3, v16
	flat_store_dword v[18:19], v3
.LBB14_4389:
	s_or_b64 exec, exec, vcc
                                        ; implicit-def: $vgpr16
                                        ; implicit-def: $vgpr18_vgpr19
.LBB14_4390:
	s_andn2_saveexec_b64 vcc, s[86:87]
	s_cbranch_execz .LBB14_4392
; %bb.4391:
	v_cvt_i32_f32_e32 v3, v16
	flat_store_short v[18:19], v3
.LBB14_4392:
	s_or_b64 exec, exec, vcc
                                        ; implicit-def: $vgpr16
                                        ; implicit-def: $vgpr18_vgpr19
.LBB14_4393:
	s_andn2_saveexec_b64 vcc, s[84:85]
	s_cbranch_execz .LBB14_4399
; %bb.4394:
	v_mov_b32_e32 v3, 0
	v_cmp_gt_i16_sdwa s[74:75], v11, v3 src0_sel:BYTE_0 src1_sel:DWORD
	s_and_saveexec_b64 s[76:77], s[74:75]
	s_xor_b64 s[76:77], exec, s[76:77]
	s_cbranch_execz .LBB14_4396
; %bb.4395:
	v_cvt_i32_f32_e32 v3, v16
                                        ; implicit-def: $vgpr16
	flat_store_byte v[18:19], v3
                                        ; implicit-def: $vgpr18_vgpr19
.LBB14_4396:
	s_andn2_saveexec_b64 s[80:81], s[76:77]
	s_cbranch_execz .LBB14_4398
; %bb.4397:
	v_trunc_f32_e32 v3, v16
	s_mov_b32 s74, 0x2f800000
	v_mul_f32_e64 v5, |v3|, s74
	v_floor_f32_e32 v5, v5
	s_mov_b32 s74, 0xcf800000
	v_fma_f32 v5, v5, s74, |v3|
	v_cvt_u32_f32_e32 v5, v5
	v_ashrrev_i32_e32 v3, 31, v3
	v_xor_b32_e32 v5, v5, v3
	v_sub_u32_e32 v3, v5, v3
	flat_store_byte v[18:19], v3
.LBB14_4398:
	s_or_b64 exec, exec, s[80:81]
.LBB14_4399:
	s_or_b64 exec, exec, vcc
.LBB14_4400:
	s_or_b64 exec, exec, s[88:89]
	s_or_b64 s[4:5], s[4:5], exec
.LBB14_4401:
	s_or_b64 exec, exec, s[92:93]
	s_mov_b64 vcc, 0
	s_and_saveexec_b64 s[76:77], s[4:5]
; %bb.4402:
	s_mov_b64 vcc, exec
	v_add_u32_e32 v13, 0x200, v13
; %bb.4403:
	s_or_b64 exec, exec, s[76:77]
	v_readlane_b32 s4, v43, 38
	v_readlane_b32 s5, v43, 39
	s_andn2_b64 s[4:5], s[4:5], exec
	s_and_b64 s[74:75], s[90:91], exec
	s_or_b64 s[4:5], s[4:5], s[74:75]
	v_writelane_b32 v43, s4, 46
	v_writelane_b32 v43, s5, 47
	s_orn2_b64 s[82:83], vcc, exec
.LBB14_4404:
	s_or_b64 exec, exec, s[96:97]
	s_mov_b64 s[4:5], 0
	s_mov_b64 vcc, 0
	s_mov_b64 s[80:81], 0
                                        ; implicit-def: $vgpr5
                                        ; implicit-def: $vgpr102_vgpr103
	s_mov_b64 s[74:75], exec
	v_writelane_b32 v43, s74, 48
	v_writelane_b32 v43, s75, 49
	s_and_b64 s[74:75], s[74:75], s[82:83]
	s_mov_b64 exec, s[74:75]
	s_cbranch_execz .LBB14_4756
; %bb.4405:
	v_readlane_b32 s4, v43, 46
	v_readlane_b32 s5, v43, 47
	v_cmp_lt_i32_e32 vcc, v13, v6
	s_mov_b64 s[82:83], -1
	v_writelane_b32 v43, s4, 54
	v_writelane_b32 v43, s5, 55
	s_and_saveexec_b64 s[96:97], vcc
	s_cbranch_execz .LBB14_4533
; %bb.4406:
	v_readlane_b32 s4, v44, 1
	v_add_u32_e32 v3, s4, v13
	v_mul_lo_u32 v3, v3, v12
	v_add_co_u32_e32 v16, vcc, v0, v3
	v_addc_co_u32_e32 v17, vcc, 0, v1, vcc
	v_mov_b32_e32 v3, 10
	v_readlane_b32 s90, v43, 46
	v_cmp_gt_i16_sdwa vcc, v11, v3 src0_sel:BYTE_0 src1_sel:DWORD
	s_mov_b64 s[4:5], 0
	v_readlane_b32 s91, v43, 47
	s_and_saveexec_b64 s[74:75], vcc
	s_xor_b64 s[74:75], exec, s[74:75]
	v_writelane_b32 v43, s74, 58
	v_writelane_b32 v43, s75, 59
	s_cbranch_execz .LBB14_4488
; %bb.4407:
	v_mov_b32_e32 v3, 25
	v_readlane_b32 s92, v43, 46
	v_cmp_gt_i16_sdwa s[4:5], v11, v3 src0_sel:BYTE_0 src1_sel:DWORD
	s_mov_b64 s[88:89], 0
	v_readlane_b32 s93, v43, 47
	s_and_saveexec_b64 vcc, s[4:5]
	s_xor_b64 s[90:91], exec, vcc
	s_cbranch_execz .LBB14_4443
; %bb.4408:
	v_mov_b32_e32 v3, 28
	v_readlane_b32 s92, v43, 46
	v_cmp_gt_i16_sdwa vcc, v11, v3 src0_sel:BYTE_0 src1_sel:DWORD
	s_mov_b64 s[4:5], 0
	v_readlane_b32 s93, v43, 47
	s_and_saveexec_b64 s[74:75], vcc
	s_xor_b64 s[88:89], exec, s[74:75]
	s_cbranch_execz .LBB14_4426
; %bb.4409:
	v_mov_b32_e32 v3, 43
	v_readlane_b32 vcc_lo, v43, 46
	v_cmp_gt_i16_sdwa s[74:75], v11, v3 src0_sel:BYTE_0 src1_sel:DWORD
	v_readlane_b32 vcc_hi, v43, 47
	s_and_saveexec_b64 s[76:77], s[74:75]
	s_xor_b64 s[76:77], exec, s[76:77]
	s_cbranch_execz .LBB14_4421
; %bb.4410:
	v_mov_b32_e32 v3, 45
	v_readlane_b32 s84, v43, 46
	v_cmp_gt_i16_sdwa s[4:5], v11, v3 src0_sel:BYTE_0 src1_sel:DWORD
	s_mov_b64 s[86:87], 0
	v_readlane_b32 s85, v43, 47
	s_and_saveexec_b64 vcc, s[4:5]
	s_xor_b64 s[4:5], exec, vcc
	s_cbranch_execz .LBB14_4414
; %bb.4411:
	v_mov_b32_e32 v3, 46
	v_cmp_eq_u16_sdwa s[74:75], v11, v3 src0_sel:BYTE_0 src1_sel:DWORD
	s_mov_b64 vcc, -1
	s_and_saveexec_b64 s[82:83], s[74:75]
	s_cbranch_execz .LBB14_4413
; %bb.4412:
	v_bfe_u32 v3, v14, 16, 1
	s_movk_i32 vcc_lo, 0x7fff
	v_add3_u32 v3, v14, v3, vcc_lo
	v_lshrrev_b32_e32 v3, 16, v3
	v_mov_b32_e32 v5, 0x7fc0
	v_cmp_o_f32_e32 vcc, v14, v14
	v_cndmask_b32_e32 v3, v5, v3, vcc
	s_mov_b64 s[80:81], exec
	flat_store_dword v[16:17], v3
	s_xor_b64 vcc, exec, -1
.LBB14_4413:
	s_or_b64 exec, exec, s[82:83]
	v_readlane_b32 s74, v43, 46
	v_readlane_b32 s75, v43, 47
	s_andn2_b64 s[74:75], s[74:75], exec
	s_and_b64 vcc, vcc, exec
	s_or_b64 s[84:85], s[74:75], vcc
	s_and_b64 s[86:87], s[80:81], exec
                                        ; implicit-def: $vgpr16_vgpr17
                                        ; implicit-def: $vgpr14
.LBB14_4414:
	s_andn2_saveexec_b64 s[92:93], s[4:5]
	s_cbranch_execz .LBB14_4420
; %bb.4415:
	v_mov_b32_e32 v3, 44
	v_cmp_eq_u16_sdwa s[74:75], v11, v3 src0_sel:BYTE_0 src1_sel:DWORD
	s_mov_b64 vcc, -1
	s_mov_b64 s[4:5], s[86:87]
	s_and_saveexec_b64 s[80:81], s[74:75]
	s_cbranch_execz .LBB14_4419
; %bb.4416:
	v_bfe_u32 v3, v14, 23, 8
	s_movk_i32 s4, 0xff
	v_cmp_ne_u32_e32 vcc, s4, v3
	v_mov_b32_e32 v5, 0xff
	s_and_saveexec_b64 s[82:83], vcc
; %bb.4417:
	s_mov_b32 s4, 0x3fffff
	v_and_b32_e32 v7, 0x400000, v14
	v_and_or_b32 v3, v14, s4, v3
	v_cmp_ne_u32_e32 vcc, 0, v7
	v_cmp_ne_u32_e64 s[4:5], 0, v3
	s_and_b64 s[4:5], vcc, s[4:5]
	v_lshrrev_b32_e32 v5, 23, v14
	v_cndmask_b32_e64 v3, 0, 1, s[4:5]
	v_add_u32_e32 v5, v5, v3
; %bb.4418:
	s_or_b64 exec, exec, s[82:83]
	s_xor_b64 vcc, exec, -1
	s_or_b64 s[4:5], s[86:87], exec
	flat_store_byte v[16:17], v5
.LBB14_4419:
	s_or_b64 exec, exec, s[80:81]
	s_andn2_b64 s[74:75], s[84:85], exec
	s_and_b64 vcc, vcc, exec
	s_or_b64 s[84:85], s[74:75], vcc
	s_andn2_b64 vcc, s[86:87], exec
	s_and_b64 s[4:5], s[4:5], exec
	s_or_b64 s[86:87], vcc, s[4:5]
.LBB14_4420:
	s_or_b64 exec, exec, s[92:93]
	v_readlane_b32 s4, v43, 46
	v_readlane_b32 s5, v43, 47
	s_andn2_b64 s[4:5], s[4:5], exec
	s_and_b64 vcc, s[84:85], exec
	s_or_b64 vcc, s[4:5], vcc
	s_and_b64 s[4:5], s[86:87], exec
                                        ; implicit-def: $vgpr14
                                        ; implicit-def: $vgpr16_vgpr17
.LBB14_4421:
	s_andn2_saveexec_b64 s[84:85], s[76:77]
	s_cbranch_execz .LBB14_4425
; %bb.4422:
	v_mov_b32_e32 v3, 29
	v_cmp_eq_u16_sdwa s[74:75], v11, v3 src0_sel:BYTE_0 src1_sel:DWORD
	s_mov_b64 s[86:87], -1
	s_mov_b64 s[82:83], s[4:5]
	s_and_saveexec_b64 s[80:81], s[74:75]
	s_cbranch_execz .LBB14_4424
; %bb.4423:
	v_trunc_f32_e32 v3, v14
	v_mul_f32_e32 v5, 0x2f800000, v3
	v_floor_f32_e32 v5, v5
	v_fmac_f32_e32 v3, 0xcf800000, v5
	v_cvt_u32_f32_e32 v15, v5
	v_cvt_u32_f32_e32 v14, v3
	s_xor_b64 s[86:87], exec, -1
	s_or_b64 s[82:83], s[4:5], exec
	flat_store_dwordx2 v[16:17], v[14:15]
.LBB14_4424:
	s_or_b64 exec, exec, s[80:81]
	s_andn2_b64 vcc, vcc, exec
	s_and_b64 s[74:75], s[86:87], exec
	s_or_b64 vcc, vcc, s[74:75]
	s_andn2_b64 s[4:5], s[4:5], exec
	s_and_b64 s[74:75], s[82:83], exec
	s_or_b64 s[4:5], s[4:5], s[74:75]
.LBB14_4425:
	s_or_b64 exec, exec, s[84:85]
	v_readlane_b32 s74, v43, 46
	v_readlane_b32 s75, v43, 47
	s_andn2_b64 s[74:75], s[74:75], exec
	s_and_b64 vcc, vcc, exec
	s_or_b64 s[92:93], s[74:75], vcc
	s_and_b64 s[4:5], s[4:5], exec
                                        ; implicit-def: $vgpr16_vgpr17
                                        ; implicit-def: $vgpr14
.LBB14_4426:
	s_andn2_saveexec_b64 s[88:89], s[88:89]
	s_cbranch_execz .LBB14_4442
; %bb.4427:
	v_mov_b32_e32 v3, 26
	v_cmp_gt_i16_sdwa vcc, v11, v3 src0_sel:BYTE_0 src1_sel:DWORD
	s_and_saveexec_b64 s[74:75], vcc
	s_xor_b64 vcc, exec, s[74:75]
	s_cbranch_execz .LBB14_4433
; %bb.4428:
	v_cvt_u32_f32_e32 v3, v14
	v_mov_b32_e32 v5, 27
	v_cmp_gt_i16_sdwa s[74:75], v11, v5 src0_sel:BYTE_0 src1_sel:DWORD
	s_and_saveexec_b64 s[76:77], s[74:75]
	s_xor_b64 s[76:77], exec, s[76:77]
	s_cbranch_execz .LBB14_4430
; %bb.4429:
	flat_store_dword v[16:17], v3
                                        ; implicit-def: $vgpr16_vgpr17
                                        ; implicit-def: $vgpr3
.LBB14_4430:
	s_andn2_saveexec_b64 s[76:77], s[76:77]
	s_cbranch_execz .LBB14_4432
; %bb.4431:
	flat_store_short v[16:17], v3
.LBB14_4432:
	s_or_b64 exec, exec, s[76:77]
                                        ; implicit-def: $vgpr16_vgpr17
                                        ; implicit-def: $vgpr14
.LBB14_4433:
	s_andn2_saveexec_b64 s[86:87], vcc
	s_cbranch_execz .LBB14_4441
; %bb.4434:
	v_and_b32_e32 v3, 0x7fffffff, v14
	s_mov_b32 vcc_lo, 0x43800000
	v_cmp_gt_u32_e32 vcc, vcc_lo, v3
	v_mov_b32_e32 v5, 0x80
	s_and_saveexec_b64 s[84:85], vcc
	s_cbranch_execz .LBB14_4440
; %bb.4435:
	s_mov_b32 vcc_lo, 0x3bffffff
	v_cmp_lt_u32_e32 vcc, vcc_lo, v3
	s_mov_b64 s[78:79], 0
                                        ; implicit-def: $vgpr3
	s_and_saveexec_b64 s[74:75], vcc
	s_xor_b64 vcc, exec, s[74:75]
	s_cbranch_execnz .LBB14_7993
; %bb.4436:
	s_or_saveexec_b64 s[80:81], vcc
                                        ; implicit-def: $sgpr76
	s_xor_b64 exec, exec, s[80:81]
	s_cbranch_execnz .LBB14_7994
.LBB14_4437:
	s_or_b64 exec, exec, s[80:81]
	v_mov_b32_e32 v5, s76
	s_and_saveexec_b64 vcc, s[78:79]
.LBB14_4438:
	v_lshrrev_b32_e32 v5, 24, v14
	s_movk_i32 s74, 0x80
	v_and_or_b32 v5, v5, s74, v3
.LBB14_4439:
	s_or_b64 exec, exec, vcc
.LBB14_4440:
	s_or_b64 exec, exec, s[84:85]
	flat_store_byte v[16:17], v5
.LBB14_4441:
	s_or_b64 exec, exec, s[86:87]
	s_or_b64 s[4:5], s[4:5], exec
.LBB14_4442:
	s_or_b64 exec, exec, s[88:89]
	v_readlane_b32 vcc_lo, v43, 46
	v_readlane_b32 vcc_hi, v43, 47
	s_andn2_b64 vcc, vcc, exec
	s_and_b64 s[74:75], s[92:93], exec
	s_or_b64 s[92:93], vcc, s[74:75]
	s_and_b64 s[88:89], s[4:5], exec
                                        ; implicit-def: $vgpr14
                                        ; implicit-def: $vgpr16_vgpr17
.LBB14_4443:
	s_andn2_saveexec_b64 s[90:91], s[90:91]
	s_cbranch_execz .LBB14_4487
; %bb.4444:
	v_mov_b32_e32 v3, 22
	v_cmp_gt_i16_sdwa vcc, v11, v3 src0_sel:BYTE_0 src1_sel:DWORD
	s_mov_b64 s[4:5], s[88:89]
	s_and_saveexec_b64 s[74:75], vcc
	s_xor_b64 s[74:75], exec, s[74:75]
	v_writelane_b32 v43, s74, 60
	v_writelane_b32 v43, s75, 61
	s_cbranch_execz .LBB14_4476
; %bb.4445:
	v_mov_b32_e32 v3, 23
	v_cmp_gt_i16_sdwa s[4:5], v11, v3 src0_sel:BYTE_0 src1_sel:DWORD
	s_and_saveexec_b64 vcc, s[4:5]
	s_xor_b64 s[82:83], exec, vcc
	s_cbranch_execz .LBB14_4465
; %bb.4446:
	v_mov_b32_e32 v3, 24
	v_cmp_gt_i16_sdwa s[4:5], v11, v3 src0_sel:BYTE_0 src1_sel:DWORD
	s_and_saveexec_b64 vcc, s[4:5]
	s_xor_b64 s[4:5], exec, vcc
	s_cbranch_execz .LBB14_4454
; %bb.4447:
	v_and_b32_e32 v3, 0x7fffffff, v14
	s_mov_b32 vcc_lo, 0x47800000
	v_cmp_gt_u32_e32 vcc, vcc_lo, v3
	v_mov_b32_e32 v5, 0x80
	s_and_saveexec_b64 s[84:85], vcc
	s_cbranch_execz .LBB14_4453
; %bb.4448:
	s_mov_b32 vcc_lo, 0x37ffffff
	v_cmp_lt_u32_e32 vcc, vcc_lo, v3
	s_mov_b64 s[86:87], 0
                                        ; implicit-def: $vgpr3
	s_and_saveexec_b64 s[74:75], vcc
	s_xor_b64 vcc, exec, s[74:75]
	s_cbranch_execnz .LBB14_7995
; %bb.4449:
	s_or_saveexec_b64 s[80:81], vcc
                                        ; implicit-def: $sgpr76
	s_xor_b64 exec, exec, s[80:81]
	s_cbranch_execnz .LBB14_7996
.LBB14_4450:
	s_or_b64 exec, exec, s[80:81]
	v_mov_b32_e32 v5, s76
	s_and_saveexec_b64 vcc, s[86:87]
.LBB14_4451:
	v_lshrrev_b32_e32 v5, 24, v14
	s_movk_i32 s74, 0x80
	v_and_or_b32 v5, v5, s74, v3
.LBB14_4452:
	s_or_b64 exec, exec, vcc
.LBB14_4453:
	s_or_b64 exec, exec, s[84:85]
	flat_store_byte v[16:17], v5
                                        ; implicit-def: $vgpr14
                                        ; implicit-def: $vgpr16_vgpr17
.LBB14_4454:
	s_andn2_saveexec_b64 s[4:5], s[4:5]
	s_cbranch_execz .LBB14_4464
; %bb.4455:
	v_and_b32_e32 v5, 0x7fffffff, v14
	s_mov_b32 vcc_lo, 0x43f00000
	v_cmp_gt_u32_e32 vcc, vcc_lo, v5
                                        ; implicit-def: $vgpr3
	s_and_saveexec_b64 s[74:75], vcc
	s_xor_b64 s[84:85], exec, s[74:75]
	s_cbranch_execz .LBB14_4461
; %bb.4456:
	s_mov_b32 vcc_lo, 0x3c7fffff
	v_cmp_lt_u32_e32 vcc, vcc_lo, v5
                                        ; implicit-def: $vgpr3
	s_and_saveexec_b64 s[74:75], vcc
	s_xor_b64 s[78:79], exec, s[74:75]
; %bb.4457:
	v_bfe_u32 v3, v14, 20, 1
	s_mov_b32 vcc_lo, 0x407ffff
	v_add3_u32 v3, v14, v3, vcc_lo
	v_lshrrev_b32_e32 v5, 20, v3
	v_and_b32_e32 v3, 0xff00000, v3
	s_mov_b32 vcc_lo, 0x7f00000
	v_mov_b32_e32 v7, 0x7e
	v_cmp_ne_u32_e32 vcc, vcc_lo, v3
	v_cndmask_b32_e32 v3, v7, v5, vcc
; %bb.4458:
	s_andn2_saveexec_b64 vcc, s[78:79]
; %bb.4459:
	s_mov_b32 s74, 0x46800000
	v_add_f32_e64 v3, |v14|, s74
; %bb.4460:
	s_or_b64 exec, exec, vcc
                                        ; implicit-def: $vgpr5
.LBB14_4461:
	s_andn2_saveexec_b64 s[80:81], s[84:85]
; %bb.4462:
	s_mov_b32 vcc_lo, 0x7f800000
	v_mov_b32_e32 v3, 0x7e
	v_mov_b32_e32 v7, 0x7f
	v_cmp_lt_u32_e32 vcc, vcc_lo, v5
	v_cndmask_b32_e32 v3, v3, v7, vcc
; %bb.4463:
	s_or_b64 exec, exec, s[80:81]
	v_lshrrev_b32_e32 v5, 24, v14
	s_movk_i32 vcc_lo, 0x80
	v_and_or_b32 v3, v5, vcc_lo, v3
	flat_store_byte v[16:17], v3
.LBB14_4464:
	s_or_b64 exec, exec, s[4:5]
                                        ; implicit-def: $vgpr14
                                        ; implicit-def: $vgpr16_vgpr17
.LBB14_4465:
	s_andn2_saveexec_b64 s[4:5], s[82:83]
	s_cbranch_execz .LBB14_4475
; %bb.4466:
	v_and_b32_e32 v5, 0x7fffffff, v14
	s_mov_b32 vcc_lo, 0x47800000
	v_cmp_gt_u32_e32 vcc, vcc_lo, v5
                                        ; implicit-def: $vgpr3
	s_and_saveexec_b64 s[74:75], vcc
	s_xor_b64 s[82:83], exec, s[74:75]
	s_cbranch_execz .LBB14_4472
; %bb.4467:
	s_mov_b32 vcc_lo, 0x387fffff
	v_cmp_lt_u32_e32 vcc, vcc_lo, v5
                                        ; implicit-def: $vgpr3
	s_and_saveexec_b64 s[74:75], vcc
	s_xor_b64 vcc, exec, s[74:75]
; %bb.4468:
	v_bfe_u32 v3, v14, 21, 1
	s_mov_b32 s74, 0x80fffff
	v_add3_u32 v3, v14, v3, s74
	v_lshrrev_b32_e32 v3, 21, v3
; %bb.4469:
	s_andn2_saveexec_b64 vcc, vcc
; %bb.4470:
	s_mov_b32 s74, 0x43000000
	v_add_f32_e64 v3, |v14|, s74
; %bb.4471:
	s_or_b64 exec, exec, vcc
                                        ; implicit-def: $vgpr5
.LBB14_4472:
	s_andn2_saveexec_b64 s[80:81], s[82:83]
; %bb.4473:
	s_mov_b32 vcc_lo, 0x7f800000
	v_mov_b32_e32 v3, 0x7c
	v_mov_b32_e32 v7, 0x7f
	v_cmp_lt_u32_e32 vcc, vcc_lo, v5
	v_cndmask_b32_e32 v3, v3, v7, vcc
; %bb.4474:
	s_or_b64 exec, exec, s[80:81]
	v_lshrrev_b32_e32 v5, 24, v14
	s_movk_i32 vcc_lo, 0x80
	v_and_or_b32 v3, v5, vcc_lo, v3
	flat_store_byte v[16:17], v3
.LBB14_4475:
	s_or_b64 exec, exec, s[4:5]
	s_or_b64 s[4:5], s[88:89], exec
                                        ; implicit-def: $vgpr16_vgpr17
                                        ; implicit-def: $vgpr14
.LBB14_4476:
	v_readlane_b32 vcc_lo, v43, 60
	v_readlane_b32 vcc_hi, v43, 61
	s_or_saveexec_b64 s[86:87], vcc
	s_mov_b64 s[78:79], s[92:93]
	s_xor_b64 exec, exec, s[86:87]
	s_cbranch_execz .LBB14_4486
; %bb.4477:
	v_mov_b32_e32 v3, 14
	v_cmp_gt_i16_sdwa s[74:75], v11, v3 src0_sel:BYTE_0 src1_sel:DWORD
	s_mov_b64 vcc, s[4:5]
	s_mov_b64 s[84:85], s[92:93]
	s_and_saveexec_b64 s[76:77], s[74:75]
	s_xor_b64 s[82:83], exec, s[76:77]
	s_cbranch_execz .LBB14_4481
; %bb.4478:
	v_mov_b32_e32 v3, 15
	v_cmp_eq_u16_sdwa s[74:75], v11, v3 src0_sel:BYTE_0 src1_sel:DWORD
	s_mov_b64 s[78:79], -1
	s_mov_b64 vcc, s[4:5]
	s_and_saveexec_b64 s[80:81], s[74:75]
	s_cbranch_execz .LBB14_4480
; %bb.4479:
	v_bfe_u32 v3, v14, 16, 1
	s_movk_i32 vcc_lo, 0x7fff
	v_add3_u32 v3, v14, v3, vcc_lo
	v_lshrrev_b32_e32 v3, 16, v3
	v_mov_b32_e32 v5, 0x7fc0
	v_cmp_o_f32_e32 vcc, v14, v14
	v_cndmask_b32_e32 v3, v5, v3, vcc
	flat_store_short v[16:17], v3
	s_xor_b64 s[78:79], exec, -1
	s_or_b64 vcc, s[4:5], exec
.LBB14_4480:
	s_or_b64 exec, exec, s[80:81]
	s_andn2_b64 s[74:75], s[92:93], exec
	s_and_b64 s[76:77], s[78:79], exec
	s_or_b64 s[84:85], s[74:75], s[76:77]
	s_andn2_b64 s[74:75], s[4:5], exec
	s_and_b64 vcc, vcc, exec
	s_or_b64 vcc, s[74:75], vcc
                                        ; implicit-def: $vgpr16_vgpr17
.LBB14_4481:
	s_andn2_saveexec_b64 s[82:83], s[82:83]
	s_cbranch_execz .LBB14_4485
; %bb.4482:
	v_mov_b32_e32 v3, 11
	v_cmp_eq_u16_sdwa s[74:75], v11, v3 src0_sel:BYTE_0 src1_sel:DWORD
	s_mov_b64 s[78:79], -1
	s_mov_b64 s[80:81], vcc
	s_and_saveexec_b64 s[76:77], s[74:75]
	s_cbranch_execz .LBB14_4484
; %bb.4483:
	v_mov_b32_e32 v3, 1
	flat_store_byte v[16:17], v3
	s_xor_b64 s[78:79], exec, -1
	s_or_b64 s[80:81], vcc, exec
.LBB14_4484:
	s_or_b64 exec, exec, s[76:77]
	s_andn2_b64 s[74:75], s[84:85], exec
	s_and_b64 s[76:77], s[78:79], exec
	s_or_b64 s[84:85], s[74:75], s[76:77]
	s_andn2_b64 vcc, vcc, exec
	s_and_b64 s[74:75], s[80:81], exec
	s_or_b64 vcc, vcc, s[74:75]
.LBB14_4485:
	s_or_b64 exec, exec, s[82:83]
	s_andn2_b64 s[74:75], s[92:93], exec
	s_and_b64 s[76:77], s[84:85], exec
	s_andn2_b64 s[4:5], s[4:5], exec
	s_and_b64 vcc, vcc, exec
	s_or_b64 s[78:79], s[74:75], s[76:77]
	s_or_b64 s[4:5], s[4:5], vcc
.LBB14_4486:
	s_or_b64 exec, exec, s[86:87]
	s_andn2_b64 vcc, s[92:93], exec
	s_and_b64 s[74:75], s[78:79], exec
	s_or_b64 s[92:93], vcc, s[74:75]
	s_andn2_b64 vcc, s[88:89], exec
	s_and_b64 s[4:5], s[4:5], exec
	s_or_b64 s[88:89], vcc, s[4:5]
.LBB14_4487:
	s_or_b64 exec, exec, s[90:91]
	v_readlane_b32 s4, v43, 46
	v_readlane_b32 s5, v43, 47
	s_andn2_b64 s[4:5], s[4:5], exec
	s_and_b64 vcc, s[92:93], exec
	s_or_b64 s[90:91], s[4:5], vcc
	s_and_b64 s[4:5], s[88:89], exec
                                        ; implicit-def: $vgpr14
                                        ; implicit-def: $vgpr16_vgpr17
.LBB14_4488:
	v_readlane_b32 vcc_lo, v43, 58
	v_readlane_b32 vcc_hi, v43, 59
	s_andn2_saveexec_b64 s[92:93], vcc
	s_cbranch_execz .LBB14_4530
; %bb.4489:
	v_mov_b32_e32 v3, 4
	v_cmp_gt_i16_sdwa vcc, v11, v3 src0_sel:BYTE_0 src1_sel:DWORD
	s_and_saveexec_b64 s[74:75], vcc
	s_xor_b64 vcc, exec, s[74:75]
	s_cbranch_execz .LBB14_4511
; %bb.4490:
	v_mov_b32_e32 v3, 7
	v_cmp_gt_i16_sdwa s[74:75], v11, v3 src0_sel:BYTE_0 src1_sel:DWORD
	s_and_saveexec_b64 s[76:77], s[74:75]
	s_xor_b64 s[84:85], exec, s[76:77]
	s_cbranch_execz .LBB14_4500
; %bb.4491:
	v_mov_b32_e32 v3, 8
	v_cmp_gt_i16_sdwa s[74:75], v11, v3 src0_sel:BYTE_0 src1_sel:DWORD
	s_and_saveexec_b64 s[76:77], s[74:75]
	s_xor_b64 s[86:87], exec, s[76:77]
	;; [unrolled: 6-line block ×3, first 2 shown]
	s_cbranch_execz .LBB14_4494
; %bb.4493:
	v_mov_b32_e32 v20, 0
	v_cvt_f64_f32_e32 v[18:19], v14
	v_mov_b32_e32 v21, v20
	flat_store_dwordx4 v[16:17], v[18:21]
                                        ; implicit-def: $vgpr14
                                        ; implicit-def: $vgpr16_vgpr17
.LBB14_4494:
	s_andn2_saveexec_b64 s[76:77], s[78:79]
	s_cbranch_execz .LBB14_4496
; %bb.4495:
	v_mov_b32_e32 v15, 0
	flat_store_dwordx2 v[16:17], v[14:15]
.LBB14_4496:
	s_or_b64 exec, exec, s[76:77]
                                        ; implicit-def: $vgpr14
                                        ; implicit-def: $vgpr16_vgpr17
.LBB14_4497:
	s_andn2_saveexec_b64 s[76:77], s[86:87]
	s_cbranch_execz .LBB14_4499
; %bb.4498:
	v_cvt_f16_f32_e32 v3, v14
	flat_store_dword v[16:17], v3
.LBB14_4499:
	s_or_b64 exec, exec, s[76:77]
                                        ; implicit-def: $vgpr14
                                        ; implicit-def: $vgpr16_vgpr17
.LBB14_4500:
	s_andn2_saveexec_b64 s[84:85], s[84:85]
	s_cbranch_execz .LBB14_4510
; %bb.4501:
	v_mov_b32_e32 v3, 5
	v_cmp_gt_i16_sdwa s[74:75], v11, v3 src0_sel:BYTE_0 src1_sel:DWORD
	s_and_saveexec_b64 s[76:77], s[74:75]
	s_xor_b64 s[80:81], exec, s[76:77]
	s_cbranch_execz .LBB14_4507
; %bb.4502:
	v_mov_b32_e32 v3, 6
	v_cmp_gt_i16_sdwa s[74:75], v11, v3 src0_sel:BYTE_0 src1_sel:DWORD
	s_and_saveexec_b64 s[76:77], s[74:75]
	s_xor_b64 s[76:77], exec, s[76:77]
	s_cbranch_execz .LBB14_4504
; %bb.4503:
	v_cvt_f64_f32_e32 v[14:15], v14
	flat_store_dwordx2 v[16:17], v[14:15]
                                        ; implicit-def: $vgpr16_vgpr17
                                        ; implicit-def: $vgpr14
.LBB14_4504:
	s_andn2_saveexec_b64 s[76:77], s[76:77]
	s_cbranch_execz .LBB14_4506
; %bb.4505:
	flat_store_dword v[16:17], v14
.LBB14_4506:
	s_or_b64 exec, exec, s[76:77]
                                        ; implicit-def: $vgpr14
                                        ; implicit-def: $vgpr16_vgpr17
.LBB14_4507:
	s_andn2_saveexec_b64 s[76:77], s[80:81]
	s_cbranch_execz .LBB14_4509
; %bb.4508:
	v_cvt_f16_f32_e32 v3, v14
	flat_store_short v[16:17], v3
.LBB14_4509:
	s_or_b64 exec, exec, s[76:77]
.LBB14_4510:
	s_or_b64 exec, exec, s[84:85]
                                        ; implicit-def: $vgpr14
                                        ; implicit-def: $vgpr16_vgpr17
.LBB14_4511:
	s_andn2_saveexec_b64 s[88:89], vcc
	s_cbranch_execz .LBB14_4529
; %bb.4512:
	v_mov_b32_e32 v3, 1
	v_cmp_gt_i16_sdwa vcc, v11, v3 src0_sel:BYTE_0 src1_sel:DWORD
	s_and_saveexec_b64 s[74:75], vcc
	s_xor_b64 s[84:85], exec, s[74:75]
	s_cbranch_execz .LBB14_4522
; %bb.4513:
	v_mov_b32_e32 v3, 2
	v_cmp_gt_i16_sdwa vcc, v11, v3 src0_sel:BYTE_0 src1_sel:DWORD
	s_and_saveexec_b64 s[74:75], vcc
	s_xor_b64 s[86:87], exec, s[74:75]
	;; [unrolled: 6-line block ×3, first 2 shown]
	s_cbranch_execz .LBB14_4516
; %bb.4515:
	v_trunc_f32_e32 v3, v14
	s_mov_b32 s74, 0x2f800000
	v_mul_f32_e64 v5, |v3|, s74
	v_floor_f32_e32 v5, v5
	s_mov_b32 s74, 0xcf800000
	v_cvt_u32_f32_e32 v7, v5
	v_fma_f32 v5, v5, s74, |v3|
	v_cvt_u32_f32_e32 v5, v5
	v_ashrrev_i32_e32 v3, 31, v3
	v_xor_b32_e32 v7, v7, v3
	v_xor_b32_e32 v5, v5, v3
	v_sub_co_u32_e32 v14, vcc, v5, v3
	v_subb_co_u32_e32 v15, vcc, v7, v3, vcc
	flat_store_dwordx2 v[16:17], v[14:15]
                                        ; implicit-def: $vgpr14
                                        ; implicit-def: $vgpr16_vgpr17
.LBB14_4516:
	s_andn2_saveexec_b64 vcc, s[80:81]
	s_cbranch_execz .LBB14_4518
; %bb.4517:
	v_cvt_i32_f32_e32 v3, v14
	flat_store_dword v[16:17], v3
.LBB14_4518:
	s_or_b64 exec, exec, vcc
                                        ; implicit-def: $vgpr14
                                        ; implicit-def: $vgpr16_vgpr17
.LBB14_4519:
	s_andn2_saveexec_b64 vcc, s[86:87]
	s_cbranch_execz .LBB14_4521
; %bb.4520:
	v_cvt_i32_f32_e32 v3, v14
	flat_store_short v[16:17], v3
.LBB14_4521:
	s_or_b64 exec, exec, vcc
                                        ; implicit-def: $vgpr14
                                        ; implicit-def: $vgpr16_vgpr17
.LBB14_4522:
	s_andn2_saveexec_b64 vcc, s[84:85]
	s_cbranch_execz .LBB14_4528
; %bb.4523:
	v_mov_b32_e32 v3, 0
	v_cmp_gt_i16_sdwa s[74:75], v11, v3 src0_sel:BYTE_0 src1_sel:DWORD
	s_and_saveexec_b64 s[76:77], s[74:75]
	s_xor_b64 s[76:77], exec, s[76:77]
	s_cbranch_execz .LBB14_4525
; %bb.4524:
	v_cvt_i32_f32_e32 v3, v14
                                        ; implicit-def: $vgpr14
	flat_store_byte v[16:17], v3
                                        ; implicit-def: $vgpr16_vgpr17
.LBB14_4525:
	s_andn2_saveexec_b64 s[80:81], s[76:77]
	s_cbranch_execz .LBB14_4527
; %bb.4526:
	v_trunc_f32_e32 v3, v14
	s_mov_b32 s74, 0x2f800000
	v_mul_f32_e64 v5, |v3|, s74
	v_floor_f32_e32 v5, v5
	s_mov_b32 s74, 0xcf800000
	v_fma_f32 v5, v5, s74, |v3|
	v_cvt_u32_f32_e32 v5, v5
	v_ashrrev_i32_e32 v3, 31, v3
	v_xor_b32_e32 v5, v5, v3
	v_sub_u32_e32 v3, v5, v3
	flat_store_byte v[16:17], v3
.LBB14_4527:
	s_or_b64 exec, exec, s[80:81]
.LBB14_4528:
	s_or_b64 exec, exec, vcc
.LBB14_4529:
	s_or_b64 exec, exec, s[88:89]
	s_or_b64 s[4:5], s[4:5], exec
.LBB14_4530:
	s_or_b64 exec, exec, s[92:93]
	s_mov_b64 vcc, 0
	s_and_saveexec_b64 s[76:77], s[4:5]
; %bb.4531:
	s_mov_b64 vcc, exec
	v_add_u32_e32 v13, 0x200, v13
; %bb.4532:
	s_or_b64 exec, exec, s[76:77]
	v_readlane_b32 s4, v43, 46
	v_readlane_b32 s5, v43, 47
	s_andn2_b64 s[4:5], s[4:5], exec
	s_and_b64 s[74:75], s[90:91], exec
	s_or_b64 s[4:5], s[4:5], s[74:75]
	v_writelane_b32 v43, s4, 54
	v_writelane_b32 v43, s5, 55
	s_orn2_b64 s[82:83], vcc, exec
.LBB14_4533:
	s_or_b64 exec, exec, s[96:97]
	s_mov_b64 s[4:5], 0
	s_mov_b64 vcc, 0
	s_mov_b64 s[80:81], 0
                                        ; implicit-def: $vgpr5
                                        ; implicit-def: $vgpr102_vgpr103
	s_mov_b64 s[74:75], exec
	v_writelane_b32 v43, s74, 56
	v_writelane_b32 v43, s75, 57
	s_and_b64 s[74:75], s[74:75], s[82:83]
	s_mov_b64 exec, s[74:75]
	s_cbranch_execz .LBB14_4755
; %bb.4534:
	v_readlane_b32 s4, v43, 54
	v_readlane_b32 s5, v43, 55
	v_cmp_lt_i32_e32 vcc, v13, v6
	s_mov_b64 s[82:83], -1
	v_writelane_b32 v43, s4, 62
	v_writelane_b32 v43, s5, 63
	s_and_saveexec_b64 s[96:97], vcc
                                        ; implicit-def: $vgpr42 : SGPR spill to VGPR lane
	s_cbranch_execz .LBB14_4662
; %bb.4535:
	v_readlane_b32 s4, v44, 1
	v_add_u32_e32 v3, s4, v13
	v_mul_lo_u32 v3, v3, v12
	v_add_co_u32_e32 v14, vcc, v0, v3
	v_addc_co_u32_e32 v15, vcc, 0, v1, vcc
	v_mov_b32_e32 v3, 10
	v_readlane_b32 s90, v43, 54
	v_cmp_gt_i16_sdwa vcc, v11, v3 src0_sel:BYTE_0 src1_sel:DWORD
	s_mov_b64 s[4:5], 0
	v_readlane_b32 s91, v43, 55
	s_and_saveexec_b64 s[74:75], vcc
	s_xor_b64 s[74:75], exec, s[74:75]
	v_writelane_b32 v42, s74, 2
	v_writelane_b32 v42, s75, 3
	s_cbranch_execz .LBB14_4617
; %bb.4536:
	v_mov_b32_e32 v3, 25
	v_readlane_b32 s92, v43, 54
	v_cmp_gt_i16_sdwa s[4:5], v11, v3 src0_sel:BYTE_0 src1_sel:DWORD
	s_mov_b64 s[88:89], 0
	v_readlane_b32 s93, v43, 55
	s_and_saveexec_b64 vcc, s[4:5]
	s_xor_b64 s[90:91], exec, vcc
	s_cbranch_execz .LBB14_4572
; %bb.4537:
	v_mov_b32_e32 v3, 28
	v_readlane_b32 s92, v43, 54
	v_cmp_gt_i16_sdwa vcc, v11, v3 src0_sel:BYTE_0 src1_sel:DWORD
	s_mov_b64 s[4:5], 0
	v_readlane_b32 s93, v43, 55
	s_and_saveexec_b64 s[74:75], vcc
	s_xor_b64 s[88:89], exec, s[74:75]
	s_cbranch_execz .LBB14_4555
; %bb.4538:
	v_mov_b32_e32 v3, 43
	v_readlane_b32 vcc_lo, v43, 54
	v_cmp_gt_i16_sdwa s[74:75], v11, v3 src0_sel:BYTE_0 src1_sel:DWORD
	v_readlane_b32 vcc_hi, v43, 55
	s_and_saveexec_b64 s[76:77], s[74:75]
	s_xor_b64 s[76:77], exec, s[76:77]
	s_cbranch_execz .LBB14_4550
; %bb.4539:
	v_mov_b32_e32 v3, 45
	v_readlane_b32 s84, v43, 54
	v_cmp_gt_i16_sdwa s[4:5], v11, v3 src0_sel:BYTE_0 src1_sel:DWORD
	s_mov_b64 s[86:87], 0
	v_readlane_b32 s85, v43, 55
	s_and_saveexec_b64 vcc, s[4:5]
	s_xor_b64 s[4:5], exec, vcc
	s_cbranch_execz .LBB14_4543
; %bb.4540:
	v_mov_b32_e32 v3, 46
	v_cmp_eq_u16_sdwa s[74:75], v11, v3 src0_sel:BYTE_0 src1_sel:DWORD
	s_mov_b64 vcc, -1
	s_and_saveexec_b64 s[82:83], s[74:75]
	s_cbranch_execz .LBB14_4542
; %bb.4541:
	v_bfe_u32 v3, v8, 16, 1
	s_movk_i32 vcc_lo, 0x7fff
	v_add3_u32 v3, v8, v3, vcc_lo
	v_lshrrev_b32_e32 v3, 16, v3
	v_mov_b32_e32 v5, 0x7fc0
	v_cmp_o_f32_e32 vcc, v8, v8
	v_cndmask_b32_e32 v3, v5, v3, vcc
	s_mov_b64 s[80:81], exec
	flat_store_dword v[14:15], v3
	s_xor_b64 vcc, exec, -1
.LBB14_4542:
	s_or_b64 exec, exec, s[82:83]
	v_readlane_b32 s74, v43, 54
	v_readlane_b32 s75, v43, 55
	s_andn2_b64 s[74:75], s[74:75], exec
	s_and_b64 vcc, vcc, exec
	s_or_b64 s[84:85], s[74:75], vcc
	s_and_b64 s[86:87], s[80:81], exec
                                        ; implicit-def: $vgpr14_vgpr15
                                        ; implicit-def: $vgpr8
.LBB14_4543:
	s_andn2_saveexec_b64 s[92:93], s[4:5]
	s_cbranch_execz .LBB14_4549
; %bb.4544:
	v_mov_b32_e32 v3, 44
	v_cmp_eq_u16_sdwa s[74:75], v11, v3 src0_sel:BYTE_0 src1_sel:DWORD
	s_mov_b64 vcc, -1
	s_mov_b64 s[4:5], s[86:87]
	s_and_saveexec_b64 s[80:81], s[74:75]
	s_cbranch_execz .LBB14_4548
; %bb.4545:
	v_bfe_u32 v3, v8, 23, 8
	s_movk_i32 s4, 0xff
	v_cmp_ne_u32_e32 vcc, s4, v3
	v_mov_b32_e32 v5, 0xff
	s_and_saveexec_b64 s[82:83], vcc
; %bb.4546:
	s_mov_b32 s4, 0x3fffff
	v_and_b32_e32 v7, 0x400000, v8
	v_and_or_b32 v3, v8, s4, v3
	v_cmp_ne_u32_e32 vcc, 0, v7
	v_cmp_ne_u32_e64 s[4:5], 0, v3
	s_and_b64 s[4:5], vcc, s[4:5]
	v_lshrrev_b32_e32 v5, 23, v8
	v_cndmask_b32_e64 v3, 0, 1, s[4:5]
	v_add_u32_e32 v5, v5, v3
; %bb.4547:
	s_or_b64 exec, exec, s[82:83]
	s_xor_b64 vcc, exec, -1
	s_or_b64 s[4:5], s[86:87], exec
	flat_store_byte v[14:15], v5
.LBB14_4548:
	s_or_b64 exec, exec, s[80:81]
	s_andn2_b64 s[74:75], s[84:85], exec
	s_and_b64 vcc, vcc, exec
	s_or_b64 s[84:85], s[74:75], vcc
	s_andn2_b64 vcc, s[86:87], exec
	s_and_b64 s[4:5], s[4:5], exec
	s_or_b64 s[86:87], vcc, s[4:5]
.LBB14_4549:
	s_or_b64 exec, exec, s[92:93]
	v_readlane_b32 s4, v43, 54
	v_readlane_b32 s5, v43, 55
	s_andn2_b64 s[4:5], s[4:5], exec
	s_and_b64 vcc, s[84:85], exec
	s_or_b64 vcc, s[4:5], vcc
	s_and_b64 s[4:5], s[86:87], exec
                                        ; implicit-def: $vgpr8
                                        ; implicit-def: $vgpr14_vgpr15
.LBB14_4550:
	s_andn2_saveexec_b64 s[84:85], s[76:77]
	s_cbranch_execz .LBB14_4554
; %bb.4551:
	v_mov_b32_e32 v3, 29
	v_cmp_eq_u16_sdwa s[74:75], v11, v3 src0_sel:BYTE_0 src1_sel:DWORD
	s_mov_b64 s[86:87], -1
	s_mov_b64 s[82:83], s[4:5]
	s_and_saveexec_b64 s[80:81], s[74:75]
	s_cbranch_execz .LBB14_4553
; %bb.4552:
	v_trunc_f32_e32 v3, v8
	v_mul_f32_e32 v5, 0x2f800000, v3
	v_floor_f32_e32 v5, v5
	v_fmac_f32_e32 v3, 0xcf800000, v5
	v_cvt_u32_f32_e32 v9, v5
	v_cvt_u32_f32_e32 v8, v3
	s_xor_b64 s[86:87], exec, -1
	s_or_b64 s[82:83], s[4:5], exec
	flat_store_dwordx2 v[14:15], v[8:9]
.LBB14_4553:
	s_or_b64 exec, exec, s[80:81]
	s_andn2_b64 vcc, vcc, exec
	s_and_b64 s[74:75], s[86:87], exec
	s_or_b64 vcc, vcc, s[74:75]
	s_andn2_b64 s[4:5], s[4:5], exec
	s_and_b64 s[74:75], s[82:83], exec
	s_or_b64 s[4:5], s[4:5], s[74:75]
.LBB14_4554:
	s_or_b64 exec, exec, s[84:85]
	v_readlane_b32 s74, v43, 54
	v_readlane_b32 s75, v43, 55
	s_andn2_b64 s[74:75], s[74:75], exec
	s_and_b64 vcc, vcc, exec
	s_or_b64 s[92:93], s[74:75], vcc
	s_and_b64 s[4:5], s[4:5], exec
                                        ; implicit-def: $vgpr14_vgpr15
                                        ; implicit-def: $vgpr8
.LBB14_4555:
	s_andn2_saveexec_b64 s[88:89], s[88:89]
	s_cbranch_execz .LBB14_4571
; %bb.4556:
	v_mov_b32_e32 v3, 26
	v_cmp_gt_i16_sdwa vcc, v11, v3 src0_sel:BYTE_0 src1_sel:DWORD
	s_and_saveexec_b64 s[74:75], vcc
	s_xor_b64 vcc, exec, s[74:75]
	s_cbranch_execz .LBB14_4562
; %bb.4557:
	v_cvt_u32_f32_e32 v3, v8
	v_mov_b32_e32 v5, 27
	v_cmp_gt_i16_sdwa s[74:75], v11, v5 src0_sel:BYTE_0 src1_sel:DWORD
	s_and_saveexec_b64 s[76:77], s[74:75]
	s_xor_b64 s[76:77], exec, s[76:77]
	s_cbranch_execz .LBB14_4559
; %bb.4558:
	flat_store_dword v[14:15], v3
                                        ; implicit-def: $vgpr14_vgpr15
                                        ; implicit-def: $vgpr3
.LBB14_4559:
	s_andn2_saveexec_b64 s[76:77], s[76:77]
	s_cbranch_execz .LBB14_4561
; %bb.4560:
	flat_store_short v[14:15], v3
.LBB14_4561:
	s_or_b64 exec, exec, s[76:77]
                                        ; implicit-def: $vgpr14_vgpr15
                                        ; implicit-def: $vgpr8
.LBB14_4562:
	s_andn2_saveexec_b64 s[86:87], vcc
	s_cbranch_execz .LBB14_4570
; %bb.4563:
	v_and_b32_e32 v3, 0x7fffffff, v8
	s_mov_b32 vcc_lo, 0x43800000
	v_cmp_gt_u32_e32 vcc, vcc_lo, v3
	v_mov_b32_e32 v5, 0x80
	s_and_saveexec_b64 s[84:85], vcc
	s_cbranch_execz .LBB14_4569
; %bb.4564:
	s_mov_b32 vcc_lo, 0x3bffffff
	v_cmp_lt_u32_e32 vcc, vcc_lo, v3
	s_mov_b64 s[78:79], 0
                                        ; implicit-def: $vgpr3
	s_and_saveexec_b64 s[74:75], vcc
	s_xor_b64 vcc, exec, s[74:75]
	s_cbranch_execnz .LBB14_7997
; %bb.4565:
	s_or_saveexec_b64 s[80:81], vcc
                                        ; implicit-def: $sgpr76
	s_xor_b64 exec, exec, s[80:81]
	s_cbranch_execnz .LBB14_7998
.LBB14_4566:
	s_or_b64 exec, exec, s[80:81]
	v_mov_b32_e32 v5, s76
	s_and_saveexec_b64 vcc, s[78:79]
.LBB14_4567:
	v_lshrrev_b32_e32 v5, 24, v8
	s_movk_i32 s74, 0x80
	v_and_or_b32 v5, v5, s74, v3
.LBB14_4568:
	s_or_b64 exec, exec, vcc
.LBB14_4569:
	s_or_b64 exec, exec, s[84:85]
	flat_store_byte v[14:15], v5
.LBB14_4570:
	s_or_b64 exec, exec, s[86:87]
	s_or_b64 s[4:5], s[4:5], exec
.LBB14_4571:
	s_or_b64 exec, exec, s[88:89]
	v_readlane_b32 vcc_lo, v43, 54
	v_readlane_b32 vcc_hi, v43, 55
	s_andn2_b64 vcc, vcc, exec
	s_and_b64 s[74:75], s[92:93], exec
	s_or_b64 s[92:93], vcc, s[74:75]
	s_and_b64 s[88:89], s[4:5], exec
                                        ; implicit-def: $vgpr8
                                        ; implicit-def: $vgpr14_vgpr15
.LBB14_4572:
	s_andn2_saveexec_b64 s[90:91], s[90:91]
	s_cbranch_execz .LBB14_4616
; %bb.4573:
	v_mov_b32_e32 v3, 22
	v_cmp_gt_i16_sdwa vcc, v11, v3 src0_sel:BYTE_0 src1_sel:DWORD
	s_mov_b64 s[4:5], s[88:89]
	s_and_saveexec_b64 s[74:75], vcc
	s_xor_b64 s[74:75], exec, s[74:75]
	v_writelane_b32 v42, s74, 4
	v_writelane_b32 v42, s75, 5
	s_cbranch_execz .LBB14_4605
; %bb.4574:
	v_mov_b32_e32 v3, 23
	v_cmp_gt_i16_sdwa s[4:5], v11, v3 src0_sel:BYTE_0 src1_sel:DWORD
	s_and_saveexec_b64 vcc, s[4:5]
	s_xor_b64 s[82:83], exec, vcc
	s_cbranch_execz .LBB14_4594
; %bb.4575:
	v_mov_b32_e32 v3, 24
	v_cmp_gt_i16_sdwa s[4:5], v11, v3 src0_sel:BYTE_0 src1_sel:DWORD
	s_and_saveexec_b64 vcc, s[4:5]
	s_xor_b64 s[4:5], exec, vcc
	s_cbranch_execz .LBB14_4583
; %bb.4576:
	v_and_b32_e32 v3, 0x7fffffff, v8
	s_mov_b32 vcc_lo, 0x47800000
	v_cmp_gt_u32_e32 vcc, vcc_lo, v3
	v_mov_b32_e32 v5, 0x80
	s_and_saveexec_b64 s[84:85], vcc
	s_cbranch_execz .LBB14_4582
; %bb.4577:
	s_mov_b32 vcc_lo, 0x37ffffff
	v_cmp_lt_u32_e32 vcc, vcc_lo, v3
	s_mov_b64 s[86:87], 0
                                        ; implicit-def: $vgpr3
	s_and_saveexec_b64 s[74:75], vcc
	s_xor_b64 vcc, exec, s[74:75]
	s_cbranch_execnz .LBB14_7999
; %bb.4578:
	s_or_saveexec_b64 s[80:81], vcc
                                        ; implicit-def: $sgpr76
	s_xor_b64 exec, exec, s[80:81]
	s_cbranch_execnz .LBB14_8000
.LBB14_4579:
	s_or_b64 exec, exec, s[80:81]
	v_mov_b32_e32 v5, s76
	s_and_saveexec_b64 vcc, s[86:87]
.LBB14_4580:
	v_lshrrev_b32_e32 v5, 24, v8
	s_movk_i32 s74, 0x80
	v_and_or_b32 v5, v5, s74, v3
.LBB14_4581:
	s_or_b64 exec, exec, vcc
.LBB14_4582:
	s_or_b64 exec, exec, s[84:85]
	flat_store_byte v[14:15], v5
                                        ; implicit-def: $vgpr8
                                        ; implicit-def: $vgpr14_vgpr15
.LBB14_4583:
	s_andn2_saveexec_b64 s[4:5], s[4:5]
	s_cbranch_execz .LBB14_4593
; %bb.4584:
	v_and_b32_e32 v5, 0x7fffffff, v8
	s_mov_b32 vcc_lo, 0x43f00000
	v_cmp_gt_u32_e32 vcc, vcc_lo, v5
                                        ; implicit-def: $vgpr3
	s_and_saveexec_b64 s[74:75], vcc
	s_xor_b64 s[84:85], exec, s[74:75]
	s_cbranch_execz .LBB14_4590
; %bb.4585:
	s_mov_b32 vcc_lo, 0x3c7fffff
	v_cmp_lt_u32_e32 vcc, vcc_lo, v5
                                        ; implicit-def: $vgpr3
	s_and_saveexec_b64 s[74:75], vcc
	s_xor_b64 s[78:79], exec, s[74:75]
; %bb.4586:
	v_bfe_u32 v3, v8, 20, 1
	s_mov_b32 vcc_lo, 0x407ffff
	v_add3_u32 v3, v8, v3, vcc_lo
	v_lshrrev_b32_e32 v5, 20, v3
	v_and_b32_e32 v3, 0xff00000, v3
	s_mov_b32 vcc_lo, 0x7f00000
	v_mov_b32_e32 v7, 0x7e
	v_cmp_ne_u32_e32 vcc, vcc_lo, v3
	v_cndmask_b32_e32 v3, v7, v5, vcc
; %bb.4587:
	s_andn2_saveexec_b64 vcc, s[78:79]
; %bb.4588:
	s_mov_b32 s74, 0x46800000
	v_add_f32_e64 v3, |v8|, s74
; %bb.4589:
	s_or_b64 exec, exec, vcc
                                        ; implicit-def: $vgpr5
.LBB14_4590:
	s_andn2_saveexec_b64 s[80:81], s[84:85]
; %bb.4591:
	s_mov_b32 vcc_lo, 0x7f800000
	v_mov_b32_e32 v3, 0x7e
	v_mov_b32_e32 v7, 0x7f
	v_cmp_lt_u32_e32 vcc, vcc_lo, v5
	v_cndmask_b32_e32 v3, v3, v7, vcc
; %bb.4592:
	s_or_b64 exec, exec, s[80:81]
	v_lshrrev_b32_e32 v5, 24, v8
	s_movk_i32 vcc_lo, 0x80
	v_and_or_b32 v3, v5, vcc_lo, v3
	flat_store_byte v[14:15], v3
.LBB14_4593:
	s_or_b64 exec, exec, s[4:5]
                                        ; implicit-def: $vgpr8
                                        ; implicit-def: $vgpr14_vgpr15
.LBB14_4594:
	s_andn2_saveexec_b64 s[4:5], s[82:83]
	s_cbranch_execz .LBB14_4604
; %bb.4595:
	v_and_b32_e32 v5, 0x7fffffff, v8
	s_mov_b32 vcc_lo, 0x47800000
	v_cmp_gt_u32_e32 vcc, vcc_lo, v5
                                        ; implicit-def: $vgpr3
	s_and_saveexec_b64 s[74:75], vcc
	s_xor_b64 s[82:83], exec, s[74:75]
	s_cbranch_execz .LBB14_4601
; %bb.4596:
	s_mov_b32 vcc_lo, 0x387fffff
	v_cmp_lt_u32_e32 vcc, vcc_lo, v5
                                        ; implicit-def: $vgpr3
	s_and_saveexec_b64 s[74:75], vcc
	s_xor_b64 vcc, exec, s[74:75]
; %bb.4597:
	v_bfe_u32 v3, v8, 21, 1
	s_mov_b32 s74, 0x80fffff
	v_add3_u32 v3, v8, v3, s74
	v_lshrrev_b32_e32 v3, 21, v3
; %bb.4598:
	s_andn2_saveexec_b64 vcc, vcc
; %bb.4599:
	s_mov_b32 s74, 0x43000000
	v_add_f32_e64 v3, |v8|, s74
; %bb.4600:
	s_or_b64 exec, exec, vcc
                                        ; implicit-def: $vgpr5
.LBB14_4601:
	s_andn2_saveexec_b64 s[80:81], s[82:83]
; %bb.4602:
	s_mov_b32 vcc_lo, 0x7f800000
	v_mov_b32_e32 v3, 0x7c
	v_mov_b32_e32 v7, 0x7f
	v_cmp_lt_u32_e32 vcc, vcc_lo, v5
	v_cndmask_b32_e32 v3, v3, v7, vcc
; %bb.4603:
	s_or_b64 exec, exec, s[80:81]
	v_lshrrev_b32_e32 v5, 24, v8
	s_movk_i32 vcc_lo, 0x80
	v_and_or_b32 v3, v5, vcc_lo, v3
	flat_store_byte v[14:15], v3
.LBB14_4604:
	s_or_b64 exec, exec, s[4:5]
	s_or_b64 s[4:5], s[88:89], exec
                                        ; implicit-def: $vgpr14_vgpr15
                                        ; implicit-def: $vgpr8
.LBB14_4605:
	v_readlane_b32 vcc_lo, v42, 4
	v_readlane_b32 vcc_hi, v42, 5
	s_or_saveexec_b64 s[86:87], vcc
	s_mov_b64 s[78:79], s[92:93]
	s_xor_b64 exec, exec, s[86:87]
	s_cbranch_execz .LBB14_4615
; %bb.4606:
	v_mov_b32_e32 v3, 14
	v_cmp_gt_i16_sdwa s[74:75], v11, v3 src0_sel:BYTE_0 src1_sel:DWORD
	s_mov_b64 vcc, s[4:5]
	s_mov_b64 s[84:85], s[92:93]
	s_and_saveexec_b64 s[76:77], s[74:75]
	s_xor_b64 s[82:83], exec, s[76:77]
	s_cbranch_execz .LBB14_4610
; %bb.4607:
	v_mov_b32_e32 v3, 15
	v_cmp_eq_u16_sdwa s[74:75], v11, v3 src0_sel:BYTE_0 src1_sel:DWORD
	s_mov_b64 s[78:79], -1
	s_mov_b64 vcc, s[4:5]
	s_and_saveexec_b64 s[80:81], s[74:75]
	s_cbranch_execz .LBB14_4609
; %bb.4608:
	v_bfe_u32 v3, v8, 16, 1
	s_movk_i32 vcc_lo, 0x7fff
	v_add3_u32 v3, v8, v3, vcc_lo
	v_lshrrev_b32_e32 v3, 16, v3
	v_mov_b32_e32 v5, 0x7fc0
	v_cmp_o_f32_e32 vcc, v8, v8
	v_cndmask_b32_e32 v3, v5, v3, vcc
	flat_store_short v[14:15], v3
	s_xor_b64 s[78:79], exec, -1
	s_or_b64 vcc, s[4:5], exec
.LBB14_4609:
	s_or_b64 exec, exec, s[80:81]
	s_andn2_b64 s[74:75], s[92:93], exec
	s_and_b64 s[76:77], s[78:79], exec
	s_or_b64 s[84:85], s[74:75], s[76:77]
	s_andn2_b64 s[74:75], s[4:5], exec
	s_and_b64 vcc, vcc, exec
	s_or_b64 vcc, s[74:75], vcc
                                        ; implicit-def: $vgpr14_vgpr15
.LBB14_4610:
	s_andn2_saveexec_b64 s[82:83], s[82:83]
	s_cbranch_execz .LBB14_4614
; %bb.4611:
	v_mov_b32_e32 v3, 11
	v_cmp_eq_u16_sdwa s[74:75], v11, v3 src0_sel:BYTE_0 src1_sel:DWORD
	s_mov_b64 s[78:79], -1
	s_mov_b64 s[80:81], vcc
	s_and_saveexec_b64 s[76:77], s[74:75]
	s_cbranch_execz .LBB14_4613
; %bb.4612:
	v_mov_b32_e32 v3, 1
	flat_store_byte v[14:15], v3
	s_xor_b64 s[78:79], exec, -1
	s_or_b64 s[80:81], vcc, exec
.LBB14_4613:
	s_or_b64 exec, exec, s[76:77]
	s_andn2_b64 s[74:75], s[84:85], exec
	s_and_b64 s[76:77], s[78:79], exec
	s_or_b64 s[84:85], s[74:75], s[76:77]
	s_andn2_b64 vcc, vcc, exec
	s_and_b64 s[74:75], s[80:81], exec
	s_or_b64 vcc, vcc, s[74:75]
.LBB14_4614:
	s_or_b64 exec, exec, s[82:83]
	s_andn2_b64 s[74:75], s[92:93], exec
	s_and_b64 s[76:77], s[84:85], exec
	s_andn2_b64 s[4:5], s[4:5], exec
	s_and_b64 vcc, vcc, exec
	s_or_b64 s[78:79], s[74:75], s[76:77]
	s_or_b64 s[4:5], s[4:5], vcc
.LBB14_4615:
	s_or_b64 exec, exec, s[86:87]
	s_andn2_b64 vcc, s[92:93], exec
	s_and_b64 s[74:75], s[78:79], exec
	s_or_b64 s[92:93], vcc, s[74:75]
	s_andn2_b64 vcc, s[88:89], exec
	s_and_b64 s[4:5], s[4:5], exec
	s_or_b64 s[88:89], vcc, s[4:5]
.LBB14_4616:
	s_or_b64 exec, exec, s[90:91]
	v_readlane_b32 s4, v43, 54
	v_readlane_b32 s5, v43, 55
	s_andn2_b64 s[4:5], s[4:5], exec
	s_and_b64 vcc, s[92:93], exec
	s_or_b64 s[90:91], s[4:5], vcc
	s_and_b64 s[4:5], s[88:89], exec
                                        ; implicit-def: $vgpr8
                                        ; implicit-def: $vgpr14_vgpr15
.LBB14_4617:
	v_readlane_b32 vcc_lo, v42, 2
	v_readlane_b32 vcc_hi, v42, 3
	s_andn2_saveexec_b64 s[92:93], vcc
	s_cbranch_execz .LBB14_4659
; %bb.4618:
	v_mov_b32_e32 v3, 4
	v_cmp_gt_i16_sdwa vcc, v11, v3 src0_sel:BYTE_0 src1_sel:DWORD
	s_and_saveexec_b64 s[74:75], vcc
	s_xor_b64 vcc, exec, s[74:75]
	s_cbranch_execz .LBB14_4640
; %bb.4619:
	v_mov_b32_e32 v3, 7
	v_cmp_gt_i16_sdwa s[74:75], v11, v3 src0_sel:BYTE_0 src1_sel:DWORD
	s_and_saveexec_b64 s[76:77], s[74:75]
	s_xor_b64 s[84:85], exec, s[76:77]
	s_cbranch_execz .LBB14_4629
; %bb.4620:
	v_mov_b32_e32 v3, 8
	v_cmp_gt_i16_sdwa s[74:75], v11, v3 src0_sel:BYTE_0 src1_sel:DWORD
	s_and_saveexec_b64 s[76:77], s[74:75]
	s_xor_b64 s[86:87], exec, s[76:77]
	s_cbranch_execz .LBB14_4626
; %bb.4621:
	v_mov_b32_e32 v3, 9
	v_cmp_gt_i16_sdwa s[74:75], v11, v3 src0_sel:BYTE_0 src1_sel:DWORD
	s_and_saveexec_b64 s[76:77], s[74:75]
	s_xor_b64 s[78:79], exec, s[76:77]
	s_cbranch_execz .LBB14_4623
; %bb.4622:
	v_mov_b32_e32 v18, 0
	v_cvt_f64_f32_e32 v[16:17], v8
	v_mov_b32_e32 v19, v18
	flat_store_dwordx4 v[14:15], v[16:19]
                                        ; implicit-def: $vgpr8
                                        ; implicit-def: $vgpr14_vgpr15
.LBB14_4623:
	s_andn2_saveexec_b64 s[76:77], s[78:79]
	s_cbranch_execz .LBB14_4625
; %bb.4624:
	v_mov_b32_e32 v9, 0
	flat_store_dwordx2 v[14:15], v[8:9]
.LBB14_4625:
	s_or_b64 exec, exec, s[76:77]
                                        ; implicit-def: $vgpr8
                                        ; implicit-def: $vgpr14_vgpr15
.LBB14_4626:
	s_andn2_saveexec_b64 s[76:77], s[86:87]
	s_cbranch_execz .LBB14_4628
; %bb.4627:
	v_cvt_f16_f32_e32 v3, v8
	flat_store_dword v[14:15], v3
.LBB14_4628:
	s_or_b64 exec, exec, s[76:77]
                                        ; implicit-def: $vgpr8
                                        ; implicit-def: $vgpr14_vgpr15
.LBB14_4629:
	s_andn2_saveexec_b64 s[84:85], s[84:85]
	s_cbranch_execz .LBB14_4639
; %bb.4630:
	v_mov_b32_e32 v3, 5
	v_cmp_gt_i16_sdwa s[74:75], v11, v3 src0_sel:BYTE_0 src1_sel:DWORD
	s_and_saveexec_b64 s[76:77], s[74:75]
	s_xor_b64 s[80:81], exec, s[76:77]
	s_cbranch_execz .LBB14_4636
; %bb.4631:
	v_mov_b32_e32 v3, 6
	v_cmp_gt_i16_sdwa s[74:75], v11, v3 src0_sel:BYTE_0 src1_sel:DWORD
	s_and_saveexec_b64 s[76:77], s[74:75]
	s_xor_b64 s[76:77], exec, s[76:77]
	s_cbranch_execz .LBB14_4633
; %bb.4632:
	v_cvt_f64_f32_e32 v[8:9], v8
	flat_store_dwordx2 v[14:15], v[8:9]
                                        ; implicit-def: $vgpr14_vgpr15
                                        ; implicit-def: $vgpr8
.LBB14_4633:
	s_andn2_saveexec_b64 s[76:77], s[76:77]
	s_cbranch_execz .LBB14_4635
; %bb.4634:
	flat_store_dword v[14:15], v8
.LBB14_4635:
	s_or_b64 exec, exec, s[76:77]
                                        ; implicit-def: $vgpr8
                                        ; implicit-def: $vgpr14_vgpr15
.LBB14_4636:
	s_andn2_saveexec_b64 s[76:77], s[80:81]
	s_cbranch_execz .LBB14_4638
; %bb.4637:
	v_cvt_f16_f32_e32 v3, v8
	flat_store_short v[14:15], v3
.LBB14_4638:
	s_or_b64 exec, exec, s[76:77]
.LBB14_4639:
	s_or_b64 exec, exec, s[84:85]
                                        ; implicit-def: $vgpr8
                                        ; implicit-def: $vgpr14_vgpr15
.LBB14_4640:
	s_andn2_saveexec_b64 s[88:89], vcc
	s_cbranch_execz .LBB14_4658
; %bb.4641:
	v_mov_b32_e32 v3, 1
	v_cmp_gt_i16_sdwa vcc, v11, v3 src0_sel:BYTE_0 src1_sel:DWORD
	s_and_saveexec_b64 s[74:75], vcc
	s_xor_b64 s[84:85], exec, s[74:75]
	s_cbranch_execz .LBB14_4651
; %bb.4642:
	v_mov_b32_e32 v3, 2
	v_cmp_gt_i16_sdwa vcc, v11, v3 src0_sel:BYTE_0 src1_sel:DWORD
	s_and_saveexec_b64 s[74:75], vcc
	s_xor_b64 s[86:87], exec, s[74:75]
	;; [unrolled: 6-line block ×3, first 2 shown]
	s_cbranch_execz .LBB14_4645
; %bb.4644:
	v_trunc_f32_e32 v3, v8
	s_mov_b32 s74, 0x2f800000
	v_mul_f32_e64 v5, |v3|, s74
	v_floor_f32_e32 v5, v5
	s_mov_b32 s74, 0xcf800000
	v_cvt_u32_f32_e32 v7, v5
	v_fma_f32 v5, v5, s74, |v3|
	v_cvt_u32_f32_e32 v5, v5
	v_ashrrev_i32_e32 v3, 31, v3
	v_xor_b32_e32 v7, v7, v3
	v_xor_b32_e32 v5, v5, v3
	v_sub_co_u32_e32 v8, vcc, v5, v3
	v_subb_co_u32_e32 v9, vcc, v7, v3, vcc
	flat_store_dwordx2 v[14:15], v[8:9]
                                        ; implicit-def: $vgpr8
                                        ; implicit-def: $vgpr14_vgpr15
.LBB14_4645:
	s_andn2_saveexec_b64 vcc, s[80:81]
	s_cbranch_execz .LBB14_4647
; %bb.4646:
	v_cvt_i32_f32_e32 v3, v8
	flat_store_dword v[14:15], v3
.LBB14_4647:
	s_or_b64 exec, exec, vcc
                                        ; implicit-def: $vgpr8
                                        ; implicit-def: $vgpr14_vgpr15
.LBB14_4648:
	s_andn2_saveexec_b64 vcc, s[86:87]
	s_cbranch_execz .LBB14_4650
; %bb.4649:
	v_cvt_i32_f32_e32 v3, v8
	flat_store_short v[14:15], v3
.LBB14_4650:
	s_or_b64 exec, exec, vcc
                                        ; implicit-def: $vgpr8
                                        ; implicit-def: $vgpr14_vgpr15
.LBB14_4651:
	s_andn2_saveexec_b64 vcc, s[84:85]
	s_cbranch_execz .LBB14_4657
; %bb.4652:
	v_mov_b32_e32 v3, 0
	v_cmp_gt_i16_sdwa s[74:75], v11, v3 src0_sel:BYTE_0 src1_sel:DWORD
	s_and_saveexec_b64 s[76:77], s[74:75]
	s_xor_b64 s[76:77], exec, s[76:77]
	s_cbranch_execz .LBB14_4654
; %bb.4653:
	v_cvt_i32_f32_e32 v3, v8
                                        ; implicit-def: $vgpr8
	flat_store_byte v[14:15], v3
                                        ; implicit-def: $vgpr14_vgpr15
.LBB14_4654:
	s_andn2_saveexec_b64 s[80:81], s[76:77]
	s_cbranch_execz .LBB14_4656
; %bb.4655:
	v_trunc_f32_e32 v3, v8
	s_mov_b32 s74, 0x2f800000
	v_mul_f32_e64 v5, |v3|, s74
	v_floor_f32_e32 v5, v5
	s_mov_b32 s74, 0xcf800000
	v_fma_f32 v5, v5, s74, |v3|
	v_cvt_u32_f32_e32 v5, v5
	v_ashrrev_i32_e32 v3, 31, v3
	v_xor_b32_e32 v5, v5, v3
	v_sub_u32_e32 v3, v5, v3
	flat_store_byte v[14:15], v3
.LBB14_4656:
	s_or_b64 exec, exec, s[80:81]
.LBB14_4657:
	s_or_b64 exec, exec, vcc
.LBB14_4658:
	s_or_b64 exec, exec, s[88:89]
	s_or_b64 s[4:5], s[4:5], exec
.LBB14_4659:
	s_or_b64 exec, exec, s[92:93]
	s_mov_b64 vcc, 0
	s_and_saveexec_b64 s[76:77], s[4:5]
; %bb.4660:
	s_mov_b64 vcc, exec
	v_add_u32_e32 v13, 0x200, v13
; %bb.4661:
	s_or_b64 exec, exec, s[76:77]
	v_readlane_b32 s4, v43, 54
	v_readlane_b32 s5, v43, 55
	s_andn2_b64 s[4:5], s[4:5], exec
	s_and_b64 s[74:75], s[90:91], exec
	s_or_b64 s[4:5], s[4:5], s[74:75]
	v_writelane_b32 v43, s4, 62
	v_writelane_b32 v43, s5, 63
	s_orn2_b64 s[82:83], vcc, exec
.LBB14_4662:
	s_or_b64 exec, exec, s[96:97]
	s_mov_b64 s[4:5], 0
	s_mov_b64 vcc, 0
	s_mov_b64 s[80:81], 0
                                        ; implicit-def: $vgpr5
                                        ; implicit-def: $vgpr102_vgpr103
	s_mov_b64 s[74:75], exec
	v_writelane_b32 v42, s74, 0
	v_writelane_b32 v42, s75, 1
	s_and_b64 s[74:75], s[74:75], s[82:83]
	s_mov_b64 exec, s[74:75]
	s_cbranch_execz .LBB14_4754
; %bb.4663:
	v_readlane_b32 s96, v43, 62
	s_mov_b64 s[82:83], -1
	v_readlane_b32 s97, v43, 63
	v_cmp_lt_i32_e32 vcc, v13, v6
	s_mov_b64 s[4:5], exec
	v_writelane_b32 v42, s4, 6
	v_writelane_b32 v42, s5, 7
	s_and_b64 s[4:5], s[4:5], vcc
	s_mov_b64 exec, s[4:5]
	s_cbranch_execz .LBB14_4669
; %bb.4664:
	v_readlane_b32 s4, v44, 1
	v_add_u32_e32 v3, s4, v13
	v_mul_lo_u32 v3, v3, v12
	v_add_co_u32_e32 v8, vcc, v0, v3
	v_addc_co_u32_e32 v9, vcc, 0, v1, vcc
	v_mov_b32_e32 v3, 10
	v_readlane_b32 s90, v43, 62
	v_cmp_gt_i16_sdwa vcc, v11, v3 src0_sel:BYTE_0 src1_sel:DWORD
	s_mov_b64 s[4:5], 0
	v_readlane_b32 s91, v43, 63
	s_and_saveexec_b64 s[74:75], vcc
	s_xor_b64 s[96:97], exec, s[74:75]
	s_cbranch_execnz .LBB14_7859
; %bb.4665:
	s_andn2_saveexec_b64 s[92:93], s[96:97]
	s_cbranch_execnz .LBB14_7940
.LBB14_4666:
	s_or_b64 exec, exec, s[92:93]
	s_mov_b64 vcc, 0
	s_and_saveexec_b64 s[76:77], s[4:5]
.LBB14_4667:
	s_mov_b64 vcc, exec
	v_add_u32_e32 v13, 0x200, v13
.LBB14_4668:
	s_or_b64 exec, exec, s[76:77]
	v_readlane_b32 s4, v43, 62
	v_readlane_b32 s5, v43, 63
	s_andn2_b64 s[4:5], s[4:5], exec
	s_and_b64 s[74:75], s[90:91], exec
	s_or_b64 s[96:97], s[4:5], s[74:75]
	s_orn2_b64 s[82:83], vcc, exec
.LBB14_4669:
	v_readlane_b32 s4, v42, 6
	v_readlane_b32 s5, v42, 7
	s_or_b64 exec, exec, s[4:5]
	s_mov_b64 s[4:5], 0
	s_mov_b64 vcc, 0
	s_mov_b64 s[80:81], 0
                                        ; implicit-def: $vgpr5
                                        ; implicit-def: $vgpr102_vgpr103
	s_mov_b64 s[74:75], exec
	s_mov_b64 s[90:91], s[74:75]
	s_and_b64 s[74:75], s[74:75], s[82:83]
	s_mov_b64 exec, s[74:75]
	s_cbranch_execz .LBB14_4753
; %bb.4670:
	s_mov_b64 s[80:81], -1
	s_mov_b64 s[82:83], s[96:97]
	s_mov_b64 s[84:85], 0
	v_cmp_lt_i32_e32 vcc, v13, v6
                                        ; implicit-def: $vgpr5
                                        ; implicit-def: $vgpr102_vgpr103
	s_mov_b64 s[74:75], exec
	v_writelane_b32 v42, s74, 10
	s_and_b64 vcc, s[74:75], vcc
	v_writelane_b32 v42, s75, 11
	s_mov_b64 exec, vcc
	s_cbranch_execz .LBB14_4752
; %bb.4671:
	v_readlane_b32 s4, v44, 1
	v_add_u32_e32 v3, s4, v13
	v_mul_lo_u32 v3, v3, v12
	v_add_co_u32_e32 v102, vcc, v0, v3
	v_addc_co_u32_e32 v103, vcc, 0, v1, vcc
	v_and_b32_e32 v5, 0xff, v11
	s_mov_b64 s[84:85], -1
	s_mov_b64 s[82:83], 0
	s_mov_b64 s[86:87], s[96:97]
	;; [unrolled: 1-line block ×3, first 2 shown]
	v_cmp_lt_i16_e32 vcc, 10, v5
	s_mov_b64 s[4:5], exec
	v_writelane_b32 v42, s4, 12
	v_writelane_b32 v42, s5, 13
	s_and_b64 s[4:5], s[4:5], vcc
	s_mov_b64 exec, s[4:5]
	s_cbranch_execz .LBB14_4751
; %bb.4672:
	s_mov_b64 s[4:5], 0
	v_writelane_b32 v42, s4, 14
	v_writelane_b32 v42, s5, 15
	s_mov_b64 s[74:75], 0
	v_cmp_lt_i16_e32 vcc, 25, v5
	s_mov_b64 s[4:5], s[96:97]
	v_writelane_b32 v42, s74, 16
	v_writelane_b32 v42, s75, 17
	s_and_saveexec_b64 s[74:75], vcc
	s_xor_b64 s[92:93], exec, s[74:75]
	s_cbranch_execz .LBB14_4708
; %bb.4673:
	v_cmp_lt_i16_e32 vcc, 28, v5
	s_mov_b64 s[4:5], 0
	s_mov_b64 s[88:89], s[96:97]
	s_and_saveexec_b64 s[74:75], vcc
	s_xor_b64 s[76:77], exec, s[74:75]
	s_cbranch_execz .LBB14_4691
; %bb.4674:
	v_cmp_lt_i16_e32 vcc, 43, v5
	s_mov_b64 s[84:85], s[96:97]
	s_and_saveexec_b64 s[74:75], vcc
	s_xor_b64 s[74:75], exec, s[74:75]
	v_writelane_b32 v42, s74, 20
	v_writelane_b32 v42, s75, 21
	s_cbranch_execz .LBB14_4686
; %bb.4675:
	v_cmp_lt_i16_e32 vcc, 45, v5
	s_mov_b64 s[84:85], 0
	s_mov_b64 s[86:87], s[96:97]
	s_and_saveexec_b64 s[4:5], vcc
	s_xor_b64 s[4:5], exec, s[4:5]
	s_cbranch_execz .LBB14_4679
; %bb.4676:
	v_cmp_eq_u16_e32 vcc, 46, v5
	s_mov_b64 s[86:87], -1
	s_and_saveexec_b64 s[82:83], vcc
	s_cbranch_execz .LBB14_4678
; %bb.4677:
	v_bfe_u32 v0, v2, 16, 1
	s_movk_i32 vcc_lo, 0x7fff
	v_add3_u32 v0, v2, v0, vcc_lo
	v_lshrrev_b32_e32 v0, 16, v0
	v_mov_b32_e32 v1, 0x7fc0
	v_cmp_o_f32_e32 vcc, v2, v2
	v_cndmask_b32_e32 v0, v1, v0, vcc
	s_mov_b64 s[80:81], exec
	flat_store_dword v[102:103], v0
	s_xor_b64 s[86:87], exec, -1
.LBB14_4678:
	s_or_b64 exec, exec, s[82:83]
	s_andn2_b64 vcc, s[96:97], exec
	s_and_b64 s[74:75], s[86:87], exec
	s_and_b64 s[84:85], s[80:81], exec
	s_or_b64 s[86:87], vcc, s[74:75]
.LBB14_4679:
	s_andn2_saveexec_b64 s[88:89], s[4:5]
	s_cbranch_execz .LBB14_4685
; %bb.4680:
	v_cmp_eq_u16_e32 vcc, 44, v5
	s_mov_b64 s[4:5], -1
	s_mov_b64 s[78:79], s[84:85]
	s_and_saveexec_b64 s[80:81], vcc
	s_cbranch_execz .LBB14_4684
; %bb.4681:
	v_bfe_u32 v0, v2, 23, 8
	s_movk_i32 s4, 0xff
	v_cmp_ne_u32_e32 vcc, s4, v0
	v_mov_b32_e32 v1, 0xff
	s_and_saveexec_b64 s[82:83], vcc
; %bb.4682:
	s_mov_b32 s4, 0x3fffff
	v_and_b32_e32 v3, 0x400000, v2
	v_and_or_b32 v0, v2, s4, v0
	v_cmp_ne_u32_e32 vcc, 0, v3
	v_cmp_ne_u32_e64 s[4:5], 0, v0
	s_and_b64 s[4:5], vcc, s[4:5]
	v_lshrrev_b32_e32 v1, 23, v2
	v_cndmask_b32_e64 v0, 0, 1, s[4:5]
	v_add_u32_e32 v1, v1, v0
; %bb.4683:
	s_or_b64 exec, exec, s[82:83]
	s_or_b64 s[78:79], s[84:85], exec
	s_xor_b64 s[4:5], exec, -1
	flat_store_byte v[102:103], v1
.LBB14_4684:
	s_or_b64 exec, exec, s[80:81]
	s_andn2_b64 vcc, s[84:85], exec
	s_and_b64 s[74:75], s[78:79], exec
	s_or_b64 s[84:85], vcc, s[74:75]
	s_andn2_b64 vcc, s[86:87], exec
	s_and_b64 s[4:5], s[4:5], exec
	s_or_b64 s[86:87], vcc, s[4:5]
.LBB14_4685:
	s_or_b64 exec, exec, s[88:89]
	s_andn2_b64 vcc, s[96:97], exec
	s_and_b64 s[74:75], s[86:87], exec
	s_and_b64 s[4:5], s[84:85], exec
	s_or_b64 s[84:85], vcc, s[74:75]
.LBB14_4686:
	v_readlane_b32 vcc_lo, v42, 20
	v_readlane_b32 vcc_hi, v42, 21
	s_andn2_saveexec_b64 s[86:87], vcc
	s_cbranch_execz .LBB14_4690
; %bb.4687:
	v_cmp_eq_u16_e32 vcc, 29, v5
	s_mov_b64 s[82:83], -1
	s_mov_b64 s[78:79], s[4:5]
	s_and_saveexec_b64 s[80:81], vcc
	s_cbranch_execz .LBB14_4689
; %bb.4688:
	v_trunc_f32_e32 v0, v2
	v_mul_f32_e32 v1, 0x2f800000, v0
	v_floor_f32_e32 v3, v1
	v_fmac_f32_e32 v0, 0xcf800000, v3
	v_cvt_u32_f32_e32 v1, v3
	v_cvt_u32_f32_e32 v0, v0
	s_or_b64 s[78:79], s[4:5], exec
	s_xor_b64 s[82:83], exec, -1
	flat_store_dwordx2 v[102:103], v[0:1]
.LBB14_4689:
	s_or_b64 exec, exec, s[80:81]
	s_andn2_b64 s[4:5], s[4:5], exec
	s_and_b64 vcc, s[78:79], exec
	s_or_b64 s[4:5], s[4:5], vcc
	s_andn2_b64 vcc, s[84:85], exec
	s_and_b64 s[74:75], s[82:83], exec
	s_or_b64 s[84:85], vcc, s[74:75]
.LBB14_4690:
	s_or_b64 exec, exec, s[86:87]
	s_andn2_b64 vcc, s[96:97], exec
	s_and_b64 s[74:75], s[84:85], exec
	s_and_b64 s[4:5], s[4:5], exec
	s_or_b64 s[88:89], vcc, s[74:75]
.LBB14_4691:
	s_andn2_saveexec_b64 s[78:79], s[76:77]
	s_cbranch_execz .LBB14_4707
; %bb.4692:
	v_cmp_lt_i16_e32 vcc, 26, v5
	s_and_saveexec_b64 s[74:75], vcc
	s_xor_b64 s[80:81], exec, s[74:75]
	s_cbranch_execz .LBB14_4698
; %bb.4693:
	v_cvt_u32_f32_e32 v0, v2
	v_cmp_lt_i16_e32 vcc, 27, v5
	s_and_saveexec_b64 s[74:75], vcc
	s_xor_b64 vcc, exec, s[74:75]
	s_cbranch_execz .LBB14_4695
; %bb.4694:
	flat_store_dword v[102:103], v0
                                        ; implicit-def: $vgpr0
.LBB14_4695:
	s_andn2_saveexec_b64 vcc, vcc
	s_cbranch_execz .LBB14_4697
; %bb.4696:
	flat_store_short v[102:103], v0
.LBB14_4697:
	s_or_b64 exec, exec, vcc
.LBB14_4698:
	s_andn2_saveexec_b64 s[84:85], s[80:81]
	s_cbranch_execz .LBB14_4706
; %bb.4699:
	v_and_b32_e32 v0, 0x7fffffff, v2
	s_mov_b32 vcc_lo, 0x43800000
	v_cmp_gt_u32_e32 vcc, vcc_lo, v0
	v_mov_b32_e32 v1, 0x80
	s_and_saveexec_b64 s[86:87], vcc
	s_cbranch_execz .LBB14_4705
; %bb.4700:
	s_mov_b32 vcc_lo, 0x3bffffff
	v_cmp_lt_u32_e32 vcc, vcc_lo, v0
	s_mov_b64 s[82:83], 0
                                        ; implicit-def: $vgpr0
	s_and_saveexec_b64 s[74:75], vcc
	s_xor_b64 vcc, exec, s[74:75]
	s_cbranch_execnz .LBB14_8003
; %bb.4701:
	s_or_saveexec_b64 s[80:81], vcc
                                        ; implicit-def: $sgpr76
	s_xor_b64 exec, exec, s[80:81]
	s_cbranch_execnz .LBB14_8004
.LBB14_4702:
	s_or_b64 exec, exec, s[80:81]
	v_mov_b32_e32 v1, s76
	s_and_saveexec_b64 vcc, s[82:83]
.LBB14_4703:
	v_lshrrev_b32_e32 v1, 24, v2
	s_movk_i32 s74, 0x80
	v_and_or_b32 v1, v1, s74, v0
.LBB14_4704:
	s_or_b64 exec, exec, vcc
.LBB14_4705:
	s_or_b64 exec, exec, s[86:87]
	flat_store_byte v[102:103], v1
.LBB14_4706:
	s_or_b64 exec, exec, s[84:85]
	s_or_b64 s[4:5], s[4:5], exec
.LBB14_4707:
	s_or_b64 exec, exec, s[78:79]
	s_and_b64 s[4:5], s[4:5], exec
	v_writelane_b32 v42, s4, 16
	v_writelane_b32 v42, s5, 17
	s_andn2_b64 s[4:5], s[96:97], exec
	s_and_b64 vcc, s[88:89], exec
	s_or_b64 s[4:5], s[4:5], vcc
.LBB14_4708:
	s_or_saveexec_b64 vcc, s[92:93]
	v_writelane_b32 v42, vcc_lo, 18
	v_writelane_b32 v42, vcc_hi, 19
	s_xor_b64 exec, exec, vcc
	s_cbranch_execz .LBB14_4750
; %bb.4709:
	v_readlane_b32 s86, v42, 16
	v_cmp_lt_i16_e32 vcc, 22, v5
	v_readlane_b32 s87, v42, 17
	s_and_saveexec_b64 s[74:75], vcc
	s_xor_b64 s[88:89], exec, s[74:75]
	s_cbranch_execz .LBB14_4741
; %bb.4710:
	v_cmp_lt_i16_e32 vcc, 23, v5
	s_and_saveexec_b64 s[74:75], vcc
	s_xor_b64 s[82:83], exec, s[74:75]
	s_cbranch_execz .LBB14_4730
; %bb.4711:
	v_cmp_lt_i16_e32 vcc, 24, v5
	s_and_saveexec_b64 s[74:75], vcc
	s_xor_b64 s[84:85], exec, s[74:75]
	s_cbranch_execz .LBB14_4719
; %bb.4712:
	v_and_b32_e32 v0, 0x7fffffff, v2
	s_mov_b32 vcc_lo, 0x47800000
	v_cmp_gt_u32_e32 vcc, vcc_lo, v0
	v_mov_b32_e32 v1, 0x80
	s_and_saveexec_b64 s[86:87], vcc
	s_cbranch_execz .LBB14_4718
; %bb.4713:
	s_mov_b32 vcc_lo, 0x37ffffff
	v_cmp_lt_u32_e32 vcc, vcc_lo, v0
	s_mov_b64 s[78:79], 0
                                        ; implicit-def: $vgpr0
	s_and_saveexec_b64 s[74:75], vcc
	s_xor_b64 vcc, exec, s[74:75]
	s_cbranch_execnz .LBB14_8007
; %bb.4714:
	s_or_saveexec_b64 s[80:81], vcc
                                        ; implicit-def: $sgpr76
	s_xor_b64 exec, exec, s[80:81]
	s_cbranch_execnz .LBB14_8008
.LBB14_4715:
	s_or_b64 exec, exec, s[80:81]
	v_mov_b32_e32 v1, s76
	s_and_saveexec_b64 vcc, s[78:79]
.LBB14_4716:
	v_lshrrev_b32_e32 v1, 24, v2
	s_movk_i32 s74, 0x80
	v_and_or_b32 v1, v1, s74, v0
.LBB14_4717:
	s_or_b64 exec, exec, vcc
.LBB14_4718:
	s_or_b64 exec, exec, s[86:87]
	flat_store_byte v[102:103], v1
.LBB14_4719:
	s_andn2_saveexec_b64 s[84:85], s[84:85]
	s_cbranch_execz .LBB14_4729
; %bb.4720:
	v_and_b32_e32 v1, 0x7fffffff, v2
	s_mov_b32 vcc_lo, 0x43f00000
	v_cmp_gt_u32_e32 vcc, vcc_lo, v1
                                        ; implicit-def: $vgpr0
	s_and_saveexec_b64 s[74:75], vcc
	s_xor_b64 s[86:87], exec, s[74:75]
	s_cbranch_execz .LBB14_4726
; %bb.4721:
	s_mov_b32 vcc_lo, 0x3c7fffff
	v_cmp_lt_u32_e32 vcc, vcc_lo, v1
                                        ; implicit-def: $vgpr0
	s_and_saveexec_b64 s[74:75], vcc
	s_xor_b64 s[78:79], exec, s[74:75]
; %bb.4722:
	v_bfe_u32 v0, v2, 20, 1
	s_mov_b32 vcc_lo, 0x407ffff
	v_add3_u32 v0, v2, v0, vcc_lo
	v_lshrrev_b32_e32 v1, 20, v0
	v_and_b32_e32 v0, 0xff00000, v0
	s_mov_b32 vcc_lo, 0x7f00000
	v_mov_b32_e32 v3, 0x7e
	v_cmp_ne_u32_e32 vcc, vcc_lo, v0
	v_cndmask_b32_e32 v0, v3, v1, vcc
; %bb.4723:
	s_andn2_saveexec_b64 vcc, s[78:79]
; %bb.4724:
	s_mov_b32 s74, 0x46800000
	v_add_f32_e64 v0, |v2|, s74
; %bb.4725:
	s_or_b64 exec, exec, vcc
                                        ; implicit-def: $vgpr1
.LBB14_4726:
	s_andn2_saveexec_b64 s[80:81], s[86:87]
; %bb.4727:
	s_mov_b32 vcc_lo, 0x7f800000
	v_mov_b32_e32 v0, 0x7e
	v_mov_b32_e32 v3, 0x7f
	v_cmp_lt_u32_e32 vcc, vcc_lo, v1
	v_cndmask_b32_e32 v0, v0, v3, vcc
; %bb.4728:
	s_or_b64 exec, exec, s[80:81]
	v_lshrrev_b32_e32 v1, 24, v2
	s_movk_i32 vcc_lo, 0x80
	v_and_or_b32 v0, v1, vcc_lo, v0
	flat_store_byte v[102:103], v0
.LBB14_4729:
	s_or_b64 exec, exec, s[84:85]
.LBB14_4730:
	s_andn2_saveexec_b64 s[84:85], s[82:83]
	s_cbranch_execz .LBB14_4740
; %bb.4731:
	v_and_b32_e32 v1, 0x7fffffff, v2
	s_mov_b32 vcc_lo, 0x47800000
	v_cmp_gt_u32_e32 vcc, vcc_lo, v1
                                        ; implicit-def: $vgpr0
	s_and_saveexec_b64 s[74:75], vcc
	s_xor_b64 s[82:83], exec, s[74:75]
	s_cbranch_execz .LBB14_4737
; %bb.4732:
	s_mov_b32 vcc_lo, 0x387fffff
	v_cmp_lt_u32_e32 vcc, vcc_lo, v1
                                        ; implicit-def: $vgpr0
	s_and_saveexec_b64 s[74:75], vcc
	s_xor_b64 vcc, exec, s[74:75]
; %bb.4733:
	v_bfe_u32 v0, v2, 21, 1
	s_mov_b32 s74, 0x80fffff
	v_add3_u32 v0, v2, v0, s74
	v_lshrrev_b32_e32 v0, 21, v0
; %bb.4734:
	s_andn2_saveexec_b64 vcc, vcc
; %bb.4735:
	s_mov_b32 s74, 0x43000000
	v_add_f32_e64 v0, |v2|, s74
; %bb.4736:
	s_or_b64 exec, exec, vcc
                                        ; implicit-def: $vgpr1
.LBB14_4737:
	s_andn2_saveexec_b64 s[80:81], s[82:83]
; %bb.4738:
	s_mov_b32 vcc_lo, 0x7f800000
	v_mov_b32_e32 v0, 0x7c
	v_mov_b32_e32 v3, 0x7f
	v_cmp_lt_u32_e32 vcc, vcc_lo, v1
	v_cndmask_b32_e32 v0, v0, v3, vcc
; %bb.4739:
	s_or_b64 exec, exec, s[80:81]
	v_lshrrev_b32_e32 v1, 24, v2
	s_movk_i32 vcc_lo, 0x80
	v_and_or_b32 v0, v1, vcc_lo, v0
	flat_store_byte v[102:103], v0
.LBB14_4740:
	s_or_b64 exec, exec, s[84:85]
	v_readlane_b32 vcc_lo, v42, 16
	v_readlane_b32 vcc_hi, v42, 17
	s_or_b64 s[86:87], vcc, exec
.LBB14_4741:
	s_or_saveexec_b64 s[88:89], s[88:89]
	s_mov_b64 vcc, 0
	s_mov_b64 s[80:81], s[4:5]
	s_xor_b64 exec, exec, s[88:89]
	s_cbranch_execz .LBB14_4749
; %bb.4742:
	v_cmp_lt_i16_e32 vcc, 14, v5
	s_mov_b64 s[84:85], s[4:5]
	s_mov_b64 s[92:93], s[86:87]
	s_and_saveexec_b64 s[74:75], vcc
	s_xor_b64 s[82:83], exec, s[74:75]
	s_cbranch_execz .LBB14_4746
; %bb.4743:
	v_cmp_eq_u16_e32 vcc, 15, v5
	s_mov_b64 s[84:85], -1
	s_mov_b64 s[78:79], s[86:87]
	s_and_saveexec_b64 s[80:81], vcc
	s_cbranch_execz .LBB14_4745
; %bb.4744:
	v_bfe_u32 v0, v2, 16, 1
	s_movk_i32 vcc_lo, 0x7fff
	v_add3_u32 v0, v2, v0, vcc_lo
	v_lshrrev_b32_e32 v0, 16, v0
	v_mov_b32_e32 v1, 0x7fc0
	v_cmp_o_f32_e32 vcc, v2, v2
	v_cndmask_b32_e32 v0, v1, v0, vcc
	flat_store_short v[102:103], v0
	s_or_b64 s[78:79], s[86:87], exec
	s_xor_b64 s[84:85], exec, -1
.LBB14_4745:
	s_or_b64 exec, exec, s[80:81]
	s_andn2_b64 vcc, s[86:87], exec
	s_and_b64 s[74:75], s[78:79], exec
	s_or_b64 s[92:93], vcc, s[74:75]
	s_andn2_b64 vcc, s[4:5], exec
	s_and_b64 s[74:75], s[84:85], exec
	s_or_b64 s[84:85], vcc, s[74:75]
.LBB14_4746:
	s_or_saveexec_b64 s[80:81], s[82:83]
	s_mov_b64 s[82:83], 0
	s_xor_b64 exec, exec, s[80:81]
; %bb.4747:
	v_cmp_ne_u16_e32 vcc, 11, v5
	s_andn2_b64 s[74:75], s[84:85], exec
	s_and_b64 vcc, vcc, exec
	s_mov_b64 s[82:83], exec
	s_or_b64 s[84:85], s[74:75], vcc
; %bb.4748:
	s_or_b64 exec, exec, s[80:81]
	s_andn2_b64 vcc, s[86:87], exec
	s_and_b64 s[76:77], s[92:93], exec
	s_or_b64 s[86:87], vcc, s[76:77]
	s_andn2_b64 s[76:77], s[4:5], exec
	s_and_b64 s[78:79], s[84:85], exec
	s_and_b64 vcc, s[82:83], exec
	s_or_b64 s[80:81], s[76:77], s[78:79]
.LBB14_4749:
	s_or_b64 exec, exec, s[88:89]
	v_readlane_b32 s74, v42, 16
	v_readlane_b32 s75, v42, 17
	s_andn2_b64 s[74:75], s[74:75], exec
	s_and_b64 s[76:77], s[86:87], exec
	s_or_b64 s[74:75], s[74:75], s[76:77]
	v_writelane_b32 v42, s74, 16
	v_writelane_b32 v42, s75, 17
	s_and_b64 vcc, vcc, exec
	v_writelane_b32 v42, vcc_lo, 14
	v_writelane_b32 v42, vcc_hi, 15
	s_andn2_b64 s[4:5], s[4:5], exec
	s_and_b64 vcc, s[80:81], exec
	s_or_b64 s[4:5], s[4:5], vcc
.LBB14_4750:
	v_readlane_b32 vcc_lo, v42, 18
	v_readlane_b32 vcc_hi, v42, 19
	s_or_b64 exec, exec, vcc
	v_readlane_b32 vcc_lo, v42, 16
	v_readlane_b32 vcc_hi, v42, 17
	s_and_b64 s[80:81], vcc, exec
	v_readlane_b32 vcc_lo, v42, 14
	v_readlane_b32 vcc_hi, v42, 15
	s_and_b64 s[82:83], vcc, exec
	s_andn2_b64 vcc, s[96:97], exec
	s_and_b64 s[4:5], s[4:5], exec
	s_xor_b64 s[84:85], exec, -1
	s_or_b64 s[86:87], vcc, s[4:5]
.LBB14_4751:
	v_readlane_b32 s4, v42, 12
	v_readlane_b32 s5, v42, 13
	s_or_b64 exec, exec, s[4:5]
	s_andn2_b64 vcc, s[96:97], exec
	s_and_b64 s[74:75], s[86:87], exec
	s_orn2_b64 s[80:81], s[80:81], exec
	s_and_b64 s[84:85], s[84:85], exec
	s_and_b64 s[4:5], s[82:83], exec
	s_or_b64 s[82:83], vcc, s[74:75]
.LBB14_4752:
	v_readlane_b32 vcc_lo, v42, 10
	v_readlane_b32 vcc_hi, v42, 11
	s_or_b64 exec, exec, vcc
	s_andn2_b64 s[74:75], s[96:97], exec
	s_and_b64 s[76:77], s[82:83], exec
	s_and_b64 s[80:81], s[80:81], exec
	s_and_b64 vcc, s[84:85], exec
	s_and_b64 s[4:5], s[4:5], exec
	s_or_b64 s[96:97], s[74:75], s[76:77]
.LBB14_4753:
	s_or_b64 exec, exec, s[90:91]
	v_readlane_b32 s74, v43, 62
	v_readlane_b32 s75, v43, 63
	s_andn2_b64 s[74:75], s[74:75], exec
	s_and_b64 s[76:77], s[96:97], exec
	s_or_b64 s[74:75], s[74:75], s[76:77]
	s_and_b64 s[80:81], s[80:81], exec
	s_and_b64 vcc, vcc, exec
	s_and_b64 s[4:5], s[4:5], exec
	v_writelane_b32 v43, s74, 62
	v_writelane_b32 v43, s75, 63
.LBB14_4754:
	v_readlane_b32 s74, v42, 0
	v_readlane_b32 s75, v42, 1
	s_or_b64 exec, exec, s[74:75]
	v_readlane_b32 s74, v43, 54
	v_readlane_b32 s76, v43, 62
	;; [unrolled: 1-line block ×4, first 2 shown]
	s_andn2_b64 s[74:75], s[74:75], exec
	s_and_b64 s[76:77], s[76:77], exec
	s_or_b64 s[74:75], s[74:75], s[76:77]
	s_and_b64 s[80:81], s[80:81], exec
	s_and_b64 vcc, vcc, exec
	s_and_b64 s[4:5], s[4:5], exec
	v_writelane_b32 v43, s74, 54
	v_writelane_b32 v43, s75, 55
.LBB14_4755:
	v_readlane_b32 s74, v43, 56
	v_readlane_b32 s75, v43, 57
	s_or_b64 exec, exec, s[74:75]
	v_readlane_b32 s74, v43, 46
	v_readlane_b32 s76, v43, 54
	;; [unrolled: 1-line block ×4, first 2 shown]
	s_andn2_b64 s[74:75], s[74:75], exec
	s_and_b64 s[76:77], s[76:77], exec
	s_or_b64 s[74:75], s[74:75], s[76:77]
	s_and_b64 s[80:81], s[80:81], exec
	s_and_b64 vcc, vcc, exec
	s_and_b64 s[4:5], s[4:5], exec
	v_writelane_b32 v43, s74, 46
	v_writelane_b32 v43, s75, 47
.LBB14_4756:
	v_readlane_b32 s74, v43, 48
	v_readlane_b32 s75, v43, 49
	s_or_b64 exec, exec, s[74:75]
	v_readlane_b32 s74, v43, 38
	v_readlane_b32 s76, v43, 46
	;; [unrolled: 1-line block ×4, first 2 shown]
	s_andn2_b64 s[74:75], s[74:75], exec
	s_and_b64 s[76:77], s[76:77], exec
	s_or_b64 s[74:75], s[74:75], s[76:77]
	s_and_b64 s[80:81], s[80:81], exec
	s_and_b64 vcc, vcc, exec
	s_and_b64 s[4:5], s[4:5], exec
	v_writelane_b32 v43, s74, 38
	v_writelane_b32 v43, s75, 39
.LBB14_4757:
	v_readlane_b32 s74, v43, 40
	v_readlane_b32 s75, v43, 41
	s_or_b64 exec, exec, s[74:75]
	v_readlane_b32 s74, v43, 30
	v_readlane_b32 s76, v43, 38
	;; [unrolled: 1-line block ×4, first 2 shown]
	s_andn2_b64 s[74:75], s[74:75], exec
	s_and_b64 s[76:77], s[76:77], exec
	s_or_b64 s[74:75], s[74:75], s[76:77]
	s_and_b64 s[80:81], s[80:81], exec
	s_and_b64 vcc, vcc, exec
	s_and_b64 s[4:5], s[4:5], exec
	v_writelane_b32 v43, s74, 30
	v_writelane_b32 v43, s75, 31
.LBB14_4758:
	v_readlane_b32 s74, v43, 32
	v_readlane_b32 s75, v43, 33
	s_or_b64 exec, exec, s[74:75]
	v_readlane_b32 s76, v43, 30
	v_readlane_b32 s77, v43, 31
	s_andn2_b64 s[74:75], s[94:95], exec
	s_and_b64 s[76:77], s[76:77], exec
	s_and_b64 s[80:81], s[80:81], exec
	s_and_b64 vcc, vcc, exec
	s_and_b64 s[4:5], s[4:5], exec
	s_or_b64 s[94:95], s[74:75], s[76:77]
.LBB14_4759:
	v_readlane_b32 s74, v43, 26
	v_readlane_b32 s75, v43, 27
	s_or_b64 exec, exec, s[74:75]
	v_readlane_b32 s74, v43, 22
	v_readlane_b32 s75, v43, 23
	s_andn2_b64 s[74:75], s[74:75], exec
	s_and_b64 s[76:77], s[94:95], exec
	s_or_b64 s[74:75], s[74:75], s[76:77]
	s_and_b64 s[80:81], s[80:81], exec
	s_and_b64 vcc, vcc, exec
	s_and_b64 s[4:5], s[4:5], exec
	v_writelane_b32 v43, s74, 22
	v_writelane_b32 v43, s75, 23
.LBB14_4760:
	v_readlane_b32 s74, v43, 24
	v_readlane_b32 s75, v43, 25
	s_or_b64 exec, exec, s[74:75]
	v_readlane_b32 s74, v43, 18
	v_readlane_b32 s76, v43, 22
	;; [unrolled: 1-line block ×4, first 2 shown]
	s_andn2_b64 s[74:75], s[74:75], exec
	s_and_b64 s[76:77], s[76:77], exec
	s_or_b64 s[74:75], s[74:75], s[76:77]
	s_and_b64 s[80:81], s[80:81], exec
	s_and_b64 vcc, vcc, exec
	s_and_b64 s[4:5], s[4:5], exec
	v_writelane_b32 v43, s74, 18
	v_writelane_b32 v43, s75, 19
.LBB14_4761:
	v_readlane_b32 s74, v43, 20
	v_readlane_b32 s75, v43, 21
	s_or_b64 exec, exec, s[74:75]
	v_readlane_b32 s74, v43, 14
	v_readlane_b32 s76, v43, 18
	v_readlane_b32 s75, v43, 15
	v_readlane_b32 s77, v43, 19
	s_andn2_b64 s[74:75], s[74:75], exec
	s_and_b64 s[76:77], s[76:77], exec
	s_or_b64 s[74:75], s[74:75], s[76:77]
	s_and_b64 s[80:81], s[80:81], exec
	s_and_b64 vcc, vcc, exec
	s_and_b64 s[4:5], s[4:5], exec
	v_writelane_b32 v43, s74, 14
	v_writelane_b32 v43, s75, 15
.LBB14_4762:
	v_readlane_b32 s74, v43, 16
	v_readlane_b32 s75, v43, 17
	s_or_b64 exec, exec, s[74:75]
	v_readlane_b32 s74, v43, 10
	v_readlane_b32 s76, v43, 14
	;; [unrolled: 1-line block ×4, first 2 shown]
	s_andn2_b64 s[74:75], s[74:75], exec
	s_and_b64 s[76:77], s[76:77], exec
	s_or_b64 s[74:75], s[74:75], s[76:77]
	s_and_b64 s[80:81], s[80:81], exec
	s_and_b64 vcc, vcc, exec
	s_and_b64 s[4:5], s[4:5], exec
	v_writelane_b32 v43, s74, 10
	v_writelane_b32 v43, s75, 11
.LBB14_4763:
	v_readlane_b32 s74, v43, 12
	v_readlane_b32 s75, v43, 13
	s_or_b64 exec, exec, s[74:75]
	v_readlane_b32 s74, v43, 10
	v_readlane_b32 s75, v43, 11
	s_andn2_b64 s[70:71], s[70:71], exec
	s_and_b64 s[74:75], s[74:75], exec
	s_and_b64 s[76:77], s[80:81], exec
	s_and_b64 vcc, vcc, exec
	s_and_b64 s[4:5], s[4:5], exec
	s_or_b64 s[70:71], s[70:71], s[74:75]
.LBB14_4764:
	s_or_b64 exec, exec, s[72:73]
	s_andn2_b64 s[66:67], s[66:67], exec
	s_and_b64 s[70:71], s[70:71], exec
	s_and_b64 s[72:73], s[76:77], exec
	s_and_b64 vcc, vcc, exec
	s_and_b64 s[4:5], s[4:5], exec
	s_or_b64 s[66:67], s[66:67], s[70:71]
.LBB14_4765:
	s_or_b64 exec, exec, s[68:69]
	s_andn2_b64 s[62:63], s[62:63], exec
	s_and_b64 s[66:67], s[66:67], exec
	s_and_b64 s[68:69], s[72:73], exec
	s_and_b64 vcc, vcc, exec
	s_and_b64 s[4:5], s[4:5], exec
	s_or_b64 s[62:63], s[62:63], s[66:67]
.LBB14_4766:
	s_or_b64 exec, exec, s[64:65]
	s_andn2_b64 s[58:59], s[58:59], exec
	s_and_b64 s[62:63], s[62:63], exec
	s_and_b64 s[64:65], s[68:69], exec
	s_and_b64 vcc, vcc, exec
	s_and_b64 s[4:5], s[4:5], exec
	s_or_b64 s[58:59], s[58:59], s[62:63]
.LBB14_4767:
	s_or_b64 exec, exec, s[60:61]
	s_andn2_b64 s[54:55], s[54:55], exec
	s_and_b64 s[58:59], s[58:59], exec
	s_and_b64 s[60:61], s[64:65], exec
	s_and_b64 vcc, vcc, exec
	s_and_b64 s[4:5], s[4:5], exec
	s_or_b64 s[54:55], s[54:55], s[58:59]
.LBB14_4768:
	s_or_b64 exec, exec, s[56:57]
	s_andn2_b64 s[50:51], s[50:51], exec
	s_and_b64 s[54:55], s[54:55], exec
	s_and_b64 s[56:57], s[60:61], exec
	s_and_b64 vcc, vcc, exec
	s_and_b64 s[4:5], s[4:5], exec
	s_or_b64 s[50:51], s[50:51], s[54:55]
.LBB14_4769:
	s_or_b64 exec, exec, s[52:53]
	s_andn2_b64 s[46:47], s[46:47], exec
	s_and_b64 s[50:51], s[50:51], exec
	s_and_b64 s[52:53], s[56:57], exec
	s_and_b64 vcc, vcc, exec
	s_and_b64 s[4:5], s[4:5], exec
	s_or_b64 s[46:47], s[46:47], s[50:51]
.LBB14_4770:
	s_or_b64 exec, exec, s[48:49]
	s_andn2_b64 s[42:43], s[42:43], exec
	s_and_b64 s[46:47], s[46:47], exec
	s_and_b64 s[48:49], s[52:53], exec
	s_and_b64 vcc, vcc, exec
	s_and_b64 s[4:5], s[4:5], exec
	s_or_b64 s[42:43], s[42:43], s[46:47]
.LBB14_4771:
	s_or_b64 exec, exec, s[44:45]
	s_and_b64 s[44:45], vcc, exec
	s_and_b64 vcc, s[4:5], exec
	v_readlane_b32 s4, v43, 4
	v_readlane_b32 s5, v43, 5
	s_andn2_b64 s[4:5], s[4:5], exec
	s_and_b64 s[42:43], s[42:43], exec
	s_or_b64 s[42:43], s[4:5], s[42:43]
	v_readlane_b32 s4, v43, 8
	v_readlane_b32 s50, v43, 6
	s_and_b64 s[46:47], s[48:49], exec
	v_readlane_b32 s5, v43, 9
	v_readlane_b32 s51, v43, 7
.LBB14_4772:
	s_or_b64 exec, exec, s[50:51]
	s_and_b64 s[48:49], s[44:45], exec
	s_and_b64 s[44:45], vcc, exec
	s_andn2_b64 vcc, s[40:41], exec
	s_and_b64 s[40:41], s[42:43], exec
	s_and_b64 s[50:51], s[46:47], exec
	s_or_b64 s[40:41], vcc, s[40:41]
	v_readlane_b32 vcc_lo, v44, 56
	v_readlane_b32 s42, v44, 60
	v_readlane_b32 s46, v43, 0
	;; [unrolled: 1-line block ×3, first 2 shown]
	v_readlane_b32 vcc_hi, v44, 57
	v_readlane_b32 s43, v44, 61
	v_readlane_b32 s47, v43, 1
	v_readlane_b32 s53, v43, 3
.LBB14_4773:
	s_or_b64 exec, exec, s[52:53]
	v_readlane_b32 s52, v44, 62
	v_readlane_b32 s53, v44, 63
	s_andn2_b64 s[52:53], s[52:53], exec
	s_and_b64 s[40:41], s[40:41], exec
	s_or_b64 s[40:41], s[52:53], s[40:41]
	s_and_b64 s[50:51], s[50:51], exec
	s_and_b64 s[48:49], s[48:49], exec
	;; [unrolled: 1-line block ×3, first 2 shown]
	v_writelane_b32 v44, s40, 62
	v_writelane_b32 v44, s41, 63
.LBB14_4774:
	s_or_b64 exec, exec, s[46:47]
	s_and_b64 s[40:41], s[44:45], exec
	v_readlane_b32 s44, v44, 58
	v_readlane_b32 s45, v44, 59
	s_and_b64 s[46:47], s[48:49], exec
	s_andn2_b64 s[48:49], s[44:45], exec
	v_readlane_b32 s44, v44, 62
	v_readlane_b32 s45, v44, 63
	s_and_b64 s[44:45], s[44:45], exec
	s_or_b64 s[44:45], s[48:49], s[44:45]
	s_and_b64 s[50:51], s[50:51], exec
	v_writelane_b32 v44, s44, 58
	v_writelane_b32 v44, s45, 59
.LBB14_4775:
	s_or_b64 exec, exec, s[42:43]
	s_and_b64 s[42:43], s[46:47], exec
	s_andn2_b64 s[46:47], s[38:39], exec
	v_readlane_b32 s38, v44, 58
	v_readlane_b32 s39, v44, 59
	s_and_b64 s[38:39], s[38:39], exec
	s_and_b64 s[44:45], s[50:51], exec
	;; [unrolled: 1-line block ×3, first 2 shown]
	s_or_b64 s[38:39], s[46:47], s[38:39]
.LBB14_4776:
	s_or_b64 exec, exec, vcc
	s_andn2_b64 s[34:35], s[34:35], exec
	s_and_b64 s[38:39], s[38:39], exec
	s_and_b64 s[44:45], s[44:45], exec
	s_and_b64 s[42:43], s[42:43], exec
	s_and_b64 vcc, s[40:41], exec
	s_or_b64 s[34:35], s[34:35], s[38:39]
.LBB14_4777:
	s_or_b64 exec, exec, s[36:37]
	s_andn2_b64 s[4:5], s[4:5], exec
	s_and_b64 s[34:35], s[34:35], exec
	s_and_b64 s[38:39], s[44:45], exec
	s_and_b64 s[36:37], s[42:43], exec
	s_and_b64 vcc, vcc, exec
	s_or_b64 s[4:5], s[4:5], s[34:35]
.LBB14_4778:
	s_or_b64 exec, exec, s[30:31]
	s_andn2_b64 s[26:27], s[26:27], exec
	s_and_b64 s[4:5], s[4:5], exec
	s_and_b64 s[34:35], s[38:39], exec
	;; [unrolled: 1-line block ×3, first 2 shown]
	s_and_b64 vcc, vcc, exec
	s_or_b64 s[26:27], s[26:27], s[4:5]
.LBB14_4779:
	s_or_b64 exec, exec, s[28:29]
	s_andn2_b64 s[22:23], s[22:23], exec
	s_and_b64 s[26:27], s[26:27], exec
	s_and_b64 s[34:35], s[34:35], exec
	;; [unrolled: 1-line block ×3, first 2 shown]
	s_and_b64 s[4:5], vcc, exec
	s_or_b64 s[22:23], s[22:23], s[26:27]
.LBB14_4780:
	s_or_b64 exec, exec, s[24:25]
	s_andn2_b64 s[18:19], s[18:19], exec
	s_and_b64 s[22:23], s[22:23], exec
	s_and_b64 s[26:27], s[34:35], exec
	;; [unrolled: 1-line block ×4, first 2 shown]
	s_or_b64 s[18:19], s[18:19], s[22:23]
.LBB14_4781:
	s_or_b64 exec, exec, s[20:21]
	s_and_b64 s[20:21], s[4:5], exec
	s_andn2_b64 s[4:5], s[14:15], exec
	s_and_b64 s[14:15], s[18:19], exec
	s_and_b64 s[26:27], s[26:27], exec
	;; [unrolled: 1-line block ×3, first 2 shown]
	s_or_b64 s[14:15], s[4:5], s[14:15]
.LBB14_4782:
	s_or_b64 exec, exec, s[16:17]
	s_andn2_b64 s[10:11], s[10:11], exec
	s_and_b64 s[14:15], s[14:15], exec
	s_and_b64 s[4:5], s[26:27], exec
	;; [unrolled: 1-line block ×4, first 2 shown]
	s_or_b64 s[10:11], s[10:11], s[14:15]
	s_or_b64 exec, exec, s[12:13]
	s_mov_b64 s[12:13], 0
	s_and_saveexec_b64 s[14:15], s[10:11]
	s_cbranch_execz .LBB14_3848
.LBB14_4783:
	s_mov_b64 s[12:13], exec
	s_andn2_b64 s[16:17], s[16:17], exec
	s_trap 2
	s_or_b64 exec, exec, s[14:15]
	s_and_saveexec_b64 s[10:11], s[16:17]
	s_xor_b64 s[10:11], exec, s[10:11]
	s_cbranch_execz .LBB14_3849
.LBB14_4784:
	v_mov_b32_e32 v0, 1
	s_or_b64 s[4:5], s[4:5], exec
	flat_store_byte v[102:103], v0
	s_or_b64 exec, exec, s[10:11]
	s_and_saveexec_b64 s[10:11], s[18:19]
	s_cbranch_execz .LBB14_4826
.LBB14_4785:
	v_cmp_lt_i16_e32 vcc, 4, v5
	s_and_saveexec_b64 s[14:15], vcc
	s_xor_b64 s[14:15], exec, s[14:15]
	s_cbranch_execz .LBB14_4807
; %bb.4786:
	v_cmp_lt_i16_e32 vcc, 7, v5
	s_and_saveexec_b64 s[16:17], vcc
	s_xor_b64 s[16:17], exec, s[16:17]
	s_cbranch_execz .LBB14_4796
; %bb.4787:
	;; [unrolled: 5-line block ×4, first 2 shown]
	v_cvt_f64_f32_e32 v[0:1], v2
	v_mov_b32_e32 v2, 0
	v_mov_b32_e32 v3, v2
	flat_store_dwordx4 v[102:103], v[0:3]
                                        ; implicit-def: $vgpr2
.LBB14_4790:
	s_andn2_saveexec_b64 s[20:21], s[20:21]
	s_cbranch_execz .LBB14_4792
; %bb.4791:
	v_mov_b32_e32 v3, 0
	flat_store_dwordx2 v[102:103], v[2:3]
.LBB14_4792:
	s_or_b64 exec, exec, s[20:21]
                                        ; implicit-def: $vgpr2
.LBB14_4793:
	s_andn2_saveexec_b64 s[18:19], s[18:19]
	s_cbranch_execz .LBB14_4795
; %bb.4794:
	v_cvt_f16_f32_e32 v0, v2
	flat_store_dword v[102:103], v0
.LBB14_4795:
	s_or_b64 exec, exec, s[18:19]
                                        ; implicit-def: $vgpr2
.LBB14_4796:
	s_andn2_saveexec_b64 s[16:17], s[16:17]
	s_cbranch_execz .LBB14_4806
; %bb.4797:
	v_cmp_lt_i16_e32 vcc, 5, v5
	s_and_saveexec_b64 s[18:19], vcc
	s_xor_b64 s[18:19], exec, s[18:19]
	s_cbranch_execz .LBB14_4803
; %bb.4798:
	v_cmp_lt_i16_e32 vcc, 6, v5
	s_and_saveexec_b64 s[20:21], vcc
	s_xor_b64 s[20:21], exec, s[20:21]
	s_cbranch_execz .LBB14_4800
; %bb.4799:
	v_cvt_f64_f32_e32 v[0:1], v2
	flat_store_dwordx2 v[102:103], v[0:1]
                                        ; implicit-def: $vgpr2
.LBB14_4800:
	s_andn2_saveexec_b64 s[20:21], s[20:21]
	s_cbranch_execz .LBB14_4802
; %bb.4801:
	flat_store_dword v[102:103], v2
.LBB14_4802:
	s_or_b64 exec, exec, s[20:21]
                                        ; implicit-def: $vgpr2
.LBB14_4803:
	s_andn2_saveexec_b64 s[18:19], s[18:19]
	s_cbranch_execz .LBB14_4805
; %bb.4804:
	v_cvt_f16_f32_e32 v0, v2
	flat_store_short v[102:103], v0
.LBB14_4805:
	s_or_b64 exec, exec, s[18:19]
.LBB14_4806:
	s_or_b64 exec, exec, s[16:17]
                                        ; implicit-def: $vgpr2
.LBB14_4807:
	s_andn2_saveexec_b64 s[14:15], s[14:15]
	s_cbranch_execz .LBB14_4825
; %bb.4808:
	v_cmp_lt_i16_e32 vcc, 1, v5
	s_and_saveexec_b64 s[16:17], vcc
	s_xor_b64 s[16:17], exec, s[16:17]
	s_cbranch_execz .LBB14_4818
; %bb.4809:
	v_cmp_lt_i16_e32 vcc, 2, v5
	s_and_saveexec_b64 s[18:19], vcc
	s_xor_b64 s[18:19], exec, s[18:19]
	s_cbranch_execz .LBB14_4815
; %bb.4810:
	v_cmp_lt_i16_e32 vcc, 3, v5
	s_and_saveexec_b64 s[20:21], vcc
	s_xor_b64 s[20:21], exec, s[20:21]
	s_cbranch_execz .LBB14_4812
; %bb.4811:
	v_trunc_f32_e32 v0, v2
	s_mov_b32 s22, 0x2f800000
	v_mul_f32_e64 v1, |v0|, s22
	v_floor_f32_e32 v1, v1
	s_mov_b32 s22, 0xcf800000
	v_cvt_u32_f32_e32 v2, v1
	v_fma_f32 v1, v1, s22, |v0|
	v_cvt_u32_f32_e32 v1, v1
	v_ashrrev_i32_e32 v3, 31, v0
	v_xor_b32_e32 v2, v2, v3
	v_xor_b32_e32 v0, v1, v3
	v_sub_co_u32_e32 v0, vcc, v0, v3
	v_subb_co_u32_e32 v1, vcc, v2, v3, vcc
	flat_store_dwordx2 v[102:103], v[0:1]
                                        ; implicit-def: $vgpr2
                                        ; implicit-def: $vgpr102_vgpr103
.LBB14_4812:
	s_andn2_saveexec_b64 s[20:21], s[20:21]
	s_cbranch_execz .LBB14_4814
; %bb.4813:
	v_cvt_i32_f32_e32 v0, v2
	flat_store_dword v[102:103], v0
.LBB14_4814:
	s_or_b64 exec, exec, s[20:21]
                                        ; implicit-def: $vgpr2
                                        ; implicit-def: $vgpr102_vgpr103
.LBB14_4815:
	s_andn2_saveexec_b64 s[18:19], s[18:19]
	s_cbranch_execz .LBB14_4817
; %bb.4816:
	v_cvt_i32_f32_e32 v0, v2
	flat_store_short v[102:103], v0
.LBB14_4817:
	s_or_b64 exec, exec, s[18:19]
                                        ; implicit-def: $vgpr2
                                        ; implicit-def: $vgpr102_vgpr103
.LBB14_4818:
	s_andn2_saveexec_b64 s[16:17], s[16:17]
	s_cbranch_execz .LBB14_4824
; %bb.4819:
	v_cmp_lt_i16_e32 vcc, 0, v5
	s_and_saveexec_b64 s[18:19], vcc
	s_xor_b64 s[18:19], exec, s[18:19]
	s_cbranch_execz .LBB14_4821
; %bb.4820:
	v_cvt_i32_f32_e32 v0, v2
                                        ; implicit-def: $vgpr2
	flat_store_byte v[102:103], v0
                                        ; implicit-def: $vgpr102_vgpr103
.LBB14_4821:
	s_andn2_saveexec_b64 s[18:19], s[18:19]
	s_cbranch_execz .LBB14_4823
; %bb.4822:
	v_trunc_f32_e32 v0, v2
	s_mov_b32 s20, 0x2f800000
	v_mul_f32_e64 v1, |v0|, s20
	v_floor_f32_e32 v1, v1
	s_mov_b32 s20, 0xcf800000
	v_fma_f32 v1, v1, s20, |v0|
	v_cvt_u32_f32_e32 v1, v1
	v_ashrrev_i32_e32 v0, 31, v0
	v_xor_b32_e32 v1, v1, v0
	v_sub_u32_e32 v0, v1, v0
	flat_store_byte v[102:103], v0
.LBB14_4823:
	s_or_b64 exec, exec, s[18:19]
.LBB14_4824:
	s_or_b64 exec, exec, s[16:17]
.LBB14_4825:
	s_or_b64 exec, exec, s[14:15]
	s_or_b64 s[4:5], s[4:5], exec
.LBB14_4826:
	s_or_b64 exec, exec, s[10:11]
	s_and_saveexec_b64 s[10:11], s[4:5]
	s_xor_b64 s[4:5], exec, s[10:11]
	s_or_b64 exec, exec, s[4:5]
	s_and_b64 s[4:5], s[12:13], exec
.LBB14_4827:
	s_andn2_saveexec_b64 s[8:9], s[8:9]
	s_cbranch_execnz .LBB14_4952
.LBB14_4828:
	s_or_b64 exec, exec, s[8:9]
	s_and_b64 s[4:5], s[4:5], exec
	s_andn2_saveexec_b64 s[6:7], s[6:7]
	s_cbranch_execz .LBB14_3652
.LBB14_4829:
	s_or_b64 s[4:5], s[4:5], exec
	s_trap 2
	s_or_b64 exec, exec, s[6:7]
	s_and_saveexec_b64 s[6:7], s[4:5]
	s_cbranch_execnz .LBB14_3653
	s_branch .LBB14_3654
.LBB14_4830:
	v_mov_b32_e32 v3, 25
	v_cmp_gt_i16_sdwa s[20:21], v11, v3 src0_sel:BYTE_0 src1_sel:DWORD
	s_mov_b64 s[18:19], s[10:11]
	s_and_saveexec_b64 s[22:23], s[20:21]
	s_xor_b64 s[20:21], exec, s[22:23]
	s_cbranch_execz .LBB14_4866
; %bb.4831:
	v_mov_b32_e32 v3, 28
	v_cmp_gt_i16_sdwa s[18:19], v11, v3 src0_sel:BYTE_0 src1_sel:DWORD
	s_mov_b64 s[22:23], s[10:11]
	s_and_saveexec_b64 s[24:25], s[18:19]
	s_xor_b64 s[18:19], exec, s[24:25]
	s_cbranch_execz .LBB14_4849
; %bb.4832:
	;; [unrolled: 7-line block ×3, first 2 shown]
	v_mov_b32_e32 v3, 45
	v_cmp_gt_i16_sdwa s[4:5], v11, v3 src0_sel:BYTE_0 src1_sel:DWORD
	s_mov_b64 s[24:25], 0
	s_mov_b64 s[26:27], s[10:11]
	s_and_saveexec_b64 s[28:29], s[4:5]
	s_xor_b64 s[4:5], exec, s[28:29]
	s_cbranch_execz .LBB14_4837
; %bb.4834:
	v_mov_b32_e32 v3, 46
	v_cmp_eq_u16_sdwa vcc, v11, v3 src0_sel:BYTE_0 src1_sel:DWORD
	s_mov_b64 s[28:29], -1
	s_and_saveexec_b64 s[26:27], vcc
	s_cbranch_execz .LBB14_4836
; %bb.4835:
	v_bfe_u32 v3, v100, 16, 1
	s_movk_i32 s28, 0x7fff
	v_add3_u32 v3, v100, v3, s28
	v_lshrrev_b32_e32 v3, 16, v3
	v_mov_b32_e32 v5, 0x7fc0
	v_cmp_o_f32_e32 vcc, v100, v100
	v_cndmask_b32_e32 v3, v5, v3, vcc
	s_mov_b64 s[24:25], exec
	flat_store_dword v[102:103], v3
	s_xor_b64 s[28:29], exec, -1
.LBB14_4836:
	s_or_b64 exec, exec, s[26:27]
	s_andn2_b64 s[26:27], s[10:11], exec
	s_and_b64 s[28:29], s[28:29], exec
	s_or_b64 s[26:27], s[26:27], s[28:29]
	s_and_b64 s[24:25], s[24:25], exec
                                        ; implicit-def: $vgpr102_vgpr103
                                        ; implicit-def: $vgpr100
.LBB14_4837:
	s_andn2_saveexec_b64 s[28:29], s[4:5]
	s_cbranch_execz .LBB14_4843
; %bb.4838:
	v_mov_b32_e32 v3, 44
	v_cmp_eq_u16_sdwa s[34:35], v11, v3 src0_sel:BYTE_0 src1_sel:DWORD
	s_mov_b64 vcc, -1
	s_mov_b64 s[4:5], s[24:25]
	s_and_saveexec_b64 s[30:31], s[34:35]
	s_cbranch_execz .LBB14_4842
; %bb.4839:
	v_bfe_u32 v3, v100, 23, 8
	s_movk_i32 s4, 0xff
	v_cmp_ne_u32_e32 vcc, s4, v3
	v_mov_b32_e32 v5, 0xff
	s_and_saveexec_b64 s[34:35], vcc
; %bb.4840:
	s_mov_b32 s4, 0x3fffff
	v_and_b32_e32 v7, 0x400000, v100
	v_and_or_b32 v3, v100, s4, v3
	v_cmp_ne_u32_e32 vcc, 0, v7
	v_cmp_ne_u32_e64 s[4:5], 0, v3
	s_and_b64 s[4:5], vcc, s[4:5]
	v_lshrrev_b32_e32 v5, 23, v100
	v_cndmask_b32_e64 v3, 0, 1, s[4:5]
	v_add_u32_e32 v5, v5, v3
; %bb.4841:
	s_or_b64 exec, exec, s[34:35]
	s_xor_b64 vcc, exec, -1
	s_or_b64 s[4:5], s[24:25], exec
	flat_store_byte v[102:103], v5
.LBB14_4842:
	s_or_b64 exec, exec, s[30:31]
	s_andn2_b64 s[26:27], s[26:27], exec
	s_and_b64 vcc, vcc, exec
	s_andn2_b64 s[24:25], s[24:25], exec
	s_and_b64 s[4:5], s[4:5], exec
	s_or_b64 s[26:27], s[26:27], vcc
	s_or_b64 s[24:25], s[24:25], s[4:5]
.LBB14_4843:
	s_or_b64 exec, exec, s[28:29]
	s_andn2_b64 s[4:5], s[10:11], exec
	s_and_b64 s[26:27], s[26:27], exec
	s_or_b64 s[26:27], s[4:5], s[26:27]
	s_and_b64 s[4:5], s[24:25], exec
                                        ; implicit-def: $vgpr100
                                        ; implicit-def: $vgpr102_vgpr103
.LBB14_4844:
	s_andn2_saveexec_b64 s[22:23], s[22:23]
	s_cbranch_execz .LBB14_4848
; %bb.4845:
	v_mov_b32_e32 v3, 29
	v_cmp_eq_u16_sdwa s[30:31], v11, v3 src0_sel:BYTE_0 src1_sel:DWORD
	s_mov_b64 vcc, -1
	s_mov_b64 s[28:29], s[4:5]
	s_and_saveexec_b64 s[24:25], s[30:31]
	s_cbranch_execz .LBB14_4847
; %bb.4846:
	v_trunc_f32_e32 v3, v100
	v_mul_f32_e32 v5, 0x2f800000, v3
	v_floor_f32_e32 v5, v5
	v_fmac_f32_e32 v3, 0xcf800000, v5
	v_cvt_u32_f32_e32 v101, v5
	v_cvt_u32_f32_e32 v100, v3
	s_xor_b64 vcc, exec, -1
	s_or_b64 s[28:29], s[4:5], exec
	flat_store_dwordx2 v[102:103], v[100:101]
.LBB14_4847:
	s_or_b64 exec, exec, s[24:25]
	s_andn2_b64 s[24:25], s[26:27], exec
	s_and_b64 s[26:27], vcc, exec
	s_or_b64 s[26:27], s[24:25], s[26:27]
	s_andn2_b64 s[4:5], s[4:5], exec
	s_and_b64 s[24:25], s[28:29], exec
	s_or_b64 s[4:5], s[4:5], s[24:25]
.LBB14_4848:
	s_or_b64 exec, exec, s[22:23]
	s_andn2_b64 s[22:23], s[10:11], exec
	s_and_b64 s[24:25], s[26:27], exec
	s_or_b64 s[22:23], s[22:23], s[24:25]
	s_and_b64 s[4:5], s[4:5], exec
                                        ; implicit-def: $vgpr102_vgpr103
                                        ; implicit-def: $vgpr100
.LBB14_4849:
	s_andn2_saveexec_b64 s[18:19], s[18:19]
	s_cbranch_execz .LBB14_4865
; %bb.4850:
	v_mov_b32_e32 v3, 26
	v_cmp_gt_i16_sdwa s[24:25], v11, v3 src0_sel:BYTE_0 src1_sel:DWORD
	s_and_saveexec_b64 s[26:27], s[24:25]
	s_xor_b64 s[24:25], exec, s[26:27]
	s_cbranch_execz .LBB14_4856
; %bb.4851:
	v_cvt_u32_f32_e32 v3, v100
	v_mov_b32_e32 v5, 27
	v_cmp_gt_i16_sdwa s[26:27], v11, v5 src0_sel:BYTE_0 src1_sel:DWORD
	s_and_saveexec_b64 s[28:29], s[26:27]
	s_xor_b64 s[26:27], exec, s[28:29]
	s_cbranch_execz .LBB14_4853
; %bb.4852:
	flat_store_dword v[102:103], v3
                                        ; implicit-def: $vgpr102_vgpr103
                                        ; implicit-def: $vgpr3
.LBB14_4853:
	s_andn2_saveexec_b64 s[26:27], s[26:27]
	s_cbranch_execz .LBB14_4855
; %bb.4854:
	flat_store_short v[102:103], v3
.LBB14_4855:
	s_or_b64 exec, exec, s[26:27]
                                        ; implicit-def: $vgpr102_vgpr103
                                        ; implicit-def: $vgpr100
.LBB14_4856:
	s_andn2_saveexec_b64 s[24:25], s[24:25]
	s_cbranch_execz .LBB14_4864
; %bb.4857:
	v_and_b32_e32 v3, 0x7fffffff, v100
	s_mov_b32 s26, 0x43800000
	v_cmp_gt_u32_e32 vcc, s26, v3
	v_mov_b32_e32 v5, 0x80
	s_and_saveexec_b64 s[26:27], vcc
	s_cbranch_execz .LBB14_4863
; %bb.4858:
	s_mov_b32 s28, 0x3bffffff
	v_cmp_lt_u32_e32 vcc, s28, v3
	s_mov_b64 s[28:29], 0
                                        ; implicit-def: $vgpr3
	s_and_saveexec_b64 s[30:31], vcc
	s_xor_b64 vcc, exec, s[30:31]
	s_cbranch_execnz .LBB14_5567
; %bb.4859:
	s_or_saveexec_b64 s[30:31], vcc
                                        ; implicit-def: $sgpr34
	s_xor_b64 exec, exec, s[30:31]
	s_cbranch_execnz .LBB14_5568
.LBB14_4860:
	s_or_b64 exec, exec, s[30:31]
	v_mov_b32_e32 v5, s34
	s_and_saveexec_b64 vcc, s[28:29]
.LBB14_4861:
	v_lshrrev_b32_e32 v5, 24, v100
	s_movk_i32 s28, 0x80
	v_and_or_b32 v5, v5, s28, v3
.LBB14_4862:
	s_or_b64 exec, exec, vcc
.LBB14_4863:
	s_or_b64 exec, exec, s[26:27]
	flat_store_byte v[102:103], v5
.LBB14_4864:
	s_or_b64 exec, exec, s[24:25]
	s_or_b64 s[4:5], s[4:5], exec
.LBB14_4865:
	s_or_b64 exec, exec, s[18:19]
	s_andn2_b64 s[18:19], s[10:11], exec
	s_and_b64 s[22:23], s[22:23], exec
	s_or_b64 s[18:19], s[18:19], s[22:23]
	s_and_b64 s[4:5], s[4:5], exec
                                        ; implicit-def: $vgpr100
                                        ; implicit-def: $vgpr102_vgpr103
.LBB14_4866:
	s_andn2_saveexec_b64 s[20:21], s[20:21]
	s_cbranch_execz .LBB14_4910
; %bb.4867:
	v_mov_b32_e32 v3, 22
	v_cmp_gt_i16_sdwa s[22:23], v11, v3 src0_sel:BYTE_0 src1_sel:DWORD
	s_mov_b64 s[24:25], s[4:5]
	s_and_saveexec_b64 s[26:27], s[22:23]
	s_xor_b64 s[22:23], exec, s[26:27]
	s_cbranch_execz .LBB14_4899
; %bb.4868:
	v_mov_b32_e32 v3, 23
	v_cmp_gt_i16_sdwa s[24:25], v11, v3 src0_sel:BYTE_0 src1_sel:DWORD
	s_and_saveexec_b64 s[26:27], s[24:25]
	s_xor_b64 s[24:25], exec, s[26:27]
	s_cbranch_execz .LBB14_4888
; %bb.4869:
	v_mov_b32_e32 v3, 24
	v_cmp_gt_i16_sdwa s[26:27], v11, v3 src0_sel:BYTE_0 src1_sel:DWORD
	s_and_saveexec_b64 s[28:29], s[26:27]
	s_xor_b64 s[26:27], exec, s[28:29]
	s_cbranch_execz .LBB14_4877
; %bb.4870:
	v_and_b32_e32 v3, 0x7fffffff, v100
	s_mov_b32 s28, 0x47800000
	v_cmp_gt_u32_e32 vcc, s28, v3
	v_mov_b32_e32 v5, 0x80
	s_and_saveexec_b64 s[28:29], vcc
	s_cbranch_execz .LBB14_4876
; %bb.4871:
	s_mov_b32 vcc_lo, 0x37ffffff
	v_cmp_lt_u32_e32 vcc, vcc_lo, v3
	s_mov_b64 s[30:31], 0
                                        ; implicit-def: $vgpr3
	s_and_saveexec_b64 s[34:35], vcc
	s_xor_b64 vcc, exec, s[34:35]
	s_cbranch_execnz .LBB14_5691
; %bb.4872:
	s_or_saveexec_b64 s[34:35], vcc
                                        ; implicit-def: $sgpr36
	s_xor_b64 exec, exec, s[34:35]
	s_cbranch_execnz .LBB14_5692
.LBB14_4873:
	s_or_b64 exec, exec, s[34:35]
	v_mov_b32_e32 v5, s36
	s_and_saveexec_b64 vcc, s[30:31]
.LBB14_4874:
	v_lshrrev_b32_e32 v5, 24, v100
	s_movk_i32 s30, 0x80
	v_and_or_b32 v5, v5, s30, v3
.LBB14_4875:
	s_or_b64 exec, exec, vcc
.LBB14_4876:
	s_or_b64 exec, exec, s[28:29]
	flat_store_byte v[102:103], v5
                                        ; implicit-def: $vgpr100
                                        ; implicit-def: $vgpr102_vgpr103
.LBB14_4877:
	s_andn2_saveexec_b64 s[26:27], s[26:27]
	s_cbranch_execz .LBB14_4887
; %bb.4878:
	v_and_b32_e32 v5, 0x7fffffff, v100
	s_mov_b32 s28, 0x43f00000
	v_cmp_gt_u32_e32 vcc, s28, v5
                                        ; implicit-def: $vgpr3
	s_and_saveexec_b64 s[28:29], vcc
	s_xor_b64 s[28:29], exec, s[28:29]
	s_cbranch_execz .LBB14_4884
; %bb.4879:
	s_mov_b32 vcc_lo, 0x3c7fffff
	v_cmp_lt_u32_e32 vcc, vcc_lo, v5
                                        ; implicit-def: $vgpr3
	s_and_saveexec_b64 s[30:31], vcc
	s_xor_b64 s[30:31], exec, s[30:31]
; %bb.4880:
	v_bfe_u32 v3, v100, 20, 1
	s_mov_b32 vcc_lo, 0x407ffff
	v_add3_u32 v3, v100, v3, vcc_lo
	v_lshrrev_b32_e32 v5, 20, v3
	v_and_b32_e32 v3, 0xff00000, v3
	s_mov_b32 vcc_lo, 0x7f00000
	v_mov_b32_e32 v7, 0x7e
	v_cmp_ne_u32_e32 vcc, vcc_lo, v3
	v_cndmask_b32_e32 v3, v7, v5, vcc
; %bb.4881:
	s_andn2_saveexec_b64 vcc, s[30:31]
; %bb.4882:
	s_mov_b32 s30, 0x46800000
	v_add_f32_e64 v3, |v100|, s30
; %bb.4883:
	s_or_b64 exec, exec, vcc
                                        ; implicit-def: $vgpr5
.LBB14_4884:
	s_andn2_saveexec_b64 s[28:29], s[28:29]
; %bb.4885:
	s_mov_b32 vcc_lo, 0x7f800000
	v_mov_b32_e32 v3, 0x7e
	v_mov_b32_e32 v7, 0x7f
	v_cmp_lt_u32_e32 vcc, vcc_lo, v5
	v_cndmask_b32_e32 v3, v3, v7, vcc
; %bb.4886:
	s_or_b64 exec, exec, s[28:29]
	v_lshrrev_b32_e32 v5, 24, v100
	s_movk_i32 s28, 0x80
	v_and_or_b32 v3, v5, s28, v3
	flat_store_byte v[102:103], v3
.LBB14_4887:
	s_or_b64 exec, exec, s[26:27]
                                        ; implicit-def: $vgpr100
                                        ; implicit-def: $vgpr102_vgpr103
.LBB14_4888:
	s_andn2_saveexec_b64 s[24:25], s[24:25]
	s_cbranch_execz .LBB14_4898
; %bb.4889:
	v_and_b32_e32 v5, 0x7fffffff, v100
	s_mov_b32 s26, 0x47800000
	v_cmp_gt_u32_e32 vcc, s26, v5
                                        ; implicit-def: $vgpr3
	s_and_saveexec_b64 s[26:27], vcc
	s_xor_b64 s[26:27], exec, s[26:27]
	s_cbranch_execz .LBB14_4895
; %bb.4890:
	s_mov_b32 s28, 0x387fffff
	v_cmp_lt_u32_e32 vcc, s28, v5
                                        ; implicit-def: $vgpr3
	s_and_saveexec_b64 s[28:29], vcc
	s_xor_b64 s[28:29], exec, s[28:29]
; %bb.4891:
	v_bfe_u32 v3, v100, 21, 1
	s_mov_b32 vcc_lo, 0x80fffff
	v_add3_u32 v3, v100, v3, vcc_lo
	v_lshrrev_b32_e32 v3, 21, v3
; %bb.4892:
	s_andn2_saveexec_b64 s[28:29], s[28:29]
; %bb.4893:
	s_mov_b32 s30, 0x43000000
	v_add_f32_e64 v3, |v100|, s30
; %bb.4894:
	s_or_b64 exec, exec, s[28:29]
                                        ; implicit-def: $vgpr5
.LBB14_4895:
	s_andn2_saveexec_b64 s[26:27], s[26:27]
; %bb.4896:
	s_mov_b32 s28, 0x7f800000
	v_mov_b32_e32 v3, 0x7c
	v_mov_b32_e32 v7, 0x7f
	v_cmp_lt_u32_e32 vcc, s28, v5
	v_cndmask_b32_e32 v3, v3, v7, vcc
; %bb.4897:
	s_or_b64 exec, exec, s[26:27]
	v_lshrrev_b32_e32 v5, 24, v100
	s_movk_i32 s26, 0x80
	v_and_or_b32 v3, v5, s26, v3
	flat_store_byte v[102:103], v3
.LBB14_4898:
	s_or_b64 exec, exec, s[24:25]
	s_or_b64 s[24:25], s[4:5], exec
                                        ; implicit-def: $vgpr102_vgpr103
                                        ; implicit-def: $vgpr100
.LBB14_4899:
	s_or_saveexec_b64 s[22:23], s[22:23]
	s_mov_b64 s[28:29], s[18:19]
	s_xor_b64 exec, exec, s[22:23]
	s_cbranch_execz .LBB14_4909
; %bb.4900:
	v_mov_b32_e32 v3, 14
	v_cmp_gt_i16_sdwa vcc, v11, v3 src0_sel:BYTE_0 src1_sel:DWORD
	s_mov_b64 s[26:27], s[24:25]
	s_mov_b64 s[28:29], s[18:19]
	s_and_saveexec_b64 s[30:31], vcc
	s_xor_b64 s[30:31], exec, s[30:31]
	s_cbranch_execz .LBB14_4904
; %bb.4901:
	v_mov_b32_e32 v3, 15
	v_cmp_eq_u16_sdwa s[34:35], v11, v3 src0_sel:BYTE_0 src1_sel:DWORD
	s_mov_b64 s[28:29], -1
	s_mov_b64 vcc, s[24:25]
	s_and_saveexec_b64 s[26:27], s[34:35]
	s_cbranch_execz .LBB14_4903
; %bb.4902:
	v_bfe_u32 v3, v100, 16, 1
	s_movk_i32 s28, 0x7fff
	v_add3_u32 v3, v100, v3, s28
	v_lshrrev_b32_e32 v3, 16, v3
	v_mov_b32_e32 v5, 0x7fc0
	v_cmp_o_f32_e32 vcc, v100, v100
	v_cndmask_b32_e32 v3, v5, v3, vcc
	flat_store_short v[102:103], v3
	s_xor_b64 s[28:29], exec, -1
	s_or_b64 vcc, s[24:25], exec
.LBB14_4903:
	s_or_b64 exec, exec, s[26:27]
	s_andn2_b64 s[26:27], s[18:19], exec
	s_and_b64 s[28:29], s[28:29], exec
	s_or_b64 s[28:29], s[26:27], s[28:29]
	s_andn2_b64 s[26:27], s[24:25], exec
	s_and_b64 vcc, vcc, exec
	s_or_b64 s[26:27], s[26:27], vcc
                                        ; implicit-def: $vgpr102_vgpr103
.LBB14_4904:
	s_andn2_saveexec_b64 vcc, s[30:31]
	s_cbranch_execz .LBB14_4908
; %bb.4905:
	v_mov_b32_e32 v3, 11
	v_cmp_eq_u16_sdwa s[38:39], v11, v3 src0_sel:BYTE_0 src1_sel:DWORD
	s_mov_b64 s[34:35], -1
	s_mov_b64 s[30:31], s[26:27]
	s_and_saveexec_b64 s[36:37], s[38:39]
	s_cbranch_execz .LBB14_4907
; %bb.4906:
	v_mov_b32_e32 v3, 1
	flat_store_byte v[102:103], v3
	s_xor_b64 s[34:35], exec, -1
	s_or_b64 s[30:31], s[26:27], exec
.LBB14_4907:
	s_or_b64 exec, exec, s[36:37]
	s_andn2_b64 s[28:29], s[28:29], exec
	s_and_b64 s[34:35], s[34:35], exec
	s_andn2_b64 s[26:27], s[26:27], exec
	s_and_b64 s[30:31], s[30:31], exec
	s_or_b64 s[28:29], s[28:29], s[34:35]
	s_or_b64 s[26:27], s[26:27], s[30:31]
.LBB14_4908:
	s_or_b64 exec, exec, vcc
	s_andn2_b64 vcc, s[18:19], exec
	s_and_b64 s[28:29], s[28:29], exec
	s_andn2_b64 s[24:25], s[24:25], exec
	s_and_b64 s[26:27], s[26:27], exec
	s_or_b64 s[28:29], vcc, s[28:29]
	s_or_b64 s[24:25], s[24:25], s[26:27]
.LBB14_4909:
	s_or_b64 exec, exec, s[22:23]
	s_andn2_b64 s[18:19], s[18:19], exec
	s_and_b64 s[22:23], s[28:29], exec
	s_or_b64 s[18:19], s[18:19], s[22:23]
	s_andn2_b64 s[4:5], s[4:5], exec
	s_and_b64 s[22:23], s[24:25], exec
	s_or_b64 s[4:5], s[4:5], s[22:23]
.LBB14_4910:
	s_or_b64 exec, exec, s[20:21]
	s_andn2_b64 s[20:21], s[10:11], exec
	s_and_b64 s[18:19], s[18:19], exec
	s_or_b64 s[18:19], s[20:21], s[18:19]
	s_and_b64 s[4:5], s[4:5], exec
                                        ; implicit-def: $vgpr100
                                        ; implicit-def: $vgpr102_vgpr103
	s_andn2_saveexec_b64 s[14:15], s[14:15]
	s_cbranch_execz .LBB14_3853
.LBB14_4911:
	v_mov_b32_e32 v3, 4
	v_cmp_gt_i16_sdwa s[20:21], v11, v3 src0_sel:BYTE_0 src1_sel:DWORD
	s_and_saveexec_b64 s[22:23], s[20:21]
	s_xor_b64 s[20:21], exec, s[22:23]
	s_cbranch_execz .LBB14_4933
; %bb.4912:
	v_mov_b32_e32 v3, 7
	v_cmp_gt_i16_sdwa s[22:23], v11, v3 src0_sel:BYTE_0 src1_sel:DWORD
	s_and_saveexec_b64 s[24:25], s[22:23]
	s_xor_b64 s[22:23], exec, s[24:25]
	s_cbranch_execz .LBB14_4922
; %bb.4913:
	;; [unrolled: 6-line block ×4, first 2 shown]
	v_mov_b32_e32 v114, 0
	v_cvt_f64_f32_e32 v[112:113], v100
	v_mov_b32_e32 v115, v114
	flat_store_dwordx4 v[102:103], v[112:115]
                                        ; implicit-def: $vgpr100
                                        ; implicit-def: $vgpr102_vgpr103
.LBB14_4916:
	s_andn2_saveexec_b64 s[26:27], s[26:27]
	s_cbranch_execz .LBB14_4918
; %bb.4917:
	v_mov_b32_e32 v101, 0
	flat_store_dwordx2 v[102:103], v[100:101]
.LBB14_4918:
	s_or_b64 exec, exec, s[26:27]
                                        ; implicit-def: $vgpr100
                                        ; implicit-def: $vgpr102_vgpr103
.LBB14_4919:
	s_andn2_saveexec_b64 s[24:25], s[24:25]
	s_cbranch_execz .LBB14_4921
; %bb.4920:
	v_cvt_f16_f32_e32 v3, v100
	flat_store_dword v[102:103], v3
.LBB14_4921:
	s_or_b64 exec, exec, s[24:25]
                                        ; implicit-def: $vgpr100
                                        ; implicit-def: $vgpr102_vgpr103
.LBB14_4922:
	s_andn2_saveexec_b64 s[22:23], s[22:23]
	s_cbranch_execz .LBB14_4932
; %bb.4923:
	v_mov_b32_e32 v3, 5
	v_cmp_gt_i16_sdwa s[24:25], v11, v3 src0_sel:BYTE_0 src1_sel:DWORD
	s_and_saveexec_b64 s[26:27], s[24:25]
	s_xor_b64 s[24:25], exec, s[26:27]
	s_cbranch_execz .LBB14_4929
; %bb.4924:
	v_mov_b32_e32 v3, 6
	v_cmp_gt_i16_sdwa s[26:27], v11, v3 src0_sel:BYTE_0 src1_sel:DWORD
	s_and_saveexec_b64 s[28:29], s[26:27]
	s_xor_b64 s[26:27], exec, s[28:29]
	s_cbranch_execz .LBB14_4926
; %bb.4925:
	v_cvt_f64_f32_e32 v[100:101], v100
	flat_store_dwordx2 v[102:103], v[100:101]
                                        ; implicit-def: $vgpr102_vgpr103
                                        ; implicit-def: $vgpr100
.LBB14_4926:
	s_andn2_saveexec_b64 s[26:27], s[26:27]
	s_cbranch_execz .LBB14_4928
; %bb.4927:
	flat_store_dword v[102:103], v100
.LBB14_4928:
	s_or_b64 exec, exec, s[26:27]
                                        ; implicit-def: $vgpr100
                                        ; implicit-def: $vgpr102_vgpr103
.LBB14_4929:
	s_andn2_saveexec_b64 s[24:25], s[24:25]
	s_cbranch_execz .LBB14_4931
; %bb.4930:
	v_cvt_f16_f32_e32 v3, v100
	flat_store_short v[102:103], v3
.LBB14_4931:
	s_or_b64 exec, exec, s[24:25]
.LBB14_4932:
	s_or_b64 exec, exec, s[22:23]
                                        ; implicit-def: $vgpr100
                                        ; implicit-def: $vgpr102_vgpr103
.LBB14_4933:
	s_andn2_saveexec_b64 s[20:21], s[20:21]
	s_cbranch_execz .LBB14_4951
; %bb.4934:
	v_mov_b32_e32 v3, 1
	v_cmp_gt_i16_sdwa s[22:23], v11, v3 src0_sel:BYTE_0 src1_sel:DWORD
	s_and_saveexec_b64 s[24:25], s[22:23]
	s_xor_b64 s[22:23], exec, s[24:25]
	s_cbranch_execz .LBB14_4944
; %bb.4935:
	v_mov_b32_e32 v3, 2
	v_cmp_gt_i16_sdwa s[24:25], v11, v3 src0_sel:BYTE_0 src1_sel:DWORD
	s_and_saveexec_b64 s[26:27], s[24:25]
	s_xor_b64 s[24:25], exec, s[26:27]
	;; [unrolled: 6-line block ×3, first 2 shown]
	s_cbranch_execz .LBB14_4938
; %bb.4937:
	v_trunc_f32_e32 v3, v100
	s_mov_b32 s28, 0x2f800000
	v_mul_f32_e64 v5, |v3|, s28
	v_floor_f32_e32 v5, v5
	s_mov_b32 s28, 0xcf800000
	v_cvt_u32_f32_e32 v7, v5
	v_fma_f32 v5, v5, s28, |v3|
	v_cvt_u32_f32_e32 v5, v5
	v_ashrrev_i32_e32 v3, 31, v3
	v_xor_b32_e32 v7, v7, v3
	v_xor_b32_e32 v5, v5, v3
	v_sub_co_u32_e32 v100, vcc, v5, v3
	v_subb_co_u32_e32 v101, vcc, v7, v3, vcc
	flat_store_dwordx2 v[102:103], v[100:101]
                                        ; implicit-def: $vgpr100
                                        ; implicit-def: $vgpr102_vgpr103
.LBB14_4938:
	s_andn2_saveexec_b64 s[26:27], s[26:27]
	s_cbranch_execz .LBB14_4940
; %bb.4939:
	v_cvt_i32_f32_e32 v3, v100
	flat_store_dword v[102:103], v3
.LBB14_4940:
	s_or_b64 exec, exec, s[26:27]
                                        ; implicit-def: $vgpr100
                                        ; implicit-def: $vgpr102_vgpr103
.LBB14_4941:
	s_andn2_saveexec_b64 s[24:25], s[24:25]
	s_cbranch_execz .LBB14_4943
; %bb.4942:
	v_cvt_i32_f32_e32 v3, v100
	flat_store_short v[102:103], v3
.LBB14_4943:
	s_or_b64 exec, exec, s[24:25]
                                        ; implicit-def: $vgpr100
                                        ; implicit-def: $vgpr102_vgpr103
.LBB14_4944:
	s_andn2_saveexec_b64 s[22:23], s[22:23]
	s_cbranch_execz .LBB14_4950
; %bb.4945:
	v_mov_b32_e32 v3, 0
	v_cmp_gt_i16_sdwa s[24:25], v11, v3 src0_sel:BYTE_0 src1_sel:DWORD
	s_and_saveexec_b64 s[26:27], s[24:25]
	s_xor_b64 s[24:25], exec, s[26:27]
	s_cbranch_execz .LBB14_4947
; %bb.4946:
	v_cvt_i32_f32_e32 v3, v100
                                        ; implicit-def: $vgpr100
	flat_store_byte v[102:103], v3
                                        ; implicit-def: $vgpr102_vgpr103
.LBB14_4947:
	s_andn2_saveexec_b64 s[24:25], s[24:25]
	s_cbranch_execz .LBB14_4949
; %bb.4948:
	v_trunc_f32_e32 v3, v100
	s_mov_b32 s26, 0x2f800000
	v_mul_f32_e64 v5, |v3|, s26
	v_floor_f32_e32 v5, v5
	s_mov_b32 s26, 0xcf800000
	v_fma_f32 v5, v5, s26, |v3|
	v_cvt_u32_f32_e32 v5, v5
	v_ashrrev_i32_e32 v3, 31, v3
	v_xor_b32_e32 v5, v5, v3
	v_sub_u32_e32 v3, v5, v3
	flat_store_byte v[102:103], v3
.LBB14_4949:
	s_or_b64 exec, exec, s[24:25]
.LBB14_4950:
	s_or_b64 exec, exec, s[22:23]
.LBB14_4951:
	s_or_b64 exec, exec, s[20:21]
	s_or_b64 s[4:5], s[4:5], exec
	s_or_b64 exec, exec, s[14:15]
	s_mov_b64 s[20:21], 0
	s_and_saveexec_b64 s[14:15], s[4:5]
	s_cbranch_execnz .LBB14_3854
	s_branch .LBB14_3855
.LBB14_4952:
	s_or_b64 s[4:5], s[4:5], exec
	s_trap 2
	s_branch .LBB14_4828
.LBB14_4953:
	v_mov_b32_e32 v3, 25
	v_cmp_gt_i16_sdwa s[24:25], v11, v3 src0_sel:BYTE_0 src1_sel:DWORD
	s_mov_b64 s[22:23], s[14:15]
	s_and_saveexec_b64 s[26:27], s[24:25]
	s_xor_b64 s[24:25], exec, s[26:27]
	s_cbranch_execz .LBB14_4989
; %bb.4954:
	v_mov_b32_e32 v3, 28
	v_cmp_gt_i16_sdwa s[22:23], v11, v3 src0_sel:BYTE_0 src1_sel:DWORD
	s_mov_b64 s[26:27], s[14:15]
	s_and_saveexec_b64 s[28:29], s[22:23]
	s_xor_b64 s[22:23], exec, s[28:29]
	s_cbranch_execz .LBB14_4972
; %bb.4955:
	v_mov_b32_e32 v3, 43
	v_cmp_gt_i16_sdwa s[26:27], v11, v3 src0_sel:BYTE_0 src1_sel:DWORD
	s_mov_b64 vcc, s[14:15]
	s_and_saveexec_b64 s[28:29], s[26:27]
	s_xor_b64 s[26:27], exec, s[28:29]
	s_cbranch_execz .LBB14_4967
; %bb.4956:
	v_mov_b32_e32 v3, 45
	v_cmp_gt_i16_sdwa s[4:5], v11, v3 src0_sel:BYTE_0 src1_sel:DWORD
	s_mov_b64 s[28:29], 0
	s_mov_b64 s[30:31], s[14:15]
	s_and_saveexec_b64 vcc, s[4:5]
	s_xor_b64 s[4:5], exec, vcc
	s_cbranch_execz .LBB14_4960
; %bb.4957:
	v_mov_b32_e32 v3, 46
	v_cmp_eq_u16_sdwa s[34:35], v11, v3 src0_sel:BYTE_0 src1_sel:DWORD
	s_mov_b64 vcc, -1
	s_and_saveexec_b64 s[30:31], s[34:35]
	s_cbranch_execz .LBB14_4959
; %bb.4958:
	v_bfe_u32 v3, v98, 16, 1
	s_movk_i32 vcc_lo, 0x7fff
	v_add3_u32 v3, v98, v3, vcc_lo
	v_lshrrev_b32_e32 v3, 16, v3
	v_mov_b32_e32 v5, 0x7fc0
	v_cmp_o_f32_e32 vcc, v98, v98
	v_cndmask_b32_e32 v3, v5, v3, vcc
	s_mov_b64 s[28:29], exec
	flat_store_dword v[100:101], v3
	s_xor_b64 vcc, exec, -1
.LBB14_4959:
	s_or_b64 exec, exec, s[30:31]
	s_andn2_b64 s[30:31], s[14:15], exec
	s_and_b64 vcc, vcc, exec
	s_or_b64 s[30:31], s[30:31], vcc
	s_and_b64 s[28:29], s[28:29], exec
                                        ; implicit-def: $vgpr100_vgpr101
                                        ; implicit-def: $vgpr98
.LBB14_4960:
	s_andn2_saveexec_b64 s[34:35], s[4:5]
	s_cbranch_execz .LBB14_4966
; %bb.4961:
	v_mov_b32_e32 v3, 44
	v_cmp_eq_u16_sdwa s[38:39], v11, v3 src0_sel:BYTE_0 src1_sel:DWORD
	s_mov_b64 vcc, -1
	s_mov_b64 s[4:5], s[28:29]
	s_and_saveexec_b64 s[36:37], s[38:39]
	s_cbranch_execz .LBB14_4965
; %bb.4962:
	v_bfe_u32 v3, v98, 23, 8
	s_movk_i32 s4, 0xff
	v_cmp_ne_u32_e32 vcc, s4, v3
	v_mov_b32_e32 v5, 0xff
	s_and_saveexec_b64 s[38:39], vcc
; %bb.4963:
	s_mov_b32 s4, 0x3fffff
	v_and_b32_e32 v7, 0x400000, v98
	v_and_or_b32 v3, v98, s4, v3
	v_cmp_ne_u32_e32 vcc, 0, v7
	v_cmp_ne_u32_e64 s[4:5], 0, v3
	s_and_b64 s[4:5], vcc, s[4:5]
	v_lshrrev_b32_e32 v5, 23, v98
	v_cndmask_b32_e64 v3, 0, 1, s[4:5]
	v_add_u32_e32 v5, v5, v3
; %bb.4964:
	s_or_b64 exec, exec, s[38:39]
	s_xor_b64 vcc, exec, -1
	s_or_b64 s[4:5], s[28:29], exec
	flat_store_byte v[100:101], v5
.LBB14_4965:
	s_or_b64 exec, exec, s[36:37]
	s_andn2_b64 s[30:31], s[30:31], exec
	s_and_b64 vcc, vcc, exec
	s_andn2_b64 s[28:29], s[28:29], exec
	s_and_b64 s[4:5], s[4:5], exec
	s_or_b64 s[30:31], s[30:31], vcc
	s_or_b64 s[28:29], s[28:29], s[4:5]
.LBB14_4966:
	s_or_b64 exec, exec, s[34:35]
	s_andn2_b64 s[4:5], s[14:15], exec
	s_and_b64 vcc, s[30:31], exec
	s_or_b64 vcc, s[4:5], vcc
	s_and_b64 s[4:5], s[28:29], exec
                                        ; implicit-def: $vgpr98
                                        ; implicit-def: $vgpr100_vgpr101
.LBB14_4967:
	s_andn2_saveexec_b64 s[26:27], s[26:27]
	s_cbranch_execz .LBB14_4971
; %bb.4968:
	v_mov_b32_e32 v3, 29
	v_cmp_eq_u16_sdwa s[36:37], v11, v3 src0_sel:BYTE_0 src1_sel:DWORD
	s_mov_b64 s[34:35], -1
	s_mov_b64 s[30:31], s[4:5]
	s_and_saveexec_b64 s[28:29], s[36:37]
	s_cbranch_execz .LBB14_4970
; %bb.4969:
	v_trunc_f32_e32 v3, v98
	v_mul_f32_e32 v5, 0x2f800000, v3
	v_floor_f32_e32 v5, v5
	v_fmac_f32_e32 v3, 0xcf800000, v5
	v_cvt_u32_f32_e32 v99, v5
	v_cvt_u32_f32_e32 v98, v3
	s_xor_b64 s[34:35], exec, -1
	s_or_b64 s[30:31], s[4:5], exec
	flat_store_dwordx2 v[100:101], v[98:99]
.LBB14_4970:
	s_or_b64 exec, exec, s[28:29]
	s_andn2_b64 s[28:29], vcc, exec
	s_and_b64 vcc, s[34:35], exec
	s_or_b64 vcc, s[28:29], vcc
	s_andn2_b64 s[4:5], s[4:5], exec
	s_and_b64 s[28:29], s[30:31], exec
	s_or_b64 s[4:5], s[4:5], s[28:29]
.LBB14_4971:
	s_or_b64 exec, exec, s[26:27]
	s_andn2_b64 s[26:27], s[14:15], exec
	s_and_b64 s[28:29], vcc, exec
	s_or_b64 s[26:27], s[26:27], s[28:29]
	s_and_b64 s[4:5], s[4:5], exec
                                        ; implicit-def: $vgpr100_vgpr101
                                        ; implicit-def: $vgpr98
.LBB14_4972:
	s_andn2_saveexec_b64 s[22:23], s[22:23]
	s_cbranch_execz .LBB14_4988
; %bb.4973:
	v_mov_b32_e32 v3, 26
	v_cmp_gt_i16_sdwa s[28:29], v11, v3 src0_sel:BYTE_0 src1_sel:DWORD
	s_and_saveexec_b64 vcc, s[28:29]
	s_xor_b64 s[28:29], exec, vcc
	s_cbranch_execz .LBB14_4979
; %bb.4974:
	v_cvt_u32_f32_e32 v3, v98
	v_mov_b32_e32 v5, 27
	v_cmp_gt_i16_sdwa vcc, v11, v5 src0_sel:BYTE_0 src1_sel:DWORD
	s_and_saveexec_b64 s[30:31], vcc
	s_xor_b64 vcc, exec, s[30:31]
	s_cbranch_execz .LBB14_4976
; %bb.4975:
	flat_store_dword v[100:101], v3
                                        ; implicit-def: $vgpr100_vgpr101
                                        ; implicit-def: $vgpr3
.LBB14_4976:
	s_andn2_saveexec_b64 vcc, vcc
	s_cbranch_execz .LBB14_4978
; %bb.4977:
	flat_store_short v[100:101], v3
.LBB14_4978:
	s_or_b64 exec, exec, vcc
                                        ; implicit-def: $vgpr100_vgpr101
                                        ; implicit-def: $vgpr98
.LBB14_4979:
	s_andn2_saveexec_b64 s[28:29], s[28:29]
	s_cbranch_execz .LBB14_4987
; %bb.4980:
	v_and_b32_e32 v3, 0x7fffffff, v98
	s_mov_b32 vcc_lo, 0x43800000
	v_cmp_gt_u32_e32 vcc, vcc_lo, v3
	v_mov_b32_e32 v5, 0x80
	s_and_saveexec_b64 s[30:31], vcc
	s_cbranch_execz .LBB14_4986
; %bb.4981:
	s_mov_b32 vcc_lo, 0x3bffffff
	v_cmp_lt_u32_e32 vcc, vcc_lo, v3
	s_mov_b64 s[34:35], 0
                                        ; implicit-def: $vgpr3
	s_and_saveexec_b64 s[36:37], vcc
	s_xor_b64 vcc, exec, s[36:37]
	s_cbranch_execnz .LBB14_5693
; %bb.4982:
	s_or_saveexec_b64 s[36:37], vcc
                                        ; implicit-def: $sgpr38
	s_xor_b64 exec, exec, s[36:37]
	s_cbranch_execnz .LBB14_5694
.LBB14_4983:
	s_or_b64 exec, exec, s[36:37]
	v_mov_b32_e32 v5, s38
	s_and_saveexec_b64 vcc, s[34:35]
.LBB14_4984:
	v_lshrrev_b32_e32 v5, 24, v98
	s_movk_i32 s34, 0x80
	v_and_or_b32 v5, v5, s34, v3
.LBB14_4985:
	s_or_b64 exec, exec, vcc
.LBB14_4986:
	s_or_b64 exec, exec, s[30:31]
	flat_store_byte v[100:101], v5
.LBB14_4987:
	s_or_b64 exec, exec, s[28:29]
	s_or_b64 s[4:5], s[4:5], exec
.LBB14_4988:
	s_or_b64 exec, exec, s[22:23]
	s_andn2_b64 s[22:23], s[14:15], exec
	s_and_b64 s[26:27], s[26:27], exec
	s_or_b64 s[22:23], s[22:23], s[26:27]
	s_and_b64 s[4:5], s[4:5], exec
                                        ; implicit-def: $vgpr98
                                        ; implicit-def: $vgpr100_vgpr101
.LBB14_4989:
	s_andn2_saveexec_b64 s[24:25], s[24:25]
	s_cbranch_execz .LBB14_5033
; %bb.4990:
	v_mov_b32_e32 v3, 22
	v_cmp_gt_i16_sdwa s[26:27], v11, v3 src0_sel:BYTE_0 src1_sel:DWORD
	s_mov_b64 s[28:29], s[4:5]
	s_and_saveexec_b64 vcc, s[26:27]
	s_xor_b64 s[26:27], exec, vcc
	s_cbranch_execz .LBB14_5022
; %bb.4991:
	v_mov_b32_e32 v3, 23
	v_cmp_gt_i16_sdwa s[28:29], v11, v3 src0_sel:BYTE_0 src1_sel:DWORD
	s_and_saveexec_b64 vcc, s[28:29]
	s_xor_b64 s[28:29], exec, vcc
	s_cbranch_execz .LBB14_5011
; %bb.4992:
	v_mov_b32_e32 v3, 24
	v_cmp_gt_i16_sdwa vcc, v11, v3 src0_sel:BYTE_0 src1_sel:DWORD
	s_and_saveexec_b64 s[30:31], vcc
	s_xor_b64 s[30:31], exec, s[30:31]
	s_cbranch_execz .LBB14_5000
; %bb.4993:
	v_and_b32_e32 v3, 0x7fffffff, v98
	s_mov_b32 vcc_lo, 0x47800000
	v_cmp_gt_u32_e32 vcc, vcc_lo, v3
	v_mov_b32_e32 v5, 0x80
	s_and_saveexec_b64 s[34:35], vcc
	s_cbranch_execz .LBB14_4999
; %bb.4994:
	s_mov_b32 vcc_lo, 0x37ffffff
	v_cmp_lt_u32_e32 vcc, vcc_lo, v3
	s_mov_b64 s[36:37], 0
                                        ; implicit-def: $vgpr3
	s_and_saveexec_b64 s[38:39], vcc
	s_xor_b64 vcc, exec, s[38:39]
	s_cbranch_execnz .LBB14_5817
; %bb.4995:
	s_or_saveexec_b64 s[38:39], vcc
                                        ; implicit-def: $sgpr40
	s_xor_b64 exec, exec, s[38:39]
	s_cbranch_execnz .LBB14_5818
.LBB14_4996:
	s_or_b64 exec, exec, s[38:39]
	v_mov_b32_e32 v5, s40
	s_and_saveexec_b64 vcc, s[36:37]
.LBB14_4997:
	v_lshrrev_b32_e32 v5, 24, v98
	s_movk_i32 s36, 0x80
	v_and_or_b32 v5, v5, s36, v3
.LBB14_4998:
	s_or_b64 exec, exec, vcc
.LBB14_4999:
	s_or_b64 exec, exec, s[34:35]
	flat_store_byte v[100:101], v5
                                        ; implicit-def: $vgpr98
                                        ; implicit-def: $vgpr100_vgpr101
.LBB14_5000:
	s_andn2_saveexec_b64 s[30:31], s[30:31]
	s_cbranch_execz .LBB14_5010
; %bb.5001:
	v_and_b32_e32 v5, 0x7fffffff, v98
	s_mov_b32 vcc_lo, 0x43f00000
	v_cmp_gt_u32_e32 vcc, vcc_lo, v5
                                        ; implicit-def: $vgpr3
	s_and_saveexec_b64 s[34:35], vcc
	s_xor_b64 s[34:35], exec, s[34:35]
	s_cbranch_execz .LBB14_5007
; %bb.5002:
	s_mov_b32 vcc_lo, 0x3c7fffff
	v_cmp_lt_u32_e32 vcc, vcc_lo, v5
                                        ; implicit-def: $vgpr3
	s_and_saveexec_b64 s[36:37], vcc
	s_xor_b64 s[36:37], exec, s[36:37]
; %bb.5003:
	v_bfe_u32 v3, v98, 20, 1
	s_mov_b32 vcc_lo, 0x407ffff
	v_add3_u32 v3, v98, v3, vcc_lo
	v_lshrrev_b32_e32 v5, 20, v3
	v_and_b32_e32 v3, 0xff00000, v3
	s_mov_b32 vcc_lo, 0x7f00000
	v_mov_b32_e32 v7, 0x7e
	v_cmp_ne_u32_e32 vcc, vcc_lo, v3
	v_cndmask_b32_e32 v3, v7, v5, vcc
; %bb.5004:
	s_andn2_saveexec_b64 vcc, s[36:37]
; %bb.5005:
	s_mov_b32 s36, 0x46800000
	v_add_f32_e64 v3, |v98|, s36
; %bb.5006:
	s_or_b64 exec, exec, vcc
                                        ; implicit-def: $vgpr5
.LBB14_5007:
	s_andn2_saveexec_b64 s[34:35], s[34:35]
; %bb.5008:
	s_mov_b32 vcc_lo, 0x7f800000
	v_mov_b32_e32 v3, 0x7e
	v_mov_b32_e32 v7, 0x7f
	v_cmp_lt_u32_e32 vcc, vcc_lo, v5
	v_cndmask_b32_e32 v3, v3, v7, vcc
; %bb.5009:
	s_or_b64 exec, exec, s[34:35]
	v_lshrrev_b32_e32 v5, 24, v98
	s_movk_i32 vcc_lo, 0x80
	v_and_or_b32 v3, v5, vcc_lo, v3
	flat_store_byte v[100:101], v3
.LBB14_5010:
	s_or_b64 exec, exec, s[30:31]
                                        ; implicit-def: $vgpr98
                                        ; implicit-def: $vgpr100_vgpr101
.LBB14_5011:
	s_andn2_saveexec_b64 s[28:29], s[28:29]
	s_cbranch_execz .LBB14_5021
; %bb.5012:
	v_and_b32_e32 v5, 0x7fffffff, v98
	s_mov_b32 vcc_lo, 0x47800000
	v_cmp_gt_u32_e32 vcc, vcc_lo, v5
                                        ; implicit-def: $vgpr3
	s_and_saveexec_b64 s[30:31], vcc
	s_xor_b64 s[30:31], exec, s[30:31]
	s_cbranch_execz .LBB14_5018
; %bb.5013:
	s_mov_b32 vcc_lo, 0x387fffff
	v_cmp_lt_u32_e32 vcc, vcc_lo, v5
                                        ; implicit-def: $vgpr3
	s_and_saveexec_b64 s[34:35], vcc
	s_xor_b64 vcc, exec, s[34:35]
; %bb.5014:
	v_bfe_u32 v3, v98, 21, 1
	s_mov_b32 s34, 0x80fffff
	v_add3_u32 v3, v98, v3, s34
	v_lshrrev_b32_e32 v3, 21, v3
; %bb.5015:
	s_andn2_saveexec_b64 vcc, vcc
; %bb.5016:
	s_mov_b32 s34, 0x43000000
	v_add_f32_e64 v3, |v98|, s34
; %bb.5017:
	s_or_b64 exec, exec, vcc
                                        ; implicit-def: $vgpr5
.LBB14_5018:
	s_andn2_saveexec_b64 s[30:31], s[30:31]
; %bb.5019:
	s_mov_b32 vcc_lo, 0x7f800000
	v_mov_b32_e32 v3, 0x7c
	v_mov_b32_e32 v7, 0x7f
	v_cmp_lt_u32_e32 vcc, vcc_lo, v5
	v_cndmask_b32_e32 v3, v3, v7, vcc
; %bb.5020:
	s_or_b64 exec, exec, s[30:31]
	v_lshrrev_b32_e32 v5, 24, v98
	s_movk_i32 vcc_lo, 0x80
	v_and_or_b32 v3, v5, vcc_lo, v3
	flat_store_byte v[100:101], v3
.LBB14_5021:
	s_or_b64 exec, exec, s[28:29]
	s_or_b64 s[28:29], s[4:5], exec
                                        ; implicit-def: $vgpr100_vgpr101
                                        ; implicit-def: $vgpr98
.LBB14_5022:
	s_or_saveexec_b64 s[26:27], s[26:27]
	s_mov_b64 s[30:31], s[22:23]
	s_xor_b64 exec, exec, s[26:27]
	s_cbranch_execz .LBB14_5032
; %bb.5023:
	v_mov_b32_e32 v3, 14
	v_cmp_gt_i16_sdwa s[34:35], v11, v3 src0_sel:BYTE_0 src1_sel:DWORD
	s_mov_b64 vcc, s[28:29]
	s_mov_b64 s[30:31], s[22:23]
	s_and_saveexec_b64 s[36:37], s[34:35]
	s_xor_b64 s[34:35], exec, s[36:37]
	s_cbranch_execz .LBB14_5027
; %bb.5024:
	v_mov_b32_e32 v3, 15
	v_cmp_eq_u16_sdwa s[38:39], v11, v3 src0_sel:BYTE_0 src1_sel:DWORD
	s_mov_b64 s[36:37], -1
	s_mov_b64 vcc, s[28:29]
	s_and_saveexec_b64 s[30:31], s[38:39]
	s_cbranch_execz .LBB14_5026
; %bb.5025:
	v_bfe_u32 v3, v98, 16, 1
	s_movk_i32 vcc_lo, 0x7fff
	v_add3_u32 v3, v98, v3, vcc_lo
	v_lshrrev_b32_e32 v3, 16, v3
	v_mov_b32_e32 v5, 0x7fc0
	v_cmp_o_f32_e32 vcc, v98, v98
	v_cndmask_b32_e32 v3, v5, v3, vcc
	flat_store_short v[100:101], v3
	s_xor_b64 s[36:37], exec, -1
	s_or_b64 vcc, s[28:29], exec
.LBB14_5026:
	s_or_b64 exec, exec, s[30:31]
	s_andn2_b64 s[30:31], s[22:23], exec
	s_and_b64 s[36:37], s[36:37], exec
	s_or_b64 s[30:31], s[30:31], s[36:37]
	s_andn2_b64 s[36:37], s[28:29], exec
	s_and_b64 vcc, vcc, exec
	s_or_b64 vcc, s[36:37], vcc
                                        ; implicit-def: $vgpr100_vgpr101
.LBB14_5027:
	s_andn2_saveexec_b64 s[34:35], s[34:35]
	s_cbranch_execz .LBB14_5031
; %bb.5028:
	v_mov_b32_e32 v3, 11
	v_cmp_eq_u16_sdwa s[42:43], v11, v3 src0_sel:BYTE_0 src1_sel:DWORD
	s_mov_b64 s[38:39], -1
	s_mov_b64 s[36:37], vcc
	s_and_saveexec_b64 s[40:41], s[42:43]
	s_cbranch_execz .LBB14_5030
; %bb.5029:
	v_mov_b32_e32 v3, 1
	flat_store_byte v[100:101], v3
	s_xor_b64 s[38:39], exec, -1
	s_or_b64 s[36:37], vcc, exec
.LBB14_5030:
	s_or_b64 exec, exec, s[40:41]
	s_andn2_b64 s[30:31], s[30:31], exec
	s_and_b64 s[38:39], s[38:39], exec
	s_andn2_b64 vcc, vcc, exec
	s_and_b64 s[36:37], s[36:37], exec
	s_or_b64 s[30:31], s[30:31], s[38:39]
	s_or_b64 vcc, vcc, s[36:37]
.LBB14_5031:
	s_or_b64 exec, exec, s[34:35]
	s_andn2_b64 s[34:35], s[22:23], exec
	s_and_b64 s[30:31], s[30:31], exec
	s_andn2_b64 s[28:29], s[28:29], exec
	s_and_b64 vcc, vcc, exec
	s_or_b64 s[30:31], s[34:35], s[30:31]
	s_or_b64 s[28:29], s[28:29], vcc
.LBB14_5032:
	s_or_b64 exec, exec, s[26:27]
	s_andn2_b64 s[22:23], s[22:23], exec
	s_and_b64 s[26:27], s[30:31], exec
	s_or_b64 s[22:23], s[22:23], s[26:27]
	s_andn2_b64 s[4:5], s[4:5], exec
	s_and_b64 s[26:27], s[28:29], exec
	s_or_b64 s[4:5], s[4:5], s[26:27]
.LBB14_5033:
	s_or_b64 exec, exec, s[24:25]
	s_andn2_b64 s[24:25], s[14:15], exec
	s_and_b64 s[22:23], s[22:23], exec
	s_or_b64 s[22:23], s[24:25], s[22:23]
	s_and_b64 s[4:5], s[4:5], exec
                                        ; implicit-def: $vgpr98
                                        ; implicit-def: $vgpr100_vgpr101
	s_andn2_saveexec_b64 s[18:19], s[18:19]
	s_cbranch_execz .LBB14_3860
.LBB14_5034:
	v_mov_b32_e32 v3, 4
	v_cmp_gt_i16_sdwa s[24:25], v11, v3 src0_sel:BYTE_0 src1_sel:DWORD
	s_and_saveexec_b64 s[26:27], s[24:25]
	s_xor_b64 s[24:25], exec, s[26:27]
	s_cbranch_execz .LBB14_5056
; %bb.5035:
	v_mov_b32_e32 v3, 7
	v_cmp_gt_i16_sdwa s[26:27], v11, v3 src0_sel:BYTE_0 src1_sel:DWORD
	s_and_saveexec_b64 s[28:29], s[26:27]
	s_xor_b64 s[26:27], exec, s[28:29]
	s_cbranch_execz .LBB14_5045
; %bb.5036:
	v_mov_b32_e32 v3, 8
	v_cmp_gt_i16_sdwa s[28:29], v11, v3 src0_sel:BYTE_0 src1_sel:DWORD
	s_and_saveexec_b64 vcc, s[28:29]
	s_xor_b64 s[28:29], exec, vcc
	s_cbranch_execz .LBB14_5042
; %bb.5037:
	v_mov_b32_e32 v3, 9
	v_cmp_gt_i16_sdwa vcc, v11, v3 src0_sel:BYTE_0 src1_sel:DWORD
	s_and_saveexec_b64 s[30:31], vcc
	s_xor_b64 vcc, exec, s[30:31]
	s_cbranch_execz .LBB14_5039
; %bb.5038:
	v_mov_b32_e32 v114, 0
	v_cvt_f64_f32_e32 v[112:113], v98
	v_mov_b32_e32 v115, v114
	flat_store_dwordx4 v[100:101], v[112:115]
                                        ; implicit-def: $vgpr98
                                        ; implicit-def: $vgpr100_vgpr101
.LBB14_5039:
	s_andn2_saveexec_b64 vcc, vcc
	s_cbranch_execz .LBB14_5041
; %bb.5040:
	v_mov_b32_e32 v99, 0
	flat_store_dwordx2 v[100:101], v[98:99]
.LBB14_5041:
	s_or_b64 exec, exec, vcc
                                        ; implicit-def: $vgpr98
                                        ; implicit-def: $vgpr100_vgpr101
.LBB14_5042:
	s_andn2_saveexec_b64 s[28:29], s[28:29]
	s_cbranch_execz .LBB14_5044
; %bb.5043:
	v_cvt_f16_f32_e32 v3, v98
	flat_store_dword v[100:101], v3
.LBB14_5044:
	s_or_b64 exec, exec, s[28:29]
                                        ; implicit-def: $vgpr98
                                        ; implicit-def: $vgpr100_vgpr101
.LBB14_5045:
	s_andn2_saveexec_b64 s[26:27], s[26:27]
	s_cbranch_execz .LBB14_5055
; %bb.5046:
	v_mov_b32_e32 v3, 5
	v_cmp_gt_i16_sdwa s[28:29], v11, v3 src0_sel:BYTE_0 src1_sel:DWORD
	s_and_saveexec_b64 vcc, s[28:29]
	s_xor_b64 s[28:29], exec, vcc
	s_cbranch_execz .LBB14_5052
; %bb.5047:
	v_mov_b32_e32 v3, 6
	v_cmp_gt_i16_sdwa vcc, v11, v3 src0_sel:BYTE_0 src1_sel:DWORD
	s_and_saveexec_b64 s[30:31], vcc
	s_xor_b64 vcc, exec, s[30:31]
	s_cbranch_execz .LBB14_5049
; %bb.5048:
	v_cvt_f64_f32_e32 v[98:99], v98
	flat_store_dwordx2 v[100:101], v[98:99]
                                        ; implicit-def: $vgpr100_vgpr101
                                        ; implicit-def: $vgpr98
.LBB14_5049:
	s_andn2_saveexec_b64 vcc, vcc
	s_cbranch_execz .LBB14_5051
; %bb.5050:
	flat_store_dword v[100:101], v98
.LBB14_5051:
	s_or_b64 exec, exec, vcc
                                        ; implicit-def: $vgpr98
                                        ; implicit-def: $vgpr100_vgpr101
.LBB14_5052:
	s_andn2_saveexec_b64 s[28:29], s[28:29]
	s_cbranch_execz .LBB14_5054
; %bb.5053:
	v_cvt_f16_f32_e32 v3, v98
	flat_store_short v[100:101], v3
.LBB14_5054:
	s_or_b64 exec, exec, s[28:29]
.LBB14_5055:
	s_or_b64 exec, exec, s[26:27]
                                        ; implicit-def: $vgpr98
                                        ; implicit-def: $vgpr100_vgpr101
.LBB14_5056:
	s_andn2_saveexec_b64 s[24:25], s[24:25]
	s_cbranch_execz .LBB14_5074
; %bb.5057:
	v_mov_b32_e32 v3, 1
	v_cmp_gt_i16_sdwa s[26:27], v11, v3 src0_sel:BYTE_0 src1_sel:DWORD
	s_and_saveexec_b64 s[28:29], s[26:27]
	s_xor_b64 s[26:27], exec, s[28:29]
	s_cbranch_execz .LBB14_5067
; %bb.5058:
	v_mov_b32_e32 v3, 2
	v_cmp_gt_i16_sdwa s[28:29], v11, v3 src0_sel:BYTE_0 src1_sel:DWORD
	s_and_saveexec_b64 vcc, s[28:29]
	s_xor_b64 s[28:29], exec, vcc
	s_cbranch_execz .LBB14_5064
; %bb.5059:
	v_mov_b32_e32 v3, 3
	v_cmp_gt_i16_sdwa vcc, v11, v3 src0_sel:BYTE_0 src1_sel:DWORD
	s_and_saveexec_b64 s[30:31], vcc
	s_xor_b64 s[30:31], exec, s[30:31]
	s_cbranch_execz .LBB14_5061
; %bb.5060:
	v_trunc_f32_e32 v3, v98
	s_mov_b32 s34, 0x2f800000
	v_mul_f32_e64 v5, |v3|, s34
	v_floor_f32_e32 v5, v5
	s_mov_b32 s34, 0xcf800000
	v_cvt_u32_f32_e32 v7, v5
	v_fma_f32 v5, v5, s34, |v3|
	v_cvt_u32_f32_e32 v5, v5
	v_ashrrev_i32_e32 v3, 31, v3
	v_xor_b32_e32 v7, v7, v3
	v_xor_b32_e32 v5, v5, v3
	v_sub_co_u32_e32 v98, vcc, v5, v3
	v_subb_co_u32_e32 v99, vcc, v7, v3, vcc
	flat_store_dwordx2 v[100:101], v[98:99]
                                        ; implicit-def: $vgpr98
                                        ; implicit-def: $vgpr100_vgpr101
.LBB14_5061:
	s_andn2_saveexec_b64 vcc, s[30:31]
	s_cbranch_execz .LBB14_5063
; %bb.5062:
	v_cvt_i32_f32_e32 v3, v98
	flat_store_dword v[100:101], v3
.LBB14_5063:
	s_or_b64 exec, exec, vcc
                                        ; implicit-def: $vgpr98
                                        ; implicit-def: $vgpr100_vgpr101
.LBB14_5064:
	s_andn2_saveexec_b64 s[28:29], s[28:29]
	s_cbranch_execz .LBB14_5066
; %bb.5065:
	v_cvt_i32_f32_e32 v3, v98
	flat_store_short v[100:101], v3
.LBB14_5066:
	s_or_b64 exec, exec, s[28:29]
                                        ; implicit-def: $vgpr98
                                        ; implicit-def: $vgpr100_vgpr101
.LBB14_5067:
	s_andn2_saveexec_b64 s[26:27], s[26:27]
	s_cbranch_execz .LBB14_5073
; %bb.5068:
	v_mov_b32_e32 v3, 0
	v_cmp_gt_i16_sdwa s[28:29], v11, v3 src0_sel:BYTE_0 src1_sel:DWORD
	s_and_saveexec_b64 vcc, s[28:29]
	s_xor_b64 s[28:29], exec, vcc
	s_cbranch_execz .LBB14_5070
; %bb.5069:
	v_cvt_i32_f32_e32 v3, v98
                                        ; implicit-def: $vgpr98
	flat_store_byte v[100:101], v3
                                        ; implicit-def: $vgpr100_vgpr101
.LBB14_5070:
	s_andn2_saveexec_b64 s[28:29], s[28:29]
	s_cbranch_execz .LBB14_5072
; %bb.5071:
	v_trunc_f32_e32 v3, v98
	s_mov_b32 s30, 0x2f800000
	v_mul_f32_e64 v5, |v3|, s30
	v_floor_f32_e32 v5, v5
	s_mov_b32 s30, 0xcf800000
	v_fma_f32 v5, v5, s30, |v3|
	v_cvt_u32_f32_e32 v5, v5
	v_ashrrev_i32_e32 v3, 31, v3
	v_xor_b32_e32 v5, v5, v3
	v_sub_u32_e32 v3, v5, v3
	flat_store_byte v[100:101], v3
.LBB14_5072:
	s_or_b64 exec, exec, s[28:29]
.LBB14_5073:
	s_or_b64 exec, exec, s[26:27]
.LBB14_5074:
	s_or_b64 exec, exec, s[24:25]
	s_or_b64 s[4:5], s[4:5], exec
	s_or_b64 exec, exec, s[18:19]
	s_mov_b64 s[24:25], 0
	s_and_saveexec_b64 s[18:19], s[4:5]
	s_cbranch_execnz .LBB14_3861
	s_branch .LBB14_3862
.LBB14_5075:
	v_mov_b32_e32 v3, 25
	v_cmp_gt_i16_sdwa s[28:29], v11, v3 src0_sel:BYTE_0 src1_sel:DWORD
	s_mov_b64 s[26:27], s[18:19]
	s_and_saveexec_b64 vcc, s[28:29]
	s_xor_b64 s[28:29], exec, vcc
	s_cbranch_execz .LBB14_5111
; %bb.5076:
	v_mov_b32_e32 v3, 28
	v_cmp_gt_i16_sdwa s[26:27], v11, v3 src0_sel:BYTE_0 src1_sel:DWORD
	s_mov_b64 s[30:31], s[18:19]
	s_and_saveexec_b64 vcc, s[26:27]
	s_xor_b64 s[26:27], exec, vcc
	s_cbranch_execz .LBB14_5094
; %bb.5077:
	v_mov_b32_e32 v3, 43
	v_cmp_gt_i16_sdwa s[30:31], v11, v3 src0_sel:BYTE_0 src1_sel:DWORD
	s_mov_b64 vcc, s[18:19]
	s_and_saveexec_b64 s[34:35], s[30:31]
	s_xor_b64 s[30:31], exec, s[34:35]
	s_cbranch_execz .LBB14_5089
; %bb.5078:
	v_mov_b32_e32 v3, 45
	v_cmp_gt_i16_sdwa s[4:5], v11, v3 src0_sel:BYTE_0 src1_sel:DWORD
	s_mov_b64 s[34:35], 0
	s_mov_b64 s[36:37], s[18:19]
	s_and_saveexec_b64 vcc, s[4:5]
	s_xor_b64 s[4:5], exec, vcc
	s_cbranch_execz .LBB14_5082
; %bb.5079:
	v_mov_b32_e32 v3, 46
	v_cmp_eq_u16_sdwa s[38:39], v11, v3 src0_sel:BYTE_0 src1_sel:DWORD
	s_mov_b64 vcc, -1
	s_and_saveexec_b64 s[36:37], s[38:39]
	s_cbranch_execz .LBB14_5081
; %bb.5080:
	v_bfe_u32 v3, v96, 16, 1
	s_movk_i32 vcc_lo, 0x7fff
	v_add3_u32 v3, v96, v3, vcc_lo
	v_lshrrev_b32_e32 v3, 16, v3
	v_mov_b32_e32 v5, 0x7fc0
	v_cmp_o_f32_e32 vcc, v96, v96
	v_cndmask_b32_e32 v3, v5, v3, vcc
	s_mov_b64 s[34:35], exec
	flat_store_dword v[98:99], v3
	s_xor_b64 vcc, exec, -1
.LBB14_5081:
	s_or_b64 exec, exec, s[36:37]
	s_andn2_b64 s[36:37], s[18:19], exec
	s_and_b64 vcc, vcc, exec
	s_or_b64 s[36:37], s[36:37], vcc
	s_and_b64 s[34:35], s[34:35], exec
                                        ; implicit-def: $vgpr98_vgpr99
                                        ; implicit-def: $vgpr96
.LBB14_5082:
	s_andn2_saveexec_b64 s[38:39], s[4:5]
	s_cbranch_execz .LBB14_5088
; %bb.5083:
	v_mov_b32_e32 v3, 44
	v_cmp_eq_u16_sdwa s[42:43], v11, v3 src0_sel:BYTE_0 src1_sel:DWORD
	s_mov_b64 vcc, -1
	s_mov_b64 s[4:5], s[34:35]
	s_and_saveexec_b64 s[40:41], s[42:43]
	s_cbranch_execz .LBB14_5087
; %bb.5084:
	v_bfe_u32 v3, v96, 23, 8
	s_movk_i32 s4, 0xff
	v_cmp_ne_u32_e32 vcc, s4, v3
	v_mov_b32_e32 v5, 0xff
	s_and_saveexec_b64 s[42:43], vcc
; %bb.5085:
	s_mov_b32 s4, 0x3fffff
	v_and_b32_e32 v7, 0x400000, v96
	v_and_or_b32 v3, v96, s4, v3
	v_cmp_ne_u32_e32 vcc, 0, v7
	v_cmp_ne_u32_e64 s[4:5], 0, v3
	s_and_b64 s[4:5], vcc, s[4:5]
	v_lshrrev_b32_e32 v5, 23, v96
	v_cndmask_b32_e64 v3, 0, 1, s[4:5]
	v_add_u32_e32 v5, v5, v3
; %bb.5086:
	s_or_b64 exec, exec, s[42:43]
	s_xor_b64 vcc, exec, -1
	s_or_b64 s[4:5], s[34:35], exec
	flat_store_byte v[98:99], v5
.LBB14_5087:
	s_or_b64 exec, exec, s[40:41]
	s_andn2_b64 s[36:37], s[36:37], exec
	s_and_b64 vcc, vcc, exec
	s_or_b64 s[36:37], s[36:37], vcc
	s_andn2_b64 vcc, s[34:35], exec
	s_and_b64 s[4:5], s[4:5], exec
	s_or_b64 s[34:35], vcc, s[4:5]
.LBB14_5088:
	s_or_b64 exec, exec, s[38:39]
	s_andn2_b64 s[4:5], s[18:19], exec
	s_and_b64 vcc, s[36:37], exec
	s_or_b64 vcc, s[4:5], vcc
	s_and_b64 s[4:5], s[34:35], exec
                                        ; implicit-def: $vgpr96
                                        ; implicit-def: $vgpr98_vgpr99
.LBB14_5089:
	s_andn2_saveexec_b64 s[30:31], s[30:31]
	s_cbranch_execz .LBB14_5093
; %bb.5090:
	v_mov_b32_e32 v3, 29
	v_cmp_eq_u16_sdwa s[40:41], v11, v3 src0_sel:BYTE_0 src1_sel:DWORD
	s_mov_b64 s[38:39], -1
	s_mov_b64 s[36:37], s[4:5]
	s_and_saveexec_b64 s[34:35], s[40:41]
	s_cbranch_execz .LBB14_5092
; %bb.5091:
	v_trunc_f32_e32 v3, v96
	v_mul_f32_e32 v5, 0x2f800000, v3
	v_floor_f32_e32 v5, v5
	v_fmac_f32_e32 v3, 0xcf800000, v5
	v_cvt_u32_f32_e32 v97, v5
	v_cvt_u32_f32_e32 v96, v3
	s_xor_b64 s[38:39], exec, -1
	s_or_b64 s[36:37], s[4:5], exec
	flat_store_dwordx2 v[98:99], v[96:97]
.LBB14_5092:
	s_or_b64 exec, exec, s[34:35]
	s_andn2_b64 vcc, vcc, exec
	s_and_b64 s[34:35], s[38:39], exec
	s_or_b64 vcc, vcc, s[34:35]
	s_andn2_b64 s[4:5], s[4:5], exec
	s_and_b64 s[34:35], s[36:37], exec
	s_or_b64 s[4:5], s[4:5], s[34:35]
.LBB14_5093:
	s_or_b64 exec, exec, s[30:31]
	s_andn2_b64 s[30:31], s[18:19], exec
	s_and_b64 vcc, vcc, exec
	s_or_b64 s[30:31], s[30:31], vcc
	s_and_b64 s[4:5], s[4:5], exec
                                        ; implicit-def: $vgpr98_vgpr99
                                        ; implicit-def: $vgpr96
.LBB14_5094:
	s_andn2_saveexec_b64 s[26:27], s[26:27]
	s_cbranch_execz .LBB14_5110
; %bb.5095:
	v_mov_b32_e32 v3, 26
	v_cmp_gt_i16_sdwa vcc, v11, v3 src0_sel:BYTE_0 src1_sel:DWORD
	s_and_saveexec_b64 s[34:35], vcc
	s_xor_b64 vcc, exec, s[34:35]
	s_cbranch_execz .LBB14_5101
; %bb.5096:
	v_cvt_u32_f32_e32 v3, v96
	v_mov_b32_e32 v5, 27
	v_cmp_gt_i16_sdwa s[34:35], v11, v5 src0_sel:BYTE_0 src1_sel:DWORD
	s_and_saveexec_b64 s[36:37], s[34:35]
	s_xor_b64 s[34:35], exec, s[36:37]
	s_cbranch_execz .LBB14_5098
; %bb.5097:
	flat_store_dword v[98:99], v3
                                        ; implicit-def: $vgpr98_vgpr99
                                        ; implicit-def: $vgpr3
.LBB14_5098:
	s_andn2_saveexec_b64 s[34:35], s[34:35]
	s_cbranch_execz .LBB14_5100
; %bb.5099:
	flat_store_short v[98:99], v3
.LBB14_5100:
	s_or_b64 exec, exec, s[34:35]
                                        ; implicit-def: $vgpr98_vgpr99
                                        ; implicit-def: $vgpr96
.LBB14_5101:
	s_andn2_saveexec_b64 s[34:35], vcc
	s_cbranch_execz .LBB14_5109
; %bb.5102:
	v_and_b32_e32 v3, 0x7fffffff, v96
	s_mov_b32 vcc_lo, 0x43800000
	v_cmp_gt_u32_e32 vcc, vcc_lo, v3
	v_mov_b32_e32 v5, 0x80
	s_and_saveexec_b64 s[36:37], vcc
	s_cbranch_execz .LBB14_5108
; %bb.5103:
	s_mov_b32 vcc_lo, 0x3bffffff
	v_cmp_lt_u32_e32 vcc, vcc_lo, v3
	s_mov_b64 s[38:39], 0
                                        ; implicit-def: $vgpr3
	s_and_saveexec_b64 s[40:41], vcc
	s_xor_b64 vcc, exec, s[40:41]
	s_cbranch_execnz .LBB14_5819
; %bb.5104:
	s_or_saveexec_b64 s[40:41], vcc
                                        ; implicit-def: $sgpr42
	s_xor_b64 exec, exec, s[40:41]
	s_cbranch_execnz .LBB14_5820
.LBB14_5105:
	s_or_b64 exec, exec, s[40:41]
	v_mov_b32_e32 v5, s42
	s_and_saveexec_b64 vcc, s[38:39]
.LBB14_5106:
	v_lshrrev_b32_e32 v5, 24, v96
	s_movk_i32 s38, 0x80
	v_and_or_b32 v5, v5, s38, v3
.LBB14_5107:
	s_or_b64 exec, exec, vcc
.LBB14_5108:
	s_or_b64 exec, exec, s[36:37]
	flat_store_byte v[98:99], v5
.LBB14_5109:
	s_or_b64 exec, exec, s[34:35]
	s_or_b64 s[4:5], s[4:5], exec
.LBB14_5110:
	s_or_b64 exec, exec, s[26:27]
	s_andn2_b64 s[26:27], s[18:19], exec
	s_and_b64 vcc, s[30:31], exec
	s_or_b64 s[26:27], s[26:27], vcc
	s_and_b64 s[4:5], s[4:5], exec
                                        ; implicit-def: $vgpr96
                                        ; implicit-def: $vgpr98_vgpr99
.LBB14_5111:
	s_andn2_saveexec_b64 s[28:29], s[28:29]
	s_cbranch_execz .LBB14_5155
; %bb.5112:
	v_mov_b32_e32 v3, 22
	v_cmp_gt_i16_sdwa vcc, v11, v3 src0_sel:BYTE_0 src1_sel:DWORD
	s_mov_b64 s[34:35], s[4:5]
	s_and_saveexec_b64 s[30:31], vcc
	s_xor_b64 s[30:31], exec, s[30:31]
	s_cbranch_execz .LBB14_5144
; %bb.5113:
	v_mov_b32_e32 v3, 23
	v_cmp_gt_i16_sdwa vcc, v11, v3 src0_sel:BYTE_0 src1_sel:DWORD
	s_and_saveexec_b64 s[34:35], vcc
	s_xor_b64 s[34:35], exec, s[34:35]
	s_cbranch_execz .LBB14_5133
; %bb.5114:
	v_mov_b32_e32 v3, 24
	v_cmp_gt_i16_sdwa vcc, v11, v3 src0_sel:BYTE_0 src1_sel:DWORD
	s_and_saveexec_b64 s[36:37], vcc
	s_xor_b64 s[36:37], exec, s[36:37]
	s_cbranch_execz .LBB14_5122
; %bb.5115:
	v_and_b32_e32 v3, 0x7fffffff, v96
	s_mov_b32 vcc_lo, 0x47800000
	v_cmp_gt_u32_e32 vcc, vcc_lo, v3
	v_mov_b32_e32 v5, 0x80
	s_and_saveexec_b64 s[38:39], vcc
	s_cbranch_execz .LBB14_5121
; %bb.5116:
	s_mov_b32 vcc_lo, 0x37ffffff
	v_cmp_lt_u32_e32 vcc, vcc_lo, v3
	s_mov_b64 s[40:41], 0
                                        ; implicit-def: $vgpr3
	s_and_saveexec_b64 s[42:43], vcc
	s_xor_b64 vcc, exec, s[42:43]
	s_cbranch_execnz .LBB14_5943
; %bb.5117:
	s_or_saveexec_b64 s[42:43], vcc
                                        ; implicit-def: $sgpr44
	s_xor_b64 exec, exec, s[42:43]
	s_cbranch_execnz .LBB14_5944
.LBB14_5118:
	s_or_b64 exec, exec, s[42:43]
	v_mov_b32_e32 v5, s44
	s_and_saveexec_b64 vcc, s[40:41]
.LBB14_5119:
	v_lshrrev_b32_e32 v5, 24, v96
	s_movk_i32 s40, 0x80
	v_and_or_b32 v5, v5, s40, v3
.LBB14_5120:
	s_or_b64 exec, exec, vcc
.LBB14_5121:
	s_or_b64 exec, exec, s[38:39]
	flat_store_byte v[98:99], v5
                                        ; implicit-def: $vgpr96
                                        ; implicit-def: $vgpr98_vgpr99
.LBB14_5122:
	s_andn2_saveexec_b64 s[36:37], s[36:37]
	s_cbranch_execz .LBB14_5132
; %bb.5123:
	v_and_b32_e32 v5, 0x7fffffff, v96
	s_mov_b32 vcc_lo, 0x43f00000
	v_cmp_gt_u32_e32 vcc, vcc_lo, v5
                                        ; implicit-def: $vgpr3
	s_and_saveexec_b64 s[38:39], vcc
	s_xor_b64 s[38:39], exec, s[38:39]
	s_cbranch_execz .LBB14_5129
; %bb.5124:
	s_mov_b32 vcc_lo, 0x3c7fffff
	v_cmp_lt_u32_e32 vcc, vcc_lo, v5
                                        ; implicit-def: $vgpr3
	s_and_saveexec_b64 s[40:41], vcc
	s_xor_b64 s[40:41], exec, s[40:41]
; %bb.5125:
	v_bfe_u32 v3, v96, 20, 1
	s_mov_b32 vcc_lo, 0x407ffff
	v_add3_u32 v3, v96, v3, vcc_lo
	v_lshrrev_b32_e32 v5, 20, v3
	v_and_b32_e32 v3, 0xff00000, v3
	s_mov_b32 vcc_lo, 0x7f00000
	v_mov_b32_e32 v7, 0x7e
	v_cmp_ne_u32_e32 vcc, vcc_lo, v3
	v_cndmask_b32_e32 v3, v7, v5, vcc
; %bb.5126:
	s_andn2_saveexec_b64 vcc, s[40:41]
; %bb.5127:
	s_mov_b32 s40, 0x46800000
	v_add_f32_e64 v3, |v96|, s40
; %bb.5128:
	s_or_b64 exec, exec, vcc
                                        ; implicit-def: $vgpr5
.LBB14_5129:
	s_andn2_saveexec_b64 s[38:39], s[38:39]
; %bb.5130:
	s_mov_b32 vcc_lo, 0x7f800000
	v_mov_b32_e32 v3, 0x7e
	v_mov_b32_e32 v7, 0x7f
	v_cmp_lt_u32_e32 vcc, vcc_lo, v5
	v_cndmask_b32_e32 v3, v3, v7, vcc
; %bb.5131:
	s_or_b64 exec, exec, s[38:39]
	v_lshrrev_b32_e32 v5, 24, v96
	s_movk_i32 vcc_lo, 0x80
	v_and_or_b32 v3, v5, vcc_lo, v3
	flat_store_byte v[98:99], v3
.LBB14_5132:
	s_or_b64 exec, exec, s[36:37]
                                        ; implicit-def: $vgpr96
                                        ; implicit-def: $vgpr98_vgpr99
.LBB14_5133:
	s_andn2_saveexec_b64 s[34:35], s[34:35]
	s_cbranch_execz .LBB14_5143
; %bb.5134:
	v_and_b32_e32 v5, 0x7fffffff, v96
	s_mov_b32 vcc_lo, 0x47800000
	v_cmp_gt_u32_e32 vcc, vcc_lo, v5
                                        ; implicit-def: $vgpr3
	s_and_saveexec_b64 s[36:37], vcc
	s_xor_b64 s[36:37], exec, s[36:37]
	s_cbranch_execz .LBB14_5140
; %bb.5135:
	s_mov_b32 vcc_lo, 0x387fffff
	v_cmp_lt_u32_e32 vcc, vcc_lo, v5
                                        ; implicit-def: $vgpr3
	s_and_saveexec_b64 s[38:39], vcc
	s_xor_b64 vcc, exec, s[38:39]
; %bb.5136:
	v_bfe_u32 v3, v96, 21, 1
	s_mov_b32 s38, 0x80fffff
	v_add3_u32 v3, v96, v3, s38
	v_lshrrev_b32_e32 v3, 21, v3
; %bb.5137:
	s_andn2_saveexec_b64 vcc, vcc
; %bb.5138:
	s_mov_b32 s38, 0x43000000
	v_add_f32_e64 v3, |v96|, s38
; %bb.5139:
	s_or_b64 exec, exec, vcc
                                        ; implicit-def: $vgpr5
.LBB14_5140:
	s_andn2_saveexec_b64 s[36:37], s[36:37]
; %bb.5141:
	s_mov_b32 vcc_lo, 0x7f800000
	v_mov_b32_e32 v3, 0x7c
	v_mov_b32_e32 v7, 0x7f
	v_cmp_lt_u32_e32 vcc, vcc_lo, v5
	v_cndmask_b32_e32 v3, v3, v7, vcc
; %bb.5142:
	s_or_b64 exec, exec, s[36:37]
	v_lshrrev_b32_e32 v5, 24, v96
	s_movk_i32 vcc_lo, 0x80
	v_and_or_b32 v3, v5, vcc_lo, v3
	flat_store_byte v[98:99], v3
.LBB14_5143:
	s_or_b64 exec, exec, s[34:35]
	s_or_b64 s[34:35], s[4:5], exec
                                        ; implicit-def: $vgpr98_vgpr99
                                        ; implicit-def: $vgpr96
.LBB14_5144:
	s_or_saveexec_b64 s[30:31], s[30:31]
	s_mov_b64 s[36:37], s[26:27]
	s_xor_b64 exec, exec, s[30:31]
	s_cbranch_execz .LBB14_5154
; %bb.5145:
	v_mov_b32_e32 v3, 14
	v_cmp_gt_i16_sdwa s[38:39], v11, v3 src0_sel:BYTE_0 src1_sel:DWORD
	s_mov_b64 vcc, s[34:35]
	s_mov_b64 s[36:37], s[26:27]
	s_and_saveexec_b64 s[40:41], s[38:39]
	s_xor_b64 s[38:39], exec, s[40:41]
	s_cbranch_execz .LBB14_5149
; %bb.5146:
	v_mov_b32_e32 v3, 15
	v_cmp_eq_u16_sdwa s[42:43], v11, v3 src0_sel:BYTE_0 src1_sel:DWORD
	s_mov_b64 s[40:41], -1
	s_mov_b64 vcc, s[34:35]
	s_and_saveexec_b64 s[36:37], s[42:43]
	s_cbranch_execz .LBB14_5148
; %bb.5147:
	v_bfe_u32 v3, v96, 16, 1
	s_movk_i32 vcc_lo, 0x7fff
	v_add3_u32 v3, v96, v3, vcc_lo
	v_lshrrev_b32_e32 v3, 16, v3
	v_mov_b32_e32 v5, 0x7fc0
	v_cmp_o_f32_e32 vcc, v96, v96
	v_cndmask_b32_e32 v3, v5, v3, vcc
	flat_store_short v[98:99], v3
	s_xor_b64 s[40:41], exec, -1
	s_or_b64 vcc, s[34:35], exec
.LBB14_5148:
	s_or_b64 exec, exec, s[36:37]
	s_andn2_b64 s[36:37], s[26:27], exec
	s_and_b64 s[40:41], s[40:41], exec
	s_or_b64 s[36:37], s[36:37], s[40:41]
	s_andn2_b64 s[40:41], s[34:35], exec
	s_and_b64 vcc, vcc, exec
	s_or_b64 vcc, s[40:41], vcc
                                        ; implicit-def: $vgpr98_vgpr99
.LBB14_5149:
	s_andn2_saveexec_b64 s[38:39], s[38:39]
	s_cbranch_execz .LBB14_5153
; %bb.5150:
	v_mov_b32_e32 v3, 11
	v_cmp_eq_u16_sdwa s[46:47], v11, v3 src0_sel:BYTE_0 src1_sel:DWORD
	s_mov_b64 s[42:43], -1
	s_mov_b64 s[40:41], vcc
	s_and_saveexec_b64 s[44:45], s[46:47]
	s_cbranch_execz .LBB14_5152
; %bb.5151:
	v_mov_b32_e32 v3, 1
	flat_store_byte v[98:99], v3
	s_xor_b64 s[42:43], exec, -1
	s_or_b64 s[40:41], vcc, exec
.LBB14_5152:
	s_or_b64 exec, exec, s[44:45]
	s_andn2_b64 s[36:37], s[36:37], exec
	s_and_b64 s[42:43], s[42:43], exec
	s_andn2_b64 vcc, vcc, exec
	s_and_b64 s[40:41], s[40:41], exec
	s_or_b64 s[36:37], s[36:37], s[42:43]
	s_or_b64 vcc, vcc, s[40:41]
.LBB14_5153:
	s_or_b64 exec, exec, s[38:39]
	s_andn2_b64 s[38:39], s[26:27], exec
	s_and_b64 s[36:37], s[36:37], exec
	s_andn2_b64 s[34:35], s[34:35], exec
	s_and_b64 vcc, vcc, exec
	s_or_b64 s[36:37], s[38:39], s[36:37]
	s_or_b64 s[34:35], s[34:35], vcc
.LBB14_5154:
	s_or_b64 exec, exec, s[30:31]
	s_andn2_b64 s[26:27], s[26:27], exec
	s_and_b64 vcc, s[36:37], exec
	s_or_b64 s[26:27], s[26:27], vcc
	s_andn2_b64 s[4:5], s[4:5], exec
	s_and_b64 vcc, s[34:35], exec
	s_or_b64 s[4:5], s[4:5], vcc
.LBB14_5155:
	s_or_b64 exec, exec, s[28:29]
	s_andn2_b64 s[28:29], s[18:19], exec
	s_and_b64 s[26:27], s[26:27], exec
	s_or_b64 s[26:27], s[28:29], s[26:27]
	s_and_b64 s[4:5], s[4:5], exec
                                        ; implicit-def: $vgpr96
                                        ; implicit-def: $vgpr98_vgpr99
	s_andn2_saveexec_b64 s[22:23], s[22:23]
	s_cbranch_execz .LBB14_3867
.LBB14_5156:
	v_mov_b32_e32 v3, 4
	v_cmp_gt_i16_sdwa s[28:29], v11, v3 src0_sel:BYTE_0 src1_sel:DWORD
	s_and_saveexec_b64 vcc, s[28:29]
	s_xor_b64 s[28:29], exec, vcc
	s_cbranch_execz .LBB14_5178
; %bb.5157:
	v_mov_b32_e32 v3, 7
	v_cmp_gt_i16_sdwa vcc, v11, v3 src0_sel:BYTE_0 src1_sel:DWORD
	s_and_saveexec_b64 s[30:31], vcc
	s_xor_b64 vcc, exec, s[30:31]
	s_cbranch_execz .LBB14_5167
; %bb.5158:
	v_mov_b32_e32 v3, 8
	v_cmp_gt_i16_sdwa s[30:31], v11, v3 src0_sel:BYTE_0 src1_sel:DWORD
	s_and_saveexec_b64 s[34:35], s[30:31]
	s_xor_b64 s[30:31], exec, s[34:35]
	s_cbranch_execz .LBB14_5164
; %bb.5159:
	v_mov_b32_e32 v3, 9
	v_cmp_gt_i16_sdwa s[34:35], v11, v3 src0_sel:BYTE_0 src1_sel:DWORD
	s_and_saveexec_b64 s[36:37], s[34:35]
	s_xor_b64 s[34:35], exec, s[36:37]
	s_cbranch_execz .LBB14_5161
; %bb.5160:
	v_mov_b32_e32 v102, 0
	v_cvt_f64_f32_e32 v[100:101], v96
	v_mov_b32_e32 v103, v102
	flat_store_dwordx4 v[98:99], v[100:103]
                                        ; implicit-def: $vgpr96
                                        ; implicit-def: $vgpr98_vgpr99
.LBB14_5161:
	s_andn2_saveexec_b64 s[34:35], s[34:35]
	s_cbranch_execz .LBB14_5163
; %bb.5162:
	v_mov_b32_e32 v97, 0
	flat_store_dwordx2 v[98:99], v[96:97]
.LBB14_5163:
	s_or_b64 exec, exec, s[34:35]
                                        ; implicit-def: $vgpr96
                                        ; implicit-def: $vgpr98_vgpr99
.LBB14_5164:
	s_andn2_saveexec_b64 s[30:31], s[30:31]
	s_cbranch_execz .LBB14_5166
; %bb.5165:
	v_cvt_f16_f32_e32 v3, v96
	flat_store_dword v[98:99], v3
.LBB14_5166:
	s_or_b64 exec, exec, s[30:31]
                                        ; implicit-def: $vgpr96
                                        ; implicit-def: $vgpr98_vgpr99
.LBB14_5167:
	s_andn2_saveexec_b64 vcc, vcc
	s_cbranch_execz .LBB14_5177
; %bb.5168:
	v_mov_b32_e32 v3, 5
	v_cmp_gt_i16_sdwa s[30:31], v11, v3 src0_sel:BYTE_0 src1_sel:DWORD
	s_and_saveexec_b64 s[34:35], s[30:31]
	s_xor_b64 s[30:31], exec, s[34:35]
	s_cbranch_execz .LBB14_5174
; %bb.5169:
	v_mov_b32_e32 v3, 6
	v_cmp_gt_i16_sdwa s[34:35], v11, v3 src0_sel:BYTE_0 src1_sel:DWORD
	s_and_saveexec_b64 s[36:37], s[34:35]
	s_xor_b64 s[34:35], exec, s[36:37]
	s_cbranch_execz .LBB14_5171
; %bb.5170:
	v_cvt_f64_f32_e32 v[96:97], v96
	flat_store_dwordx2 v[98:99], v[96:97]
                                        ; implicit-def: $vgpr98_vgpr99
                                        ; implicit-def: $vgpr96
.LBB14_5171:
	s_andn2_saveexec_b64 s[34:35], s[34:35]
	s_cbranch_execz .LBB14_5173
; %bb.5172:
	flat_store_dword v[98:99], v96
.LBB14_5173:
	s_or_b64 exec, exec, s[34:35]
                                        ; implicit-def: $vgpr96
                                        ; implicit-def: $vgpr98_vgpr99
.LBB14_5174:
	s_andn2_saveexec_b64 s[30:31], s[30:31]
	s_cbranch_execz .LBB14_5176
; %bb.5175:
	v_cvt_f16_f32_e32 v3, v96
	flat_store_short v[98:99], v3
.LBB14_5176:
	s_or_b64 exec, exec, s[30:31]
.LBB14_5177:
	s_or_b64 exec, exec, vcc
                                        ; implicit-def: $vgpr96
                                        ; implicit-def: $vgpr98_vgpr99
.LBB14_5178:
	s_andn2_saveexec_b64 s[28:29], s[28:29]
	s_cbranch_execz .LBB14_5196
; %bb.5179:
	v_mov_b32_e32 v3, 1
	v_cmp_gt_i16_sdwa vcc, v11, v3 src0_sel:BYTE_0 src1_sel:DWORD
	s_and_saveexec_b64 s[30:31], vcc
	s_xor_b64 s[30:31], exec, s[30:31]
	s_cbranch_execz .LBB14_5189
; %bb.5180:
	v_mov_b32_e32 v3, 2
	v_cmp_gt_i16_sdwa vcc, v11, v3 src0_sel:BYTE_0 src1_sel:DWORD
	s_and_saveexec_b64 s[34:35], vcc
	s_xor_b64 s[34:35], exec, s[34:35]
	;; [unrolled: 6-line block ×3, first 2 shown]
	s_cbranch_execz .LBB14_5183
; %bb.5182:
	v_trunc_f32_e32 v3, v96
	s_mov_b32 s38, 0x2f800000
	v_mul_f32_e64 v5, |v3|, s38
	v_floor_f32_e32 v5, v5
	s_mov_b32 s38, 0xcf800000
	v_cvt_u32_f32_e32 v7, v5
	v_fma_f32 v5, v5, s38, |v3|
	v_cvt_u32_f32_e32 v5, v5
	v_ashrrev_i32_e32 v3, 31, v3
	v_xor_b32_e32 v7, v7, v3
	v_xor_b32_e32 v5, v5, v3
	v_sub_co_u32_e32 v96, vcc, v5, v3
	v_subb_co_u32_e32 v97, vcc, v7, v3, vcc
	flat_store_dwordx2 v[98:99], v[96:97]
                                        ; implicit-def: $vgpr96
                                        ; implicit-def: $vgpr98_vgpr99
.LBB14_5183:
	s_andn2_saveexec_b64 vcc, s[36:37]
	s_cbranch_execz .LBB14_5185
; %bb.5184:
	v_cvt_i32_f32_e32 v3, v96
	flat_store_dword v[98:99], v3
.LBB14_5185:
	s_or_b64 exec, exec, vcc
                                        ; implicit-def: $vgpr96
                                        ; implicit-def: $vgpr98_vgpr99
.LBB14_5186:
	s_andn2_saveexec_b64 vcc, s[34:35]
	s_cbranch_execz .LBB14_5188
; %bb.5187:
	v_cvt_i32_f32_e32 v3, v96
	flat_store_short v[98:99], v3
.LBB14_5188:
	s_or_b64 exec, exec, vcc
                                        ; implicit-def: $vgpr96
                                        ; implicit-def: $vgpr98_vgpr99
.LBB14_5189:
	s_andn2_saveexec_b64 vcc, s[30:31]
	s_cbranch_execz .LBB14_5195
; %bb.5190:
	v_mov_b32_e32 v3, 0
	v_cmp_gt_i16_sdwa s[30:31], v11, v3 src0_sel:BYTE_0 src1_sel:DWORD
	s_and_saveexec_b64 s[34:35], s[30:31]
	s_xor_b64 s[30:31], exec, s[34:35]
	s_cbranch_execz .LBB14_5192
; %bb.5191:
	v_cvt_i32_f32_e32 v3, v96
                                        ; implicit-def: $vgpr96
	flat_store_byte v[98:99], v3
                                        ; implicit-def: $vgpr98_vgpr99
.LBB14_5192:
	s_andn2_saveexec_b64 s[30:31], s[30:31]
	s_cbranch_execz .LBB14_5194
; %bb.5193:
	v_trunc_f32_e32 v3, v96
	s_mov_b32 s34, 0x2f800000
	v_mul_f32_e64 v5, |v3|, s34
	v_floor_f32_e32 v5, v5
	s_mov_b32 s34, 0xcf800000
	v_fma_f32 v5, v5, s34, |v3|
	v_cvt_u32_f32_e32 v5, v5
	v_ashrrev_i32_e32 v3, 31, v3
	v_xor_b32_e32 v5, v5, v3
	v_sub_u32_e32 v3, v5, v3
	flat_store_byte v[98:99], v3
.LBB14_5194:
	s_or_b64 exec, exec, s[30:31]
.LBB14_5195:
	s_or_b64 exec, exec, vcc
.LBB14_5196:
	s_or_b64 exec, exec, s[28:29]
	s_or_b64 s[4:5], s[4:5], exec
	s_or_b64 exec, exec, s[22:23]
	s_mov_b64 s[28:29], 0
	s_and_saveexec_b64 s[22:23], s[4:5]
	s_cbranch_execnz .LBB14_3868
	s_branch .LBB14_3869
.LBB14_5197:
	v_mov_b32_e32 v3, 25
	v_cmp_gt_i16_sdwa vcc, v11, v3 src0_sel:BYTE_0 src1_sel:DWORD
	s_mov_b64 s[30:31], s[22:23]
	s_and_saveexec_b64 s[34:35], vcc
	s_xor_b64 s[34:35], exec, s[34:35]
	s_cbranch_execz .LBB14_5233
; %bb.5198:
	v_mov_b32_e32 v3, 28
	v_cmp_gt_i16_sdwa vcc, v11, v3 src0_sel:BYTE_0 src1_sel:DWORD
	s_mov_b64 s[36:37], s[22:23]
	s_and_saveexec_b64 s[30:31], vcc
	s_xor_b64 s[30:31], exec, s[30:31]
	s_cbranch_execz .LBB14_5216
; %bb.5199:
	v_mov_b32_e32 v3, 43
	v_cmp_gt_i16_sdwa s[36:37], v11, v3 src0_sel:BYTE_0 src1_sel:DWORD
	s_mov_b64 vcc, s[22:23]
	s_and_saveexec_b64 s[38:39], s[36:37]
	s_xor_b64 s[36:37], exec, s[38:39]
	s_cbranch_execz .LBB14_5211
; %bb.5200:
	v_mov_b32_e32 v3, 45
	v_cmp_gt_i16_sdwa s[4:5], v11, v3 src0_sel:BYTE_0 src1_sel:DWORD
	s_mov_b64 s[38:39], 0
	s_mov_b64 s[40:41], s[22:23]
	s_and_saveexec_b64 vcc, s[4:5]
	s_xor_b64 s[4:5], exec, vcc
	s_cbranch_execz .LBB14_5204
; %bb.5201:
	v_mov_b32_e32 v3, 46
	v_cmp_eq_u16_sdwa s[42:43], v11, v3 src0_sel:BYTE_0 src1_sel:DWORD
	s_mov_b64 vcc, -1
	s_and_saveexec_b64 s[40:41], s[42:43]
	s_cbranch_execz .LBB14_5203
; %bb.5202:
	v_bfe_u32 v3, v86, 16, 1
	s_movk_i32 vcc_lo, 0x7fff
	v_add3_u32 v3, v86, v3, vcc_lo
	v_lshrrev_b32_e32 v3, 16, v3
	v_mov_b32_e32 v5, 0x7fc0
	v_cmp_o_f32_e32 vcc, v86, v86
	v_cndmask_b32_e32 v3, v5, v3, vcc
	s_mov_b64 s[38:39], exec
	flat_store_dword v[96:97], v3
	s_xor_b64 vcc, exec, -1
.LBB14_5203:
	s_or_b64 exec, exec, s[40:41]
	s_andn2_b64 s[40:41], s[22:23], exec
	s_and_b64 vcc, vcc, exec
	s_or_b64 s[40:41], s[40:41], vcc
	s_and_b64 s[38:39], s[38:39], exec
                                        ; implicit-def: $vgpr96_vgpr97
                                        ; implicit-def: $vgpr86
.LBB14_5204:
	s_andn2_saveexec_b64 s[42:43], s[4:5]
	s_cbranch_execz .LBB14_5210
; %bb.5205:
	v_mov_b32_e32 v3, 44
	v_cmp_eq_u16_sdwa s[46:47], v11, v3 src0_sel:BYTE_0 src1_sel:DWORD
	s_mov_b64 vcc, -1
	s_mov_b64 s[4:5], s[38:39]
	s_and_saveexec_b64 s[44:45], s[46:47]
	s_cbranch_execz .LBB14_5209
; %bb.5206:
	v_bfe_u32 v3, v86, 23, 8
	s_movk_i32 s4, 0xff
	v_cmp_ne_u32_e32 vcc, s4, v3
	v_mov_b32_e32 v5, 0xff
	s_and_saveexec_b64 s[46:47], vcc
; %bb.5207:
	s_mov_b32 s4, 0x3fffff
	v_and_b32_e32 v7, 0x400000, v86
	v_and_or_b32 v3, v86, s4, v3
	v_cmp_ne_u32_e32 vcc, 0, v7
	v_cmp_ne_u32_e64 s[4:5], 0, v3
	s_and_b64 s[4:5], vcc, s[4:5]
	v_lshrrev_b32_e32 v5, 23, v86
	v_cndmask_b32_e64 v3, 0, 1, s[4:5]
	v_add_u32_e32 v5, v5, v3
; %bb.5208:
	s_or_b64 exec, exec, s[46:47]
	s_xor_b64 vcc, exec, -1
	s_or_b64 s[4:5], s[38:39], exec
	flat_store_byte v[96:97], v5
.LBB14_5209:
	s_or_b64 exec, exec, s[44:45]
	s_andn2_b64 s[40:41], s[40:41], exec
	s_and_b64 vcc, vcc, exec
	s_or_b64 s[40:41], s[40:41], vcc
	s_andn2_b64 vcc, s[38:39], exec
	s_and_b64 s[4:5], s[4:5], exec
	s_or_b64 s[38:39], vcc, s[4:5]
.LBB14_5210:
	s_or_b64 exec, exec, s[42:43]
	s_andn2_b64 s[4:5], s[22:23], exec
	s_and_b64 vcc, s[40:41], exec
	s_or_b64 vcc, s[4:5], vcc
	s_and_b64 s[4:5], s[38:39], exec
                                        ; implicit-def: $vgpr86
                                        ; implicit-def: $vgpr96_vgpr97
.LBB14_5211:
	s_andn2_saveexec_b64 s[36:37], s[36:37]
	s_cbranch_execz .LBB14_5215
; %bb.5212:
	v_mov_b32_e32 v3, 29
	v_cmp_eq_u16_sdwa s[44:45], v11, v3 src0_sel:BYTE_0 src1_sel:DWORD
	s_mov_b64 s[42:43], -1
	s_mov_b64 s[40:41], s[4:5]
	s_and_saveexec_b64 s[38:39], s[44:45]
	s_cbranch_execz .LBB14_5214
; %bb.5213:
	v_trunc_f32_e32 v3, v86
	v_mul_f32_e32 v5, 0x2f800000, v3
	v_floor_f32_e32 v5, v5
	v_fmac_f32_e32 v3, 0xcf800000, v5
	v_cvt_u32_f32_e32 v87, v5
	v_cvt_u32_f32_e32 v86, v3
	s_xor_b64 s[42:43], exec, -1
	s_or_b64 s[40:41], s[4:5], exec
	flat_store_dwordx2 v[96:97], v[86:87]
.LBB14_5214:
	s_or_b64 exec, exec, s[38:39]
	s_andn2_b64 vcc, vcc, exec
	s_and_b64 s[38:39], s[42:43], exec
	s_or_b64 vcc, vcc, s[38:39]
	s_andn2_b64 s[4:5], s[4:5], exec
	s_and_b64 s[38:39], s[40:41], exec
	s_or_b64 s[4:5], s[4:5], s[38:39]
.LBB14_5215:
	s_or_b64 exec, exec, s[36:37]
	s_andn2_b64 s[36:37], s[22:23], exec
	s_and_b64 vcc, vcc, exec
	s_or_b64 s[36:37], s[36:37], vcc
	s_and_b64 s[4:5], s[4:5], exec
                                        ; implicit-def: $vgpr96_vgpr97
                                        ; implicit-def: $vgpr86
.LBB14_5216:
	s_andn2_saveexec_b64 s[30:31], s[30:31]
	s_cbranch_execz .LBB14_5232
; %bb.5217:
	v_mov_b32_e32 v3, 26
	v_cmp_gt_i16_sdwa vcc, v11, v3 src0_sel:BYTE_0 src1_sel:DWORD
	s_and_saveexec_b64 s[38:39], vcc
	s_xor_b64 vcc, exec, s[38:39]
	s_cbranch_execz .LBB14_5223
; %bb.5218:
	v_cvt_u32_f32_e32 v3, v86
	v_mov_b32_e32 v5, 27
	v_cmp_gt_i16_sdwa s[38:39], v11, v5 src0_sel:BYTE_0 src1_sel:DWORD
	s_and_saveexec_b64 s[40:41], s[38:39]
	s_xor_b64 s[38:39], exec, s[40:41]
	s_cbranch_execz .LBB14_5220
; %bb.5219:
	flat_store_dword v[96:97], v3
                                        ; implicit-def: $vgpr96_vgpr97
                                        ; implicit-def: $vgpr3
.LBB14_5220:
	s_andn2_saveexec_b64 s[38:39], s[38:39]
	s_cbranch_execz .LBB14_5222
; %bb.5221:
	flat_store_short v[96:97], v3
.LBB14_5222:
	s_or_b64 exec, exec, s[38:39]
                                        ; implicit-def: $vgpr96_vgpr97
                                        ; implicit-def: $vgpr86
.LBB14_5223:
	s_andn2_saveexec_b64 s[38:39], vcc
	s_cbranch_execz .LBB14_5231
; %bb.5224:
	v_and_b32_e32 v3, 0x7fffffff, v86
	s_mov_b32 vcc_lo, 0x43800000
	v_cmp_gt_u32_e32 vcc, vcc_lo, v3
	v_mov_b32_e32 v5, 0x80
	s_and_saveexec_b64 s[40:41], vcc
	s_cbranch_execz .LBB14_5230
; %bb.5225:
	s_mov_b32 vcc_lo, 0x3bffffff
	v_cmp_lt_u32_e32 vcc, vcc_lo, v3
	s_mov_b64 s[42:43], 0
                                        ; implicit-def: $vgpr3
	s_and_saveexec_b64 s[44:45], vcc
	s_xor_b64 vcc, exec, s[44:45]
	s_cbranch_execnz .LBB14_5945
; %bb.5226:
	s_or_saveexec_b64 s[44:45], vcc
                                        ; implicit-def: $sgpr46
	s_xor_b64 exec, exec, s[44:45]
	s_cbranch_execnz .LBB14_5946
.LBB14_5227:
	s_or_b64 exec, exec, s[44:45]
	v_mov_b32_e32 v5, s46
	s_and_saveexec_b64 vcc, s[42:43]
.LBB14_5228:
	v_lshrrev_b32_e32 v5, 24, v86
	s_movk_i32 s42, 0x80
	v_and_or_b32 v5, v5, s42, v3
.LBB14_5229:
	s_or_b64 exec, exec, vcc
.LBB14_5230:
	s_or_b64 exec, exec, s[40:41]
	flat_store_byte v[96:97], v5
.LBB14_5231:
	s_or_b64 exec, exec, s[38:39]
	s_or_b64 s[4:5], s[4:5], exec
.LBB14_5232:
	s_or_b64 exec, exec, s[30:31]
	s_andn2_b64 vcc, s[22:23], exec
	s_and_b64 s[30:31], s[36:37], exec
	s_or_b64 s[30:31], vcc, s[30:31]
	s_and_b64 s[4:5], s[4:5], exec
                                        ; implicit-def: $vgpr86
                                        ; implicit-def: $vgpr96_vgpr97
.LBB14_5233:
	s_andn2_saveexec_b64 s[34:35], s[34:35]
	s_cbranch_execz .LBB14_5277
; %bb.5234:
	v_mov_b32_e32 v3, 22
	v_cmp_gt_i16_sdwa vcc, v11, v3 src0_sel:BYTE_0 src1_sel:DWORD
	s_mov_b64 s[38:39], s[4:5]
	s_and_saveexec_b64 s[36:37], vcc
	s_xor_b64 s[36:37], exec, s[36:37]
	s_cbranch_execz .LBB14_5266
; %bb.5235:
	v_mov_b32_e32 v3, 23
	v_cmp_gt_i16_sdwa vcc, v11, v3 src0_sel:BYTE_0 src1_sel:DWORD
	s_and_saveexec_b64 s[38:39], vcc
	s_xor_b64 s[38:39], exec, s[38:39]
	s_cbranch_execz .LBB14_5255
; %bb.5236:
	v_mov_b32_e32 v3, 24
	v_cmp_gt_i16_sdwa vcc, v11, v3 src0_sel:BYTE_0 src1_sel:DWORD
	s_and_saveexec_b64 s[40:41], vcc
	s_xor_b64 s[40:41], exec, s[40:41]
	s_cbranch_execz .LBB14_5244
; %bb.5237:
	v_and_b32_e32 v3, 0x7fffffff, v86
	s_mov_b32 vcc_lo, 0x47800000
	v_cmp_gt_u32_e32 vcc, vcc_lo, v3
	v_mov_b32_e32 v5, 0x80
	s_and_saveexec_b64 s[42:43], vcc
	s_cbranch_execz .LBB14_5243
; %bb.5238:
	s_mov_b32 vcc_lo, 0x37ffffff
	v_cmp_lt_u32_e32 vcc, vcc_lo, v3
	s_mov_b64 s[44:45], 0
                                        ; implicit-def: $vgpr3
	s_and_saveexec_b64 s[46:47], vcc
	s_xor_b64 vcc, exec, s[46:47]
	s_cbranch_execnz .LBB14_6069
; %bb.5239:
	s_or_saveexec_b64 s[46:47], vcc
                                        ; implicit-def: $sgpr48
	s_xor_b64 exec, exec, s[46:47]
	s_cbranch_execnz .LBB14_6070
.LBB14_5240:
	s_or_b64 exec, exec, s[46:47]
	v_mov_b32_e32 v5, s48
	s_and_saveexec_b64 vcc, s[44:45]
.LBB14_5241:
	v_lshrrev_b32_e32 v5, 24, v86
	s_movk_i32 s44, 0x80
	v_and_or_b32 v5, v5, s44, v3
.LBB14_5242:
	s_or_b64 exec, exec, vcc
.LBB14_5243:
	s_or_b64 exec, exec, s[42:43]
	flat_store_byte v[96:97], v5
                                        ; implicit-def: $vgpr86
                                        ; implicit-def: $vgpr96_vgpr97
.LBB14_5244:
	s_andn2_saveexec_b64 s[40:41], s[40:41]
	s_cbranch_execz .LBB14_5254
; %bb.5245:
	v_and_b32_e32 v5, 0x7fffffff, v86
	s_mov_b32 vcc_lo, 0x43f00000
	v_cmp_gt_u32_e32 vcc, vcc_lo, v5
                                        ; implicit-def: $vgpr3
	s_and_saveexec_b64 s[42:43], vcc
	s_xor_b64 s[42:43], exec, s[42:43]
	s_cbranch_execz .LBB14_5251
; %bb.5246:
	s_mov_b32 vcc_lo, 0x3c7fffff
	v_cmp_lt_u32_e32 vcc, vcc_lo, v5
                                        ; implicit-def: $vgpr3
	s_and_saveexec_b64 s[44:45], vcc
	s_xor_b64 s[44:45], exec, s[44:45]
; %bb.5247:
	v_bfe_u32 v3, v86, 20, 1
	s_mov_b32 vcc_lo, 0x407ffff
	v_add3_u32 v3, v86, v3, vcc_lo
	v_lshrrev_b32_e32 v5, 20, v3
	v_and_b32_e32 v3, 0xff00000, v3
	s_mov_b32 vcc_lo, 0x7f00000
	v_mov_b32_e32 v7, 0x7e
	v_cmp_ne_u32_e32 vcc, vcc_lo, v3
	v_cndmask_b32_e32 v3, v7, v5, vcc
; %bb.5248:
	s_andn2_saveexec_b64 vcc, s[44:45]
; %bb.5249:
	s_mov_b32 s44, 0x46800000
	v_add_f32_e64 v3, |v86|, s44
; %bb.5250:
	s_or_b64 exec, exec, vcc
                                        ; implicit-def: $vgpr5
.LBB14_5251:
	s_andn2_saveexec_b64 s[42:43], s[42:43]
; %bb.5252:
	s_mov_b32 vcc_lo, 0x7f800000
	v_mov_b32_e32 v3, 0x7e
	v_mov_b32_e32 v7, 0x7f
	v_cmp_lt_u32_e32 vcc, vcc_lo, v5
	v_cndmask_b32_e32 v3, v3, v7, vcc
; %bb.5253:
	s_or_b64 exec, exec, s[42:43]
	v_lshrrev_b32_e32 v5, 24, v86
	s_movk_i32 vcc_lo, 0x80
	v_and_or_b32 v3, v5, vcc_lo, v3
	flat_store_byte v[96:97], v3
.LBB14_5254:
	s_or_b64 exec, exec, s[40:41]
                                        ; implicit-def: $vgpr86
                                        ; implicit-def: $vgpr96_vgpr97
.LBB14_5255:
	s_andn2_saveexec_b64 s[38:39], s[38:39]
	s_cbranch_execz .LBB14_5265
; %bb.5256:
	v_and_b32_e32 v5, 0x7fffffff, v86
	s_mov_b32 vcc_lo, 0x47800000
	v_cmp_gt_u32_e32 vcc, vcc_lo, v5
                                        ; implicit-def: $vgpr3
	s_and_saveexec_b64 s[40:41], vcc
	s_xor_b64 s[40:41], exec, s[40:41]
	s_cbranch_execz .LBB14_5262
; %bb.5257:
	s_mov_b32 vcc_lo, 0x387fffff
	v_cmp_lt_u32_e32 vcc, vcc_lo, v5
                                        ; implicit-def: $vgpr3
	s_and_saveexec_b64 s[42:43], vcc
	s_xor_b64 vcc, exec, s[42:43]
; %bb.5258:
	v_bfe_u32 v3, v86, 21, 1
	s_mov_b32 s42, 0x80fffff
	v_add3_u32 v3, v86, v3, s42
	v_lshrrev_b32_e32 v3, 21, v3
; %bb.5259:
	s_andn2_saveexec_b64 vcc, vcc
; %bb.5260:
	s_mov_b32 s42, 0x43000000
	v_add_f32_e64 v3, |v86|, s42
; %bb.5261:
	s_or_b64 exec, exec, vcc
                                        ; implicit-def: $vgpr5
.LBB14_5262:
	s_andn2_saveexec_b64 s[40:41], s[40:41]
; %bb.5263:
	s_mov_b32 vcc_lo, 0x7f800000
	v_mov_b32_e32 v3, 0x7c
	v_mov_b32_e32 v7, 0x7f
	v_cmp_lt_u32_e32 vcc, vcc_lo, v5
	v_cndmask_b32_e32 v3, v3, v7, vcc
; %bb.5264:
	s_or_b64 exec, exec, s[40:41]
	v_lshrrev_b32_e32 v5, 24, v86
	s_movk_i32 vcc_lo, 0x80
	v_and_or_b32 v3, v5, vcc_lo, v3
	flat_store_byte v[96:97], v3
.LBB14_5265:
	s_or_b64 exec, exec, s[38:39]
	s_or_b64 s[38:39], s[4:5], exec
                                        ; implicit-def: $vgpr96_vgpr97
                                        ; implicit-def: $vgpr86
.LBB14_5266:
	s_or_saveexec_b64 s[36:37], s[36:37]
	s_mov_b64 s[40:41], s[30:31]
	s_xor_b64 exec, exec, s[36:37]
	s_cbranch_execz .LBB14_5276
; %bb.5267:
	v_mov_b32_e32 v3, 14
	v_cmp_gt_i16_sdwa s[42:43], v11, v3 src0_sel:BYTE_0 src1_sel:DWORD
	s_mov_b64 vcc, s[38:39]
	s_mov_b64 s[40:41], s[30:31]
	s_and_saveexec_b64 s[44:45], s[42:43]
	s_xor_b64 s[42:43], exec, s[44:45]
	s_cbranch_execz .LBB14_5271
; %bb.5268:
	v_mov_b32_e32 v3, 15
	v_cmp_eq_u16_sdwa s[46:47], v11, v3 src0_sel:BYTE_0 src1_sel:DWORD
	s_mov_b64 s[44:45], -1
	s_mov_b64 vcc, s[38:39]
	s_and_saveexec_b64 s[40:41], s[46:47]
	s_cbranch_execz .LBB14_5270
; %bb.5269:
	v_bfe_u32 v3, v86, 16, 1
	s_movk_i32 vcc_lo, 0x7fff
	v_add3_u32 v3, v86, v3, vcc_lo
	v_lshrrev_b32_e32 v3, 16, v3
	v_mov_b32_e32 v5, 0x7fc0
	v_cmp_o_f32_e32 vcc, v86, v86
	v_cndmask_b32_e32 v3, v5, v3, vcc
	flat_store_short v[96:97], v3
	s_xor_b64 s[44:45], exec, -1
	s_or_b64 vcc, s[38:39], exec
.LBB14_5270:
	s_or_b64 exec, exec, s[40:41]
	s_andn2_b64 s[40:41], s[30:31], exec
	s_and_b64 s[44:45], s[44:45], exec
	s_or_b64 s[40:41], s[40:41], s[44:45]
	s_andn2_b64 s[44:45], s[38:39], exec
	s_and_b64 vcc, vcc, exec
	s_or_b64 vcc, s[44:45], vcc
                                        ; implicit-def: $vgpr96_vgpr97
.LBB14_5271:
	s_andn2_saveexec_b64 s[42:43], s[42:43]
	s_cbranch_execz .LBB14_5275
; %bb.5272:
	v_mov_b32_e32 v3, 11
	v_cmp_eq_u16_sdwa s[50:51], v11, v3 src0_sel:BYTE_0 src1_sel:DWORD
	s_mov_b64 s[46:47], -1
	s_mov_b64 s[44:45], vcc
	s_and_saveexec_b64 s[48:49], s[50:51]
	s_cbranch_execz .LBB14_5274
; %bb.5273:
	v_mov_b32_e32 v3, 1
	flat_store_byte v[96:97], v3
	s_xor_b64 s[46:47], exec, -1
	s_or_b64 s[44:45], vcc, exec
.LBB14_5274:
	s_or_b64 exec, exec, s[48:49]
	s_andn2_b64 s[40:41], s[40:41], exec
	s_and_b64 s[46:47], s[46:47], exec
	s_andn2_b64 vcc, vcc, exec
	s_and_b64 s[44:45], s[44:45], exec
	s_or_b64 s[40:41], s[40:41], s[46:47]
	s_or_b64 vcc, vcc, s[44:45]
.LBB14_5275:
	s_or_b64 exec, exec, s[42:43]
	s_andn2_b64 s[42:43], s[30:31], exec
	s_and_b64 s[40:41], s[40:41], exec
	s_andn2_b64 s[38:39], s[38:39], exec
	s_and_b64 vcc, vcc, exec
	s_or_b64 s[40:41], s[42:43], s[40:41]
	s_or_b64 s[38:39], s[38:39], vcc
.LBB14_5276:
	s_or_b64 exec, exec, s[36:37]
	s_andn2_b64 vcc, s[30:31], exec
	s_and_b64 s[30:31], s[40:41], exec
	s_or_b64 s[30:31], vcc, s[30:31]
	s_andn2_b64 s[4:5], s[4:5], exec
	s_and_b64 vcc, s[38:39], exec
	s_or_b64 s[4:5], s[4:5], vcc
.LBB14_5277:
	s_or_b64 exec, exec, s[34:35]
	s_andn2_b64 vcc, s[22:23], exec
	s_and_b64 s[30:31], s[30:31], exec
	s_or_b64 s[30:31], vcc, s[30:31]
	s_and_b64 s[4:5], s[4:5], exec
                                        ; implicit-def: $vgpr86
                                        ; implicit-def: $vgpr96_vgpr97
	s_andn2_saveexec_b64 s[26:27], s[26:27]
	s_cbranch_execz .LBB14_3874
.LBB14_5278:
	v_mov_b32_e32 v3, 4
	v_cmp_gt_i16_sdwa vcc, v11, v3 src0_sel:BYTE_0 src1_sel:DWORD
	s_and_saveexec_b64 s[34:35], vcc
	s_xor_b64 vcc, exec, s[34:35]
	s_cbranch_execz .LBB14_5300
; %bb.5279:
	v_mov_b32_e32 v3, 7
	v_cmp_gt_i16_sdwa s[34:35], v11, v3 src0_sel:BYTE_0 src1_sel:DWORD
	s_and_saveexec_b64 s[36:37], s[34:35]
	s_xor_b64 s[34:35], exec, s[36:37]
	s_cbranch_execz .LBB14_5289
; %bb.5280:
	v_mov_b32_e32 v3, 8
	v_cmp_gt_i16_sdwa s[36:37], v11, v3 src0_sel:BYTE_0 src1_sel:DWORD
	s_and_saveexec_b64 s[38:39], s[36:37]
	s_xor_b64 s[36:37], exec, s[38:39]
	;; [unrolled: 6-line block ×3, first 2 shown]
	s_cbranch_execz .LBB14_5283
; %bb.5282:
	v_mov_b32_e32 v100, 0
	v_cvt_f64_f32_e32 v[98:99], v86
	v_mov_b32_e32 v101, v100
	flat_store_dwordx4 v[96:97], v[98:101]
                                        ; implicit-def: $vgpr86
                                        ; implicit-def: $vgpr96_vgpr97
.LBB14_5283:
	s_andn2_saveexec_b64 s[38:39], s[38:39]
	s_cbranch_execz .LBB14_5285
; %bb.5284:
	v_mov_b32_e32 v87, 0
	flat_store_dwordx2 v[96:97], v[86:87]
.LBB14_5285:
	s_or_b64 exec, exec, s[38:39]
                                        ; implicit-def: $vgpr86
                                        ; implicit-def: $vgpr96_vgpr97
.LBB14_5286:
	s_andn2_saveexec_b64 s[36:37], s[36:37]
	s_cbranch_execz .LBB14_5288
; %bb.5287:
	v_cvt_f16_f32_e32 v3, v86
	flat_store_dword v[96:97], v3
.LBB14_5288:
	s_or_b64 exec, exec, s[36:37]
                                        ; implicit-def: $vgpr86
                                        ; implicit-def: $vgpr96_vgpr97
.LBB14_5289:
	s_andn2_saveexec_b64 s[34:35], s[34:35]
	s_cbranch_execz .LBB14_5299
; %bb.5290:
	v_mov_b32_e32 v3, 5
	v_cmp_gt_i16_sdwa s[36:37], v11, v3 src0_sel:BYTE_0 src1_sel:DWORD
	s_and_saveexec_b64 s[38:39], s[36:37]
	s_xor_b64 s[36:37], exec, s[38:39]
	s_cbranch_execz .LBB14_5296
; %bb.5291:
	v_mov_b32_e32 v3, 6
	v_cmp_gt_i16_sdwa s[38:39], v11, v3 src0_sel:BYTE_0 src1_sel:DWORD
	s_and_saveexec_b64 s[40:41], s[38:39]
	s_xor_b64 s[38:39], exec, s[40:41]
	s_cbranch_execz .LBB14_5293
; %bb.5292:
	v_cvt_f64_f32_e32 v[86:87], v86
	flat_store_dwordx2 v[96:97], v[86:87]
                                        ; implicit-def: $vgpr96_vgpr97
                                        ; implicit-def: $vgpr86
.LBB14_5293:
	s_andn2_saveexec_b64 s[38:39], s[38:39]
	s_cbranch_execz .LBB14_5295
; %bb.5294:
	flat_store_dword v[96:97], v86
.LBB14_5295:
	s_or_b64 exec, exec, s[38:39]
                                        ; implicit-def: $vgpr86
                                        ; implicit-def: $vgpr96_vgpr97
.LBB14_5296:
	s_andn2_saveexec_b64 s[36:37], s[36:37]
	s_cbranch_execz .LBB14_5298
; %bb.5297:
	v_cvt_f16_f32_e32 v3, v86
	flat_store_short v[96:97], v3
.LBB14_5298:
	s_or_b64 exec, exec, s[36:37]
.LBB14_5299:
	s_or_b64 exec, exec, s[34:35]
                                        ; implicit-def: $vgpr86
                                        ; implicit-def: $vgpr96_vgpr97
.LBB14_5300:
	s_andn2_saveexec_b64 s[34:35], vcc
	s_cbranch_execz .LBB14_5318
; %bb.5301:
	v_mov_b32_e32 v3, 1
	v_cmp_gt_i16_sdwa vcc, v11, v3 src0_sel:BYTE_0 src1_sel:DWORD
	s_and_saveexec_b64 s[36:37], vcc
	s_xor_b64 s[36:37], exec, s[36:37]
	s_cbranch_execz .LBB14_5311
; %bb.5302:
	v_mov_b32_e32 v3, 2
	v_cmp_gt_i16_sdwa vcc, v11, v3 src0_sel:BYTE_0 src1_sel:DWORD
	s_and_saveexec_b64 s[38:39], vcc
	s_xor_b64 s[38:39], exec, s[38:39]
	;; [unrolled: 6-line block ×3, first 2 shown]
	s_cbranch_execz .LBB14_5305
; %bb.5304:
	v_trunc_f32_e32 v3, v86
	s_mov_b32 s42, 0x2f800000
	v_mul_f32_e64 v5, |v3|, s42
	v_floor_f32_e32 v5, v5
	s_mov_b32 s42, 0xcf800000
	v_cvt_u32_f32_e32 v7, v5
	v_fma_f32 v5, v5, s42, |v3|
	v_cvt_u32_f32_e32 v5, v5
	v_ashrrev_i32_e32 v3, 31, v3
	v_xor_b32_e32 v7, v7, v3
	v_xor_b32_e32 v5, v5, v3
	v_sub_co_u32_e32 v86, vcc, v5, v3
	v_subb_co_u32_e32 v87, vcc, v7, v3, vcc
	flat_store_dwordx2 v[96:97], v[86:87]
                                        ; implicit-def: $vgpr86
                                        ; implicit-def: $vgpr96_vgpr97
.LBB14_5305:
	s_andn2_saveexec_b64 vcc, s[40:41]
	s_cbranch_execz .LBB14_5307
; %bb.5306:
	v_cvt_i32_f32_e32 v3, v86
	flat_store_dword v[96:97], v3
.LBB14_5307:
	s_or_b64 exec, exec, vcc
                                        ; implicit-def: $vgpr86
                                        ; implicit-def: $vgpr96_vgpr97
.LBB14_5308:
	s_andn2_saveexec_b64 vcc, s[38:39]
	s_cbranch_execz .LBB14_5310
; %bb.5309:
	v_cvt_i32_f32_e32 v3, v86
	flat_store_short v[96:97], v3
.LBB14_5310:
	s_or_b64 exec, exec, vcc
                                        ; implicit-def: $vgpr86
                                        ; implicit-def: $vgpr96_vgpr97
.LBB14_5311:
	s_andn2_saveexec_b64 vcc, s[36:37]
	s_cbranch_execz .LBB14_5317
; %bb.5312:
	v_mov_b32_e32 v3, 0
	v_cmp_gt_i16_sdwa s[36:37], v11, v3 src0_sel:BYTE_0 src1_sel:DWORD
	s_and_saveexec_b64 s[38:39], s[36:37]
	s_xor_b64 s[36:37], exec, s[38:39]
	s_cbranch_execz .LBB14_5314
; %bb.5313:
	v_cvt_i32_f32_e32 v3, v86
                                        ; implicit-def: $vgpr86
	flat_store_byte v[96:97], v3
                                        ; implicit-def: $vgpr96_vgpr97
.LBB14_5314:
	s_andn2_saveexec_b64 s[36:37], s[36:37]
	s_cbranch_execz .LBB14_5316
; %bb.5315:
	v_trunc_f32_e32 v3, v86
	s_mov_b32 s38, 0x2f800000
	v_mul_f32_e64 v5, |v3|, s38
	v_floor_f32_e32 v5, v5
	s_mov_b32 s38, 0xcf800000
	v_fma_f32 v5, v5, s38, |v3|
	v_cvt_u32_f32_e32 v5, v5
	v_ashrrev_i32_e32 v3, 31, v3
	v_xor_b32_e32 v5, v5, v3
	v_sub_u32_e32 v3, v5, v3
	flat_store_byte v[96:97], v3
.LBB14_5316:
	s_or_b64 exec, exec, s[36:37]
.LBB14_5317:
	s_or_b64 exec, exec, vcc
.LBB14_5318:
	s_or_b64 exec, exec, s[34:35]
	s_or_b64 s[4:5], s[4:5], exec
	s_or_b64 exec, exec, s[26:27]
	s_mov_b64 vcc, 0
	s_and_saveexec_b64 s[26:27], s[4:5]
	s_cbranch_execnz .LBB14_3875
	s_branch .LBB14_3876
.LBB14_5319:
	v_bfe_u32 v5, v102, 20, 1
	s_mov_b32 vcc_lo, 0x487ffff
	v_add3_u32 v5, v102, v5, vcc_lo
	s_mov_b64 s[26:27], exec
	v_lshrrev_b32_e32 v5, 20, v5
	s_or_saveexec_b64 s[28:29], s[28:29]
                                        ; implicit-def: $sgpr30
	s_xor_b64 exec, exec, s[28:29]
	s_cbranch_execz .LBB14_3752
.LBB14_5320:
	s_mov_b32 s30, 0x46000000
	v_add_f32_e64 v5, |v102|, s30
	v_and_b32_e32 v5, 0xff, v5
	v_cmp_ne_u32_e32 vcc, 0, v5
	s_andn2_b64 s[26:27], s[26:27], exec
	s_and_b64 vcc, vcc, exec
	s_mov_b32 s30, 0
	s_or_b64 s[26:27], s[26:27], vcc
	s_or_b64 exec, exec, s[28:29]
	v_mov_b32_e32 v7, s30
	s_and_saveexec_b64 s[28:29], s[26:27]
	s_cbranch_execnz .LBB14_3753
	s_branch .LBB14_3754
.LBB14_5321:
	v_mov_b32_e32 v3, 25
	v_cmp_gt_i16_sdwa vcc, v11, v3 src0_sel:BYTE_0 src1_sel:DWORD
	s_mov_b64 s[36:37], s[26:27]
	s_and_saveexec_b64 s[38:39], vcc
	s_xor_b64 s[38:39], exec, s[38:39]
	s_cbranch_execz .LBB14_5357
; %bb.5322:
	v_mov_b32_e32 v3, 28
	v_cmp_gt_i16_sdwa vcc, v11, v3 src0_sel:BYTE_0 src1_sel:DWORD
	s_mov_b64 s[40:41], s[26:27]
	s_and_saveexec_b64 s[36:37], vcc
	s_xor_b64 s[36:37], exec, s[36:37]
	s_cbranch_execz .LBB14_5340
; %bb.5323:
	v_mov_b32_e32 v3, 43
	v_cmp_gt_i16_sdwa s[40:41], v11, v3 src0_sel:BYTE_0 src1_sel:DWORD
	s_mov_b64 vcc, s[26:27]
	s_and_saveexec_b64 s[42:43], s[40:41]
	s_xor_b64 s[40:41], exec, s[42:43]
	s_cbranch_execz .LBB14_5335
; %bb.5324:
	v_mov_b32_e32 v3, 45
	v_cmp_gt_i16_sdwa s[4:5], v11, v3 src0_sel:BYTE_0 src1_sel:DWORD
	s_mov_b64 s[42:43], 0
	s_mov_b64 s[44:45], s[26:27]
	s_and_saveexec_b64 vcc, s[4:5]
	s_xor_b64 s[4:5], exec, vcc
	s_cbranch_execz .LBB14_5328
; %bb.5325:
	v_mov_b32_e32 v3, 46
	v_cmp_eq_u16_sdwa s[46:47], v11, v3 src0_sel:BYTE_0 src1_sel:DWORD
	s_mov_b64 vcc, -1
	s_and_saveexec_b64 s[44:45], s[46:47]
	s_cbranch_execz .LBB14_5327
; %bb.5326:
	v_bfe_u32 v3, v84, 16, 1
	s_movk_i32 vcc_lo, 0x7fff
	v_add3_u32 v3, v84, v3, vcc_lo
	v_lshrrev_b32_e32 v3, 16, v3
	v_mov_b32_e32 v5, 0x7fc0
	v_cmp_o_f32_e32 vcc, v84, v84
	v_cndmask_b32_e32 v3, v5, v3, vcc
	s_mov_b64 s[42:43], exec
	flat_store_dword v[86:87], v3
	s_xor_b64 vcc, exec, -1
.LBB14_5327:
	s_or_b64 exec, exec, s[44:45]
	s_andn2_b64 s[44:45], s[26:27], exec
	s_and_b64 vcc, vcc, exec
	s_or_b64 s[44:45], s[44:45], vcc
	s_and_b64 s[42:43], s[42:43], exec
                                        ; implicit-def: $vgpr86_vgpr87
                                        ; implicit-def: $vgpr84
.LBB14_5328:
	s_andn2_saveexec_b64 s[46:47], s[4:5]
	s_cbranch_execz .LBB14_5334
; %bb.5329:
	v_mov_b32_e32 v3, 44
	v_cmp_eq_u16_sdwa s[50:51], v11, v3 src0_sel:BYTE_0 src1_sel:DWORD
	s_mov_b64 vcc, -1
	s_mov_b64 s[4:5], s[42:43]
	s_and_saveexec_b64 s[48:49], s[50:51]
	s_cbranch_execz .LBB14_5333
; %bb.5330:
	v_bfe_u32 v3, v84, 23, 8
	s_movk_i32 s4, 0xff
	v_cmp_ne_u32_e32 vcc, s4, v3
	v_mov_b32_e32 v5, 0xff
	s_and_saveexec_b64 s[50:51], vcc
; %bb.5331:
	s_mov_b32 s4, 0x3fffff
	v_and_b32_e32 v7, 0x400000, v84
	v_and_or_b32 v3, v84, s4, v3
	v_cmp_ne_u32_e32 vcc, 0, v7
	v_cmp_ne_u32_e64 s[4:5], 0, v3
	s_and_b64 s[4:5], vcc, s[4:5]
	v_lshrrev_b32_e32 v5, 23, v84
	v_cndmask_b32_e64 v3, 0, 1, s[4:5]
	v_add_u32_e32 v5, v5, v3
; %bb.5332:
	s_or_b64 exec, exec, s[50:51]
	s_xor_b64 vcc, exec, -1
	s_or_b64 s[4:5], s[42:43], exec
	flat_store_byte v[86:87], v5
.LBB14_5333:
	s_or_b64 exec, exec, s[48:49]
	s_andn2_b64 s[44:45], s[44:45], exec
	s_and_b64 vcc, vcc, exec
	s_or_b64 s[44:45], s[44:45], vcc
	s_andn2_b64 vcc, s[42:43], exec
	s_and_b64 s[4:5], s[4:5], exec
	s_or_b64 s[42:43], vcc, s[4:5]
.LBB14_5334:
	s_or_b64 exec, exec, s[46:47]
	s_andn2_b64 s[4:5], s[26:27], exec
	s_and_b64 vcc, s[44:45], exec
	s_or_b64 vcc, s[4:5], vcc
	s_and_b64 s[4:5], s[42:43], exec
                                        ; implicit-def: $vgpr84
                                        ; implicit-def: $vgpr86_vgpr87
.LBB14_5335:
	s_andn2_saveexec_b64 s[40:41], s[40:41]
	s_cbranch_execz .LBB14_5339
; %bb.5336:
	v_mov_b32_e32 v3, 29
	v_cmp_eq_u16_sdwa s[48:49], v11, v3 src0_sel:BYTE_0 src1_sel:DWORD
	s_mov_b64 s[46:47], -1
	s_mov_b64 s[44:45], s[4:5]
	s_and_saveexec_b64 s[42:43], s[48:49]
	s_cbranch_execz .LBB14_5338
; %bb.5337:
	v_trunc_f32_e32 v3, v84
	v_mul_f32_e32 v5, 0x2f800000, v3
	v_floor_f32_e32 v5, v5
	v_fmac_f32_e32 v3, 0xcf800000, v5
	v_cvt_u32_f32_e32 v85, v5
	v_cvt_u32_f32_e32 v84, v3
	s_xor_b64 s[46:47], exec, -1
	s_or_b64 s[44:45], s[4:5], exec
	flat_store_dwordx2 v[86:87], v[84:85]
.LBB14_5338:
	s_or_b64 exec, exec, s[42:43]
	s_andn2_b64 vcc, vcc, exec
	s_and_b64 s[42:43], s[46:47], exec
	s_or_b64 vcc, vcc, s[42:43]
	s_andn2_b64 s[4:5], s[4:5], exec
	s_and_b64 s[42:43], s[44:45], exec
	s_or_b64 s[4:5], s[4:5], s[42:43]
.LBB14_5339:
	s_or_b64 exec, exec, s[40:41]
	s_andn2_b64 s[40:41], s[26:27], exec
	s_and_b64 vcc, vcc, exec
	s_or_b64 s[40:41], s[40:41], vcc
	s_and_b64 s[4:5], s[4:5], exec
                                        ; implicit-def: $vgpr86_vgpr87
                                        ; implicit-def: $vgpr84
.LBB14_5340:
	s_andn2_saveexec_b64 s[36:37], s[36:37]
	s_cbranch_execz .LBB14_5356
; %bb.5341:
	v_mov_b32_e32 v3, 26
	v_cmp_gt_i16_sdwa vcc, v11, v3 src0_sel:BYTE_0 src1_sel:DWORD
	s_and_saveexec_b64 s[42:43], vcc
	s_xor_b64 vcc, exec, s[42:43]
	s_cbranch_execz .LBB14_5347
; %bb.5342:
	v_cvt_u32_f32_e32 v3, v84
	v_mov_b32_e32 v5, 27
	v_cmp_gt_i16_sdwa s[42:43], v11, v5 src0_sel:BYTE_0 src1_sel:DWORD
	s_and_saveexec_b64 s[44:45], s[42:43]
	s_xor_b64 s[42:43], exec, s[44:45]
	s_cbranch_execz .LBB14_5344
; %bb.5343:
	flat_store_dword v[86:87], v3
                                        ; implicit-def: $vgpr86_vgpr87
                                        ; implicit-def: $vgpr3
.LBB14_5344:
	s_andn2_saveexec_b64 s[42:43], s[42:43]
	s_cbranch_execz .LBB14_5346
; %bb.5345:
	flat_store_short v[86:87], v3
.LBB14_5346:
	s_or_b64 exec, exec, s[42:43]
                                        ; implicit-def: $vgpr86_vgpr87
                                        ; implicit-def: $vgpr84
.LBB14_5347:
	s_andn2_saveexec_b64 s[42:43], vcc
	s_cbranch_execz .LBB14_5355
; %bb.5348:
	v_and_b32_e32 v3, 0x7fffffff, v84
	s_mov_b32 vcc_lo, 0x43800000
	v_cmp_gt_u32_e32 vcc, vcc_lo, v3
	v_mov_b32_e32 v5, 0x80
	s_and_saveexec_b64 s[44:45], vcc
	s_cbranch_execz .LBB14_5354
; %bb.5349:
	s_mov_b32 vcc_lo, 0x3bffffff
	v_cmp_lt_u32_e32 vcc, vcc_lo, v3
	s_mov_b64 s[46:47], 0
                                        ; implicit-def: $vgpr3
	s_and_saveexec_b64 s[48:49], vcc
	s_xor_b64 vcc, exec, s[48:49]
	s_cbranch_execnz .LBB14_6071
; %bb.5350:
	s_or_saveexec_b64 s[48:49], vcc
                                        ; implicit-def: $sgpr50
	s_xor_b64 exec, exec, s[48:49]
	s_cbranch_execnz .LBB14_6072
.LBB14_5351:
	s_or_b64 exec, exec, s[48:49]
	v_mov_b32_e32 v5, s50
	s_and_saveexec_b64 vcc, s[46:47]
.LBB14_5352:
	v_lshrrev_b32_e32 v5, 24, v84
	s_movk_i32 s46, 0x80
	v_and_or_b32 v5, v5, s46, v3
.LBB14_5353:
	s_or_b64 exec, exec, vcc
.LBB14_5354:
	s_or_b64 exec, exec, s[44:45]
	flat_store_byte v[86:87], v5
.LBB14_5355:
	s_or_b64 exec, exec, s[42:43]
	s_or_b64 s[4:5], s[4:5], exec
.LBB14_5356:
	s_or_b64 exec, exec, s[36:37]
	s_andn2_b64 vcc, s[26:27], exec
	s_and_b64 s[36:37], s[40:41], exec
	s_or_b64 s[36:37], vcc, s[36:37]
	s_and_b64 s[4:5], s[4:5], exec
                                        ; implicit-def: $vgpr84
                                        ; implicit-def: $vgpr86_vgpr87
.LBB14_5357:
	s_andn2_saveexec_b64 s[38:39], s[38:39]
	s_cbranch_execz .LBB14_5401
; %bb.5358:
	v_mov_b32_e32 v3, 22
	v_cmp_gt_i16_sdwa vcc, v11, v3 src0_sel:BYTE_0 src1_sel:DWORD
	s_mov_b64 s[42:43], s[4:5]
	s_and_saveexec_b64 s[40:41], vcc
	s_xor_b64 s[40:41], exec, s[40:41]
	s_cbranch_execz .LBB14_5390
; %bb.5359:
	v_mov_b32_e32 v3, 23
	v_cmp_gt_i16_sdwa vcc, v11, v3 src0_sel:BYTE_0 src1_sel:DWORD
	s_and_saveexec_b64 s[42:43], vcc
	s_xor_b64 s[42:43], exec, s[42:43]
	s_cbranch_execz .LBB14_5379
; %bb.5360:
	v_mov_b32_e32 v3, 24
	v_cmp_gt_i16_sdwa vcc, v11, v3 src0_sel:BYTE_0 src1_sel:DWORD
	s_and_saveexec_b64 s[44:45], vcc
	s_xor_b64 s[44:45], exec, s[44:45]
	s_cbranch_execz .LBB14_5368
; %bb.5361:
	v_and_b32_e32 v3, 0x7fffffff, v84
	s_mov_b32 vcc_lo, 0x47800000
	v_cmp_gt_u32_e32 vcc, vcc_lo, v3
	v_mov_b32_e32 v5, 0x80
	s_and_saveexec_b64 s[46:47], vcc
	s_cbranch_execz .LBB14_5367
; %bb.5362:
	s_mov_b32 vcc_lo, 0x37ffffff
	v_cmp_lt_u32_e32 vcc, vcc_lo, v3
	s_mov_b64 s[48:49], 0
                                        ; implicit-def: $vgpr3
	s_and_saveexec_b64 s[50:51], vcc
	s_xor_b64 vcc, exec, s[50:51]
	s_cbranch_execnz .LBB14_6195
; %bb.5363:
	s_or_saveexec_b64 s[50:51], vcc
                                        ; implicit-def: $sgpr52
	s_xor_b64 exec, exec, s[50:51]
	s_cbranch_execnz .LBB14_6196
.LBB14_5364:
	s_or_b64 exec, exec, s[50:51]
	v_mov_b32_e32 v5, s52
	s_and_saveexec_b64 vcc, s[48:49]
.LBB14_5365:
	v_lshrrev_b32_e32 v5, 24, v84
	s_movk_i32 s48, 0x80
	v_and_or_b32 v5, v5, s48, v3
.LBB14_5366:
	s_or_b64 exec, exec, vcc
.LBB14_5367:
	s_or_b64 exec, exec, s[46:47]
	flat_store_byte v[86:87], v5
                                        ; implicit-def: $vgpr84
                                        ; implicit-def: $vgpr86_vgpr87
.LBB14_5368:
	s_andn2_saveexec_b64 s[44:45], s[44:45]
	s_cbranch_execz .LBB14_5378
; %bb.5369:
	v_and_b32_e32 v5, 0x7fffffff, v84
	s_mov_b32 vcc_lo, 0x43f00000
	v_cmp_gt_u32_e32 vcc, vcc_lo, v5
                                        ; implicit-def: $vgpr3
	s_and_saveexec_b64 s[46:47], vcc
	s_xor_b64 s[46:47], exec, s[46:47]
	s_cbranch_execz .LBB14_5375
; %bb.5370:
	s_mov_b32 vcc_lo, 0x3c7fffff
	v_cmp_lt_u32_e32 vcc, vcc_lo, v5
                                        ; implicit-def: $vgpr3
	s_and_saveexec_b64 s[48:49], vcc
	s_xor_b64 s[48:49], exec, s[48:49]
; %bb.5371:
	v_bfe_u32 v3, v84, 20, 1
	s_mov_b32 vcc_lo, 0x407ffff
	v_add3_u32 v3, v84, v3, vcc_lo
	v_lshrrev_b32_e32 v5, 20, v3
	v_and_b32_e32 v3, 0xff00000, v3
	s_mov_b32 vcc_lo, 0x7f00000
	v_mov_b32_e32 v7, 0x7e
	v_cmp_ne_u32_e32 vcc, vcc_lo, v3
	v_cndmask_b32_e32 v3, v7, v5, vcc
; %bb.5372:
	s_andn2_saveexec_b64 vcc, s[48:49]
; %bb.5373:
	s_mov_b32 s48, 0x46800000
	v_add_f32_e64 v3, |v84|, s48
; %bb.5374:
	s_or_b64 exec, exec, vcc
                                        ; implicit-def: $vgpr5
.LBB14_5375:
	s_andn2_saveexec_b64 s[46:47], s[46:47]
; %bb.5376:
	s_mov_b32 vcc_lo, 0x7f800000
	v_mov_b32_e32 v3, 0x7e
	v_mov_b32_e32 v7, 0x7f
	v_cmp_lt_u32_e32 vcc, vcc_lo, v5
	v_cndmask_b32_e32 v3, v3, v7, vcc
; %bb.5377:
	s_or_b64 exec, exec, s[46:47]
	v_lshrrev_b32_e32 v5, 24, v84
	s_movk_i32 vcc_lo, 0x80
	v_and_or_b32 v3, v5, vcc_lo, v3
	flat_store_byte v[86:87], v3
.LBB14_5378:
	s_or_b64 exec, exec, s[44:45]
                                        ; implicit-def: $vgpr84
                                        ; implicit-def: $vgpr86_vgpr87
.LBB14_5379:
	s_andn2_saveexec_b64 s[42:43], s[42:43]
	s_cbranch_execz .LBB14_5389
; %bb.5380:
	v_and_b32_e32 v5, 0x7fffffff, v84
	s_mov_b32 vcc_lo, 0x47800000
	v_cmp_gt_u32_e32 vcc, vcc_lo, v5
                                        ; implicit-def: $vgpr3
	s_and_saveexec_b64 s[44:45], vcc
	s_xor_b64 s[44:45], exec, s[44:45]
	s_cbranch_execz .LBB14_5386
; %bb.5381:
	s_mov_b32 vcc_lo, 0x387fffff
	v_cmp_lt_u32_e32 vcc, vcc_lo, v5
                                        ; implicit-def: $vgpr3
	s_and_saveexec_b64 s[46:47], vcc
	s_xor_b64 vcc, exec, s[46:47]
; %bb.5382:
	v_bfe_u32 v3, v84, 21, 1
	s_mov_b32 s46, 0x80fffff
	v_add3_u32 v3, v84, v3, s46
	v_lshrrev_b32_e32 v3, 21, v3
; %bb.5383:
	s_andn2_saveexec_b64 vcc, vcc
; %bb.5384:
	s_mov_b32 s46, 0x43000000
	v_add_f32_e64 v3, |v84|, s46
; %bb.5385:
	s_or_b64 exec, exec, vcc
                                        ; implicit-def: $vgpr5
.LBB14_5386:
	s_andn2_saveexec_b64 s[44:45], s[44:45]
; %bb.5387:
	s_mov_b32 vcc_lo, 0x7f800000
	v_mov_b32_e32 v3, 0x7c
	v_mov_b32_e32 v7, 0x7f
	v_cmp_lt_u32_e32 vcc, vcc_lo, v5
	v_cndmask_b32_e32 v3, v3, v7, vcc
; %bb.5388:
	s_or_b64 exec, exec, s[44:45]
	v_lshrrev_b32_e32 v5, 24, v84
	s_movk_i32 vcc_lo, 0x80
	v_and_or_b32 v3, v5, vcc_lo, v3
	flat_store_byte v[86:87], v3
.LBB14_5389:
	s_or_b64 exec, exec, s[42:43]
	s_or_b64 s[42:43], s[4:5], exec
                                        ; implicit-def: $vgpr86_vgpr87
                                        ; implicit-def: $vgpr84
.LBB14_5390:
	s_or_saveexec_b64 s[40:41], s[40:41]
	s_mov_b64 s[44:45], s[36:37]
	s_xor_b64 exec, exec, s[40:41]
	s_cbranch_execz .LBB14_5400
; %bb.5391:
	v_mov_b32_e32 v3, 14
	v_cmp_gt_i16_sdwa s[46:47], v11, v3 src0_sel:BYTE_0 src1_sel:DWORD
	s_mov_b64 vcc, s[42:43]
	s_mov_b64 s[44:45], s[36:37]
	s_and_saveexec_b64 s[48:49], s[46:47]
	s_xor_b64 s[46:47], exec, s[48:49]
	s_cbranch_execz .LBB14_5395
; %bb.5392:
	v_mov_b32_e32 v3, 15
	v_cmp_eq_u16_sdwa s[50:51], v11, v3 src0_sel:BYTE_0 src1_sel:DWORD
	s_mov_b64 s[48:49], -1
	s_mov_b64 vcc, s[42:43]
	s_and_saveexec_b64 s[44:45], s[50:51]
	s_cbranch_execz .LBB14_5394
; %bb.5393:
	v_bfe_u32 v3, v84, 16, 1
	s_movk_i32 vcc_lo, 0x7fff
	v_add3_u32 v3, v84, v3, vcc_lo
	v_lshrrev_b32_e32 v3, 16, v3
	v_mov_b32_e32 v5, 0x7fc0
	v_cmp_o_f32_e32 vcc, v84, v84
	v_cndmask_b32_e32 v3, v5, v3, vcc
	flat_store_short v[86:87], v3
	s_xor_b64 s[48:49], exec, -1
	s_or_b64 vcc, s[42:43], exec
.LBB14_5394:
	s_or_b64 exec, exec, s[44:45]
	s_andn2_b64 s[44:45], s[36:37], exec
	s_and_b64 s[48:49], s[48:49], exec
	s_or_b64 s[44:45], s[44:45], s[48:49]
	s_andn2_b64 s[48:49], s[42:43], exec
	s_and_b64 vcc, vcc, exec
	s_or_b64 vcc, s[48:49], vcc
                                        ; implicit-def: $vgpr86_vgpr87
.LBB14_5395:
	s_andn2_saveexec_b64 s[46:47], s[46:47]
	s_cbranch_execz .LBB14_5399
; %bb.5396:
	v_mov_b32_e32 v3, 11
	v_cmp_eq_u16_sdwa s[54:55], v11, v3 src0_sel:BYTE_0 src1_sel:DWORD
	s_mov_b64 s[50:51], -1
	s_mov_b64 s[48:49], vcc
	s_and_saveexec_b64 s[52:53], s[54:55]
	s_cbranch_execz .LBB14_5398
; %bb.5397:
	v_mov_b32_e32 v3, 1
	flat_store_byte v[86:87], v3
	s_xor_b64 s[50:51], exec, -1
	s_or_b64 s[48:49], vcc, exec
.LBB14_5398:
	s_or_b64 exec, exec, s[52:53]
	s_andn2_b64 s[44:45], s[44:45], exec
	s_and_b64 s[50:51], s[50:51], exec
	s_andn2_b64 vcc, vcc, exec
	s_and_b64 s[48:49], s[48:49], exec
	s_or_b64 s[44:45], s[44:45], s[50:51]
	s_or_b64 vcc, vcc, s[48:49]
.LBB14_5399:
	s_or_b64 exec, exec, s[46:47]
	s_andn2_b64 s[46:47], s[36:37], exec
	s_and_b64 s[44:45], s[44:45], exec
	s_andn2_b64 s[42:43], s[42:43], exec
	s_and_b64 vcc, vcc, exec
	s_or_b64 s[44:45], s[46:47], s[44:45]
	s_or_b64 s[42:43], s[42:43], vcc
.LBB14_5400:
	s_or_b64 exec, exec, s[40:41]
	s_andn2_b64 vcc, s[36:37], exec
	s_and_b64 s[36:37], s[44:45], exec
	s_or_b64 s[36:37], vcc, s[36:37]
	s_andn2_b64 s[4:5], s[4:5], exec
	s_and_b64 vcc, s[42:43], exec
	s_or_b64 s[4:5], s[4:5], vcc
.LBB14_5401:
	s_or_b64 exec, exec, s[38:39]
	s_andn2_b64 vcc, s[26:27], exec
	s_and_b64 s[36:37], s[36:37], exec
	s_or_b64 s[36:37], vcc, s[36:37]
	s_and_b64 s[4:5], s[4:5], exec
                                        ; implicit-def: $vgpr84
                                        ; implicit-def: $vgpr86_vgpr87
	s_andn2_saveexec_b64 s[34:35], s[34:35]
	s_cbranch_execz .LBB14_3881
.LBB14_5402:
	v_mov_b32_e32 v3, 4
	v_cmp_gt_i16_sdwa vcc, v11, v3 src0_sel:BYTE_0 src1_sel:DWORD
	s_and_saveexec_b64 s[38:39], vcc
	s_xor_b64 vcc, exec, s[38:39]
	s_cbranch_execz .LBB14_5424
; %bb.5403:
	v_mov_b32_e32 v3, 7
	v_cmp_gt_i16_sdwa s[38:39], v11, v3 src0_sel:BYTE_0 src1_sel:DWORD
	s_and_saveexec_b64 s[40:41], s[38:39]
	s_xor_b64 s[38:39], exec, s[40:41]
	s_cbranch_execz .LBB14_5413
; %bb.5404:
	v_mov_b32_e32 v3, 8
	v_cmp_gt_i16_sdwa s[40:41], v11, v3 src0_sel:BYTE_0 src1_sel:DWORD
	s_and_saveexec_b64 s[42:43], s[40:41]
	s_xor_b64 s[40:41], exec, s[42:43]
	;; [unrolled: 6-line block ×3, first 2 shown]
	s_cbranch_execz .LBB14_5407
; %bb.5406:
	v_mov_b32_e32 v98, 0
	v_cvt_f64_f32_e32 v[96:97], v84
	v_mov_b32_e32 v99, v98
	flat_store_dwordx4 v[86:87], v[96:99]
                                        ; implicit-def: $vgpr84
                                        ; implicit-def: $vgpr86_vgpr87
.LBB14_5407:
	s_andn2_saveexec_b64 s[42:43], s[42:43]
	s_cbranch_execz .LBB14_5409
; %bb.5408:
	v_mov_b32_e32 v85, 0
	flat_store_dwordx2 v[86:87], v[84:85]
.LBB14_5409:
	s_or_b64 exec, exec, s[42:43]
                                        ; implicit-def: $vgpr84
                                        ; implicit-def: $vgpr86_vgpr87
.LBB14_5410:
	s_andn2_saveexec_b64 s[40:41], s[40:41]
	s_cbranch_execz .LBB14_5412
; %bb.5411:
	v_cvt_f16_f32_e32 v3, v84
	flat_store_dword v[86:87], v3
.LBB14_5412:
	s_or_b64 exec, exec, s[40:41]
                                        ; implicit-def: $vgpr84
                                        ; implicit-def: $vgpr86_vgpr87
.LBB14_5413:
	s_andn2_saveexec_b64 s[38:39], s[38:39]
	s_cbranch_execz .LBB14_5423
; %bb.5414:
	v_mov_b32_e32 v3, 5
	v_cmp_gt_i16_sdwa s[40:41], v11, v3 src0_sel:BYTE_0 src1_sel:DWORD
	s_and_saveexec_b64 s[42:43], s[40:41]
	s_xor_b64 s[40:41], exec, s[42:43]
	s_cbranch_execz .LBB14_5420
; %bb.5415:
	v_mov_b32_e32 v3, 6
	v_cmp_gt_i16_sdwa s[42:43], v11, v3 src0_sel:BYTE_0 src1_sel:DWORD
	s_and_saveexec_b64 s[44:45], s[42:43]
	s_xor_b64 s[42:43], exec, s[44:45]
	s_cbranch_execz .LBB14_5417
; %bb.5416:
	v_cvt_f64_f32_e32 v[84:85], v84
	flat_store_dwordx2 v[86:87], v[84:85]
                                        ; implicit-def: $vgpr86_vgpr87
                                        ; implicit-def: $vgpr84
.LBB14_5417:
	s_andn2_saveexec_b64 s[42:43], s[42:43]
	s_cbranch_execz .LBB14_5419
; %bb.5418:
	flat_store_dword v[86:87], v84
.LBB14_5419:
	s_or_b64 exec, exec, s[42:43]
                                        ; implicit-def: $vgpr84
                                        ; implicit-def: $vgpr86_vgpr87
.LBB14_5420:
	s_andn2_saveexec_b64 s[40:41], s[40:41]
	s_cbranch_execz .LBB14_5422
; %bb.5421:
	v_cvt_f16_f32_e32 v3, v84
	flat_store_short v[86:87], v3
.LBB14_5422:
	s_or_b64 exec, exec, s[40:41]
.LBB14_5423:
	s_or_b64 exec, exec, s[38:39]
                                        ; implicit-def: $vgpr84
                                        ; implicit-def: $vgpr86_vgpr87
.LBB14_5424:
	s_andn2_saveexec_b64 s[38:39], vcc
	s_cbranch_execz .LBB14_5442
; %bb.5425:
	v_mov_b32_e32 v3, 1
	v_cmp_gt_i16_sdwa vcc, v11, v3 src0_sel:BYTE_0 src1_sel:DWORD
	s_and_saveexec_b64 s[40:41], vcc
	s_xor_b64 s[40:41], exec, s[40:41]
	s_cbranch_execz .LBB14_5435
; %bb.5426:
	v_mov_b32_e32 v3, 2
	v_cmp_gt_i16_sdwa vcc, v11, v3 src0_sel:BYTE_0 src1_sel:DWORD
	s_and_saveexec_b64 s[42:43], vcc
	s_xor_b64 s[42:43], exec, s[42:43]
	;; [unrolled: 6-line block ×3, first 2 shown]
	s_cbranch_execz .LBB14_5429
; %bb.5428:
	v_trunc_f32_e32 v3, v84
	s_mov_b32 s46, 0x2f800000
	v_mul_f32_e64 v5, |v3|, s46
	v_floor_f32_e32 v5, v5
	s_mov_b32 s46, 0xcf800000
	v_cvt_u32_f32_e32 v7, v5
	v_fma_f32 v5, v5, s46, |v3|
	v_cvt_u32_f32_e32 v5, v5
	v_ashrrev_i32_e32 v3, 31, v3
	v_xor_b32_e32 v7, v7, v3
	v_xor_b32_e32 v5, v5, v3
	v_sub_co_u32_e32 v84, vcc, v5, v3
	v_subb_co_u32_e32 v85, vcc, v7, v3, vcc
	flat_store_dwordx2 v[86:87], v[84:85]
                                        ; implicit-def: $vgpr84
                                        ; implicit-def: $vgpr86_vgpr87
.LBB14_5429:
	s_andn2_saveexec_b64 vcc, s[44:45]
	s_cbranch_execz .LBB14_5431
; %bb.5430:
	v_cvt_i32_f32_e32 v3, v84
	flat_store_dword v[86:87], v3
.LBB14_5431:
	s_or_b64 exec, exec, vcc
                                        ; implicit-def: $vgpr84
                                        ; implicit-def: $vgpr86_vgpr87
.LBB14_5432:
	s_andn2_saveexec_b64 vcc, s[42:43]
	s_cbranch_execz .LBB14_5434
; %bb.5433:
	v_cvt_i32_f32_e32 v3, v84
	flat_store_short v[86:87], v3
.LBB14_5434:
	s_or_b64 exec, exec, vcc
                                        ; implicit-def: $vgpr84
                                        ; implicit-def: $vgpr86_vgpr87
.LBB14_5435:
	s_andn2_saveexec_b64 vcc, s[40:41]
	s_cbranch_execz .LBB14_5441
; %bb.5436:
	v_mov_b32_e32 v3, 0
	v_cmp_gt_i16_sdwa s[40:41], v11, v3 src0_sel:BYTE_0 src1_sel:DWORD
	s_and_saveexec_b64 s[42:43], s[40:41]
	s_xor_b64 s[40:41], exec, s[42:43]
	s_cbranch_execz .LBB14_5438
; %bb.5437:
	v_cvt_i32_f32_e32 v3, v84
                                        ; implicit-def: $vgpr84
	flat_store_byte v[86:87], v3
                                        ; implicit-def: $vgpr86_vgpr87
.LBB14_5438:
	s_andn2_saveexec_b64 s[40:41], s[40:41]
	s_cbranch_execz .LBB14_5440
; %bb.5439:
	v_trunc_f32_e32 v3, v84
	s_mov_b32 s42, 0x2f800000
	v_mul_f32_e64 v5, |v3|, s42
	v_floor_f32_e32 v5, v5
	s_mov_b32 s42, 0xcf800000
	v_fma_f32 v5, v5, s42, |v3|
	v_cvt_u32_f32_e32 v5, v5
	v_ashrrev_i32_e32 v3, 31, v3
	v_xor_b32_e32 v5, v5, v3
	v_sub_u32_e32 v3, v5, v3
	flat_store_byte v[86:87], v3
.LBB14_5440:
	s_or_b64 exec, exec, s[40:41]
.LBB14_5441:
	s_or_b64 exec, exec, vcc
.LBB14_5442:
	s_or_b64 exec, exec, s[38:39]
	s_or_b64 s[4:5], s[4:5], exec
	s_or_b64 exec, exec, s[34:35]
	s_mov_b64 vcc, 0
	s_and_saveexec_b64 s[34:35], s[4:5]
	s_cbranch_execnz .LBB14_3882
	s_branch .LBB14_3883
.LBB14_5443:
	v_bfe_u32 v5, v102, 21, 1
	s_mov_b32 s30, 0x88fffff
	v_add3_u32 v5, v102, v5, s30
	s_mov_b64 s[28:29], exec
	v_lshrrev_b32_e32 v5, 21, v5
	s_or_saveexec_b64 s[30:31], vcc
                                        ; implicit-def: $sgpr34
	s_xor_b64 exec, exec, s[30:31]
	s_cbranch_execz .LBB14_3765
.LBB14_5444:
	s_mov_b32 s34, 0x42800000
	v_add_f32_e64 v5, |v102|, s34
	v_and_b32_e32 v5, 0xff, v5
	v_cmp_ne_u32_e32 vcc, 0, v5
	s_andn2_b64 s[28:29], s[28:29], exec
	s_and_b64 vcc, vcc, exec
	s_mov_b32 s34, 0
	s_or_b64 s[28:29], s[28:29], vcc
	s_or_b64 exec, exec, s[30:31]
	v_mov_b32_e32 v7, s34
	s_and_saveexec_b64 vcc, s[28:29]
	s_cbranch_execnz .LBB14_3766
	s_branch .LBB14_3767
.LBB14_5445:
	v_mov_b32_e32 v3, 25
	v_cmp_gt_i16_sdwa vcc, v11, v3 src0_sel:BYTE_0 src1_sel:DWORD
	s_mov_b64 s[40:41], s[4:5]
	s_and_saveexec_b64 s[42:43], vcc
	s_xor_b64 s[42:43], exec, s[42:43]
	s_cbranch_execz .LBB14_5481
; %bb.5446:
	v_mov_b32_e32 v3, 28
	v_cmp_gt_i16_sdwa vcc, v11, v3 src0_sel:BYTE_0 src1_sel:DWORD
	s_mov_b64 s[44:45], 0
	s_mov_b64 s[40:41], s[4:5]
	s_and_saveexec_b64 s[38:39], vcc
	s_xor_b64 s[38:39], exec, s[38:39]
	s_cbranch_execz .LBB14_5464
; %bb.5447:
	v_mov_b32_e32 v3, 43
	v_cmp_gt_i16_sdwa s[40:41], v11, v3 src0_sel:BYTE_0 src1_sel:DWORD
	s_mov_b64 vcc, 0
	s_mov_b64 s[46:47], s[4:5]
	s_and_saveexec_b64 s[44:45], s[40:41]
	s_xor_b64 s[40:41], exec, s[44:45]
	s_cbranch_execz .LBB14_5459
; %bb.5448:
	v_mov_b32_e32 v3, 45
	v_cmp_gt_i16_sdwa vcc, v11, v3 src0_sel:BYTE_0 src1_sel:DWORD
	s_mov_b64 s[44:45], 0
	s_mov_b64 s[46:47], s[4:5]
	s_and_saveexec_b64 s[48:49], vcc
	s_xor_b64 s[48:49], exec, s[48:49]
	s_cbranch_execz .LBB14_5452
; %bb.5449:
	v_mov_b32_e32 v3, 46
	v_cmp_eq_u16_sdwa s[50:51], v11, v3 src0_sel:BYTE_0 src1_sel:DWORD
	s_mov_b64 vcc, -1
	s_and_saveexec_b64 s[46:47], s[50:51]
	s_cbranch_execz .LBB14_5451
; %bb.5450:
	v_bfe_u32 v3, v82, 16, 1
	s_movk_i32 vcc_lo, 0x7fff
	v_add3_u32 v3, v82, v3, vcc_lo
	v_lshrrev_b32_e32 v3, 16, v3
	v_mov_b32_e32 v5, 0x7fc0
	v_cmp_o_f32_e32 vcc, v82, v82
	v_cndmask_b32_e32 v3, v5, v3, vcc
	s_mov_b64 s[44:45], exec
	flat_store_dword v[84:85], v3
	s_xor_b64 vcc, exec, -1
.LBB14_5451:
	s_or_b64 exec, exec, s[46:47]
	s_andn2_b64 s[46:47], s[4:5], exec
	s_and_b64 vcc, vcc, exec
	s_or_b64 s[46:47], s[46:47], vcc
	s_and_b64 s[44:45], s[44:45], exec
                                        ; implicit-def: $vgpr84_vgpr85
                                        ; implicit-def: $vgpr82
.LBB14_5452:
	s_andn2_saveexec_b64 s[48:49], s[48:49]
	s_cbranch_execz .LBB14_5458
; %bb.5453:
	v_mov_b32_e32 v3, 44
	v_cmp_eq_u16_sdwa s[52:53], v11, v3 src0_sel:BYTE_0 src1_sel:DWORD
	s_mov_b64 s[54:55], -1
	s_mov_b64 vcc, s[44:45]
	s_and_saveexec_b64 s[50:51], s[52:53]
	s_cbranch_execz .LBB14_5457
; %bb.5454:
	s_mov_b64 s[52:53], s[4:5]
	v_bfe_u32 v3, v82, 23, 8
	s_movk_i32 s4, 0xff
	v_cmp_ne_u32_e32 vcc, s4, v3
	v_mov_b32_e32 v5, 0xff
	s_and_saveexec_b64 s[54:55], vcc
; %bb.5455:
	s_mov_b32 s4, 0x3fffff
	v_and_b32_e32 v7, 0x400000, v82
	v_and_or_b32 v3, v82, s4, v3
	v_cmp_ne_u32_e32 vcc, 0, v7
	v_cmp_ne_u32_e64 s[4:5], 0, v3
	s_and_b64 s[4:5], vcc, s[4:5]
	v_lshrrev_b32_e32 v5, 23, v82
	v_cndmask_b32_e64 v3, 0, 1, s[4:5]
	v_add_u32_e32 v5, v5, v3
; %bb.5456:
	s_or_b64 exec, exec, s[54:55]
	s_xor_b64 s[54:55], exec, -1
	s_or_b64 vcc, s[44:45], exec
	s_mov_b64 s[4:5], s[52:53]
	flat_store_byte v[84:85], v5
.LBB14_5457:
	s_or_b64 exec, exec, s[50:51]
	s_andn2_b64 s[46:47], s[46:47], exec
	s_and_b64 s[50:51], s[54:55], exec
	s_andn2_b64 s[44:45], s[44:45], exec
	s_and_b64 vcc, vcc, exec
	s_or_b64 s[46:47], s[46:47], s[50:51]
	s_or_b64 s[44:45], s[44:45], vcc
.LBB14_5458:
	s_or_b64 exec, exec, s[48:49]
	s_andn2_b64 vcc, s[4:5], exec
	s_and_b64 s[46:47], s[46:47], exec
	s_or_b64 s[46:47], vcc, s[46:47]
	s_and_b64 vcc, s[44:45], exec
                                        ; implicit-def: $vgpr82
                                        ; implicit-def: $vgpr84_vgpr85
.LBB14_5459:
	s_andn2_saveexec_b64 s[40:41], s[40:41]
	s_cbranch_execz .LBB14_5463
; %bb.5460:
	v_mov_b32_e32 v3, 29
	v_cmp_eq_u16_sdwa s[52:53], v11, v3 src0_sel:BYTE_0 src1_sel:DWORD
	s_mov_b64 s[50:51], -1
	s_mov_b64 s[48:49], vcc
	s_and_saveexec_b64 s[44:45], s[52:53]
	s_cbranch_execz .LBB14_5462
; %bb.5461:
	v_trunc_f32_e32 v3, v82
	v_mul_f32_e32 v5, 0x2f800000, v3
	v_floor_f32_e32 v5, v5
	v_fmac_f32_e32 v3, 0xcf800000, v5
	v_cvt_u32_f32_e32 v83, v5
	v_cvt_u32_f32_e32 v82, v3
	s_xor_b64 s[50:51], exec, -1
	s_or_b64 s[48:49], vcc, exec
	flat_store_dwordx2 v[84:85], v[82:83]
.LBB14_5462:
	s_or_b64 exec, exec, s[44:45]
	s_andn2_b64 s[44:45], s[46:47], exec
	s_and_b64 s[46:47], s[50:51], exec
	s_or_b64 s[46:47], s[44:45], s[46:47]
	s_andn2_b64 vcc, vcc, exec
	s_and_b64 s[44:45], s[48:49], exec
	s_or_b64 vcc, vcc, s[44:45]
.LBB14_5463:
	s_or_b64 exec, exec, s[40:41]
	s_andn2_b64 s[40:41], s[4:5], exec
	s_and_b64 s[44:45], s[46:47], exec
	s_or_b64 s[40:41], s[40:41], s[44:45]
	s_and_b64 s[44:45], vcc, exec
                                        ; implicit-def: $vgpr84_vgpr85
                                        ; implicit-def: $vgpr82
.LBB14_5464:
	s_andn2_saveexec_b64 s[38:39], s[38:39]
	s_cbranch_execz .LBB14_5480
; %bb.5465:
	v_mov_b32_e32 v3, 26
	v_cmp_gt_i16_sdwa vcc, v11, v3 src0_sel:BYTE_0 src1_sel:DWORD
	s_and_saveexec_b64 s[46:47], vcc
	s_xor_b64 vcc, exec, s[46:47]
	s_cbranch_execz .LBB14_5471
; %bb.5466:
	v_cvt_u32_f32_e32 v3, v82
	v_mov_b32_e32 v5, 27
	v_cmp_gt_i16_sdwa s[46:47], v11, v5 src0_sel:BYTE_0 src1_sel:DWORD
	s_and_saveexec_b64 s[48:49], s[46:47]
	s_xor_b64 s[46:47], exec, s[48:49]
	s_cbranch_execz .LBB14_5468
; %bb.5467:
	flat_store_dword v[84:85], v3
                                        ; implicit-def: $vgpr84_vgpr85
                                        ; implicit-def: $vgpr3
.LBB14_5468:
	s_andn2_saveexec_b64 s[46:47], s[46:47]
	s_cbranch_execz .LBB14_5470
; %bb.5469:
	flat_store_short v[84:85], v3
.LBB14_5470:
	s_or_b64 exec, exec, s[46:47]
                                        ; implicit-def: $vgpr84_vgpr85
                                        ; implicit-def: $vgpr82
.LBB14_5471:
	s_andn2_saveexec_b64 s[46:47], vcc
	s_cbranch_execz .LBB14_5479
; %bb.5472:
	v_and_b32_e32 v3, 0x7fffffff, v82
	s_mov_b32 vcc_lo, 0x43800000
	v_cmp_gt_u32_e32 vcc, vcc_lo, v3
	v_mov_b32_e32 v5, 0x80
	s_and_saveexec_b64 s[48:49], vcc
	s_cbranch_execz .LBB14_5478
; %bb.5473:
	s_mov_b32 vcc_lo, 0x3bffffff
	v_cmp_lt_u32_e32 vcc, vcc_lo, v3
	s_mov_b64 s[50:51], 0
                                        ; implicit-def: $vgpr3
	s_and_saveexec_b64 s[52:53], vcc
	s_xor_b64 vcc, exec, s[52:53]
	s_cbranch_execnz .LBB14_6197
; %bb.5474:
	s_or_saveexec_b64 s[52:53], vcc
                                        ; implicit-def: $sgpr54
	s_xor_b64 exec, exec, s[52:53]
	s_cbranch_execnz .LBB14_6198
.LBB14_5475:
	s_or_b64 exec, exec, s[52:53]
	v_mov_b32_e32 v5, s54
	s_and_saveexec_b64 vcc, s[50:51]
.LBB14_5476:
	v_lshrrev_b32_e32 v5, 24, v82
	s_movk_i32 s50, 0x80
	v_and_or_b32 v5, v5, s50, v3
.LBB14_5477:
	s_or_b64 exec, exec, vcc
.LBB14_5478:
	s_or_b64 exec, exec, s[48:49]
	flat_store_byte v[84:85], v5
.LBB14_5479:
	s_or_b64 exec, exec, s[46:47]
	s_or_b64 s[44:45], s[44:45], exec
.LBB14_5480:
	s_or_b64 exec, exec, s[38:39]
	s_andn2_b64 vcc, s[4:5], exec
	s_and_b64 s[38:39], s[40:41], exec
	s_or_b64 s[40:41], vcc, s[38:39]
	s_and_b64 s[38:39], s[44:45], exec
                                        ; implicit-def: $vgpr82
                                        ; implicit-def: $vgpr84_vgpr85
.LBB14_5481:
	s_andn2_saveexec_b64 s[42:43], s[42:43]
	s_cbranch_execz .LBB14_5525
; %bb.5482:
	v_mov_b32_e32 v3, 22
	v_cmp_gt_i16_sdwa vcc, v11, v3 src0_sel:BYTE_0 src1_sel:DWORD
	s_mov_b64 s[46:47], s[38:39]
	s_and_saveexec_b64 s[44:45], vcc
	s_xor_b64 s[44:45], exec, s[44:45]
	s_cbranch_execz .LBB14_5514
; %bb.5483:
	v_mov_b32_e32 v3, 23
	v_cmp_gt_i16_sdwa vcc, v11, v3 src0_sel:BYTE_0 src1_sel:DWORD
	s_and_saveexec_b64 s[46:47], vcc
	s_xor_b64 s[46:47], exec, s[46:47]
	s_cbranch_execz .LBB14_5503
; %bb.5484:
	v_mov_b32_e32 v3, 24
	v_cmp_gt_i16_sdwa vcc, v11, v3 src0_sel:BYTE_0 src1_sel:DWORD
	s_and_saveexec_b64 s[48:49], vcc
	s_xor_b64 s[48:49], exec, s[48:49]
	s_cbranch_execz .LBB14_5492
; %bb.5485:
	v_and_b32_e32 v3, 0x7fffffff, v82
	s_mov_b32 vcc_lo, 0x47800000
	v_cmp_gt_u32_e32 vcc, vcc_lo, v3
	v_mov_b32_e32 v5, 0x80
	s_and_saveexec_b64 s[50:51], vcc
	s_cbranch_execz .LBB14_5491
; %bb.5486:
	s_mov_b32 vcc_lo, 0x37ffffff
	v_cmp_lt_u32_e32 vcc, vcc_lo, v3
	s_mov_b64 s[52:53], 0
                                        ; implicit-def: $vgpr3
	s_and_saveexec_b64 s[54:55], vcc
	s_xor_b64 vcc, exec, s[54:55]
	s_cbranch_execnz .LBB14_6321
; %bb.5487:
	s_or_saveexec_b64 s[54:55], vcc
                                        ; implicit-def: $sgpr56
	s_xor_b64 exec, exec, s[54:55]
	s_cbranch_execnz .LBB14_6322
.LBB14_5488:
	s_or_b64 exec, exec, s[54:55]
	v_mov_b32_e32 v5, s56
	s_and_saveexec_b64 vcc, s[52:53]
.LBB14_5489:
	v_lshrrev_b32_e32 v5, 24, v82
	s_movk_i32 s52, 0x80
	v_and_or_b32 v5, v5, s52, v3
.LBB14_5490:
	s_or_b64 exec, exec, vcc
.LBB14_5491:
	s_or_b64 exec, exec, s[50:51]
	flat_store_byte v[84:85], v5
                                        ; implicit-def: $vgpr82
                                        ; implicit-def: $vgpr84_vgpr85
.LBB14_5492:
	s_andn2_saveexec_b64 s[48:49], s[48:49]
	s_cbranch_execz .LBB14_5502
; %bb.5493:
	v_and_b32_e32 v5, 0x7fffffff, v82
	s_mov_b32 vcc_lo, 0x43f00000
	v_cmp_gt_u32_e32 vcc, vcc_lo, v5
                                        ; implicit-def: $vgpr3
	s_and_saveexec_b64 s[50:51], vcc
	s_xor_b64 s[50:51], exec, s[50:51]
	s_cbranch_execz .LBB14_5499
; %bb.5494:
	s_mov_b32 vcc_lo, 0x3c7fffff
	v_cmp_lt_u32_e32 vcc, vcc_lo, v5
                                        ; implicit-def: $vgpr3
	s_and_saveexec_b64 s[52:53], vcc
	s_xor_b64 s[52:53], exec, s[52:53]
; %bb.5495:
	v_bfe_u32 v3, v82, 20, 1
	s_mov_b32 vcc_lo, 0x407ffff
	v_add3_u32 v3, v82, v3, vcc_lo
	v_lshrrev_b32_e32 v5, 20, v3
	v_and_b32_e32 v3, 0xff00000, v3
	s_mov_b32 vcc_lo, 0x7f00000
	v_mov_b32_e32 v7, 0x7e
	v_cmp_ne_u32_e32 vcc, vcc_lo, v3
	v_cndmask_b32_e32 v3, v7, v5, vcc
; %bb.5496:
	s_andn2_saveexec_b64 vcc, s[52:53]
; %bb.5497:
	s_mov_b32 s52, 0x46800000
	v_add_f32_e64 v3, |v82|, s52
; %bb.5498:
	s_or_b64 exec, exec, vcc
                                        ; implicit-def: $vgpr5
.LBB14_5499:
	s_andn2_saveexec_b64 s[50:51], s[50:51]
; %bb.5500:
	s_mov_b32 vcc_lo, 0x7f800000
	v_mov_b32_e32 v3, 0x7e
	v_mov_b32_e32 v7, 0x7f
	v_cmp_lt_u32_e32 vcc, vcc_lo, v5
	v_cndmask_b32_e32 v3, v3, v7, vcc
; %bb.5501:
	s_or_b64 exec, exec, s[50:51]
	v_lshrrev_b32_e32 v5, 24, v82
	s_movk_i32 vcc_lo, 0x80
	v_and_or_b32 v3, v5, vcc_lo, v3
	flat_store_byte v[84:85], v3
.LBB14_5502:
	s_or_b64 exec, exec, s[48:49]
                                        ; implicit-def: $vgpr82
                                        ; implicit-def: $vgpr84_vgpr85
.LBB14_5503:
	s_andn2_saveexec_b64 s[46:47], s[46:47]
	s_cbranch_execz .LBB14_5513
; %bb.5504:
	v_and_b32_e32 v5, 0x7fffffff, v82
	s_mov_b32 vcc_lo, 0x47800000
	v_cmp_gt_u32_e32 vcc, vcc_lo, v5
                                        ; implicit-def: $vgpr3
	s_and_saveexec_b64 s[48:49], vcc
	s_xor_b64 s[48:49], exec, s[48:49]
	s_cbranch_execz .LBB14_5510
; %bb.5505:
	s_mov_b32 vcc_lo, 0x387fffff
	v_cmp_lt_u32_e32 vcc, vcc_lo, v5
                                        ; implicit-def: $vgpr3
	s_and_saveexec_b64 s[50:51], vcc
	s_xor_b64 vcc, exec, s[50:51]
; %bb.5506:
	v_bfe_u32 v3, v82, 21, 1
	s_mov_b32 s50, 0x80fffff
	v_add3_u32 v3, v82, v3, s50
	v_lshrrev_b32_e32 v3, 21, v3
; %bb.5507:
	s_andn2_saveexec_b64 vcc, vcc
; %bb.5508:
	s_mov_b32 s50, 0x43000000
	v_add_f32_e64 v3, |v82|, s50
; %bb.5509:
	s_or_b64 exec, exec, vcc
                                        ; implicit-def: $vgpr5
.LBB14_5510:
	s_andn2_saveexec_b64 s[48:49], s[48:49]
; %bb.5511:
	s_mov_b32 vcc_lo, 0x7f800000
	v_mov_b32_e32 v3, 0x7c
	v_mov_b32_e32 v7, 0x7f
	v_cmp_lt_u32_e32 vcc, vcc_lo, v5
	v_cndmask_b32_e32 v3, v3, v7, vcc
; %bb.5512:
	s_or_b64 exec, exec, s[48:49]
	v_lshrrev_b32_e32 v5, 24, v82
	s_movk_i32 vcc_lo, 0x80
	v_and_or_b32 v3, v5, vcc_lo, v3
	flat_store_byte v[84:85], v3
.LBB14_5513:
	s_or_b64 exec, exec, s[46:47]
	s_or_b64 s[46:47], s[38:39], exec
                                        ; implicit-def: $vgpr84_vgpr85
                                        ; implicit-def: $vgpr82
.LBB14_5514:
	s_or_saveexec_b64 s[44:45], s[44:45]
	s_mov_b64 s[48:49], s[40:41]
	s_xor_b64 exec, exec, s[44:45]
	s_cbranch_execz .LBB14_5524
; %bb.5515:
	v_mov_b32_e32 v3, 14
	v_cmp_gt_i16_sdwa s[50:51], v11, v3 src0_sel:BYTE_0 src1_sel:DWORD
	s_mov_b64 vcc, s[46:47]
	s_mov_b64 s[48:49], s[40:41]
	s_and_saveexec_b64 s[52:53], s[50:51]
	s_xor_b64 s[50:51], exec, s[52:53]
	s_cbranch_execz .LBB14_5519
; %bb.5516:
	v_mov_b32_e32 v3, 15
	v_cmp_eq_u16_sdwa s[54:55], v11, v3 src0_sel:BYTE_0 src1_sel:DWORD
	s_mov_b64 s[52:53], -1
	s_mov_b64 vcc, s[46:47]
	s_and_saveexec_b64 s[48:49], s[54:55]
	s_cbranch_execz .LBB14_5518
; %bb.5517:
	v_bfe_u32 v3, v82, 16, 1
	s_movk_i32 vcc_lo, 0x7fff
	v_add3_u32 v3, v82, v3, vcc_lo
	v_lshrrev_b32_e32 v3, 16, v3
	v_mov_b32_e32 v5, 0x7fc0
	v_cmp_o_f32_e32 vcc, v82, v82
	v_cndmask_b32_e32 v3, v5, v3, vcc
	flat_store_short v[84:85], v3
	s_xor_b64 s[52:53], exec, -1
	s_or_b64 vcc, s[46:47], exec
.LBB14_5518:
	s_or_b64 exec, exec, s[48:49]
	s_andn2_b64 s[48:49], s[40:41], exec
	s_and_b64 s[52:53], s[52:53], exec
	s_or_b64 s[48:49], s[48:49], s[52:53]
	s_andn2_b64 s[52:53], s[46:47], exec
	s_and_b64 vcc, vcc, exec
	s_or_b64 vcc, s[52:53], vcc
                                        ; implicit-def: $vgpr84_vgpr85
.LBB14_5519:
	s_andn2_saveexec_b64 s[50:51], s[50:51]
	s_cbranch_execz .LBB14_5523
; %bb.5520:
	v_mov_b32_e32 v3, 11
	v_cmp_eq_u16_sdwa s[58:59], v11, v3 src0_sel:BYTE_0 src1_sel:DWORD
	s_mov_b64 s[54:55], -1
	s_mov_b64 s[52:53], vcc
	s_and_saveexec_b64 s[56:57], s[58:59]
	s_cbranch_execz .LBB14_5522
; %bb.5521:
	v_mov_b32_e32 v3, 1
	flat_store_byte v[84:85], v3
	s_xor_b64 s[54:55], exec, -1
	s_or_b64 s[52:53], vcc, exec
.LBB14_5522:
	s_or_b64 exec, exec, s[56:57]
	s_andn2_b64 s[48:49], s[48:49], exec
	s_and_b64 s[54:55], s[54:55], exec
	s_andn2_b64 vcc, vcc, exec
	s_and_b64 s[52:53], s[52:53], exec
	s_or_b64 s[48:49], s[48:49], s[54:55]
	s_or_b64 vcc, vcc, s[52:53]
.LBB14_5523:
	s_or_b64 exec, exec, s[50:51]
	s_andn2_b64 s[50:51], s[40:41], exec
	s_and_b64 s[48:49], s[48:49], exec
	s_andn2_b64 s[46:47], s[46:47], exec
	s_and_b64 vcc, vcc, exec
	s_or_b64 s[48:49], s[50:51], s[48:49]
	s_or_b64 s[46:47], s[46:47], vcc
.LBB14_5524:
	s_or_b64 exec, exec, s[44:45]
	s_andn2_b64 vcc, s[40:41], exec
	s_and_b64 s[40:41], s[48:49], exec
	s_or_b64 s[40:41], vcc, s[40:41]
	s_andn2_b64 vcc, s[38:39], exec
	s_and_b64 s[38:39], s[46:47], exec
	s_or_b64 s[38:39], vcc, s[38:39]
.LBB14_5525:
	s_or_b64 exec, exec, s[42:43]
	s_andn2_b64 vcc, s[4:5], exec
	s_and_b64 s[40:41], s[40:41], exec
	s_or_b64 s[40:41], vcc, s[40:41]
	s_and_b64 s[38:39], s[38:39], exec
                                        ; implicit-def: $vgpr82
                                        ; implicit-def: $vgpr84_vgpr85
	s_andn2_saveexec_b64 s[34:35], s[34:35]
	s_cbranch_execz .LBB14_3888
.LBB14_5526:
	v_mov_b32_e32 v3, 4
	v_cmp_gt_i16_sdwa vcc, v11, v3 src0_sel:BYTE_0 src1_sel:DWORD
	s_and_saveexec_b64 s[42:43], vcc
	s_xor_b64 vcc, exec, s[42:43]
	s_cbranch_execz .LBB14_5548
; %bb.5527:
	v_mov_b32_e32 v3, 7
	v_cmp_gt_i16_sdwa s[42:43], v11, v3 src0_sel:BYTE_0 src1_sel:DWORD
	s_and_saveexec_b64 s[44:45], s[42:43]
	s_xor_b64 s[42:43], exec, s[44:45]
	s_cbranch_execz .LBB14_5537
; %bb.5528:
	v_mov_b32_e32 v3, 8
	v_cmp_gt_i16_sdwa s[44:45], v11, v3 src0_sel:BYTE_0 src1_sel:DWORD
	s_and_saveexec_b64 s[46:47], s[44:45]
	s_xor_b64 s[44:45], exec, s[46:47]
	;; [unrolled: 6-line block ×3, first 2 shown]
	s_cbranch_execz .LBB14_5531
; %bb.5530:
	v_mov_b32_e32 v98, 0
	v_cvt_f64_f32_e32 v[96:97], v82
	v_mov_b32_e32 v99, v98
	flat_store_dwordx4 v[84:85], v[96:99]
                                        ; implicit-def: $vgpr82
                                        ; implicit-def: $vgpr84_vgpr85
.LBB14_5531:
	s_andn2_saveexec_b64 s[46:47], s[46:47]
	s_cbranch_execz .LBB14_5533
; %bb.5532:
	v_mov_b32_e32 v83, 0
	flat_store_dwordx2 v[84:85], v[82:83]
.LBB14_5533:
	s_or_b64 exec, exec, s[46:47]
                                        ; implicit-def: $vgpr82
                                        ; implicit-def: $vgpr84_vgpr85
.LBB14_5534:
	s_andn2_saveexec_b64 s[44:45], s[44:45]
	s_cbranch_execz .LBB14_5536
; %bb.5535:
	v_cvt_f16_f32_e32 v3, v82
	flat_store_dword v[84:85], v3
.LBB14_5536:
	s_or_b64 exec, exec, s[44:45]
                                        ; implicit-def: $vgpr82
                                        ; implicit-def: $vgpr84_vgpr85
.LBB14_5537:
	s_andn2_saveexec_b64 s[42:43], s[42:43]
	s_cbranch_execz .LBB14_5547
; %bb.5538:
	v_mov_b32_e32 v3, 5
	v_cmp_gt_i16_sdwa s[44:45], v11, v3 src0_sel:BYTE_0 src1_sel:DWORD
	s_and_saveexec_b64 s[46:47], s[44:45]
	s_xor_b64 s[44:45], exec, s[46:47]
	s_cbranch_execz .LBB14_5544
; %bb.5539:
	v_mov_b32_e32 v3, 6
	v_cmp_gt_i16_sdwa s[46:47], v11, v3 src0_sel:BYTE_0 src1_sel:DWORD
	s_and_saveexec_b64 s[48:49], s[46:47]
	s_xor_b64 s[46:47], exec, s[48:49]
	s_cbranch_execz .LBB14_5541
; %bb.5540:
	v_cvt_f64_f32_e32 v[82:83], v82
	flat_store_dwordx2 v[84:85], v[82:83]
                                        ; implicit-def: $vgpr84_vgpr85
                                        ; implicit-def: $vgpr82
.LBB14_5541:
	s_andn2_saveexec_b64 s[46:47], s[46:47]
	s_cbranch_execz .LBB14_5543
; %bb.5542:
	flat_store_dword v[84:85], v82
.LBB14_5543:
	s_or_b64 exec, exec, s[46:47]
                                        ; implicit-def: $vgpr82
                                        ; implicit-def: $vgpr84_vgpr85
.LBB14_5544:
	s_andn2_saveexec_b64 s[44:45], s[44:45]
	s_cbranch_execz .LBB14_5546
; %bb.5545:
	v_cvt_f16_f32_e32 v3, v82
	flat_store_short v[84:85], v3
.LBB14_5546:
	s_or_b64 exec, exec, s[44:45]
.LBB14_5547:
	s_or_b64 exec, exec, s[42:43]
                                        ; implicit-def: $vgpr82
                                        ; implicit-def: $vgpr84_vgpr85
.LBB14_5548:
	s_andn2_saveexec_b64 s[42:43], vcc
	s_cbranch_execz .LBB14_5566
; %bb.5549:
	v_mov_b32_e32 v3, 1
	v_cmp_gt_i16_sdwa vcc, v11, v3 src0_sel:BYTE_0 src1_sel:DWORD
	s_and_saveexec_b64 s[44:45], vcc
	s_xor_b64 s[44:45], exec, s[44:45]
	s_cbranch_execz .LBB14_5559
; %bb.5550:
	v_mov_b32_e32 v3, 2
	v_cmp_gt_i16_sdwa vcc, v11, v3 src0_sel:BYTE_0 src1_sel:DWORD
	s_and_saveexec_b64 s[46:47], vcc
	s_xor_b64 s[46:47], exec, s[46:47]
	;; [unrolled: 6-line block ×3, first 2 shown]
	s_cbranch_execz .LBB14_5553
; %bb.5552:
	v_trunc_f32_e32 v3, v82
	s_mov_b32 s50, 0x2f800000
	v_mul_f32_e64 v5, |v3|, s50
	v_floor_f32_e32 v5, v5
	s_mov_b32 s50, 0xcf800000
	v_cvt_u32_f32_e32 v7, v5
	v_fma_f32 v5, v5, s50, |v3|
	v_cvt_u32_f32_e32 v5, v5
	v_ashrrev_i32_e32 v3, 31, v3
	v_xor_b32_e32 v7, v7, v3
	v_xor_b32_e32 v5, v5, v3
	v_sub_co_u32_e32 v82, vcc, v5, v3
	v_subb_co_u32_e32 v83, vcc, v7, v3, vcc
	flat_store_dwordx2 v[84:85], v[82:83]
                                        ; implicit-def: $vgpr82
                                        ; implicit-def: $vgpr84_vgpr85
.LBB14_5553:
	s_andn2_saveexec_b64 vcc, s[48:49]
	s_cbranch_execz .LBB14_5555
; %bb.5554:
	v_cvt_i32_f32_e32 v3, v82
	flat_store_dword v[84:85], v3
.LBB14_5555:
	s_or_b64 exec, exec, vcc
                                        ; implicit-def: $vgpr82
                                        ; implicit-def: $vgpr84_vgpr85
.LBB14_5556:
	s_andn2_saveexec_b64 vcc, s[46:47]
	s_cbranch_execz .LBB14_5558
; %bb.5557:
	v_cvt_i32_f32_e32 v3, v82
	flat_store_short v[84:85], v3
.LBB14_5558:
	s_or_b64 exec, exec, vcc
                                        ; implicit-def: $vgpr82
                                        ; implicit-def: $vgpr84_vgpr85
.LBB14_5559:
	s_andn2_saveexec_b64 vcc, s[44:45]
	s_cbranch_execz .LBB14_5565
; %bb.5560:
	v_mov_b32_e32 v3, 0
	v_cmp_gt_i16_sdwa s[44:45], v11, v3 src0_sel:BYTE_0 src1_sel:DWORD
	s_and_saveexec_b64 s[46:47], s[44:45]
	s_xor_b64 s[44:45], exec, s[46:47]
	s_cbranch_execz .LBB14_5562
; %bb.5561:
	v_cvt_i32_f32_e32 v3, v82
                                        ; implicit-def: $vgpr82
	flat_store_byte v[84:85], v3
                                        ; implicit-def: $vgpr84_vgpr85
.LBB14_5562:
	s_andn2_saveexec_b64 s[44:45], s[44:45]
	s_cbranch_execz .LBB14_5564
; %bb.5563:
	v_trunc_f32_e32 v3, v82
	s_mov_b32 s46, 0x2f800000
	v_mul_f32_e64 v5, |v3|, s46
	v_floor_f32_e32 v5, v5
	s_mov_b32 s46, 0xcf800000
	v_fma_f32 v5, v5, s46, |v3|
	v_cvt_u32_f32_e32 v5, v5
	v_ashrrev_i32_e32 v3, 31, v3
	v_xor_b32_e32 v5, v5, v3
	v_sub_u32_e32 v3, v5, v3
	flat_store_byte v[84:85], v3
.LBB14_5564:
	s_or_b64 exec, exec, s[44:45]
.LBB14_5565:
	s_or_b64 exec, exec, vcc
.LBB14_5566:
	s_or_b64 exec, exec, s[42:43]
	s_or_b64 s[38:39], s[38:39], exec
	s_or_b64 exec, exec, s[34:35]
	s_mov_b64 vcc, 0
	s_and_saveexec_b64 s[34:35], s[38:39]
	s_cbranch_execnz .LBB14_3889
	s_branch .LBB14_3890
.LBB14_5567:
	v_bfe_u32 v3, v100, 20, 1
	s_mov_b32 s30, 0x487ffff
	v_add3_u32 v3, v100, v3, s30
	s_mov_b64 s[28:29], exec
	v_lshrrev_b32_e32 v3, 20, v3
	s_or_saveexec_b64 s[30:31], vcc
                                        ; implicit-def: $sgpr34
	s_xor_b64 exec, exec, s[30:31]
	s_cbranch_execz .LBB14_4860
.LBB14_5568:
	s_mov_b32 s34, 0x46000000
	v_add_f32_e64 v3, |v100|, s34
	v_and_b32_e32 v3, 0xff, v3
	v_cmp_ne_u32_e32 vcc, 0, v3
	s_andn2_b64 s[28:29], s[28:29], exec
	s_and_b64 vcc, vcc, exec
	s_mov_b32 s34, 0
	s_or_b64 s[28:29], s[28:29], vcc
	s_or_b64 exec, exec, s[30:31]
	v_mov_b32_e32 v5, s34
	s_and_saveexec_b64 vcc, s[28:29]
	s_cbranch_execnz .LBB14_4861
	s_branch .LBB14_4862
.LBB14_5569:
	v_mov_b32_e32 v3, 25
	v_cmp_gt_i16_sdwa vcc, v11, v3 src0_sel:BYTE_0 src1_sel:DWORD
	s_mov_b64 s[44:45], s[34:35]
	s_and_saveexec_b64 s[46:47], vcc
	s_xor_b64 s[46:47], exec, s[46:47]
	s_cbranch_execz .LBB14_5605
; %bb.5570:
	v_mov_b32_e32 v3, 28
	v_cmp_gt_i16_sdwa vcc, v11, v3 src0_sel:BYTE_0 src1_sel:DWORD
	s_mov_b64 s[48:49], 0
	s_mov_b64 s[44:45], s[34:35]
	s_and_saveexec_b64 s[42:43], vcc
	s_xor_b64 s[42:43], exec, s[42:43]
	s_cbranch_execz .LBB14_5588
; %bb.5571:
	v_mov_b32_e32 v3, 43
	v_cmp_gt_i16_sdwa s[44:45], v11, v3 src0_sel:BYTE_0 src1_sel:DWORD
	s_mov_b64 vcc, 0
	s_mov_b64 s[52:53], s[34:35]
	s_and_saveexec_b64 s[48:49], s[44:45]
	s_xor_b64 s[44:45], exec, s[48:49]
	s_cbranch_execz .LBB14_5583
; %bb.5572:
	v_mov_b32_e32 v3, 45
	s_mov_b64 s[48:49], s[4:5]
	v_cmp_gt_i16_sdwa s[4:5], v11, v3 src0_sel:BYTE_0 src1_sel:DWORD
	s_mov_b64 s[50:51], 0
	s_mov_b64 s[52:53], s[34:35]
	s_and_saveexec_b64 vcc, s[4:5]
	s_xor_b64 s[4:5], exec, vcc
	s_cbranch_execz .LBB14_5576
; %bb.5573:
	v_mov_b32_e32 v3, 46
	v_cmp_eq_u16_sdwa s[54:55], v11, v3 src0_sel:BYTE_0 src1_sel:DWORD
	s_mov_b64 vcc, -1
	s_and_saveexec_b64 s[52:53], s[54:55]
	s_cbranch_execz .LBB14_5575
; %bb.5574:
	v_bfe_u32 v3, v80, 16, 1
	s_movk_i32 vcc_lo, 0x7fff
	v_add3_u32 v3, v80, v3, vcc_lo
	v_lshrrev_b32_e32 v3, 16, v3
	v_mov_b32_e32 v5, 0x7fc0
	v_cmp_o_f32_e32 vcc, v80, v80
	v_cndmask_b32_e32 v3, v5, v3, vcc
	s_mov_b64 s[50:51], exec
	flat_store_dword v[82:83], v3
	s_xor_b64 vcc, exec, -1
.LBB14_5575:
	s_or_b64 exec, exec, s[52:53]
	s_andn2_b64 s[52:53], s[34:35], exec
	s_and_b64 vcc, vcc, exec
	s_or_b64 s[52:53], s[52:53], vcc
	s_and_b64 s[50:51], s[50:51], exec
                                        ; implicit-def: $vgpr82_vgpr83
                                        ; implicit-def: $vgpr80
.LBB14_5576:
	s_andn2_saveexec_b64 s[54:55], s[4:5]
	s_cbranch_execz .LBB14_5582
; %bb.5577:
	v_mov_b32_e32 v3, 44
	v_cmp_eq_u16_sdwa s[58:59], v11, v3 src0_sel:BYTE_0 src1_sel:DWORD
	s_mov_b64 vcc, -1
	s_mov_b64 s[4:5], s[50:51]
	s_and_saveexec_b64 s[56:57], s[58:59]
	s_cbranch_execz .LBB14_5581
; %bb.5578:
	v_bfe_u32 v3, v80, 23, 8
	s_movk_i32 s4, 0xff
	v_cmp_ne_u32_e32 vcc, s4, v3
	v_mov_b32_e32 v5, 0xff
	s_and_saveexec_b64 s[58:59], vcc
; %bb.5579:
	s_mov_b32 s4, 0x3fffff
	v_and_b32_e32 v7, 0x400000, v80
	v_and_or_b32 v3, v80, s4, v3
	v_cmp_ne_u32_e32 vcc, 0, v7
	v_cmp_ne_u32_e64 s[4:5], 0, v3
	s_and_b64 s[4:5], vcc, s[4:5]
	v_lshrrev_b32_e32 v5, 23, v80
	v_cndmask_b32_e64 v3, 0, 1, s[4:5]
	v_add_u32_e32 v5, v5, v3
; %bb.5580:
	s_or_b64 exec, exec, s[58:59]
	s_xor_b64 vcc, exec, -1
	s_or_b64 s[4:5], s[50:51], exec
	flat_store_byte v[82:83], v5
.LBB14_5581:
	s_or_b64 exec, exec, s[56:57]
	s_andn2_b64 s[52:53], s[52:53], exec
	s_and_b64 vcc, vcc, exec
	s_or_b64 s[52:53], s[52:53], vcc
	s_andn2_b64 vcc, s[50:51], exec
	s_and_b64 s[4:5], s[4:5], exec
	s_or_b64 s[50:51], vcc, s[4:5]
.LBB14_5582:
	s_or_b64 exec, exec, s[54:55]
	s_andn2_b64 s[4:5], s[34:35], exec
	s_and_b64 vcc, s[52:53], exec
	s_or_b64 s[52:53], s[4:5], vcc
	s_and_b64 vcc, s[50:51], exec
	s_mov_b64 s[4:5], s[48:49]
                                        ; implicit-def: $vgpr80
                                        ; implicit-def: $vgpr82_vgpr83
.LBB14_5583:
	s_andn2_saveexec_b64 s[44:45], s[44:45]
	s_cbranch_execz .LBB14_5587
; %bb.5584:
	v_mov_b32_e32 v3, 29
	v_cmp_eq_u16_sdwa s[56:57], v11, v3 src0_sel:BYTE_0 src1_sel:DWORD
	s_mov_b64 s[54:55], -1
	s_mov_b64 s[50:51], vcc
	s_and_saveexec_b64 s[48:49], s[56:57]
	s_cbranch_execz .LBB14_5586
; %bb.5585:
	v_trunc_f32_e32 v3, v80
	v_mul_f32_e32 v5, 0x2f800000, v3
	v_floor_f32_e32 v5, v5
	v_fmac_f32_e32 v3, 0xcf800000, v5
	v_cvt_u32_f32_e32 v81, v5
	v_cvt_u32_f32_e32 v80, v3
	s_xor_b64 s[54:55], exec, -1
	s_or_b64 s[50:51], vcc, exec
	flat_store_dwordx2 v[82:83], v[80:81]
.LBB14_5586:
	s_or_b64 exec, exec, s[48:49]
	s_andn2_b64 s[48:49], s[52:53], exec
	s_and_b64 s[52:53], s[54:55], exec
	s_or_b64 s[52:53], s[48:49], s[52:53]
	s_andn2_b64 vcc, vcc, exec
	s_and_b64 s[48:49], s[50:51], exec
	s_or_b64 vcc, vcc, s[48:49]
.LBB14_5587:
	s_or_b64 exec, exec, s[44:45]
	s_andn2_b64 s[44:45], s[34:35], exec
	s_and_b64 s[48:49], s[52:53], exec
	s_or_b64 s[44:45], s[44:45], s[48:49]
	s_and_b64 s[48:49], vcc, exec
                                        ; implicit-def: $vgpr82_vgpr83
                                        ; implicit-def: $vgpr80
.LBB14_5588:
	s_andn2_saveexec_b64 s[42:43], s[42:43]
	s_cbranch_execz .LBB14_5604
; %bb.5589:
	v_mov_b32_e32 v3, 26
	v_cmp_gt_i16_sdwa vcc, v11, v3 src0_sel:BYTE_0 src1_sel:DWORD
	s_and_saveexec_b64 s[50:51], vcc
	s_xor_b64 vcc, exec, s[50:51]
	s_cbranch_execz .LBB14_5595
; %bb.5590:
	v_cvt_u32_f32_e32 v3, v80
	v_mov_b32_e32 v5, 27
	v_cmp_gt_i16_sdwa s[50:51], v11, v5 src0_sel:BYTE_0 src1_sel:DWORD
	s_and_saveexec_b64 s[52:53], s[50:51]
	s_xor_b64 s[50:51], exec, s[52:53]
	s_cbranch_execz .LBB14_5592
; %bb.5591:
	flat_store_dword v[82:83], v3
                                        ; implicit-def: $vgpr82_vgpr83
                                        ; implicit-def: $vgpr3
.LBB14_5592:
	s_andn2_saveexec_b64 s[50:51], s[50:51]
	s_cbranch_execz .LBB14_5594
; %bb.5593:
	flat_store_short v[82:83], v3
.LBB14_5594:
	s_or_b64 exec, exec, s[50:51]
                                        ; implicit-def: $vgpr82_vgpr83
                                        ; implicit-def: $vgpr80
.LBB14_5595:
	s_andn2_saveexec_b64 s[50:51], vcc
	s_cbranch_execz .LBB14_5603
; %bb.5596:
	v_and_b32_e32 v3, 0x7fffffff, v80
	s_mov_b32 vcc_lo, 0x43800000
	v_cmp_gt_u32_e32 vcc, vcc_lo, v3
	v_mov_b32_e32 v5, 0x80
	s_and_saveexec_b64 s[52:53], vcc
	s_cbranch_execz .LBB14_5602
; %bb.5597:
	s_mov_b32 vcc_lo, 0x3bffffff
	v_cmp_lt_u32_e32 vcc, vcc_lo, v3
	s_mov_b64 s[54:55], 0
                                        ; implicit-def: $vgpr3
	s_and_saveexec_b64 s[56:57], vcc
	s_xor_b64 vcc, exec, s[56:57]
	s_cbranch_execnz .LBB14_6323
; %bb.5598:
	s_or_saveexec_b64 s[56:57], vcc
                                        ; implicit-def: $sgpr58
	s_xor_b64 exec, exec, s[56:57]
	s_cbranch_execnz .LBB14_6324
.LBB14_5599:
	s_or_b64 exec, exec, s[56:57]
	v_mov_b32_e32 v5, s58
	s_and_saveexec_b64 vcc, s[54:55]
.LBB14_5600:
	v_lshrrev_b32_e32 v5, 24, v80
	s_movk_i32 s54, 0x80
	v_and_or_b32 v5, v5, s54, v3
.LBB14_5601:
	s_or_b64 exec, exec, vcc
.LBB14_5602:
	s_or_b64 exec, exec, s[52:53]
	flat_store_byte v[82:83], v5
.LBB14_5603:
	s_or_b64 exec, exec, s[50:51]
	s_or_b64 s[48:49], s[48:49], exec
.LBB14_5604:
	s_or_b64 exec, exec, s[42:43]
	s_andn2_b64 vcc, s[34:35], exec
	s_and_b64 s[42:43], s[44:45], exec
	s_or_b64 s[44:45], vcc, s[42:43]
	s_and_b64 s[42:43], s[48:49], exec
                                        ; implicit-def: $vgpr80
                                        ; implicit-def: $vgpr82_vgpr83
.LBB14_5605:
	s_andn2_saveexec_b64 s[46:47], s[46:47]
	s_cbranch_execz .LBB14_5649
; %bb.5606:
	v_mov_b32_e32 v3, 22
	v_cmp_gt_i16_sdwa vcc, v11, v3 src0_sel:BYTE_0 src1_sel:DWORD
	s_mov_b64 s[50:51], s[42:43]
	s_and_saveexec_b64 s[48:49], vcc
	s_xor_b64 s[48:49], exec, s[48:49]
	s_cbranch_execz .LBB14_5638
; %bb.5607:
	v_mov_b32_e32 v3, 23
	v_cmp_gt_i16_sdwa vcc, v11, v3 src0_sel:BYTE_0 src1_sel:DWORD
	s_and_saveexec_b64 s[50:51], vcc
	s_xor_b64 s[50:51], exec, s[50:51]
	s_cbranch_execz .LBB14_5627
; %bb.5608:
	v_mov_b32_e32 v3, 24
	v_cmp_gt_i16_sdwa vcc, v11, v3 src0_sel:BYTE_0 src1_sel:DWORD
	s_and_saveexec_b64 s[52:53], vcc
	s_xor_b64 s[52:53], exec, s[52:53]
	s_cbranch_execz .LBB14_5616
; %bb.5609:
	v_and_b32_e32 v3, 0x7fffffff, v80
	s_mov_b32 vcc_lo, 0x47800000
	v_cmp_gt_u32_e32 vcc, vcc_lo, v3
	v_mov_b32_e32 v5, 0x80
	s_and_saveexec_b64 s[54:55], vcc
	s_cbranch_execz .LBB14_5615
; %bb.5610:
	s_mov_b32 vcc_lo, 0x37ffffff
	v_cmp_lt_u32_e32 vcc, vcc_lo, v3
	s_mov_b64 s[56:57], 0
                                        ; implicit-def: $vgpr3
	s_and_saveexec_b64 s[58:59], vcc
	s_xor_b64 vcc, exec, s[58:59]
	s_cbranch_execnz .LBB14_6447
; %bb.5611:
	s_or_saveexec_b64 s[58:59], vcc
                                        ; implicit-def: $sgpr60
	s_xor_b64 exec, exec, s[58:59]
	s_cbranch_execnz .LBB14_6448
.LBB14_5612:
	s_or_b64 exec, exec, s[58:59]
	v_mov_b32_e32 v5, s60
	s_and_saveexec_b64 vcc, s[56:57]
.LBB14_5613:
	v_lshrrev_b32_e32 v5, 24, v80
	s_movk_i32 s56, 0x80
	v_and_or_b32 v5, v5, s56, v3
.LBB14_5614:
	s_or_b64 exec, exec, vcc
.LBB14_5615:
	s_or_b64 exec, exec, s[54:55]
	flat_store_byte v[82:83], v5
                                        ; implicit-def: $vgpr80
                                        ; implicit-def: $vgpr82_vgpr83
.LBB14_5616:
	s_andn2_saveexec_b64 s[52:53], s[52:53]
	s_cbranch_execz .LBB14_5626
; %bb.5617:
	v_and_b32_e32 v5, 0x7fffffff, v80
	s_mov_b32 vcc_lo, 0x43f00000
	v_cmp_gt_u32_e32 vcc, vcc_lo, v5
                                        ; implicit-def: $vgpr3
	s_and_saveexec_b64 s[54:55], vcc
	s_xor_b64 s[54:55], exec, s[54:55]
	s_cbranch_execz .LBB14_5623
; %bb.5618:
	s_mov_b32 vcc_lo, 0x3c7fffff
	v_cmp_lt_u32_e32 vcc, vcc_lo, v5
                                        ; implicit-def: $vgpr3
	s_and_saveexec_b64 s[56:57], vcc
	s_xor_b64 s[56:57], exec, s[56:57]
; %bb.5619:
	v_bfe_u32 v3, v80, 20, 1
	s_mov_b32 vcc_lo, 0x407ffff
	v_add3_u32 v3, v80, v3, vcc_lo
	v_lshrrev_b32_e32 v5, 20, v3
	v_and_b32_e32 v3, 0xff00000, v3
	s_mov_b32 vcc_lo, 0x7f00000
	v_mov_b32_e32 v7, 0x7e
	v_cmp_ne_u32_e32 vcc, vcc_lo, v3
	v_cndmask_b32_e32 v3, v7, v5, vcc
; %bb.5620:
	s_andn2_saveexec_b64 vcc, s[56:57]
; %bb.5621:
	s_mov_b32 s56, 0x46800000
	v_add_f32_e64 v3, |v80|, s56
; %bb.5622:
	s_or_b64 exec, exec, vcc
                                        ; implicit-def: $vgpr5
.LBB14_5623:
	s_andn2_saveexec_b64 s[54:55], s[54:55]
; %bb.5624:
	s_mov_b32 vcc_lo, 0x7f800000
	v_mov_b32_e32 v3, 0x7e
	v_mov_b32_e32 v7, 0x7f
	v_cmp_lt_u32_e32 vcc, vcc_lo, v5
	v_cndmask_b32_e32 v3, v3, v7, vcc
; %bb.5625:
	s_or_b64 exec, exec, s[54:55]
	v_lshrrev_b32_e32 v5, 24, v80
	s_movk_i32 vcc_lo, 0x80
	v_and_or_b32 v3, v5, vcc_lo, v3
	flat_store_byte v[82:83], v3
.LBB14_5626:
	s_or_b64 exec, exec, s[52:53]
                                        ; implicit-def: $vgpr80
                                        ; implicit-def: $vgpr82_vgpr83
.LBB14_5627:
	s_andn2_saveexec_b64 s[50:51], s[50:51]
	s_cbranch_execz .LBB14_5637
; %bb.5628:
	v_and_b32_e32 v5, 0x7fffffff, v80
	s_mov_b32 vcc_lo, 0x47800000
	v_cmp_gt_u32_e32 vcc, vcc_lo, v5
                                        ; implicit-def: $vgpr3
	s_and_saveexec_b64 s[52:53], vcc
	s_xor_b64 s[52:53], exec, s[52:53]
	s_cbranch_execz .LBB14_5634
; %bb.5629:
	s_mov_b32 vcc_lo, 0x387fffff
	v_cmp_lt_u32_e32 vcc, vcc_lo, v5
                                        ; implicit-def: $vgpr3
	s_and_saveexec_b64 s[54:55], vcc
	s_xor_b64 vcc, exec, s[54:55]
; %bb.5630:
	v_bfe_u32 v3, v80, 21, 1
	s_mov_b32 s54, 0x80fffff
	v_add3_u32 v3, v80, v3, s54
	v_lshrrev_b32_e32 v3, 21, v3
; %bb.5631:
	s_andn2_saveexec_b64 vcc, vcc
; %bb.5632:
	s_mov_b32 s54, 0x43000000
	v_add_f32_e64 v3, |v80|, s54
; %bb.5633:
	s_or_b64 exec, exec, vcc
                                        ; implicit-def: $vgpr5
.LBB14_5634:
	s_andn2_saveexec_b64 s[52:53], s[52:53]
; %bb.5635:
	s_mov_b32 vcc_lo, 0x7f800000
	v_mov_b32_e32 v3, 0x7c
	v_mov_b32_e32 v7, 0x7f
	v_cmp_lt_u32_e32 vcc, vcc_lo, v5
	v_cndmask_b32_e32 v3, v3, v7, vcc
; %bb.5636:
	s_or_b64 exec, exec, s[52:53]
	v_lshrrev_b32_e32 v5, 24, v80
	s_movk_i32 vcc_lo, 0x80
	v_and_or_b32 v3, v5, vcc_lo, v3
	flat_store_byte v[82:83], v3
.LBB14_5637:
	s_or_b64 exec, exec, s[50:51]
	s_or_b64 s[50:51], s[42:43], exec
                                        ; implicit-def: $vgpr82_vgpr83
                                        ; implicit-def: $vgpr80
.LBB14_5638:
	s_or_saveexec_b64 s[48:49], s[48:49]
	s_mov_b64 s[52:53], s[44:45]
	s_xor_b64 exec, exec, s[48:49]
	s_cbranch_execz .LBB14_5648
; %bb.5639:
	v_mov_b32_e32 v3, 14
	v_cmp_gt_i16_sdwa s[54:55], v11, v3 src0_sel:BYTE_0 src1_sel:DWORD
	s_mov_b64 vcc, s[50:51]
	s_mov_b64 s[52:53], s[44:45]
	s_and_saveexec_b64 s[56:57], s[54:55]
	s_xor_b64 s[54:55], exec, s[56:57]
	s_cbranch_execz .LBB14_5643
; %bb.5640:
	v_mov_b32_e32 v3, 15
	v_cmp_eq_u16_sdwa s[58:59], v11, v3 src0_sel:BYTE_0 src1_sel:DWORD
	s_mov_b64 s[56:57], -1
	s_mov_b64 vcc, s[50:51]
	s_and_saveexec_b64 s[52:53], s[58:59]
	s_cbranch_execz .LBB14_5642
; %bb.5641:
	v_bfe_u32 v3, v80, 16, 1
	s_movk_i32 vcc_lo, 0x7fff
	v_add3_u32 v3, v80, v3, vcc_lo
	v_lshrrev_b32_e32 v3, 16, v3
	v_mov_b32_e32 v5, 0x7fc0
	v_cmp_o_f32_e32 vcc, v80, v80
	v_cndmask_b32_e32 v3, v5, v3, vcc
	flat_store_short v[82:83], v3
	s_xor_b64 s[56:57], exec, -1
	s_or_b64 vcc, s[50:51], exec
.LBB14_5642:
	s_or_b64 exec, exec, s[52:53]
	s_andn2_b64 s[52:53], s[44:45], exec
	s_and_b64 s[56:57], s[56:57], exec
	s_or_b64 s[52:53], s[52:53], s[56:57]
	s_andn2_b64 s[56:57], s[50:51], exec
	s_and_b64 vcc, vcc, exec
	s_or_b64 vcc, s[56:57], vcc
                                        ; implicit-def: $vgpr82_vgpr83
.LBB14_5643:
	s_andn2_saveexec_b64 s[54:55], s[54:55]
	s_cbranch_execz .LBB14_5647
; %bb.5644:
	v_mov_b32_e32 v3, 11
	v_cmp_eq_u16_sdwa s[62:63], v11, v3 src0_sel:BYTE_0 src1_sel:DWORD
	s_mov_b64 s[58:59], -1
	s_mov_b64 s[56:57], vcc
	s_and_saveexec_b64 s[60:61], s[62:63]
	s_cbranch_execz .LBB14_5646
; %bb.5645:
	v_mov_b32_e32 v3, 1
	flat_store_byte v[82:83], v3
	s_xor_b64 s[58:59], exec, -1
	s_or_b64 s[56:57], vcc, exec
.LBB14_5646:
	s_or_b64 exec, exec, s[60:61]
	s_andn2_b64 s[52:53], s[52:53], exec
	s_and_b64 s[58:59], s[58:59], exec
	s_andn2_b64 vcc, vcc, exec
	s_and_b64 s[56:57], s[56:57], exec
	s_or_b64 s[52:53], s[52:53], s[58:59]
	s_or_b64 vcc, vcc, s[56:57]
.LBB14_5647:
	s_or_b64 exec, exec, s[54:55]
	s_andn2_b64 s[54:55], s[44:45], exec
	s_and_b64 s[52:53], s[52:53], exec
	s_andn2_b64 s[50:51], s[50:51], exec
	s_and_b64 vcc, vcc, exec
	s_or_b64 s[52:53], s[54:55], s[52:53]
	s_or_b64 s[50:51], s[50:51], vcc
.LBB14_5648:
	s_or_b64 exec, exec, s[48:49]
	s_andn2_b64 vcc, s[44:45], exec
	s_and_b64 s[44:45], s[52:53], exec
	s_or_b64 s[44:45], vcc, s[44:45]
	s_andn2_b64 vcc, s[42:43], exec
	s_and_b64 s[42:43], s[50:51], exec
	s_or_b64 s[42:43], vcc, s[42:43]
.LBB14_5649:
	s_or_b64 exec, exec, s[46:47]
	s_andn2_b64 vcc, s[34:35], exec
	s_and_b64 s[44:45], s[44:45], exec
	s_or_b64 s[44:45], vcc, s[44:45]
	s_and_b64 s[42:43], s[42:43], exec
                                        ; implicit-def: $vgpr80
                                        ; implicit-def: $vgpr82_vgpr83
	s_andn2_saveexec_b64 s[38:39], s[38:39]
	s_cbranch_execz .LBB14_3895
.LBB14_5650:
	v_mov_b32_e32 v3, 4
	v_cmp_gt_i16_sdwa vcc, v11, v3 src0_sel:BYTE_0 src1_sel:DWORD
	s_and_saveexec_b64 s[46:47], vcc
	s_xor_b64 vcc, exec, s[46:47]
	s_cbranch_execz .LBB14_5672
; %bb.5651:
	v_mov_b32_e32 v3, 7
	v_cmp_gt_i16_sdwa s[46:47], v11, v3 src0_sel:BYTE_0 src1_sel:DWORD
	s_and_saveexec_b64 s[48:49], s[46:47]
	s_xor_b64 s[46:47], exec, s[48:49]
	s_cbranch_execz .LBB14_5661
; %bb.5652:
	v_mov_b32_e32 v3, 8
	v_cmp_gt_i16_sdwa s[48:49], v11, v3 src0_sel:BYTE_0 src1_sel:DWORD
	s_and_saveexec_b64 s[50:51], s[48:49]
	s_xor_b64 s[48:49], exec, s[50:51]
	;; [unrolled: 6-line block ×3, first 2 shown]
	s_cbranch_execz .LBB14_5655
; %bb.5654:
	v_mov_b32_e32 v86, 0
	v_cvt_f64_f32_e32 v[84:85], v80
	v_mov_b32_e32 v87, v86
	flat_store_dwordx4 v[82:83], v[84:87]
                                        ; implicit-def: $vgpr80
                                        ; implicit-def: $vgpr82_vgpr83
.LBB14_5655:
	s_andn2_saveexec_b64 s[50:51], s[50:51]
	s_cbranch_execz .LBB14_5657
; %bb.5656:
	v_mov_b32_e32 v81, 0
	flat_store_dwordx2 v[82:83], v[80:81]
.LBB14_5657:
	s_or_b64 exec, exec, s[50:51]
                                        ; implicit-def: $vgpr80
                                        ; implicit-def: $vgpr82_vgpr83
.LBB14_5658:
	s_andn2_saveexec_b64 s[48:49], s[48:49]
	s_cbranch_execz .LBB14_5660
; %bb.5659:
	v_cvt_f16_f32_e32 v3, v80
	flat_store_dword v[82:83], v3
.LBB14_5660:
	s_or_b64 exec, exec, s[48:49]
                                        ; implicit-def: $vgpr80
                                        ; implicit-def: $vgpr82_vgpr83
.LBB14_5661:
	s_andn2_saveexec_b64 s[46:47], s[46:47]
	s_cbranch_execz .LBB14_5671
; %bb.5662:
	v_mov_b32_e32 v3, 5
	v_cmp_gt_i16_sdwa s[48:49], v11, v3 src0_sel:BYTE_0 src1_sel:DWORD
	s_and_saveexec_b64 s[50:51], s[48:49]
	s_xor_b64 s[48:49], exec, s[50:51]
	s_cbranch_execz .LBB14_5668
; %bb.5663:
	v_mov_b32_e32 v3, 6
	v_cmp_gt_i16_sdwa s[50:51], v11, v3 src0_sel:BYTE_0 src1_sel:DWORD
	s_and_saveexec_b64 s[52:53], s[50:51]
	s_xor_b64 s[50:51], exec, s[52:53]
	s_cbranch_execz .LBB14_5665
; %bb.5664:
	v_cvt_f64_f32_e32 v[80:81], v80
	flat_store_dwordx2 v[82:83], v[80:81]
                                        ; implicit-def: $vgpr82_vgpr83
                                        ; implicit-def: $vgpr80
.LBB14_5665:
	s_andn2_saveexec_b64 s[50:51], s[50:51]
	s_cbranch_execz .LBB14_5667
; %bb.5666:
	flat_store_dword v[82:83], v80
.LBB14_5667:
	s_or_b64 exec, exec, s[50:51]
                                        ; implicit-def: $vgpr80
                                        ; implicit-def: $vgpr82_vgpr83
.LBB14_5668:
	s_andn2_saveexec_b64 s[48:49], s[48:49]
	s_cbranch_execz .LBB14_5670
; %bb.5669:
	v_cvt_f16_f32_e32 v3, v80
	flat_store_short v[82:83], v3
.LBB14_5670:
	s_or_b64 exec, exec, s[48:49]
.LBB14_5671:
	s_or_b64 exec, exec, s[46:47]
                                        ; implicit-def: $vgpr80
                                        ; implicit-def: $vgpr82_vgpr83
.LBB14_5672:
	s_andn2_saveexec_b64 s[46:47], vcc
	s_cbranch_execz .LBB14_5690
; %bb.5673:
	v_mov_b32_e32 v3, 1
	v_cmp_gt_i16_sdwa vcc, v11, v3 src0_sel:BYTE_0 src1_sel:DWORD
	s_and_saveexec_b64 s[48:49], vcc
	s_xor_b64 s[48:49], exec, s[48:49]
	s_cbranch_execz .LBB14_5683
; %bb.5674:
	v_mov_b32_e32 v3, 2
	v_cmp_gt_i16_sdwa vcc, v11, v3 src0_sel:BYTE_0 src1_sel:DWORD
	s_and_saveexec_b64 s[50:51], vcc
	s_xor_b64 s[50:51], exec, s[50:51]
	;; [unrolled: 6-line block ×3, first 2 shown]
	s_cbranch_execz .LBB14_5677
; %bb.5676:
	v_trunc_f32_e32 v3, v80
	s_mov_b32 s54, 0x2f800000
	v_mul_f32_e64 v5, |v3|, s54
	v_floor_f32_e32 v5, v5
	s_mov_b32 s54, 0xcf800000
	v_cvt_u32_f32_e32 v7, v5
	v_fma_f32 v5, v5, s54, |v3|
	v_cvt_u32_f32_e32 v5, v5
	v_ashrrev_i32_e32 v3, 31, v3
	v_xor_b32_e32 v7, v7, v3
	v_xor_b32_e32 v5, v5, v3
	v_sub_co_u32_e32 v80, vcc, v5, v3
	v_subb_co_u32_e32 v81, vcc, v7, v3, vcc
	flat_store_dwordx2 v[82:83], v[80:81]
                                        ; implicit-def: $vgpr80
                                        ; implicit-def: $vgpr82_vgpr83
.LBB14_5677:
	s_andn2_saveexec_b64 vcc, s[52:53]
	s_cbranch_execz .LBB14_5679
; %bb.5678:
	v_cvt_i32_f32_e32 v3, v80
	flat_store_dword v[82:83], v3
.LBB14_5679:
	s_or_b64 exec, exec, vcc
                                        ; implicit-def: $vgpr80
                                        ; implicit-def: $vgpr82_vgpr83
.LBB14_5680:
	s_andn2_saveexec_b64 vcc, s[50:51]
	s_cbranch_execz .LBB14_5682
; %bb.5681:
	v_cvt_i32_f32_e32 v3, v80
	flat_store_short v[82:83], v3
.LBB14_5682:
	s_or_b64 exec, exec, vcc
                                        ; implicit-def: $vgpr80
                                        ; implicit-def: $vgpr82_vgpr83
.LBB14_5683:
	s_andn2_saveexec_b64 vcc, s[48:49]
	s_cbranch_execz .LBB14_5689
; %bb.5684:
	v_mov_b32_e32 v3, 0
	v_cmp_gt_i16_sdwa s[48:49], v11, v3 src0_sel:BYTE_0 src1_sel:DWORD
	s_and_saveexec_b64 s[50:51], s[48:49]
	s_xor_b64 s[48:49], exec, s[50:51]
	s_cbranch_execz .LBB14_5686
; %bb.5685:
	v_cvt_i32_f32_e32 v3, v80
                                        ; implicit-def: $vgpr80
	flat_store_byte v[82:83], v3
                                        ; implicit-def: $vgpr82_vgpr83
.LBB14_5686:
	s_andn2_saveexec_b64 s[48:49], s[48:49]
	s_cbranch_execz .LBB14_5688
; %bb.5687:
	v_trunc_f32_e32 v3, v80
	s_mov_b32 s50, 0x2f800000
	v_mul_f32_e64 v5, |v3|, s50
	v_floor_f32_e32 v5, v5
	s_mov_b32 s50, 0xcf800000
	v_fma_f32 v5, v5, s50, |v3|
	v_cvt_u32_f32_e32 v5, v5
	v_ashrrev_i32_e32 v3, 31, v3
	v_xor_b32_e32 v5, v5, v3
	v_sub_u32_e32 v3, v5, v3
	flat_store_byte v[82:83], v3
.LBB14_5688:
	s_or_b64 exec, exec, s[48:49]
.LBB14_5689:
	s_or_b64 exec, exec, vcc
.LBB14_5690:
	s_or_b64 exec, exec, s[46:47]
	s_or_b64 s[42:43], s[42:43], exec
	s_or_b64 exec, exec, s[38:39]
	s_mov_b64 vcc, 0
	s_and_saveexec_b64 s[38:39], s[42:43]
	s_cbranch_execnz .LBB14_3896
	s_branch .LBB14_3897
.LBB14_5691:
	v_bfe_u32 v3, v100, 21, 1
	s_mov_b32 s34, 0x88fffff
	v_add3_u32 v3, v100, v3, s34
	s_mov_b64 s[30:31], exec
	v_lshrrev_b32_e32 v3, 21, v3
	s_or_saveexec_b64 s[34:35], vcc
                                        ; implicit-def: $sgpr36
	s_xor_b64 exec, exec, s[34:35]
	s_cbranch_execz .LBB14_4873
.LBB14_5692:
	s_mov_b32 s36, 0x42800000
	v_add_f32_e64 v3, |v100|, s36
	v_and_b32_e32 v3, 0xff, v3
	v_cmp_ne_u32_e32 vcc, 0, v3
	s_andn2_b64 s[30:31], s[30:31], exec
	s_and_b64 vcc, vcc, exec
	s_mov_b32 s36, 0
	s_or_b64 s[30:31], s[30:31], vcc
	s_or_b64 exec, exec, s[34:35]
	v_mov_b32_e32 v5, s36
	s_and_saveexec_b64 vcc, s[30:31]
	s_cbranch_execnz .LBB14_4874
	s_branch .LBB14_4875
.LBB14_5693:
	v_bfe_u32 v3, v98, 20, 1
	s_mov_b32 s36, 0x487ffff
	v_add3_u32 v3, v98, v3, s36
	s_mov_b64 s[34:35], exec
	v_lshrrev_b32_e32 v3, 20, v3
	s_or_saveexec_b64 s[36:37], vcc
                                        ; implicit-def: $sgpr38
	s_xor_b64 exec, exec, s[36:37]
	s_cbranch_execz .LBB14_4983
.LBB14_5694:
	s_mov_b32 s38, 0x46000000
	v_add_f32_e64 v3, |v98|, s38
	v_and_b32_e32 v3, 0xff, v3
	v_cmp_ne_u32_e32 vcc, 0, v3
	s_andn2_b64 s[34:35], s[34:35], exec
	s_and_b64 vcc, vcc, exec
	s_mov_b32 s38, 0
	s_or_b64 s[34:35], s[34:35], vcc
	s_or_b64 exec, exec, s[36:37]
	v_mov_b32_e32 v5, s38
	s_and_saveexec_b64 vcc, s[34:35]
	s_cbranch_execnz .LBB14_4984
	s_branch .LBB14_4985
.LBB14_5695:
	v_mov_b32_e32 v3, 25
	v_cmp_gt_i16_sdwa vcc, v11, v3 src0_sel:BYTE_0 src1_sel:DWORD
	s_mov_b64 s[46:47], s[38:39]
	s_and_saveexec_b64 s[48:49], vcc
	s_xor_b64 s[48:49], exec, s[48:49]
	s_cbranch_execz .LBB14_5731
; %bb.5696:
	v_mov_b32_e32 v3, 28
	v_cmp_gt_i16_sdwa vcc, v11, v3 src0_sel:BYTE_0 src1_sel:DWORD
	s_mov_b64 s[50:51], 0
	s_mov_b64 s[52:53], s[38:39]
	s_and_saveexec_b64 s[44:45], vcc
	s_xor_b64 s[44:45], exec, s[44:45]
	s_cbranch_execz .LBB14_5714
; %bb.5697:
	v_mov_b32_e32 v3, 43
	s_mov_b64 s[46:47], s[4:5]
	v_cmp_gt_i16_sdwa s[50:51], v11, v3 src0_sel:BYTE_0 src1_sel:DWORD
	s_mov_b64 s[4:5], 0
	s_mov_b64 vcc, s[38:39]
	s_and_saveexec_b64 s[52:53], s[50:51]
	s_xor_b64 s[50:51], exec, s[52:53]
	s_cbranch_execz .LBB14_5709
; %bb.5698:
	v_mov_b32_e32 v3, 45
	v_cmp_gt_i16_sdwa s[4:5], v11, v3 src0_sel:BYTE_0 src1_sel:DWORD
	s_mov_b64 s[52:53], 0
	s_mov_b64 s[54:55], s[38:39]
	s_and_saveexec_b64 vcc, s[4:5]
	s_xor_b64 s[4:5], exec, vcc
	s_cbranch_execz .LBB14_5702
; %bb.5699:
	v_mov_b32_e32 v3, 46
	v_cmp_eq_u16_sdwa s[56:57], v11, v3 src0_sel:BYTE_0 src1_sel:DWORD
	s_mov_b64 vcc, -1
	s_and_saveexec_b64 s[54:55], s[56:57]
	s_cbranch_execz .LBB14_5701
; %bb.5700:
	v_bfe_u32 v3, v70, 16, 1
	s_movk_i32 vcc_lo, 0x7fff
	v_add3_u32 v3, v70, v3, vcc_lo
	v_lshrrev_b32_e32 v3, 16, v3
	v_mov_b32_e32 v5, 0x7fc0
	v_cmp_o_f32_e32 vcc, v70, v70
	v_cndmask_b32_e32 v3, v5, v3, vcc
	s_mov_b64 s[52:53], exec
	flat_store_dword v[80:81], v3
	s_xor_b64 vcc, exec, -1
.LBB14_5701:
	s_or_b64 exec, exec, s[54:55]
	s_andn2_b64 s[54:55], s[38:39], exec
	s_and_b64 vcc, vcc, exec
	s_or_b64 s[54:55], s[54:55], vcc
	s_and_b64 s[52:53], s[52:53], exec
                                        ; implicit-def: $vgpr80_vgpr81
                                        ; implicit-def: $vgpr70
.LBB14_5702:
	s_andn2_saveexec_b64 s[56:57], s[4:5]
	s_cbranch_execz .LBB14_5708
; %bb.5703:
	v_mov_b32_e32 v3, 44
	v_cmp_eq_u16_sdwa s[60:61], v11, v3 src0_sel:BYTE_0 src1_sel:DWORD
	s_mov_b64 vcc, -1
	s_mov_b64 s[4:5], s[52:53]
	s_and_saveexec_b64 s[58:59], s[60:61]
	s_cbranch_execz .LBB14_5707
; %bb.5704:
	v_bfe_u32 v3, v70, 23, 8
	s_movk_i32 s4, 0xff
	v_cmp_ne_u32_e32 vcc, s4, v3
	v_mov_b32_e32 v5, 0xff
	s_and_saveexec_b64 s[60:61], vcc
; %bb.5705:
	s_mov_b32 s4, 0x3fffff
	v_and_b32_e32 v7, 0x400000, v70
	v_and_or_b32 v3, v70, s4, v3
	v_cmp_ne_u32_e32 vcc, 0, v7
	v_cmp_ne_u32_e64 s[4:5], 0, v3
	s_and_b64 s[4:5], vcc, s[4:5]
	v_lshrrev_b32_e32 v5, 23, v70
	v_cndmask_b32_e64 v3, 0, 1, s[4:5]
	v_add_u32_e32 v5, v5, v3
; %bb.5706:
	s_or_b64 exec, exec, s[60:61]
	s_xor_b64 vcc, exec, -1
	s_or_b64 s[4:5], s[52:53], exec
	flat_store_byte v[80:81], v5
.LBB14_5707:
	s_or_b64 exec, exec, s[58:59]
	s_andn2_b64 s[54:55], s[54:55], exec
	s_and_b64 vcc, vcc, exec
	s_or_b64 s[54:55], s[54:55], vcc
	s_andn2_b64 vcc, s[52:53], exec
	s_and_b64 s[4:5], s[4:5], exec
	s_or_b64 s[52:53], vcc, s[4:5]
.LBB14_5708:
	s_or_b64 exec, exec, s[56:57]
	s_andn2_b64 s[4:5], s[38:39], exec
	s_and_b64 vcc, s[54:55], exec
	s_or_b64 vcc, s[4:5], vcc
	s_and_b64 s[4:5], s[52:53], exec
                                        ; implicit-def: $vgpr70
                                        ; implicit-def: $vgpr80_vgpr81
.LBB14_5709:
	s_andn2_saveexec_b64 s[50:51], s[50:51]
	s_cbranch_execz .LBB14_5713
; %bb.5710:
	v_mov_b32_e32 v3, 29
	v_cmp_eq_u16_sdwa s[58:59], v11, v3 src0_sel:BYTE_0 src1_sel:DWORD
	s_mov_b64 s[56:57], -1
	s_mov_b64 s[54:55], s[4:5]
	s_and_saveexec_b64 s[52:53], s[58:59]
	s_cbranch_execz .LBB14_5712
; %bb.5711:
	v_trunc_f32_e32 v3, v70
	v_mul_f32_e32 v5, 0x2f800000, v3
	v_floor_f32_e32 v5, v5
	v_fmac_f32_e32 v3, 0xcf800000, v5
	v_cvt_u32_f32_e32 v71, v5
	v_cvt_u32_f32_e32 v70, v3
	s_xor_b64 s[56:57], exec, -1
	s_or_b64 s[54:55], s[4:5], exec
	flat_store_dwordx2 v[80:81], v[70:71]
.LBB14_5712:
	s_or_b64 exec, exec, s[52:53]
	s_andn2_b64 vcc, vcc, exec
	s_and_b64 s[52:53], s[56:57], exec
	s_or_b64 vcc, vcc, s[52:53]
	s_andn2_b64 s[4:5], s[4:5], exec
	s_and_b64 s[52:53], s[54:55], exec
	s_or_b64 s[4:5], s[4:5], s[52:53]
.LBB14_5713:
	s_or_b64 exec, exec, s[50:51]
	s_andn2_b64 s[50:51], s[38:39], exec
	s_and_b64 vcc, vcc, exec
	s_or_b64 s[52:53], s[50:51], vcc
	s_and_b64 s[50:51], s[4:5], exec
	s_mov_b64 s[4:5], s[46:47]
                                        ; implicit-def: $vgpr80_vgpr81
                                        ; implicit-def: $vgpr70
.LBB14_5714:
	s_andn2_saveexec_b64 s[44:45], s[44:45]
	s_cbranch_execz .LBB14_5730
; %bb.5715:
	v_mov_b32_e32 v3, 26
	v_cmp_gt_i16_sdwa vcc, v11, v3 src0_sel:BYTE_0 src1_sel:DWORD
	s_and_saveexec_b64 s[46:47], vcc
	s_xor_b64 vcc, exec, s[46:47]
	s_cbranch_execz .LBB14_5721
; %bb.5716:
	v_cvt_u32_f32_e32 v3, v70
	v_mov_b32_e32 v5, 27
	v_cmp_gt_i16_sdwa s[46:47], v11, v5 src0_sel:BYTE_0 src1_sel:DWORD
	s_and_saveexec_b64 s[54:55], s[46:47]
	s_xor_b64 s[46:47], exec, s[54:55]
	s_cbranch_execz .LBB14_5718
; %bb.5717:
	flat_store_dword v[80:81], v3
                                        ; implicit-def: $vgpr80_vgpr81
                                        ; implicit-def: $vgpr3
.LBB14_5718:
	s_andn2_saveexec_b64 s[46:47], s[46:47]
	s_cbranch_execz .LBB14_5720
; %bb.5719:
	flat_store_short v[80:81], v3
.LBB14_5720:
	s_or_b64 exec, exec, s[46:47]
                                        ; implicit-def: $vgpr80_vgpr81
                                        ; implicit-def: $vgpr70
.LBB14_5721:
	s_andn2_saveexec_b64 s[46:47], vcc
	s_cbranch_execz .LBB14_5729
; %bb.5722:
	v_and_b32_e32 v3, 0x7fffffff, v70
	s_mov_b32 vcc_lo, 0x43800000
	v_cmp_gt_u32_e32 vcc, vcc_lo, v3
	v_mov_b32_e32 v5, 0x80
	s_and_saveexec_b64 s[54:55], vcc
	s_cbranch_execz .LBB14_5728
; %bb.5723:
	s_mov_b32 vcc_lo, 0x3bffffff
	v_cmp_lt_u32_e32 vcc, vcc_lo, v3
	s_mov_b64 s[56:57], 0
                                        ; implicit-def: $vgpr3
	s_and_saveexec_b64 s[58:59], vcc
	s_xor_b64 vcc, exec, s[58:59]
	s_cbranch_execnz .LBB14_6449
; %bb.5724:
	s_or_saveexec_b64 s[58:59], vcc
                                        ; implicit-def: $sgpr60
	s_xor_b64 exec, exec, s[58:59]
	s_cbranch_execnz .LBB14_6450
.LBB14_5725:
	s_or_b64 exec, exec, s[58:59]
	v_mov_b32_e32 v5, s60
	s_and_saveexec_b64 vcc, s[56:57]
.LBB14_5726:
	v_lshrrev_b32_e32 v5, 24, v70
	s_movk_i32 s56, 0x80
	v_and_or_b32 v5, v5, s56, v3
.LBB14_5727:
	s_or_b64 exec, exec, vcc
.LBB14_5728:
	s_or_b64 exec, exec, s[54:55]
	flat_store_byte v[80:81], v5
.LBB14_5729:
	s_or_b64 exec, exec, s[46:47]
	s_or_b64 s[50:51], s[50:51], exec
.LBB14_5730:
	s_or_b64 exec, exec, s[44:45]
	s_andn2_b64 vcc, s[38:39], exec
	s_and_b64 s[44:45], s[52:53], exec
	s_or_b64 s[46:47], vcc, s[44:45]
	s_and_b64 s[44:45], s[50:51], exec
                                        ; implicit-def: $vgpr70
                                        ; implicit-def: $vgpr80_vgpr81
.LBB14_5731:
	s_andn2_saveexec_b64 s[48:49], s[48:49]
	s_cbranch_execz .LBB14_5775
; %bb.5732:
	v_mov_b32_e32 v3, 22
	v_cmp_gt_i16_sdwa vcc, v11, v3 src0_sel:BYTE_0 src1_sel:DWORD
	s_mov_b64 s[52:53], s[44:45]
	s_and_saveexec_b64 s[50:51], vcc
	s_xor_b64 s[50:51], exec, s[50:51]
	s_cbranch_execz .LBB14_5764
; %bb.5733:
	v_mov_b32_e32 v3, 23
	v_cmp_gt_i16_sdwa vcc, v11, v3 src0_sel:BYTE_0 src1_sel:DWORD
	s_and_saveexec_b64 s[52:53], vcc
	s_xor_b64 s[52:53], exec, s[52:53]
	s_cbranch_execz .LBB14_5753
; %bb.5734:
	v_mov_b32_e32 v3, 24
	v_cmp_gt_i16_sdwa vcc, v11, v3 src0_sel:BYTE_0 src1_sel:DWORD
	s_and_saveexec_b64 s[54:55], vcc
	s_xor_b64 s[54:55], exec, s[54:55]
	s_cbranch_execz .LBB14_5742
; %bb.5735:
	v_and_b32_e32 v3, 0x7fffffff, v70
	s_mov_b32 vcc_lo, 0x47800000
	v_cmp_gt_u32_e32 vcc, vcc_lo, v3
	v_mov_b32_e32 v5, 0x80
	s_and_saveexec_b64 s[56:57], vcc
	s_cbranch_execz .LBB14_5741
; %bb.5736:
	s_mov_b32 vcc_lo, 0x37ffffff
	v_cmp_lt_u32_e32 vcc, vcc_lo, v3
	s_mov_b64 s[58:59], 0
                                        ; implicit-def: $vgpr3
	s_and_saveexec_b64 s[60:61], vcc
	s_xor_b64 vcc, exec, s[60:61]
	s_cbranch_execnz .LBB14_6573
; %bb.5737:
	s_or_saveexec_b64 s[60:61], vcc
                                        ; implicit-def: $sgpr62
	s_xor_b64 exec, exec, s[60:61]
	s_cbranch_execnz .LBB14_6574
.LBB14_5738:
	s_or_b64 exec, exec, s[60:61]
	v_mov_b32_e32 v5, s62
	s_and_saveexec_b64 vcc, s[58:59]
.LBB14_5739:
	v_lshrrev_b32_e32 v5, 24, v70
	s_movk_i32 s58, 0x80
	v_and_or_b32 v5, v5, s58, v3
.LBB14_5740:
	s_or_b64 exec, exec, vcc
.LBB14_5741:
	s_or_b64 exec, exec, s[56:57]
	flat_store_byte v[80:81], v5
                                        ; implicit-def: $vgpr70
                                        ; implicit-def: $vgpr80_vgpr81
.LBB14_5742:
	s_andn2_saveexec_b64 s[54:55], s[54:55]
	s_cbranch_execz .LBB14_5752
; %bb.5743:
	v_and_b32_e32 v5, 0x7fffffff, v70
	s_mov_b32 vcc_lo, 0x43f00000
	v_cmp_gt_u32_e32 vcc, vcc_lo, v5
                                        ; implicit-def: $vgpr3
	s_and_saveexec_b64 s[56:57], vcc
	s_xor_b64 s[56:57], exec, s[56:57]
	s_cbranch_execz .LBB14_5749
; %bb.5744:
	s_mov_b32 vcc_lo, 0x3c7fffff
	v_cmp_lt_u32_e32 vcc, vcc_lo, v5
                                        ; implicit-def: $vgpr3
	s_and_saveexec_b64 s[58:59], vcc
	s_xor_b64 s[58:59], exec, s[58:59]
; %bb.5745:
	v_bfe_u32 v3, v70, 20, 1
	s_mov_b32 vcc_lo, 0x407ffff
	v_add3_u32 v3, v70, v3, vcc_lo
	v_lshrrev_b32_e32 v5, 20, v3
	v_and_b32_e32 v3, 0xff00000, v3
	s_mov_b32 vcc_lo, 0x7f00000
	v_mov_b32_e32 v7, 0x7e
	v_cmp_ne_u32_e32 vcc, vcc_lo, v3
	v_cndmask_b32_e32 v3, v7, v5, vcc
; %bb.5746:
	s_andn2_saveexec_b64 vcc, s[58:59]
; %bb.5747:
	s_mov_b32 s58, 0x46800000
	v_add_f32_e64 v3, |v70|, s58
; %bb.5748:
	s_or_b64 exec, exec, vcc
                                        ; implicit-def: $vgpr5
.LBB14_5749:
	s_andn2_saveexec_b64 s[56:57], s[56:57]
; %bb.5750:
	s_mov_b32 vcc_lo, 0x7f800000
	v_mov_b32_e32 v3, 0x7e
	v_mov_b32_e32 v7, 0x7f
	v_cmp_lt_u32_e32 vcc, vcc_lo, v5
	v_cndmask_b32_e32 v3, v3, v7, vcc
; %bb.5751:
	s_or_b64 exec, exec, s[56:57]
	v_lshrrev_b32_e32 v5, 24, v70
	s_movk_i32 vcc_lo, 0x80
	v_and_or_b32 v3, v5, vcc_lo, v3
	flat_store_byte v[80:81], v3
.LBB14_5752:
	s_or_b64 exec, exec, s[54:55]
                                        ; implicit-def: $vgpr70
                                        ; implicit-def: $vgpr80_vgpr81
.LBB14_5753:
	s_andn2_saveexec_b64 s[52:53], s[52:53]
	s_cbranch_execz .LBB14_5763
; %bb.5754:
	v_and_b32_e32 v5, 0x7fffffff, v70
	s_mov_b32 vcc_lo, 0x47800000
	v_cmp_gt_u32_e32 vcc, vcc_lo, v5
                                        ; implicit-def: $vgpr3
	s_and_saveexec_b64 s[54:55], vcc
	s_xor_b64 s[54:55], exec, s[54:55]
	s_cbranch_execz .LBB14_5760
; %bb.5755:
	s_mov_b32 vcc_lo, 0x387fffff
	v_cmp_lt_u32_e32 vcc, vcc_lo, v5
                                        ; implicit-def: $vgpr3
	s_and_saveexec_b64 s[56:57], vcc
	s_xor_b64 vcc, exec, s[56:57]
; %bb.5756:
	v_bfe_u32 v3, v70, 21, 1
	s_mov_b32 s56, 0x80fffff
	v_add3_u32 v3, v70, v3, s56
	v_lshrrev_b32_e32 v3, 21, v3
; %bb.5757:
	s_andn2_saveexec_b64 vcc, vcc
; %bb.5758:
	s_mov_b32 s56, 0x43000000
	v_add_f32_e64 v3, |v70|, s56
; %bb.5759:
	s_or_b64 exec, exec, vcc
                                        ; implicit-def: $vgpr5
.LBB14_5760:
	s_andn2_saveexec_b64 s[54:55], s[54:55]
; %bb.5761:
	s_mov_b32 vcc_lo, 0x7f800000
	v_mov_b32_e32 v3, 0x7c
	v_mov_b32_e32 v7, 0x7f
	v_cmp_lt_u32_e32 vcc, vcc_lo, v5
	v_cndmask_b32_e32 v3, v3, v7, vcc
; %bb.5762:
	s_or_b64 exec, exec, s[54:55]
	v_lshrrev_b32_e32 v5, 24, v70
	s_movk_i32 vcc_lo, 0x80
	v_and_or_b32 v3, v5, vcc_lo, v3
	flat_store_byte v[80:81], v3
.LBB14_5763:
	s_or_b64 exec, exec, s[52:53]
	s_or_b64 s[52:53], s[44:45], exec
                                        ; implicit-def: $vgpr80_vgpr81
                                        ; implicit-def: $vgpr70
.LBB14_5764:
	s_or_saveexec_b64 s[50:51], s[50:51]
	s_mov_b64 s[54:55], s[46:47]
	s_xor_b64 exec, exec, s[50:51]
	s_cbranch_execz .LBB14_5774
; %bb.5765:
	v_mov_b32_e32 v3, 14
	v_cmp_gt_i16_sdwa s[56:57], v11, v3 src0_sel:BYTE_0 src1_sel:DWORD
	s_mov_b64 vcc, s[52:53]
	s_mov_b64 s[54:55], s[46:47]
	s_and_saveexec_b64 s[58:59], s[56:57]
	s_xor_b64 s[56:57], exec, s[58:59]
	s_cbranch_execz .LBB14_5769
; %bb.5766:
	v_mov_b32_e32 v3, 15
	v_cmp_eq_u16_sdwa s[60:61], v11, v3 src0_sel:BYTE_0 src1_sel:DWORD
	s_mov_b64 s[58:59], -1
	s_mov_b64 vcc, s[52:53]
	s_and_saveexec_b64 s[54:55], s[60:61]
	s_cbranch_execz .LBB14_5768
; %bb.5767:
	v_bfe_u32 v3, v70, 16, 1
	s_movk_i32 vcc_lo, 0x7fff
	v_add3_u32 v3, v70, v3, vcc_lo
	v_lshrrev_b32_e32 v3, 16, v3
	v_mov_b32_e32 v5, 0x7fc0
	v_cmp_o_f32_e32 vcc, v70, v70
	v_cndmask_b32_e32 v3, v5, v3, vcc
	flat_store_short v[80:81], v3
	s_xor_b64 s[58:59], exec, -1
	s_or_b64 vcc, s[52:53], exec
.LBB14_5768:
	s_or_b64 exec, exec, s[54:55]
	s_andn2_b64 s[54:55], s[46:47], exec
	s_and_b64 s[58:59], s[58:59], exec
	s_or_b64 s[54:55], s[54:55], s[58:59]
	s_andn2_b64 s[58:59], s[52:53], exec
	s_and_b64 vcc, vcc, exec
	s_or_b64 vcc, s[58:59], vcc
                                        ; implicit-def: $vgpr80_vgpr81
.LBB14_5769:
	s_andn2_saveexec_b64 s[56:57], s[56:57]
	s_cbranch_execz .LBB14_5773
; %bb.5770:
	v_mov_b32_e32 v3, 11
	v_cmp_eq_u16_sdwa s[64:65], v11, v3 src0_sel:BYTE_0 src1_sel:DWORD
	s_mov_b64 s[60:61], -1
	s_mov_b64 s[58:59], vcc
	s_and_saveexec_b64 s[62:63], s[64:65]
	s_cbranch_execz .LBB14_5772
; %bb.5771:
	v_mov_b32_e32 v3, 1
	flat_store_byte v[80:81], v3
	s_xor_b64 s[60:61], exec, -1
	s_or_b64 s[58:59], vcc, exec
.LBB14_5772:
	s_or_b64 exec, exec, s[62:63]
	s_andn2_b64 s[54:55], s[54:55], exec
	s_and_b64 s[60:61], s[60:61], exec
	s_andn2_b64 vcc, vcc, exec
	s_and_b64 s[58:59], s[58:59], exec
	s_or_b64 s[54:55], s[54:55], s[60:61]
	s_or_b64 vcc, vcc, s[58:59]
.LBB14_5773:
	s_or_b64 exec, exec, s[56:57]
	s_andn2_b64 s[56:57], s[46:47], exec
	s_and_b64 s[54:55], s[54:55], exec
	s_andn2_b64 s[52:53], s[52:53], exec
	s_and_b64 vcc, vcc, exec
	s_or_b64 s[54:55], s[56:57], s[54:55]
	s_or_b64 s[52:53], s[52:53], vcc
.LBB14_5774:
	s_or_b64 exec, exec, s[50:51]
	s_andn2_b64 vcc, s[46:47], exec
	s_and_b64 s[46:47], s[54:55], exec
	s_or_b64 s[46:47], vcc, s[46:47]
	s_andn2_b64 vcc, s[44:45], exec
	s_and_b64 s[44:45], s[52:53], exec
	s_or_b64 s[44:45], vcc, s[44:45]
.LBB14_5775:
	s_or_b64 exec, exec, s[48:49]
	s_andn2_b64 vcc, s[38:39], exec
	s_and_b64 s[46:47], s[46:47], exec
	s_or_b64 s[46:47], vcc, s[46:47]
	s_and_b64 s[44:45], s[44:45], exec
                                        ; implicit-def: $vgpr70
                                        ; implicit-def: $vgpr80_vgpr81
	s_andn2_saveexec_b64 s[42:43], s[42:43]
	s_cbranch_execz .LBB14_3902
.LBB14_5776:
	v_mov_b32_e32 v3, 4
	v_cmp_gt_i16_sdwa vcc, v11, v3 src0_sel:BYTE_0 src1_sel:DWORD
	s_and_saveexec_b64 s[48:49], vcc
	s_xor_b64 vcc, exec, s[48:49]
	s_cbranch_execz .LBB14_5798
; %bb.5777:
	v_mov_b32_e32 v3, 7
	v_cmp_gt_i16_sdwa s[48:49], v11, v3 src0_sel:BYTE_0 src1_sel:DWORD
	s_and_saveexec_b64 s[50:51], s[48:49]
	s_xor_b64 s[48:49], exec, s[50:51]
	s_cbranch_execz .LBB14_5787
; %bb.5778:
	v_mov_b32_e32 v3, 8
	v_cmp_gt_i16_sdwa s[50:51], v11, v3 src0_sel:BYTE_0 src1_sel:DWORD
	s_and_saveexec_b64 s[52:53], s[50:51]
	s_xor_b64 s[50:51], exec, s[52:53]
	;; [unrolled: 6-line block ×3, first 2 shown]
	s_cbranch_execz .LBB14_5781
; %bb.5780:
	v_mov_b32_e32 v84, 0
	v_cvt_f64_f32_e32 v[82:83], v70
	v_mov_b32_e32 v85, v84
	flat_store_dwordx4 v[80:81], v[82:85]
                                        ; implicit-def: $vgpr70
                                        ; implicit-def: $vgpr80_vgpr81
.LBB14_5781:
	s_andn2_saveexec_b64 s[52:53], s[52:53]
	s_cbranch_execz .LBB14_5783
; %bb.5782:
	v_mov_b32_e32 v71, 0
	flat_store_dwordx2 v[80:81], v[70:71]
.LBB14_5783:
	s_or_b64 exec, exec, s[52:53]
                                        ; implicit-def: $vgpr70
                                        ; implicit-def: $vgpr80_vgpr81
.LBB14_5784:
	s_andn2_saveexec_b64 s[50:51], s[50:51]
	s_cbranch_execz .LBB14_5786
; %bb.5785:
	v_cvt_f16_f32_e32 v3, v70
	flat_store_dword v[80:81], v3
.LBB14_5786:
	s_or_b64 exec, exec, s[50:51]
                                        ; implicit-def: $vgpr70
                                        ; implicit-def: $vgpr80_vgpr81
.LBB14_5787:
	s_andn2_saveexec_b64 s[48:49], s[48:49]
	s_cbranch_execz .LBB14_5797
; %bb.5788:
	v_mov_b32_e32 v3, 5
	v_cmp_gt_i16_sdwa s[50:51], v11, v3 src0_sel:BYTE_0 src1_sel:DWORD
	s_and_saveexec_b64 s[52:53], s[50:51]
	s_xor_b64 s[50:51], exec, s[52:53]
	s_cbranch_execz .LBB14_5794
; %bb.5789:
	v_mov_b32_e32 v3, 6
	v_cmp_gt_i16_sdwa s[52:53], v11, v3 src0_sel:BYTE_0 src1_sel:DWORD
	s_and_saveexec_b64 s[54:55], s[52:53]
	s_xor_b64 s[52:53], exec, s[54:55]
	s_cbranch_execz .LBB14_5791
; %bb.5790:
	v_cvt_f64_f32_e32 v[70:71], v70
	flat_store_dwordx2 v[80:81], v[70:71]
                                        ; implicit-def: $vgpr80_vgpr81
                                        ; implicit-def: $vgpr70
.LBB14_5791:
	s_andn2_saveexec_b64 s[52:53], s[52:53]
	s_cbranch_execz .LBB14_5793
; %bb.5792:
	flat_store_dword v[80:81], v70
.LBB14_5793:
	s_or_b64 exec, exec, s[52:53]
                                        ; implicit-def: $vgpr70
                                        ; implicit-def: $vgpr80_vgpr81
.LBB14_5794:
	s_andn2_saveexec_b64 s[50:51], s[50:51]
	s_cbranch_execz .LBB14_5796
; %bb.5795:
	v_cvt_f16_f32_e32 v3, v70
	flat_store_short v[80:81], v3
.LBB14_5796:
	s_or_b64 exec, exec, s[50:51]
.LBB14_5797:
	s_or_b64 exec, exec, s[48:49]
                                        ; implicit-def: $vgpr70
                                        ; implicit-def: $vgpr80_vgpr81
.LBB14_5798:
	s_andn2_saveexec_b64 s[48:49], vcc
	s_cbranch_execz .LBB14_5816
; %bb.5799:
	v_mov_b32_e32 v3, 1
	v_cmp_gt_i16_sdwa vcc, v11, v3 src0_sel:BYTE_0 src1_sel:DWORD
	s_and_saveexec_b64 s[50:51], vcc
	s_xor_b64 s[50:51], exec, s[50:51]
	s_cbranch_execz .LBB14_5809
; %bb.5800:
	v_mov_b32_e32 v3, 2
	v_cmp_gt_i16_sdwa vcc, v11, v3 src0_sel:BYTE_0 src1_sel:DWORD
	s_and_saveexec_b64 s[52:53], vcc
	s_xor_b64 s[52:53], exec, s[52:53]
	;; [unrolled: 6-line block ×3, first 2 shown]
	s_cbranch_execz .LBB14_5803
; %bb.5802:
	v_trunc_f32_e32 v3, v70
	s_mov_b32 s56, 0x2f800000
	v_mul_f32_e64 v5, |v3|, s56
	v_floor_f32_e32 v5, v5
	s_mov_b32 s56, 0xcf800000
	v_cvt_u32_f32_e32 v7, v5
	v_fma_f32 v5, v5, s56, |v3|
	v_cvt_u32_f32_e32 v5, v5
	v_ashrrev_i32_e32 v3, 31, v3
	v_xor_b32_e32 v7, v7, v3
	v_xor_b32_e32 v5, v5, v3
	v_sub_co_u32_e32 v70, vcc, v5, v3
	v_subb_co_u32_e32 v71, vcc, v7, v3, vcc
	flat_store_dwordx2 v[80:81], v[70:71]
                                        ; implicit-def: $vgpr70
                                        ; implicit-def: $vgpr80_vgpr81
.LBB14_5803:
	s_andn2_saveexec_b64 vcc, s[54:55]
	s_cbranch_execz .LBB14_5805
; %bb.5804:
	v_cvt_i32_f32_e32 v3, v70
	flat_store_dword v[80:81], v3
.LBB14_5805:
	s_or_b64 exec, exec, vcc
                                        ; implicit-def: $vgpr70
                                        ; implicit-def: $vgpr80_vgpr81
.LBB14_5806:
	s_andn2_saveexec_b64 vcc, s[52:53]
	s_cbranch_execz .LBB14_5808
; %bb.5807:
	v_cvt_i32_f32_e32 v3, v70
	flat_store_short v[80:81], v3
.LBB14_5808:
	s_or_b64 exec, exec, vcc
                                        ; implicit-def: $vgpr70
                                        ; implicit-def: $vgpr80_vgpr81
.LBB14_5809:
	s_andn2_saveexec_b64 vcc, s[50:51]
	s_cbranch_execz .LBB14_5815
; %bb.5810:
	v_mov_b32_e32 v3, 0
	v_cmp_gt_i16_sdwa s[50:51], v11, v3 src0_sel:BYTE_0 src1_sel:DWORD
	s_and_saveexec_b64 s[52:53], s[50:51]
	s_xor_b64 s[50:51], exec, s[52:53]
	s_cbranch_execz .LBB14_5812
; %bb.5811:
	v_cvt_i32_f32_e32 v3, v70
                                        ; implicit-def: $vgpr70
	flat_store_byte v[80:81], v3
                                        ; implicit-def: $vgpr80_vgpr81
.LBB14_5812:
	s_andn2_saveexec_b64 s[50:51], s[50:51]
	s_cbranch_execz .LBB14_5814
; %bb.5813:
	v_trunc_f32_e32 v3, v70
	s_mov_b32 s52, 0x2f800000
	v_mul_f32_e64 v5, |v3|, s52
	v_floor_f32_e32 v5, v5
	s_mov_b32 s52, 0xcf800000
	v_fma_f32 v5, v5, s52, |v3|
	v_cvt_u32_f32_e32 v5, v5
	v_ashrrev_i32_e32 v3, 31, v3
	v_xor_b32_e32 v5, v5, v3
	v_sub_u32_e32 v3, v5, v3
	flat_store_byte v[80:81], v3
.LBB14_5814:
	s_or_b64 exec, exec, s[50:51]
.LBB14_5815:
	s_or_b64 exec, exec, vcc
.LBB14_5816:
	s_or_b64 exec, exec, s[48:49]
	s_or_b64 s[44:45], s[44:45], exec
	s_or_b64 exec, exec, s[42:43]
	s_mov_b64 vcc, 0
	s_and_saveexec_b64 s[42:43], s[44:45]
	s_cbranch_execnz .LBB14_3903
	s_branch .LBB14_3904
.LBB14_5817:
	v_bfe_u32 v3, v98, 21, 1
	s_mov_b32 s38, 0x88fffff
	v_add3_u32 v3, v98, v3, s38
	s_mov_b64 s[36:37], exec
	v_lshrrev_b32_e32 v3, 21, v3
	s_or_saveexec_b64 s[38:39], vcc
                                        ; implicit-def: $sgpr40
	s_xor_b64 exec, exec, s[38:39]
	s_cbranch_execz .LBB14_4996
.LBB14_5818:
	s_mov_b32 s40, 0x42800000
	v_add_f32_e64 v3, |v98|, s40
	v_and_b32_e32 v3, 0xff, v3
	v_cmp_ne_u32_e32 vcc, 0, v3
	s_andn2_b64 s[36:37], s[36:37], exec
	s_and_b64 vcc, vcc, exec
	s_mov_b32 s40, 0
	s_or_b64 s[36:37], s[36:37], vcc
	s_or_b64 exec, exec, s[38:39]
	v_mov_b32_e32 v5, s40
	s_and_saveexec_b64 vcc, s[36:37]
	s_cbranch_execnz .LBB14_4997
	s_branch .LBB14_4998
.LBB14_5819:
	v_bfe_u32 v3, v96, 20, 1
	s_mov_b32 s40, 0x487ffff
	v_add3_u32 v3, v96, v3, s40
	s_mov_b64 s[38:39], exec
	v_lshrrev_b32_e32 v3, 20, v3
	s_or_saveexec_b64 s[40:41], vcc
                                        ; implicit-def: $sgpr42
	s_xor_b64 exec, exec, s[40:41]
	s_cbranch_execz .LBB14_5105
.LBB14_5820:
	s_mov_b32 s42, 0x46000000
	v_add_f32_e64 v3, |v96|, s42
	v_and_b32_e32 v3, 0xff, v3
	v_cmp_ne_u32_e32 vcc, 0, v3
	s_andn2_b64 s[38:39], s[38:39], exec
	s_and_b64 vcc, vcc, exec
	s_mov_b32 s42, 0
	s_or_b64 s[38:39], s[38:39], vcc
	s_or_b64 exec, exec, s[40:41]
	v_mov_b32_e32 v5, s42
	s_and_saveexec_b64 vcc, s[38:39]
	s_cbranch_execnz .LBB14_5106
	s_branch .LBB14_5107
.LBB14_5821:
	v_mov_b32_e32 v3, 25
	v_cmp_gt_i16_sdwa s[48:49], v11, v3 src0_sel:BYTE_0 src1_sel:DWORD
	s_mov_b64 s[46:47], vcc
	s_and_saveexec_b64 s[50:51], s[48:49]
	s_xor_b64 s[48:49], exec, s[50:51]
	s_cbranch_execz .LBB14_5857
; %bb.5822:
	v_mov_b32_e32 v3, 28
	s_mov_b64 s[50:51], s[4:5]
	v_cmp_gt_i16_sdwa s[44:45], v11, v3 src0_sel:BYTE_0 src1_sel:DWORD
	s_mov_b64 s[4:5], 0
	s_mov_b64 s[46:47], vcc
	s_and_saveexec_b64 s[52:53], s[44:45]
	s_xor_b64 s[44:45], exec, s[52:53]
	s_cbranch_execz .LBB14_5840
; %bb.5823:
	v_mov_b32_e32 v3, 43
	v_cmp_gt_i16_sdwa s[46:47], v11, v3 src0_sel:BYTE_0 src1_sel:DWORD
	s_mov_b64 s[54:55], vcc
	s_and_saveexec_b64 vcc, s[46:47]
	s_xor_b64 s[46:47], exec, vcc
	s_cbranch_execz .LBB14_5835
; %bb.5824:
	v_mov_b32_e32 v3, 45
	v_readlane_b32 s54, v44, 58
	v_cmp_gt_i16_sdwa s[4:5], v11, v3 src0_sel:BYTE_0 src1_sel:DWORD
	s_mov_b64 s[52:53], 0
	v_readlane_b32 s55, v44, 59
	s_and_saveexec_b64 vcc, s[4:5]
	s_xor_b64 s[4:5], exec, vcc
	s_cbranch_execz .LBB14_5828
; %bb.5825:
	v_mov_b32_e32 v3, 46
	v_cmp_eq_u16_sdwa s[56:57], v11, v3 src0_sel:BYTE_0 src1_sel:DWORD
	s_mov_b64 vcc, -1
	s_and_saveexec_b64 s[54:55], s[56:57]
	s_cbranch_execz .LBB14_5827
; %bb.5826:
	v_bfe_u32 v3, v68, 16, 1
	s_movk_i32 vcc_lo, 0x7fff
	v_add3_u32 v3, v68, v3, vcc_lo
	v_lshrrev_b32_e32 v3, 16, v3
	v_mov_b32_e32 v5, 0x7fc0
	v_cmp_o_f32_e32 vcc, v68, v68
	v_cndmask_b32_e32 v3, v5, v3, vcc
	s_mov_b64 s[52:53], exec
	flat_store_dword v[70:71], v3
	s_xor_b64 vcc, exec, -1
.LBB14_5827:
	s_or_b64 exec, exec, s[54:55]
	v_readlane_b32 s54, v44, 58
	v_readlane_b32 s55, v44, 59
	s_andn2_b64 s[54:55], s[54:55], exec
	s_and_b64 vcc, vcc, exec
	s_or_b64 s[54:55], s[54:55], vcc
	s_and_b64 s[52:53], s[52:53], exec
                                        ; implicit-def: $vgpr70_vgpr71
                                        ; implicit-def: $vgpr68
.LBB14_5828:
	s_andn2_saveexec_b64 s[56:57], s[4:5]
	s_cbranch_execz .LBB14_5834
; %bb.5829:
	v_mov_b32_e32 v3, 44
	v_cmp_eq_u16_sdwa s[60:61], v11, v3 src0_sel:BYTE_0 src1_sel:DWORD
	s_mov_b64 vcc, -1
	s_mov_b64 s[4:5], s[52:53]
	s_and_saveexec_b64 s[58:59], s[60:61]
	s_cbranch_execz .LBB14_5833
; %bb.5830:
	v_bfe_u32 v3, v68, 23, 8
	s_movk_i32 s4, 0xff
	v_cmp_ne_u32_e32 vcc, s4, v3
	v_mov_b32_e32 v5, 0xff
	s_and_saveexec_b64 s[60:61], vcc
; %bb.5831:
	s_mov_b32 s4, 0x3fffff
	v_and_b32_e32 v7, 0x400000, v68
	v_and_or_b32 v3, v68, s4, v3
	v_cmp_ne_u32_e32 vcc, 0, v7
	v_cmp_ne_u32_e64 s[4:5], 0, v3
	s_and_b64 s[4:5], vcc, s[4:5]
	v_lshrrev_b32_e32 v5, 23, v68
	v_cndmask_b32_e64 v3, 0, 1, s[4:5]
	v_add_u32_e32 v5, v5, v3
; %bb.5832:
	s_or_b64 exec, exec, s[60:61]
	s_xor_b64 vcc, exec, -1
	s_or_b64 s[4:5], s[52:53], exec
	flat_store_byte v[70:71], v5
.LBB14_5833:
	s_or_b64 exec, exec, s[58:59]
	s_andn2_b64 s[54:55], s[54:55], exec
	s_and_b64 vcc, vcc, exec
	s_or_b64 s[54:55], s[54:55], vcc
	s_andn2_b64 vcc, s[52:53], exec
	s_and_b64 s[4:5], s[4:5], exec
	s_or_b64 s[52:53], vcc, s[4:5]
.LBB14_5834:
	s_or_b64 exec, exec, s[56:57]
	v_readlane_b32 s4, v44, 58
	v_readlane_b32 s5, v44, 59
	s_andn2_b64 s[4:5], s[4:5], exec
	s_and_b64 vcc, s[54:55], exec
	s_or_b64 s[54:55], s[4:5], vcc
	s_and_b64 s[4:5], s[52:53], exec
                                        ; implicit-def: $vgpr68
                                        ; implicit-def: $vgpr70_vgpr71
.LBB14_5835:
	s_andn2_saveexec_b64 vcc, s[46:47]
	s_cbranch_execz .LBB14_5839
; %bb.5836:
	v_mov_b32_e32 v3, 29
	v_cmp_eq_u16_sdwa s[58:59], v11, v3 src0_sel:BYTE_0 src1_sel:DWORD
	s_mov_b64 s[56:57], -1
	s_mov_b64 s[52:53], s[4:5]
	s_and_saveexec_b64 s[46:47], s[58:59]
	s_cbranch_execz .LBB14_5838
; %bb.5837:
	v_trunc_f32_e32 v3, v68
	v_mul_f32_e32 v5, 0x2f800000, v3
	v_floor_f32_e32 v5, v5
	v_fmac_f32_e32 v3, 0xcf800000, v5
	v_cvt_u32_f32_e32 v69, v5
	v_cvt_u32_f32_e32 v68, v3
	s_xor_b64 s[56:57], exec, -1
	s_or_b64 s[52:53], s[4:5], exec
	flat_store_dwordx2 v[70:71], v[68:69]
.LBB14_5838:
	s_or_b64 exec, exec, s[46:47]
	s_andn2_b64 s[46:47], s[54:55], exec
	s_and_b64 s[54:55], s[56:57], exec
	s_or_b64 s[54:55], s[46:47], s[54:55]
	s_andn2_b64 s[4:5], s[4:5], exec
	s_and_b64 s[46:47], s[52:53], exec
	s_or_b64 s[4:5], s[4:5], s[46:47]
.LBB14_5839:
	s_or_b64 exec, exec, vcc
	v_readlane_b32 vcc_lo, v44, 58
	v_readlane_b32 vcc_hi, v44, 59
	s_andn2_b64 s[46:47], vcc, exec
	s_and_b64 s[52:53], s[54:55], exec
	s_or_b64 s[46:47], s[46:47], s[52:53]
	s_and_b64 s[4:5], s[4:5], exec
                                        ; implicit-def: $vgpr70_vgpr71
                                        ; implicit-def: $vgpr68
.LBB14_5840:
	s_andn2_saveexec_b64 s[44:45], s[44:45]
	s_cbranch_execz .LBB14_5856
; %bb.5841:
	v_mov_b32_e32 v3, 26
	v_cmp_gt_i16_sdwa vcc, v11, v3 src0_sel:BYTE_0 src1_sel:DWORD
	s_and_saveexec_b64 s[52:53], vcc
	s_xor_b64 vcc, exec, s[52:53]
	s_cbranch_execz .LBB14_5847
; %bb.5842:
	v_cvt_u32_f32_e32 v3, v68
	v_mov_b32_e32 v5, 27
	v_cmp_gt_i16_sdwa s[52:53], v11, v5 src0_sel:BYTE_0 src1_sel:DWORD
	s_and_saveexec_b64 s[54:55], s[52:53]
	s_xor_b64 s[52:53], exec, s[54:55]
	s_cbranch_execz .LBB14_5844
; %bb.5843:
	flat_store_dword v[70:71], v3
                                        ; implicit-def: $vgpr70_vgpr71
                                        ; implicit-def: $vgpr3
.LBB14_5844:
	s_andn2_saveexec_b64 s[52:53], s[52:53]
	s_cbranch_execz .LBB14_5846
; %bb.5845:
	flat_store_short v[70:71], v3
.LBB14_5846:
	s_or_b64 exec, exec, s[52:53]
                                        ; implicit-def: $vgpr70_vgpr71
                                        ; implicit-def: $vgpr68
.LBB14_5847:
	s_andn2_saveexec_b64 s[52:53], vcc
	s_cbranch_execz .LBB14_5855
; %bb.5848:
	v_and_b32_e32 v3, 0x7fffffff, v68
	s_mov_b32 vcc_lo, 0x43800000
	v_cmp_gt_u32_e32 vcc, vcc_lo, v3
	v_mov_b32_e32 v5, 0x80
	s_and_saveexec_b64 s[54:55], vcc
	s_cbranch_execz .LBB14_5854
; %bb.5849:
	s_mov_b32 vcc_lo, 0x3bffffff
	v_cmp_lt_u32_e32 vcc, vcc_lo, v3
	s_mov_b64 s[56:57], 0
                                        ; implicit-def: $vgpr3
	s_and_saveexec_b64 s[58:59], vcc
	s_xor_b64 vcc, exec, s[58:59]
	s_cbranch_execnz .LBB14_6575
; %bb.5850:
	s_or_saveexec_b64 s[58:59], vcc
                                        ; implicit-def: $sgpr60
	s_xor_b64 exec, exec, s[58:59]
	s_cbranch_execnz .LBB14_6576
.LBB14_5851:
	s_or_b64 exec, exec, s[58:59]
	v_mov_b32_e32 v5, s60
	s_and_saveexec_b64 vcc, s[56:57]
.LBB14_5852:
	v_lshrrev_b32_e32 v5, 24, v68
	s_movk_i32 s56, 0x80
	v_and_or_b32 v5, v5, s56, v3
.LBB14_5853:
	s_or_b64 exec, exec, vcc
.LBB14_5854:
	s_or_b64 exec, exec, s[54:55]
	flat_store_byte v[70:71], v5
.LBB14_5855:
	s_or_b64 exec, exec, s[52:53]
	v_readlane_b32 vcc_lo, v44, 58
	s_or_b64 s[4:5], s[4:5], exec
	v_readlane_b32 vcc_hi, v44, 59
.LBB14_5856:
	s_or_b64 exec, exec, s[44:45]
	s_andn2_b64 s[44:45], vcc, exec
	s_and_b64 s[46:47], s[46:47], exec
	s_or_b64 s[46:47], s[44:45], s[46:47]
	s_and_b64 s[44:45], s[4:5], exec
	s_mov_b64 s[4:5], s[50:51]
                                        ; implicit-def: $vgpr68
                                        ; implicit-def: $vgpr70_vgpr71
.LBB14_5857:
	s_andn2_saveexec_b64 s[48:49], s[48:49]
	s_cbranch_execz .LBB14_5901
; %bb.5858:
	v_mov_b32_e32 v3, 22
	v_cmp_gt_i16_sdwa vcc, v11, v3 src0_sel:BYTE_0 src1_sel:DWORD
	s_mov_b64 s[52:53], s[44:45]
	s_and_saveexec_b64 s[50:51], vcc
	s_xor_b64 s[50:51], exec, s[50:51]
	s_cbranch_execz .LBB14_5890
; %bb.5859:
	v_mov_b32_e32 v3, 23
	v_cmp_gt_i16_sdwa vcc, v11, v3 src0_sel:BYTE_0 src1_sel:DWORD
	s_and_saveexec_b64 s[52:53], vcc
	s_xor_b64 s[52:53], exec, s[52:53]
	s_cbranch_execz .LBB14_5879
; %bb.5860:
	v_mov_b32_e32 v3, 24
	v_cmp_gt_i16_sdwa vcc, v11, v3 src0_sel:BYTE_0 src1_sel:DWORD
	s_and_saveexec_b64 s[54:55], vcc
	s_xor_b64 s[54:55], exec, s[54:55]
	s_cbranch_execz .LBB14_5868
; %bb.5861:
	v_and_b32_e32 v3, 0x7fffffff, v68
	s_mov_b32 vcc_lo, 0x47800000
	v_cmp_gt_u32_e32 vcc, vcc_lo, v3
	v_mov_b32_e32 v5, 0x80
	s_and_saveexec_b64 s[56:57], vcc
	s_cbranch_execz .LBB14_5867
; %bb.5862:
	s_mov_b32 vcc_lo, 0x37ffffff
	v_cmp_lt_u32_e32 vcc, vcc_lo, v3
	s_mov_b64 s[58:59], 0
                                        ; implicit-def: $vgpr3
	s_and_saveexec_b64 s[60:61], vcc
	s_xor_b64 vcc, exec, s[60:61]
	s_cbranch_execnz .LBB14_6699
; %bb.5863:
	s_or_saveexec_b64 s[60:61], vcc
                                        ; implicit-def: $sgpr62
	s_xor_b64 exec, exec, s[60:61]
	s_cbranch_execnz .LBB14_6700
.LBB14_5864:
	s_or_b64 exec, exec, s[60:61]
	v_mov_b32_e32 v5, s62
	s_and_saveexec_b64 vcc, s[58:59]
.LBB14_5865:
	v_lshrrev_b32_e32 v5, 24, v68
	s_movk_i32 s58, 0x80
	v_and_or_b32 v5, v5, s58, v3
.LBB14_5866:
	s_or_b64 exec, exec, vcc
.LBB14_5867:
	s_or_b64 exec, exec, s[56:57]
	flat_store_byte v[70:71], v5
                                        ; implicit-def: $vgpr68
                                        ; implicit-def: $vgpr70_vgpr71
.LBB14_5868:
	s_andn2_saveexec_b64 s[54:55], s[54:55]
	s_cbranch_execz .LBB14_5878
; %bb.5869:
	v_and_b32_e32 v5, 0x7fffffff, v68
	s_mov_b32 vcc_lo, 0x43f00000
	v_cmp_gt_u32_e32 vcc, vcc_lo, v5
                                        ; implicit-def: $vgpr3
	s_and_saveexec_b64 s[56:57], vcc
	s_xor_b64 s[56:57], exec, s[56:57]
	s_cbranch_execz .LBB14_5875
; %bb.5870:
	s_mov_b32 vcc_lo, 0x3c7fffff
	v_cmp_lt_u32_e32 vcc, vcc_lo, v5
                                        ; implicit-def: $vgpr3
	s_and_saveexec_b64 s[58:59], vcc
	s_xor_b64 s[58:59], exec, s[58:59]
; %bb.5871:
	v_bfe_u32 v3, v68, 20, 1
	s_mov_b32 vcc_lo, 0x407ffff
	v_add3_u32 v3, v68, v3, vcc_lo
	v_lshrrev_b32_e32 v5, 20, v3
	v_and_b32_e32 v3, 0xff00000, v3
	s_mov_b32 vcc_lo, 0x7f00000
	v_mov_b32_e32 v7, 0x7e
	v_cmp_ne_u32_e32 vcc, vcc_lo, v3
	v_cndmask_b32_e32 v3, v7, v5, vcc
; %bb.5872:
	s_andn2_saveexec_b64 vcc, s[58:59]
; %bb.5873:
	s_mov_b32 s58, 0x46800000
	v_add_f32_e64 v3, |v68|, s58
; %bb.5874:
	s_or_b64 exec, exec, vcc
                                        ; implicit-def: $vgpr5
.LBB14_5875:
	s_andn2_saveexec_b64 s[56:57], s[56:57]
; %bb.5876:
	s_mov_b32 vcc_lo, 0x7f800000
	v_mov_b32_e32 v3, 0x7e
	v_mov_b32_e32 v7, 0x7f
	v_cmp_lt_u32_e32 vcc, vcc_lo, v5
	v_cndmask_b32_e32 v3, v3, v7, vcc
; %bb.5877:
	s_or_b64 exec, exec, s[56:57]
	v_lshrrev_b32_e32 v5, 24, v68
	s_movk_i32 vcc_lo, 0x80
	v_and_or_b32 v3, v5, vcc_lo, v3
	flat_store_byte v[70:71], v3
.LBB14_5878:
	s_or_b64 exec, exec, s[54:55]
                                        ; implicit-def: $vgpr68
                                        ; implicit-def: $vgpr70_vgpr71
.LBB14_5879:
	s_andn2_saveexec_b64 s[52:53], s[52:53]
	s_cbranch_execz .LBB14_5889
; %bb.5880:
	v_and_b32_e32 v5, 0x7fffffff, v68
	s_mov_b32 vcc_lo, 0x47800000
	v_cmp_gt_u32_e32 vcc, vcc_lo, v5
                                        ; implicit-def: $vgpr3
	s_and_saveexec_b64 s[54:55], vcc
	s_xor_b64 s[54:55], exec, s[54:55]
	s_cbranch_execz .LBB14_5886
; %bb.5881:
	s_mov_b32 vcc_lo, 0x387fffff
	v_cmp_lt_u32_e32 vcc, vcc_lo, v5
                                        ; implicit-def: $vgpr3
	s_and_saveexec_b64 s[56:57], vcc
	s_xor_b64 vcc, exec, s[56:57]
; %bb.5882:
	v_bfe_u32 v3, v68, 21, 1
	s_mov_b32 s56, 0x80fffff
	v_add3_u32 v3, v68, v3, s56
	v_lshrrev_b32_e32 v3, 21, v3
; %bb.5883:
	s_andn2_saveexec_b64 vcc, vcc
; %bb.5884:
	s_mov_b32 s56, 0x43000000
	v_add_f32_e64 v3, |v68|, s56
; %bb.5885:
	s_or_b64 exec, exec, vcc
                                        ; implicit-def: $vgpr5
.LBB14_5886:
	s_andn2_saveexec_b64 s[54:55], s[54:55]
; %bb.5887:
	s_mov_b32 vcc_lo, 0x7f800000
	v_mov_b32_e32 v3, 0x7c
	v_mov_b32_e32 v7, 0x7f
	v_cmp_lt_u32_e32 vcc, vcc_lo, v5
	v_cndmask_b32_e32 v3, v3, v7, vcc
; %bb.5888:
	s_or_b64 exec, exec, s[54:55]
	v_lshrrev_b32_e32 v5, 24, v68
	s_movk_i32 vcc_lo, 0x80
	v_and_or_b32 v3, v5, vcc_lo, v3
	flat_store_byte v[70:71], v3
.LBB14_5889:
	s_or_b64 exec, exec, s[52:53]
	s_or_b64 s[52:53], s[44:45], exec
                                        ; implicit-def: $vgpr70_vgpr71
                                        ; implicit-def: $vgpr68
.LBB14_5890:
	s_or_saveexec_b64 s[50:51], s[50:51]
	s_mov_b64 s[54:55], s[46:47]
	s_xor_b64 exec, exec, s[50:51]
	s_cbranch_execz .LBB14_5900
; %bb.5891:
	v_mov_b32_e32 v3, 14
	v_cmp_gt_i16_sdwa s[56:57], v11, v3 src0_sel:BYTE_0 src1_sel:DWORD
	s_mov_b64 vcc, s[52:53]
	s_mov_b64 s[54:55], s[46:47]
	s_and_saveexec_b64 s[58:59], s[56:57]
	s_xor_b64 s[56:57], exec, s[58:59]
	s_cbranch_execz .LBB14_5895
; %bb.5892:
	v_mov_b32_e32 v3, 15
	v_cmp_eq_u16_sdwa s[60:61], v11, v3 src0_sel:BYTE_0 src1_sel:DWORD
	s_mov_b64 s[58:59], -1
	s_mov_b64 vcc, s[52:53]
	s_and_saveexec_b64 s[54:55], s[60:61]
	s_cbranch_execz .LBB14_5894
; %bb.5893:
	v_bfe_u32 v3, v68, 16, 1
	s_movk_i32 vcc_lo, 0x7fff
	v_add3_u32 v3, v68, v3, vcc_lo
	v_lshrrev_b32_e32 v3, 16, v3
	v_mov_b32_e32 v5, 0x7fc0
	v_cmp_o_f32_e32 vcc, v68, v68
	v_cndmask_b32_e32 v3, v5, v3, vcc
	flat_store_short v[70:71], v3
	s_xor_b64 s[58:59], exec, -1
	s_or_b64 vcc, s[52:53], exec
.LBB14_5894:
	s_or_b64 exec, exec, s[54:55]
	s_andn2_b64 s[54:55], s[46:47], exec
	s_and_b64 s[58:59], s[58:59], exec
	s_or_b64 s[54:55], s[54:55], s[58:59]
	s_andn2_b64 s[58:59], s[52:53], exec
	s_and_b64 vcc, vcc, exec
	s_or_b64 vcc, s[58:59], vcc
                                        ; implicit-def: $vgpr70_vgpr71
.LBB14_5895:
	s_andn2_saveexec_b64 s[56:57], s[56:57]
	s_cbranch_execz .LBB14_5899
; %bb.5896:
	v_mov_b32_e32 v3, 11
	v_cmp_eq_u16_sdwa s[64:65], v11, v3 src0_sel:BYTE_0 src1_sel:DWORD
	s_mov_b64 s[60:61], -1
	s_mov_b64 s[58:59], vcc
	s_and_saveexec_b64 s[62:63], s[64:65]
	s_cbranch_execz .LBB14_5898
; %bb.5897:
	v_mov_b32_e32 v3, 1
	flat_store_byte v[70:71], v3
	s_xor_b64 s[60:61], exec, -1
	s_or_b64 s[58:59], vcc, exec
.LBB14_5898:
	s_or_b64 exec, exec, s[62:63]
	s_andn2_b64 s[54:55], s[54:55], exec
	s_and_b64 s[60:61], s[60:61], exec
	s_andn2_b64 vcc, vcc, exec
	s_and_b64 s[58:59], s[58:59], exec
	s_or_b64 s[54:55], s[54:55], s[60:61]
	s_or_b64 vcc, vcc, s[58:59]
.LBB14_5899:
	s_or_b64 exec, exec, s[56:57]
	s_andn2_b64 s[56:57], s[46:47], exec
	s_and_b64 s[54:55], s[54:55], exec
	s_andn2_b64 s[52:53], s[52:53], exec
	s_and_b64 vcc, vcc, exec
	s_or_b64 s[54:55], s[56:57], s[54:55]
	s_or_b64 s[52:53], s[52:53], vcc
.LBB14_5900:
	s_or_b64 exec, exec, s[50:51]
	s_andn2_b64 vcc, s[46:47], exec
	s_and_b64 s[46:47], s[54:55], exec
	s_or_b64 s[46:47], vcc, s[46:47]
	s_andn2_b64 vcc, s[44:45], exec
	s_and_b64 s[44:45], s[52:53], exec
	s_or_b64 s[44:45], vcc, s[44:45]
	v_readlane_b32 vcc_lo, v44, 58
	v_readlane_b32 vcc_hi, v44, 59
.LBB14_5901:
	s_or_b64 exec, exec, s[48:49]
	s_andn2_b64 s[48:49], vcc, exec
	s_and_b64 s[46:47], s[46:47], exec
	s_or_b64 s[46:47], s[48:49], s[46:47]
	s_and_b64 s[44:45], s[44:45], exec
                                        ; implicit-def: $vgpr68
                                        ; implicit-def: $vgpr70_vgpr71
	s_andn2_saveexec_b64 s[42:43], s[42:43]
	s_cbranch_execz .LBB14_3909
.LBB14_5902:
	v_mov_b32_e32 v3, 4
	v_cmp_gt_i16_sdwa s[48:49], v11, v3 src0_sel:BYTE_0 src1_sel:DWORD
	s_and_saveexec_b64 s[50:51], s[48:49]
	s_xor_b64 s[48:49], exec, s[50:51]
	s_cbranch_execz .LBB14_5924
; %bb.5903:
	v_mov_b32_e32 v3, 7
	v_cmp_gt_i16_sdwa vcc, v11, v3 src0_sel:BYTE_0 src1_sel:DWORD
	s_and_saveexec_b64 s[50:51], vcc
	s_xor_b64 vcc, exec, s[50:51]
	s_cbranch_execz .LBB14_5913
; %bb.5904:
	v_mov_b32_e32 v3, 8
	v_cmp_gt_i16_sdwa s[50:51], v11, v3 src0_sel:BYTE_0 src1_sel:DWORD
	s_and_saveexec_b64 s[52:53], s[50:51]
	s_xor_b64 s[50:51], exec, s[52:53]
	s_cbranch_execz .LBB14_5910
; %bb.5905:
	v_mov_b32_e32 v3, 9
	v_cmp_gt_i16_sdwa s[52:53], v11, v3 src0_sel:BYTE_0 src1_sel:DWORD
	s_and_saveexec_b64 s[54:55], s[52:53]
	s_xor_b64 s[52:53], exec, s[54:55]
	s_cbranch_execz .LBB14_5907
; %bb.5906:
	v_mov_b32_e32 v82, 0
	v_cvt_f64_f32_e32 v[80:81], v68
	v_mov_b32_e32 v83, v82
	flat_store_dwordx4 v[70:71], v[80:83]
                                        ; implicit-def: $vgpr68
                                        ; implicit-def: $vgpr70_vgpr71
.LBB14_5907:
	s_andn2_saveexec_b64 s[52:53], s[52:53]
	s_cbranch_execz .LBB14_5909
; %bb.5908:
	v_mov_b32_e32 v69, 0
	flat_store_dwordx2 v[70:71], v[68:69]
.LBB14_5909:
	s_or_b64 exec, exec, s[52:53]
                                        ; implicit-def: $vgpr68
                                        ; implicit-def: $vgpr70_vgpr71
.LBB14_5910:
	s_andn2_saveexec_b64 s[50:51], s[50:51]
	s_cbranch_execz .LBB14_5912
; %bb.5911:
	v_cvt_f16_f32_e32 v3, v68
	flat_store_dword v[70:71], v3
.LBB14_5912:
	s_or_b64 exec, exec, s[50:51]
                                        ; implicit-def: $vgpr68
                                        ; implicit-def: $vgpr70_vgpr71
.LBB14_5913:
	s_andn2_saveexec_b64 vcc, vcc
	s_cbranch_execz .LBB14_5923
; %bb.5914:
	v_mov_b32_e32 v3, 5
	v_cmp_gt_i16_sdwa s[50:51], v11, v3 src0_sel:BYTE_0 src1_sel:DWORD
	s_and_saveexec_b64 s[52:53], s[50:51]
	s_xor_b64 s[50:51], exec, s[52:53]
	s_cbranch_execz .LBB14_5920
; %bb.5915:
	v_mov_b32_e32 v3, 6
	v_cmp_gt_i16_sdwa s[52:53], v11, v3 src0_sel:BYTE_0 src1_sel:DWORD
	s_and_saveexec_b64 s[54:55], s[52:53]
	s_xor_b64 s[52:53], exec, s[54:55]
	s_cbranch_execz .LBB14_5917
; %bb.5916:
	v_cvt_f64_f32_e32 v[68:69], v68
	flat_store_dwordx2 v[70:71], v[68:69]
                                        ; implicit-def: $vgpr70_vgpr71
                                        ; implicit-def: $vgpr68
.LBB14_5917:
	s_andn2_saveexec_b64 s[52:53], s[52:53]
	s_cbranch_execz .LBB14_5919
; %bb.5918:
	flat_store_dword v[70:71], v68
.LBB14_5919:
	s_or_b64 exec, exec, s[52:53]
                                        ; implicit-def: $vgpr68
                                        ; implicit-def: $vgpr70_vgpr71
.LBB14_5920:
	s_andn2_saveexec_b64 s[50:51], s[50:51]
	s_cbranch_execz .LBB14_5922
; %bb.5921:
	v_cvt_f16_f32_e32 v3, v68
	flat_store_short v[70:71], v3
.LBB14_5922:
	s_or_b64 exec, exec, s[50:51]
.LBB14_5923:
	s_or_b64 exec, exec, vcc
	v_readlane_b32 vcc_lo, v44, 58
	v_readlane_b32 vcc_hi, v44, 59
                                        ; implicit-def: $vgpr68
                                        ; implicit-def: $vgpr70_vgpr71
.LBB14_5924:
	s_andn2_saveexec_b64 s[48:49], s[48:49]
	s_cbranch_execz .LBB14_5942
; %bb.5925:
	v_mov_b32_e32 v3, 1
	v_cmp_gt_i16_sdwa vcc, v11, v3 src0_sel:BYTE_0 src1_sel:DWORD
	s_and_saveexec_b64 s[50:51], vcc
	s_xor_b64 s[50:51], exec, s[50:51]
	s_cbranch_execz .LBB14_5935
; %bb.5926:
	v_mov_b32_e32 v3, 2
	v_cmp_gt_i16_sdwa vcc, v11, v3 src0_sel:BYTE_0 src1_sel:DWORD
	s_and_saveexec_b64 s[52:53], vcc
	s_xor_b64 s[52:53], exec, s[52:53]
	;; [unrolled: 6-line block ×3, first 2 shown]
	s_cbranch_execz .LBB14_5929
; %bb.5928:
	v_trunc_f32_e32 v3, v68
	s_mov_b32 s56, 0x2f800000
	v_mul_f32_e64 v5, |v3|, s56
	v_floor_f32_e32 v5, v5
	s_mov_b32 s56, 0xcf800000
	v_cvt_u32_f32_e32 v7, v5
	v_fma_f32 v5, v5, s56, |v3|
	v_cvt_u32_f32_e32 v5, v5
	v_ashrrev_i32_e32 v3, 31, v3
	v_xor_b32_e32 v7, v7, v3
	v_xor_b32_e32 v5, v5, v3
	v_sub_co_u32_e32 v68, vcc, v5, v3
	v_subb_co_u32_e32 v69, vcc, v7, v3, vcc
	flat_store_dwordx2 v[70:71], v[68:69]
                                        ; implicit-def: $vgpr68
                                        ; implicit-def: $vgpr70_vgpr71
.LBB14_5929:
	s_andn2_saveexec_b64 vcc, s[54:55]
	s_cbranch_execz .LBB14_5931
; %bb.5930:
	v_cvt_i32_f32_e32 v3, v68
	flat_store_dword v[70:71], v3
.LBB14_5931:
	s_or_b64 exec, exec, vcc
                                        ; implicit-def: $vgpr68
                                        ; implicit-def: $vgpr70_vgpr71
.LBB14_5932:
	s_andn2_saveexec_b64 vcc, s[52:53]
	s_cbranch_execz .LBB14_5934
; %bb.5933:
	v_cvt_i32_f32_e32 v3, v68
	flat_store_short v[70:71], v3
.LBB14_5934:
	s_or_b64 exec, exec, vcc
                                        ; implicit-def: $vgpr68
                                        ; implicit-def: $vgpr70_vgpr71
.LBB14_5935:
	s_andn2_saveexec_b64 vcc, s[50:51]
	s_cbranch_execz .LBB14_5941
; %bb.5936:
	v_mov_b32_e32 v3, 0
	v_cmp_gt_i16_sdwa s[50:51], v11, v3 src0_sel:BYTE_0 src1_sel:DWORD
	s_and_saveexec_b64 s[52:53], s[50:51]
	s_xor_b64 s[50:51], exec, s[52:53]
	s_cbranch_execz .LBB14_5938
; %bb.5937:
	v_cvt_i32_f32_e32 v3, v68
                                        ; implicit-def: $vgpr68
	flat_store_byte v[70:71], v3
                                        ; implicit-def: $vgpr70_vgpr71
.LBB14_5938:
	s_andn2_saveexec_b64 s[50:51], s[50:51]
	s_cbranch_execz .LBB14_5940
; %bb.5939:
	v_trunc_f32_e32 v3, v68
	s_mov_b32 s52, 0x2f800000
	v_mul_f32_e64 v5, |v3|, s52
	v_floor_f32_e32 v5, v5
	s_mov_b32 s52, 0xcf800000
	v_fma_f32 v5, v5, s52, |v3|
	v_cvt_u32_f32_e32 v5, v5
	v_ashrrev_i32_e32 v3, 31, v3
	v_xor_b32_e32 v5, v5, v3
	v_sub_u32_e32 v3, v5, v3
	flat_store_byte v[70:71], v3
.LBB14_5940:
	s_or_b64 exec, exec, s[50:51]
.LBB14_5941:
	s_or_b64 exec, exec, vcc
	v_readlane_b32 vcc_lo, v44, 58
	v_readlane_b32 vcc_hi, v44, 59
.LBB14_5942:
	s_or_b64 exec, exec, s[48:49]
	s_or_b64 s[44:45], s[44:45], exec
	s_or_b64 exec, exec, s[42:43]
	s_mov_b64 s[42:43], 0
	s_and_saveexec_b64 s[48:49], s[44:45]
	s_cbranch_execnz .LBB14_3910
	s_branch .LBB14_3911
.LBB14_5943:
	v_bfe_u32 v3, v96, 21, 1
	s_mov_b32 s42, 0x88fffff
	v_add3_u32 v3, v96, v3, s42
	s_mov_b64 s[40:41], exec
	v_lshrrev_b32_e32 v3, 21, v3
	s_or_saveexec_b64 s[42:43], vcc
                                        ; implicit-def: $sgpr44
	s_xor_b64 exec, exec, s[42:43]
	s_cbranch_execz .LBB14_5118
.LBB14_5944:
	s_mov_b32 s44, 0x42800000
	v_add_f32_e64 v3, |v96|, s44
	v_and_b32_e32 v3, 0xff, v3
	v_cmp_ne_u32_e32 vcc, 0, v3
	s_andn2_b64 s[40:41], s[40:41], exec
	s_and_b64 vcc, vcc, exec
	s_mov_b32 s44, 0
	s_or_b64 s[40:41], s[40:41], vcc
	s_or_b64 exec, exec, s[42:43]
	v_mov_b32_e32 v5, s44
	s_and_saveexec_b64 vcc, s[40:41]
	s_cbranch_execnz .LBB14_5119
	s_branch .LBB14_5120
.LBB14_5945:
	v_bfe_u32 v3, v86, 20, 1
	s_mov_b32 s44, 0x487ffff
	v_add3_u32 v3, v86, v3, s44
	s_mov_b64 s[42:43], exec
	v_lshrrev_b32_e32 v3, 20, v3
	s_or_saveexec_b64 s[44:45], vcc
                                        ; implicit-def: $sgpr46
	s_xor_b64 exec, exec, s[44:45]
	s_cbranch_execz .LBB14_5227
.LBB14_5946:
	s_mov_b32 s46, 0x46000000
	v_add_f32_e64 v3, |v86|, s46
	v_and_b32_e32 v3, 0xff, v3
	v_cmp_ne_u32_e32 vcc, 0, v3
	s_andn2_b64 s[42:43], s[42:43], exec
	s_and_b64 vcc, vcc, exec
	s_mov_b32 s46, 0
	s_or_b64 s[42:43], s[42:43], vcc
	s_or_b64 exec, exec, s[44:45]
	v_mov_b32_e32 v5, s46
	s_and_saveexec_b64 vcc, s[42:43]
	s_cbranch_execnz .LBB14_5228
	s_branch .LBB14_5229
.LBB14_5947:
	v_mov_b32_e32 v3, 25
	s_mov_b64 s[44:45], s[4:5]
	v_cmp_gt_i16_sdwa s[48:49], v11, v3 src0_sel:BYTE_0 src1_sel:DWORD
	s_mov_b64 s[4:5], 0
	s_mov_b64 s[46:47], vcc
	s_and_saveexec_b64 s[50:51], s[48:49]
	s_xor_b64 s[48:49], exec, s[50:51]
	s_cbranch_execz .LBB14_5983
; %bb.5948:
	v_mov_b32_e32 v3, 28
	v_cmp_gt_i16_sdwa s[46:47], v11, v3 src0_sel:BYTE_0 src1_sel:DWORD
	s_mov_b64 s[50:51], vcc
	s_and_saveexec_b64 vcc, s[46:47]
	s_xor_b64 s[46:47], exec, vcc
	s_cbranch_execz .LBB14_5966
; %bb.5949:
	v_mov_b32_e32 v3, 43
	v_readlane_b32 vcc_lo, v44, 62
	v_cmp_gt_i16_sdwa s[50:51], v11, v3 src0_sel:BYTE_0 src1_sel:DWORD
	v_readlane_b32 vcc_hi, v44, 63
	s_and_saveexec_b64 s[52:53], s[50:51]
	s_xor_b64 s[50:51], exec, s[52:53]
	s_cbranch_execz .LBB14_5961
; %bb.5950:
	v_mov_b32_e32 v3, 45
	v_readlane_b32 s54, v44, 62
	v_cmp_gt_i16_sdwa s[4:5], v11, v3 src0_sel:BYTE_0 src1_sel:DWORD
	s_mov_b64 s[52:53], 0
	v_readlane_b32 s55, v44, 63
	s_and_saveexec_b64 vcc, s[4:5]
	s_xor_b64 s[4:5], exec, vcc
	s_cbranch_execz .LBB14_5954
; %bb.5951:
	v_mov_b32_e32 v3, 46
	v_cmp_eq_u16_sdwa s[56:57], v11, v3 src0_sel:BYTE_0 src1_sel:DWORD
	s_mov_b64 vcc, -1
	s_and_saveexec_b64 s[54:55], s[56:57]
	s_cbranch_execz .LBB14_5953
; %bb.5952:
	s_waitcnt vmcnt(0) lgkmcnt(0)
	v_bfe_u32 v3, v66, 16, 1
	s_movk_i32 vcc_lo, 0x7fff
	v_add3_u32 v3, v66, v3, vcc_lo
	v_lshrrev_b32_e32 v3, 16, v3
	v_mov_b32_e32 v5, 0x7fc0
	v_cmp_o_f32_e32 vcc, v66, v66
	v_cndmask_b32_e32 v3, v5, v3, vcc
	s_mov_b64 s[52:53], exec
	flat_store_dword v[68:69], v3
	s_xor_b64 vcc, exec, -1
.LBB14_5953:
	s_or_b64 exec, exec, s[54:55]
	v_readlane_b32 s54, v44, 62
	v_readlane_b32 s55, v44, 63
	s_andn2_b64 s[54:55], s[54:55], exec
	s_and_b64 vcc, vcc, exec
	s_or_b64 s[54:55], s[54:55], vcc
	s_and_b64 s[52:53], s[52:53], exec
                                        ; implicit-def: $vgpr68_vgpr69
                                        ; implicit-def: $vgpr66
.LBB14_5954:
	s_andn2_saveexec_b64 s[56:57], s[4:5]
	s_cbranch_execz .LBB14_5960
; %bb.5955:
	v_mov_b32_e32 v3, 44
	v_cmp_eq_u16_sdwa s[60:61], v11, v3 src0_sel:BYTE_0 src1_sel:DWORD
	s_mov_b64 vcc, -1
	s_mov_b64 s[4:5], s[52:53]
	s_and_saveexec_b64 s[58:59], s[60:61]
	s_cbranch_execz .LBB14_5959
; %bb.5956:
	s_waitcnt vmcnt(0) lgkmcnt(0)
	v_bfe_u32 v3, v66, 23, 8
	s_movk_i32 s4, 0xff
	v_cmp_ne_u32_e32 vcc, s4, v3
	v_mov_b32_e32 v5, 0xff
	s_and_saveexec_b64 s[60:61], vcc
; %bb.5957:
	s_mov_b32 s4, 0x3fffff
	v_and_b32_e32 v7, 0x400000, v66
	v_and_or_b32 v3, v66, s4, v3
	v_cmp_ne_u32_e32 vcc, 0, v7
	v_cmp_ne_u32_e64 s[4:5], 0, v3
	s_and_b64 s[4:5], vcc, s[4:5]
	v_lshrrev_b32_e32 v5, 23, v66
	v_cndmask_b32_e64 v3, 0, 1, s[4:5]
	v_add_u32_e32 v5, v5, v3
; %bb.5958:
	s_or_b64 exec, exec, s[60:61]
	s_xor_b64 vcc, exec, -1
	s_or_b64 s[4:5], s[52:53], exec
	flat_store_byte v[68:69], v5
.LBB14_5959:
	s_or_b64 exec, exec, s[58:59]
	s_andn2_b64 s[54:55], s[54:55], exec
	s_and_b64 vcc, vcc, exec
	s_or_b64 s[54:55], s[54:55], vcc
	s_andn2_b64 vcc, s[52:53], exec
	s_and_b64 s[4:5], s[4:5], exec
	s_or_b64 s[52:53], vcc, s[4:5]
.LBB14_5960:
	s_or_b64 exec, exec, s[56:57]
	v_readlane_b32 s4, v44, 62
	v_readlane_b32 s5, v44, 63
	s_andn2_b64 s[4:5], s[4:5], exec
	s_and_b64 vcc, s[54:55], exec
	s_or_b64 vcc, s[4:5], vcc
	s_and_b64 s[4:5], s[52:53], exec
                                        ; implicit-def: $vgpr66
                                        ; implicit-def: $vgpr68_vgpr69
.LBB14_5961:
	s_andn2_saveexec_b64 s[50:51], s[50:51]
	s_cbranch_execz .LBB14_5965
; %bb.5962:
	v_mov_b32_e32 v3, 29
	v_cmp_eq_u16_sdwa s[58:59], v11, v3 src0_sel:BYTE_0 src1_sel:DWORD
	s_mov_b64 s[56:57], -1
	s_mov_b64 s[54:55], s[4:5]
	s_and_saveexec_b64 s[52:53], s[58:59]
	s_cbranch_execz .LBB14_5964
; %bb.5963:
	s_waitcnt vmcnt(0) lgkmcnt(0)
	v_trunc_f32_e32 v3, v66
	v_mul_f32_e32 v5, 0x2f800000, v3
	v_floor_f32_e32 v5, v5
	v_fmac_f32_e32 v3, 0xcf800000, v5
	v_cvt_u32_f32_e32 v67, v5
	v_cvt_u32_f32_e32 v66, v3
	s_xor_b64 s[56:57], exec, -1
	s_or_b64 s[54:55], s[4:5], exec
	flat_store_dwordx2 v[68:69], v[66:67]
.LBB14_5964:
	s_or_b64 exec, exec, s[52:53]
	s_andn2_b64 vcc, vcc, exec
	s_and_b64 s[52:53], s[56:57], exec
	s_or_b64 vcc, vcc, s[52:53]
	s_andn2_b64 s[4:5], s[4:5], exec
	s_and_b64 s[52:53], s[54:55], exec
	s_or_b64 s[4:5], s[4:5], s[52:53]
.LBB14_5965:
	s_or_b64 exec, exec, s[50:51]
	v_readlane_b32 s50, v44, 62
	v_readlane_b32 s51, v44, 63
	s_andn2_b64 s[50:51], s[50:51], exec
	s_and_b64 vcc, vcc, exec
	s_or_b64 s[50:51], s[50:51], vcc
	s_and_b64 s[4:5], s[4:5], exec
                                        ; implicit-def: $vgpr68_vgpr69
                                        ; implicit-def: $vgpr66
.LBB14_5966:
	s_andn2_saveexec_b64 s[46:47], s[46:47]
	s_cbranch_execz .LBB14_5982
; %bb.5967:
	v_mov_b32_e32 v3, 26
	v_cmp_gt_i16_sdwa vcc, v11, v3 src0_sel:BYTE_0 src1_sel:DWORD
	s_and_saveexec_b64 s[52:53], vcc
	s_xor_b64 vcc, exec, s[52:53]
	s_cbranch_execz .LBB14_5973
; %bb.5968:
	s_waitcnt vmcnt(0) lgkmcnt(0)
	v_cvt_u32_f32_e32 v3, v66
	v_mov_b32_e32 v5, 27
	v_cmp_gt_i16_sdwa s[52:53], v11, v5 src0_sel:BYTE_0 src1_sel:DWORD
	s_and_saveexec_b64 s[54:55], s[52:53]
	s_xor_b64 s[52:53], exec, s[54:55]
	s_cbranch_execz .LBB14_5970
; %bb.5969:
	flat_store_dword v[68:69], v3
                                        ; implicit-def: $vgpr68_vgpr69
                                        ; implicit-def: $vgpr3
.LBB14_5970:
	s_andn2_saveexec_b64 s[52:53], s[52:53]
	s_cbranch_execz .LBB14_5972
; %bb.5971:
	flat_store_short v[68:69], v3
.LBB14_5972:
	s_or_b64 exec, exec, s[52:53]
                                        ; implicit-def: $vgpr68_vgpr69
                                        ; implicit-def: $vgpr66
.LBB14_5973:
	s_andn2_saveexec_b64 s[52:53], vcc
	s_cbranch_execz .LBB14_5981
; %bb.5974:
	s_waitcnt vmcnt(0) lgkmcnt(0)
	v_and_b32_e32 v3, 0x7fffffff, v66
	s_mov_b32 vcc_lo, 0x43800000
	v_cmp_gt_u32_e32 vcc, vcc_lo, v3
	v_mov_b32_e32 v5, 0x80
	s_and_saveexec_b64 s[54:55], vcc
	s_cbranch_execz .LBB14_5980
; %bb.5975:
	s_mov_b32 vcc_lo, 0x3bffffff
	v_cmp_lt_u32_e32 vcc, vcc_lo, v3
	s_mov_b64 s[56:57], 0
                                        ; implicit-def: $vgpr3
	s_and_saveexec_b64 s[58:59], vcc
	s_xor_b64 vcc, exec, s[58:59]
	s_cbranch_execnz .LBB14_6701
; %bb.5976:
	s_or_saveexec_b64 s[58:59], vcc
                                        ; implicit-def: $sgpr60
	s_xor_b64 exec, exec, s[58:59]
	s_cbranch_execnz .LBB14_6702
.LBB14_5977:
	s_or_b64 exec, exec, s[58:59]
	v_mov_b32_e32 v5, s60
	s_and_saveexec_b64 vcc, s[56:57]
.LBB14_5978:
	v_lshrrev_b32_e32 v5, 24, v66
	s_movk_i32 s56, 0x80
	v_and_or_b32 v5, v5, s56, v3
.LBB14_5979:
	s_or_b64 exec, exec, vcc
.LBB14_5980:
	s_or_b64 exec, exec, s[54:55]
	flat_store_byte v[68:69], v5
.LBB14_5981:
	s_or_b64 exec, exec, s[52:53]
	s_or_b64 s[4:5], s[4:5], exec
.LBB14_5982:
	s_or_b64 exec, exec, s[46:47]
	v_readlane_b32 vcc_lo, v44, 62
	v_readlane_b32 vcc_hi, v44, 63
	s_andn2_b64 s[46:47], vcc, exec
	s_and_b64 s[50:51], s[50:51], exec
	s_or_b64 s[46:47], s[46:47], s[50:51]
	s_and_b64 s[4:5], s[4:5], exec
                                        ; implicit-def: $vgpr66
                                        ; implicit-def: $vgpr68_vgpr69
.LBB14_5983:
	s_andn2_saveexec_b64 s[48:49], s[48:49]
	s_cbranch_execz .LBB14_6027
; %bb.5984:
	v_mov_b32_e32 v3, 22
	v_cmp_gt_i16_sdwa vcc, v11, v3 src0_sel:BYTE_0 src1_sel:DWORD
	s_mov_b64 s[52:53], s[4:5]
	s_and_saveexec_b64 s[50:51], vcc
	s_xor_b64 s[50:51], exec, s[50:51]
	s_cbranch_execz .LBB14_6016
; %bb.5985:
	v_mov_b32_e32 v3, 23
	v_cmp_gt_i16_sdwa vcc, v11, v3 src0_sel:BYTE_0 src1_sel:DWORD
	s_and_saveexec_b64 s[52:53], vcc
	s_xor_b64 s[52:53], exec, s[52:53]
	s_cbranch_execz .LBB14_6005
; %bb.5986:
	v_mov_b32_e32 v3, 24
	v_cmp_gt_i16_sdwa vcc, v11, v3 src0_sel:BYTE_0 src1_sel:DWORD
	s_and_saveexec_b64 s[54:55], vcc
	s_xor_b64 s[54:55], exec, s[54:55]
	s_cbranch_execz .LBB14_5994
; %bb.5987:
	s_waitcnt vmcnt(0) lgkmcnt(0)
	v_and_b32_e32 v3, 0x7fffffff, v66
	s_mov_b32 vcc_lo, 0x47800000
	v_cmp_gt_u32_e32 vcc, vcc_lo, v3
	v_mov_b32_e32 v5, 0x80
	s_and_saveexec_b64 s[56:57], vcc
	s_cbranch_execz .LBB14_5993
; %bb.5988:
	s_mov_b32 vcc_lo, 0x37ffffff
	v_cmp_lt_u32_e32 vcc, vcc_lo, v3
	s_mov_b64 s[58:59], 0
                                        ; implicit-def: $vgpr3
	s_and_saveexec_b64 s[60:61], vcc
	s_xor_b64 vcc, exec, s[60:61]
	s_cbranch_execnz .LBB14_6825
; %bb.5989:
	s_or_saveexec_b64 s[60:61], vcc
                                        ; implicit-def: $sgpr62
	s_xor_b64 exec, exec, s[60:61]
	s_cbranch_execnz .LBB14_6826
.LBB14_5990:
	s_or_b64 exec, exec, s[60:61]
	v_mov_b32_e32 v5, s62
	s_and_saveexec_b64 vcc, s[58:59]
.LBB14_5991:
	v_lshrrev_b32_e32 v5, 24, v66
	s_movk_i32 s58, 0x80
	v_and_or_b32 v5, v5, s58, v3
.LBB14_5992:
	s_or_b64 exec, exec, vcc
.LBB14_5993:
	s_or_b64 exec, exec, s[56:57]
	flat_store_byte v[68:69], v5
                                        ; implicit-def: $vgpr66
                                        ; implicit-def: $vgpr68_vgpr69
.LBB14_5994:
	s_andn2_saveexec_b64 s[54:55], s[54:55]
	s_cbranch_execz .LBB14_6004
; %bb.5995:
	s_waitcnt vmcnt(0) lgkmcnt(0)
	v_and_b32_e32 v5, 0x7fffffff, v66
	s_mov_b32 vcc_lo, 0x43f00000
	v_cmp_gt_u32_e32 vcc, vcc_lo, v5
                                        ; implicit-def: $vgpr3
	s_and_saveexec_b64 s[56:57], vcc
	s_xor_b64 s[56:57], exec, s[56:57]
	s_cbranch_execz .LBB14_6001
; %bb.5996:
	s_mov_b32 vcc_lo, 0x3c7fffff
	v_cmp_lt_u32_e32 vcc, vcc_lo, v5
                                        ; implicit-def: $vgpr3
	s_and_saveexec_b64 s[58:59], vcc
	s_xor_b64 s[58:59], exec, s[58:59]
; %bb.5997:
	v_bfe_u32 v3, v66, 20, 1
	s_mov_b32 vcc_lo, 0x407ffff
	v_add3_u32 v3, v66, v3, vcc_lo
	v_lshrrev_b32_e32 v5, 20, v3
	v_and_b32_e32 v3, 0xff00000, v3
	s_mov_b32 vcc_lo, 0x7f00000
	v_mov_b32_e32 v7, 0x7e
	v_cmp_ne_u32_e32 vcc, vcc_lo, v3
	v_cndmask_b32_e32 v3, v7, v5, vcc
; %bb.5998:
	s_andn2_saveexec_b64 vcc, s[58:59]
; %bb.5999:
	s_mov_b32 s58, 0x46800000
	v_add_f32_e64 v3, |v66|, s58
; %bb.6000:
	s_or_b64 exec, exec, vcc
                                        ; implicit-def: $vgpr5
.LBB14_6001:
	s_andn2_saveexec_b64 s[56:57], s[56:57]
; %bb.6002:
	s_mov_b32 vcc_lo, 0x7f800000
	v_mov_b32_e32 v3, 0x7e
	v_mov_b32_e32 v7, 0x7f
	v_cmp_lt_u32_e32 vcc, vcc_lo, v5
	v_cndmask_b32_e32 v3, v3, v7, vcc
; %bb.6003:
	s_or_b64 exec, exec, s[56:57]
	v_lshrrev_b32_e32 v5, 24, v66
	s_movk_i32 vcc_lo, 0x80
	v_and_or_b32 v3, v5, vcc_lo, v3
	flat_store_byte v[68:69], v3
.LBB14_6004:
	s_or_b64 exec, exec, s[54:55]
                                        ; implicit-def: $vgpr66
                                        ; implicit-def: $vgpr68_vgpr69
.LBB14_6005:
	s_andn2_saveexec_b64 s[52:53], s[52:53]
	s_cbranch_execz .LBB14_6015
; %bb.6006:
	s_waitcnt vmcnt(0) lgkmcnt(0)
	v_and_b32_e32 v5, 0x7fffffff, v66
	s_mov_b32 vcc_lo, 0x47800000
	v_cmp_gt_u32_e32 vcc, vcc_lo, v5
                                        ; implicit-def: $vgpr3
	s_and_saveexec_b64 s[54:55], vcc
	s_xor_b64 s[54:55], exec, s[54:55]
	s_cbranch_execz .LBB14_6012
; %bb.6007:
	s_mov_b32 vcc_lo, 0x387fffff
	v_cmp_lt_u32_e32 vcc, vcc_lo, v5
                                        ; implicit-def: $vgpr3
	s_and_saveexec_b64 s[56:57], vcc
	s_xor_b64 vcc, exec, s[56:57]
; %bb.6008:
	v_bfe_u32 v3, v66, 21, 1
	s_mov_b32 s56, 0x80fffff
	v_add3_u32 v3, v66, v3, s56
	v_lshrrev_b32_e32 v3, 21, v3
; %bb.6009:
	s_andn2_saveexec_b64 vcc, vcc
; %bb.6010:
	s_mov_b32 s56, 0x43000000
	v_add_f32_e64 v3, |v66|, s56
; %bb.6011:
	s_or_b64 exec, exec, vcc
                                        ; implicit-def: $vgpr5
.LBB14_6012:
	s_andn2_saveexec_b64 s[54:55], s[54:55]
; %bb.6013:
	s_mov_b32 vcc_lo, 0x7f800000
	v_mov_b32_e32 v3, 0x7c
	v_mov_b32_e32 v7, 0x7f
	v_cmp_lt_u32_e32 vcc, vcc_lo, v5
	v_cndmask_b32_e32 v3, v3, v7, vcc
; %bb.6014:
	s_or_b64 exec, exec, s[54:55]
	v_lshrrev_b32_e32 v5, 24, v66
	s_movk_i32 vcc_lo, 0x80
	v_and_or_b32 v3, v5, vcc_lo, v3
	flat_store_byte v[68:69], v3
.LBB14_6015:
	s_or_b64 exec, exec, s[52:53]
	s_or_b64 s[52:53], s[4:5], exec
                                        ; implicit-def: $vgpr68_vgpr69
                                        ; implicit-def: $vgpr66
.LBB14_6016:
	s_or_saveexec_b64 s[50:51], s[50:51]
	s_mov_b64 s[54:55], s[46:47]
	s_xor_b64 exec, exec, s[50:51]
	s_cbranch_execz .LBB14_6026
; %bb.6017:
	v_mov_b32_e32 v3, 14
	v_cmp_gt_i16_sdwa s[56:57], v11, v3 src0_sel:BYTE_0 src1_sel:DWORD
	s_mov_b64 vcc, s[52:53]
	s_mov_b64 s[54:55], s[46:47]
	s_and_saveexec_b64 s[58:59], s[56:57]
	s_xor_b64 s[56:57], exec, s[58:59]
	s_cbranch_execz .LBB14_6021
; %bb.6018:
	v_mov_b32_e32 v3, 15
	v_cmp_eq_u16_sdwa s[60:61], v11, v3 src0_sel:BYTE_0 src1_sel:DWORD
	s_mov_b64 s[58:59], -1
	s_mov_b64 vcc, s[52:53]
	s_and_saveexec_b64 s[54:55], s[60:61]
	s_cbranch_execz .LBB14_6020
; %bb.6019:
	s_waitcnt vmcnt(0) lgkmcnt(0)
	v_bfe_u32 v3, v66, 16, 1
	s_movk_i32 vcc_lo, 0x7fff
	v_add3_u32 v3, v66, v3, vcc_lo
	v_lshrrev_b32_e32 v3, 16, v3
	v_mov_b32_e32 v5, 0x7fc0
	v_cmp_o_f32_e32 vcc, v66, v66
	v_cndmask_b32_e32 v3, v5, v3, vcc
	flat_store_short v[68:69], v3
	s_xor_b64 s[58:59], exec, -1
	s_or_b64 vcc, s[52:53], exec
.LBB14_6020:
	s_or_b64 exec, exec, s[54:55]
	s_andn2_b64 s[54:55], s[46:47], exec
	s_and_b64 s[58:59], s[58:59], exec
	s_or_b64 s[54:55], s[54:55], s[58:59]
	s_andn2_b64 s[58:59], s[52:53], exec
	s_and_b64 vcc, vcc, exec
	s_or_b64 vcc, s[58:59], vcc
                                        ; implicit-def: $vgpr68_vgpr69
.LBB14_6021:
	s_andn2_saveexec_b64 s[56:57], s[56:57]
	s_cbranch_execz .LBB14_6025
; %bb.6022:
	v_mov_b32_e32 v3, 11
	v_cmp_eq_u16_sdwa s[64:65], v11, v3 src0_sel:BYTE_0 src1_sel:DWORD
	s_mov_b64 s[60:61], -1
	s_mov_b64 s[58:59], vcc
	s_and_saveexec_b64 s[62:63], s[64:65]
	s_cbranch_execz .LBB14_6024
; %bb.6023:
	v_mov_b32_e32 v3, 1
	flat_store_byte v[68:69], v3
	s_xor_b64 s[60:61], exec, -1
	s_or_b64 s[58:59], vcc, exec
.LBB14_6024:
	s_or_b64 exec, exec, s[62:63]
	s_andn2_b64 s[54:55], s[54:55], exec
	s_and_b64 s[60:61], s[60:61], exec
	s_andn2_b64 vcc, vcc, exec
	s_and_b64 s[58:59], s[58:59], exec
	s_or_b64 s[54:55], s[54:55], s[60:61]
	s_or_b64 vcc, vcc, s[58:59]
.LBB14_6025:
	s_or_b64 exec, exec, s[56:57]
	s_andn2_b64 s[56:57], s[46:47], exec
	s_and_b64 s[54:55], s[54:55], exec
	s_andn2_b64 s[52:53], s[52:53], exec
	s_and_b64 vcc, vcc, exec
	s_or_b64 s[54:55], s[56:57], s[54:55]
	s_or_b64 s[52:53], s[52:53], vcc
.LBB14_6026:
	s_or_b64 exec, exec, s[50:51]
	s_andn2_b64 vcc, s[46:47], exec
	s_and_b64 s[46:47], s[54:55], exec
	s_or_b64 s[46:47], vcc, s[46:47]
	s_andn2_b64 s[4:5], s[4:5], exec
	s_and_b64 vcc, s[52:53], exec
	s_or_b64 s[4:5], s[4:5], vcc
	v_readlane_b32 vcc_lo, v44, 62
	v_readlane_b32 vcc_hi, v44, 63
.LBB14_6027:
	s_or_b64 exec, exec, s[48:49]
	s_andn2_b64 s[48:49], vcc, exec
	s_and_b64 s[46:47], s[46:47], exec
	s_or_b64 s[46:47], s[48:49], s[46:47]
	s_and_b64 s[48:49], s[4:5], exec
	s_mov_b64 s[4:5], s[44:45]
                                        ; implicit-def: $vgpr66
                                        ; implicit-def: $vgpr68_vgpr69
	s_andn2_saveexec_b64 s[40:41], s[40:41]
	s_cbranch_execz .LBB14_3916
.LBB14_6028:
	v_mov_b32_e32 v3, 4
	v_cmp_gt_i16_sdwa vcc, v11, v3 src0_sel:BYTE_0 src1_sel:DWORD
	s_and_saveexec_b64 s[44:45], vcc
	s_xor_b64 vcc, exec, s[44:45]
	s_cbranch_execz .LBB14_6050
; %bb.6029:
	v_mov_b32_e32 v3, 7
	v_cmp_gt_i16_sdwa s[44:45], v11, v3 src0_sel:BYTE_0 src1_sel:DWORD
	s_and_saveexec_b64 s[50:51], s[44:45]
	s_xor_b64 s[44:45], exec, s[50:51]
	s_cbranch_execz .LBB14_6039
; %bb.6030:
	v_mov_b32_e32 v3, 8
	v_cmp_gt_i16_sdwa s[50:51], v11, v3 src0_sel:BYTE_0 src1_sel:DWORD
	s_and_saveexec_b64 s[52:53], s[50:51]
	s_xor_b64 s[50:51], exec, s[52:53]
	;; [unrolled: 6-line block ×3, first 2 shown]
	s_cbranch_execz .LBB14_6033
; %bb.6032:
	v_mov_b32_e32 v82, 0
	s_waitcnt vmcnt(0) lgkmcnt(0)
	v_cvt_f64_f32_e32 v[80:81], v66
	v_mov_b32_e32 v83, v82
	flat_store_dwordx4 v[68:69], v[80:83]
                                        ; implicit-def: $vgpr66
                                        ; implicit-def: $vgpr68_vgpr69
.LBB14_6033:
	s_andn2_saveexec_b64 s[52:53], s[52:53]
	s_cbranch_execz .LBB14_6035
; %bb.6034:
	v_mov_b32_e32 v67, 0
	s_waitcnt vmcnt(0) lgkmcnt(0)
	flat_store_dwordx2 v[68:69], v[66:67]
.LBB14_6035:
	s_or_b64 exec, exec, s[52:53]
                                        ; implicit-def: $vgpr66
                                        ; implicit-def: $vgpr68_vgpr69
.LBB14_6036:
	s_andn2_saveexec_b64 s[50:51], s[50:51]
	s_cbranch_execz .LBB14_6038
; %bb.6037:
	s_waitcnt vmcnt(0) lgkmcnt(0)
	v_cvt_f16_f32_e32 v3, v66
	flat_store_dword v[68:69], v3
.LBB14_6038:
	s_or_b64 exec, exec, s[50:51]
                                        ; implicit-def: $vgpr66
                                        ; implicit-def: $vgpr68_vgpr69
.LBB14_6039:
	s_andn2_saveexec_b64 s[44:45], s[44:45]
	s_cbranch_execz .LBB14_6049
; %bb.6040:
	v_mov_b32_e32 v3, 5
	v_cmp_gt_i16_sdwa s[50:51], v11, v3 src0_sel:BYTE_0 src1_sel:DWORD
	s_and_saveexec_b64 s[52:53], s[50:51]
	s_xor_b64 s[50:51], exec, s[52:53]
	s_cbranch_execz .LBB14_6046
; %bb.6041:
	v_mov_b32_e32 v3, 6
	v_cmp_gt_i16_sdwa s[52:53], v11, v3 src0_sel:BYTE_0 src1_sel:DWORD
	s_and_saveexec_b64 s[54:55], s[52:53]
	s_xor_b64 s[52:53], exec, s[54:55]
	s_cbranch_execz .LBB14_6043
; %bb.6042:
	s_waitcnt vmcnt(0) lgkmcnt(0)
	v_cvt_f64_f32_e32 v[66:67], v66
	flat_store_dwordx2 v[68:69], v[66:67]
                                        ; implicit-def: $vgpr68_vgpr69
                                        ; implicit-def: $vgpr66
.LBB14_6043:
	s_andn2_saveexec_b64 s[52:53], s[52:53]
	s_cbranch_execz .LBB14_6045
; %bb.6044:
	s_waitcnt vmcnt(0) lgkmcnt(0)
	flat_store_dword v[68:69], v66
.LBB14_6045:
	s_or_b64 exec, exec, s[52:53]
                                        ; implicit-def: $vgpr66
                                        ; implicit-def: $vgpr68_vgpr69
.LBB14_6046:
	s_andn2_saveexec_b64 s[50:51], s[50:51]
	s_cbranch_execz .LBB14_6048
; %bb.6047:
	s_waitcnt vmcnt(0) lgkmcnt(0)
	v_cvt_f16_f32_e32 v3, v66
	flat_store_short v[68:69], v3
.LBB14_6048:
	s_or_b64 exec, exec, s[50:51]
.LBB14_6049:
	s_or_b64 exec, exec, s[44:45]
                                        ; implicit-def: $vgpr66
                                        ; implicit-def: $vgpr68_vgpr69
.LBB14_6050:
	s_andn2_saveexec_b64 s[44:45], vcc
	s_cbranch_execz .LBB14_6068
; %bb.6051:
	v_mov_b32_e32 v3, 1
	v_cmp_gt_i16_sdwa vcc, v11, v3 src0_sel:BYTE_0 src1_sel:DWORD
	s_and_saveexec_b64 s[50:51], vcc
	s_xor_b64 s[50:51], exec, s[50:51]
	s_cbranch_execz .LBB14_6061
; %bb.6052:
	v_mov_b32_e32 v3, 2
	v_cmp_gt_i16_sdwa vcc, v11, v3 src0_sel:BYTE_0 src1_sel:DWORD
	s_and_saveexec_b64 s[52:53], vcc
	s_xor_b64 s[52:53], exec, s[52:53]
	;; [unrolled: 6-line block ×3, first 2 shown]
	s_cbranch_execz .LBB14_6055
; %bb.6054:
	s_waitcnt vmcnt(0) lgkmcnt(0)
	v_trunc_f32_e32 v3, v66
	s_mov_b32 s56, 0x2f800000
	v_mul_f32_e64 v5, |v3|, s56
	v_floor_f32_e32 v5, v5
	s_mov_b32 s56, 0xcf800000
	v_cvt_u32_f32_e32 v7, v5
	v_fma_f32 v5, v5, s56, |v3|
	v_cvt_u32_f32_e32 v5, v5
	v_ashrrev_i32_e32 v3, 31, v3
	v_xor_b32_e32 v7, v7, v3
	v_xor_b32_e32 v5, v5, v3
	v_sub_co_u32_e32 v66, vcc, v5, v3
	v_subb_co_u32_e32 v67, vcc, v7, v3, vcc
	flat_store_dwordx2 v[68:69], v[66:67]
                                        ; implicit-def: $vgpr66
                                        ; implicit-def: $vgpr68_vgpr69
.LBB14_6055:
	s_andn2_saveexec_b64 vcc, s[54:55]
	s_cbranch_execz .LBB14_6057
; %bb.6056:
	s_waitcnt vmcnt(0) lgkmcnt(0)
	v_cvt_i32_f32_e32 v3, v66
	flat_store_dword v[68:69], v3
.LBB14_6057:
	s_or_b64 exec, exec, vcc
                                        ; implicit-def: $vgpr66
                                        ; implicit-def: $vgpr68_vgpr69
.LBB14_6058:
	s_andn2_saveexec_b64 vcc, s[52:53]
	s_cbranch_execz .LBB14_6060
; %bb.6059:
	s_waitcnt vmcnt(0) lgkmcnt(0)
	v_cvt_i32_f32_e32 v3, v66
	flat_store_short v[68:69], v3
.LBB14_6060:
	s_or_b64 exec, exec, vcc
                                        ; implicit-def: $vgpr66
                                        ; implicit-def: $vgpr68_vgpr69
.LBB14_6061:
	s_andn2_saveexec_b64 vcc, s[50:51]
	s_cbranch_execz .LBB14_6067
; %bb.6062:
	v_mov_b32_e32 v3, 0
	v_cmp_gt_i16_sdwa s[50:51], v11, v3 src0_sel:BYTE_0 src1_sel:DWORD
	s_and_saveexec_b64 s[52:53], s[50:51]
	s_xor_b64 s[50:51], exec, s[52:53]
	s_cbranch_execz .LBB14_6064
; %bb.6063:
	s_waitcnt vmcnt(0) lgkmcnt(0)
	v_cvt_i32_f32_e32 v3, v66
                                        ; implicit-def: $vgpr66
	flat_store_byte v[68:69], v3
                                        ; implicit-def: $vgpr68_vgpr69
.LBB14_6064:
	s_andn2_saveexec_b64 s[50:51], s[50:51]
	s_cbranch_execz .LBB14_6066
; %bb.6065:
	s_waitcnt vmcnt(0) lgkmcnt(0)
	v_trunc_f32_e32 v3, v66
	s_mov_b32 s52, 0x2f800000
	v_mul_f32_e64 v5, |v3|, s52
	v_floor_f32_e32 v5, v5
	s_mov_b32 s52, 0xcf800000
	v_fma_f32 v5, v5, s52, |v3|
	v_cvt_u32_f32_e32 v5, v5
	v_ashrrev_i32_e32 v3, 31, v3
	v_xor_b32_e32 v5, v5, v3
	v_sub_u32_e32 v3, v5, v3
	flat_store_byte v[68:69], v3
.LBB14_6066:
	s_or_b64 exec, exec, s[50:51]
.LBB14_6067:
	s_or_b64 exec, exec, vcc
.LBB14_6068:
	s_or_b64 exec, exec, s[44:45]
	v_readlane_b32 vcc_lo, v44, 62
	s_or_b64 s[48:49], s[48:49], exec
	v_readlane_b32 vcc_hi, v44, 63
	s_or_b64 exec, exec, s[40:41]
	s_mov_b64 s[44:45], 0
	s_and_saveexec_b64 s[40:41], s[48:49]
	s_cbranch_execnz .LBB14_3917
	s_branch .LBB14_3918
.LBB14_6069:
	v_bfe_u32 v3, v86, 21, 1
	s_mov_b32 s46, 0x88fffff
	v_add3_u32 v3, v86, v3, s46
	s_mov_b64 s[44:45], exec
	v_lshrrev_b32_e32 v3, 21, v3
	s_or_saveexec_b64 s[46:47], vcc
                                        ; implicit-def: $sgpr48
	s_xor_b64 exec, exec, s[46:47]
	s_cbranch_execz .LBB14_5240
.LBB14_6070:
	s_mov_b32 s48, 0x42800000
	v_add_f32_e64 v3, |v86|, s48
	v_and_b32_e32 v3, 0xff, v3
	v_cmp_ne_u32_e32 vcc, 0, v3
	s_andn2_b64 s[44:45], s[44:45], exec
	s_and_b64 vcc, vcc, exec
	s_mov_b32 s48, 0
	s_or_b64 s[44:45], s[44:45], vcc
	s_or_b64 exec, exec, s[46:47]
	v_mov_b32_e32 v5, s48
	s_and_saveexec_b64 vcc, s[44:45]
	s_cbranch_execnz .LBB14_5241
	s_branch .LBB14_5242
.LBB14_6071:
	v_bfe_u32 v3, v84, 20, 1
	s_mov_b32 s48, 0x487ffff
	v_add3_u32 v3, v84, v3, s48
	s_mov_b64 s[46:47], exec
	v_lshrrev_b32_e32 v3, 20, v3
	s_or_saveexec_b64 s[48:49], vcc
                                        ; implicit-def: $sgpr50
	s_xor_b64 exec, exec, s[48:49]
	s_cbranch_execz .LBB14_5351
.LBB14_6072:
	s_mov_b32 s50, 0x46000000
	v_add_f32_e64 v3, |v84|, s50
	v_and_b32_e32 v3, 0xff, v3
	v_cmp_ne_u32_e32 vcc, 0, v3
	s_andn2_b64 s[46:47], s[46:47], exec
	s_and_b64 vcc, vcc, exec
	s_mov_b32 s50, 0
	s_or_b64 s[46:47], s[46:47], vcc
	s_or_b64 exec, exec, s[48:49]
	v_mov_b32_e32 v5, s50
	s_and_saveexec_b64 vcc, s[46:47]
	s_cbranch_execnz .LBB14_5352
	s_branch .LBB14_5353
.LBB14_6073:
	v_mov_b32_e32 v3, 25
	v_cmp_gt_i16_sdwa vcc, v11, v3 src0_sel:BYTE_0 src1_sel:DWORD
	s_mov_b64 s[48:49], s[40:41]
	s_and_saveexec_b64 s[50:51], vcc
	s_xor_b64 s[50:51], exec, s[50:51]
	s_cbranch_execz .LBB14_6109
; %bb.6074:
	v_mov_b32_e32 v3, 28
	v_cmp_gt_i16_sdwa vcc, v11, v3 src0_sel:BYTE_0 src1_sel:DWORD
	s_mov_b64 s[52:53], s[40:41]
	s_and_saveexec_b64 s[48:49], vcc
	s_xor_b64 s[48:49], exec, s[48:49]
	s_cbranch_execz .LBB14_6092
; %bb.6075:
	v_mov_b32_e32 v3, 43
	v_cmp_gt_i16_sdwa s[52:53], v11, v3 src0_sel:BYTE_0 src1_sel:DWORD
	s_mov_b64 vcc, s[40:41]
	s_and_saveexec_b64 s[54:55], s[52:53]
	s_xor_b64 s[52:53], exec, s[54:55]
	s_cbranch_execz .LBB14_6087
; %bb.6076:
	v_mov_b32_e32 v3, 45
	v_cmp_gt_i16_sdwa s[4:5], v11, v3 src0_sel:BYTE_0 src1_sel:DWORD
	s_mov_b64 s[54:55], 0
	s_mov_b64 s[56:57], s[40:41]
	s_and_saveexec_b64 vcc, s[4:5]
	s_xor_b64 s[4:5], exec, vcc
	s_cbranch_execz .LBB14_6080
; %bb.6077:
	v_mov_b32_e32 v3, 46
	v_cmp_eq_u16_sdwa s[58:59], v11, v3 src0_sel:BYTE_0 src1_sel:DWORD
	s_mov_b64 vcc, -1
	s_and_saveexec_b64 s[56:57], s[58:59]
	s_cbranch_execz .LBB14_6079
; %bb.6078:
	v_bfe_u32 v3, v64, 16, 1
	s_movk_i32 vcc_lo, 0x7fff
	v_add3_u32 v3, v64, v3, vcc_lo
	v_lshrrev_b32_e32 v3, 16, v3
	v_mov_b32_e32 v5, 0x7fc0
	v_cmp_o_f32_e32 vcc, v64, v64
	v_cndmask_b32_e32 v3, v5, v3, vcc
	s_mov_b64 s[54:55], exec
	flat_store_dword v[66:67], v3
	s_xor_b64 vcc, exec, -1
.LBB14_6079:
	s_or_b64 exec, exec, s[56:57]
	s_andn2_b64 s[56:57], s[40:41], exec
	s_and_b64 vcc, vcc, exec
	s_or_b64 s[56:57], s[56:57], vcc
	s_and_b64 s[54:55], s[54:55], exec
                                        ; implicit-def: $vgpr66_vgpr67
                                        ; implicit-def: $vgpr64
.LBB14_6080:
	s_andn2_saveexec_b64 s[58:59], s[4:5]
	s_cbranch_execz .LBB14_6086
; %bb.6081:
	v_mov_b32_e32 v3, 44
	v_cmp_eq_u16_sdwa s[62:63], v11, v3 src0_sel:BYTE_0 src1_sel:DWORD
	s_mov_b64 vcc, -1
	s_mov_b64 s[4:5], s[54:55]
	s_and_saveexec_b64 s[60:61], s[62:63]
	s_cbranch_execz .LBB14_6085
; %bb.6082:
	v_bfe_u32 v3, v64, 23, 8
	s_movk_i32 s4, 0xff
	v_cmp_ne_u32_e32 vcc, s4, v3
	v_mov_b32_e32 v5, 0xff
	s_and_saveexec_b64 s[62:63], vcc
; %bb.6083:
	s_mov_b32 s4, 0x3fffff
	v_and_b32_e32 v7, 0x400000, v64
	v_and_or_b32 v3, v64, s4, v3
	v_cmp_ne_u32_e32 vcc, 0, v7
	v_cmp_ne_u32_e64 s[4:5], 0, v3
	s_and_b64 s[4:5], vcc, s[4:5]
	v_lshrrev_b32_e32 v5, 23, v64
	v_cndmask_b32_e64 v3, 0, 1, s[4:5]
	v_add_u32_e32 v5, v5, v3
; %bb.6084:
	s_or_b64 exec, exec, s[62:63]
	s_xor_b64 vcc, exec, -1
	s_or_b64 s[4:5], s[54:55], exec
	flat_store_byte v[66:67], v5
.LBB14_6085:
	s_or_b64 exec, exec, s[60:61]
	s_andn2_b64 s[56:57], s[56:57], exec
	s_and_b64 vcc, vcc, exec
	s_or_b64 s[56:57], s[56:57], vcc
	s_andn2_b64 vcc, s[54:55], exec
	s_and_b64 s[4:5], s[4:5], exec
	s_or_b64 s[54:55], vcc, s[4:5]
.LBB14_6086:
	s_or_b64 exec, exec, s[58:59]
	s_andn2_b64 s[4:5], s[40:41], exec
	s_and_b64 vcc, s[56:57], exec
	s_or_b64 vcc, s[4:5], vcc
	s_and_b64 s[4:5], s[54:55], exec
                                        ; implicit-def: $vgpr64
                                        ; implicit-def: $vgpr66_vgpr67
.LBB14_6087:
	s_andn2_saveexec_b64 s[52:53], s[52:53]
	s_cbranch_execz .LBB14_6091
; %bb.6088:
	v_mov_b32_e32 v3, 29
	v_cmp_eq_u16_sdwa s[60:61], v11, v3 src0_sel:BYTE_0 src1_sel:DWORD
	s_mov_b64 s[58:59], -1
	s_mov_b64 s[56:57], s[4:5]
	s_and_saveexec_b64 s[54:55], s[60:61]
	s_cbranch_execz .LBB14_6090
; %bb.6089:
	v_trunc_f32_e32 v3, v64
	v_mul_f32_e32 v5, 0x2f800000, v3
	v_floor_f32_e32 v5, v5
	v_fmac_f32_e32 v3, 0xcf800000, v5
	v_cvt_u32_f32_e32 v65, v5
	v_cvt_u32_f32_e32 v64, v3
	s_xor_b64 s[58:59], exec, -1
	s_or_b64 s[56:57], s[4:5], exec
	flat_store_dwordx2 v[66:67], v[64:65]
.LBB14_6090:
	s_or_b64 exec, exec, s[54:55]
	s_andn2_b64 vcc, vcc, exec
	s_and_b64 s[54:55], s[58:59], exec
	s_or_b64 vcc, vcc, s[54:55]
	s_andn2_b64 s[4:5], s[4:5], exec
	s_and_b64 s[54:55], s[56:57], exec
	s_or_b64 s[4:5], s[4:5], s[54:55]
.LBB14_6091:
	s_or_b64 exec, exec, s[52:53]
	s_andn2_b64 s[52:53], s[40:41], exec
	s_and_b64 vcc, vcc, exec
	s_or_b64 s[52:53], s[52:53], vcc
	s_and_b64 s[4:5], s[4:5], exec
                                        ; implicit-def: $vgpr66_vgpr67
                                        ; implicit-def: $vgpr64
.LBB14_6092:
	s_andn2_saveexec_b64 s[48:49], s[48:49]
	s_cbranch_execz .LBB14_6108
; %bb.6093:
	v_mov_b32_e32 v3, 26
	v_cmp_gt_i16_sdwa vcc, v11, v3 src0_sel:BYTE_0 src1_sel:DWORD
	s_and_saveexec_b64 s[54:55], vcc
	s_xor_b64 vcc, exec, s[54:55]
	s_cbranch_execz .LBB14_6099
; %bb.6094:
	v_cvt_u32_f32_e32 v3, v64
	v_mov_b32_e32 v5, 27
	v_cmp_gt_i16_sdwa s[54:55], v11, v5 src0_sel:BYTE_0 src1_sel:DWORD
	s_and_saveexec_b64 s[56:57], s[54:55]
	s_xor_b64 s[54:55], exec, s[56:57]
	s_cbranch_execz .LBB14_6096
; %bb.6095:
	flat_store_dword v[66:67], v3
                                        ; implicit-def: $vgpr66_vgpr67
                                        ; implicit-def: $vgpr3
.LBB14_6096:
	s_andn2_saveexec_b64 s[54:55], s[54:55]
	s_cbranch_execz .LBB14_6098
; %bb.6097:
	flat_store_short v[66:67], v3
.LBB14_6098:
	s_or_b64 exec, exec, s[54:55]
                                        ; implicit-def: $vgpr66_vgpr67
                                        ; implicit-def: $vgpr64
.LBB14_6099:
	s_andn2_saveexec_b64 s[54:55], vcc
	s_cbranch_execz .LBB14_6107
; %bb.6100:
	v_and_b32_e32 v3, 0x7fffffff, v64
	s_mov_b32 vcc_lo, 0x43800000
	v_cmp_gt_u32_e32 vcc, vcc_lo, v3
	v_mov_b32_e32 v5, 0x80
	s_and_saveexec_b64 s[56:57], vcc
	s_cbranch_execz .LBB14_6106
; %bb.6101:
	s_mov_b32 vcc_lo, 0x3bffffff
	v_cmp_lt_u32_e32 vcc, vcc_lo, v3
	s_mov_b64 s[58:59], 0
                                        ; implicit-def: $vgpr3
	s_and_saveexec_b64 s[60:61], vcc
	s_xor_b64 vcc, exec, s[60:61]
	s_cbranch_execnz .LBB14_6827
; %bb.6102:
	s_or_saveexec_b64 s[60:61], vcc
                                        ; implicit-def: $sgpr62
	s_xor_b64 exec, exec, s[60:61]
	s_cbranch_execnz .LBB14_6828
.LBB14_6103:
	s_or_b64 exec, exec, s[60:61]
	v_mov_b32_e32 v5, s62
	s_and_saveexec_b64 vcc, s[58:59]
.LBB14_6104:
	v_lshrrev_b32_e32 v5, 24, v64
	s_movk_i32 s58, 0x80
	v_and_or_b32 v5, v5, s58, v3
.LBB14_6105:
	s_or_b64 exec, exec, vcc
.LBB14_6106:
	s_or_b64 exec, exec, s[56:57]
	flat_store_byte v[66:67], v5
.LBB14_6107:
	s_or_b64 exec, exec, s[54:55]
	s_or_b64 s[4:5], s[4:5], exec
.LBB14_6108:
	s_or_b64 exec, exec, s[48:49]
	s_andn2_b64 vcc, s[40:41], exec
	s_and_b64 s[48:49], s[52:53], exec
	s_or_b64 s[48:49], vcc, s[48:49]
	s_and_b64 s[4:5], s[4:5], exec
                                        ; implicit-def: $vgpr64
                                        ; implicit-def: $vgpr66_vgpr67
.LBB14_6109:
	s_andn2_saveexec_b64 s[50:51], s[50:51]
	s_cbranch_execz .LBB14_6153
; %bb.6110:
	v_mov_b32_e32 v3, 22
	v_cmp_gt_i16_sdwa vcc, v11, v3 src0_sel:BYTE_0 src1_sel:DWORD
	s_mov_b64 s[54:55], s[4:5]
	s_and_saveexec_b64 s[52:53], vcc
	s_xor_b64 s[52:53], exec, s[52:53]
	s_cbranch_execz .LBB14_6142
; %bb.6111:
	v_mov_b32_e32 v3, 23
	v_cmp_gt_i16_sdwa vcc, v11, v3 src0_sel:BYTE_0 src1_sel:DWORD
	s_and_saveexec_b64 s[54:55], vcc
	s_xor_b64 s[54:55], exec, s[54:55]
	s_cbranch_execz .LBB14_6131
; %bb.6112:
	v_mov_b32_e32 v3, 24
	v_cmp_gt_i16_sdwa vcc, v11, v3 src0_sel:BYTE_0 src1_sel:DWORD
	s_and_saveexec_b64 s[56:57], vcc
	s_xor_b64 s[56:57], exec, s[56:57]
	s_cbranch_execz .LBB14_6120
; %bb.6113:
	v_and_b32_e32 v3, 0x7fffffff, v64
	s_mov_b32 vcc_lo, 0x47800000
	v_cmp_gt_u32_e32 vcc, vcc_lo, v3
	v_mov_b32_e32 v5, 0x80
	s_and_saveexec_b64 s[58:59], vcc
	s_cbranch_execz .LBB14_6119
; %bb.6114:
	s_mov_b32 vcc_lo, 0x37ffffff
	v_cmp_lt_u32_e32 vcc, vcc_lo, v3
	s_mov_b64 s[60:61], 0
                                        ; implicit-def: $vgpr3
	s_and_saveexec_b64 s[62:63], vcc
	s_xor_b64 vcc, exec, s[62:63]
	s_cbranch_execnz .LBB14_6951
; %bb.6115:
	s_or_saveexec_b64 s[62:63], vcc
                                        ; implicit-def: $sgpr64
	s_xor_b64 exec, exec, s[62:63]
	s_cbranch_execnz .LBB14_6952
.LBB14_6116:
	s_or_b64 exec, exec, s[62:63]
	v_mov_b32_e32 v5, s64
	s_and_saveexec_b64 vcc, s[60:61]
.LBB14_6117:
	v_lshrrev_b32_e32 v5, 24, v64
	s_movk_i32 s60, 0x80
	v_and_or_b32 v5, v5, s60, v3
.LBB14_6118:
	s_or_b64 exec, exec, vcc
.LBB14_6119:
	s_or_b64 exec, exec, s[58:59]
	flat_store_byte v[66:67], v5
                                        ; implicit-def: $vgpr64
                                        ; implicit-def: $vgpr66_vgpr67
.LBB14_6120:
	s_andn2_saveexec_b64 s[56:57], s[56:57]
	s_cbranch_execz .LBB14_6130
; %bb.6121:
	v_and_b32_e32 v5, 0x7fffffff, v64
	s_mov_b32 vcc_lo, 0x43f00000
	v_cmp_gt_u32_e32 vcc, vcc_lo, v5
                                        ; implicit-def: $vgpr3
	s_and_saveexec_b64 s[58:59], vcc
	s_xor_b64 s[58:59], exec, s[58:59]
	s_cbranch_execz .LBB14_6127
; %bb.6122:
	s_mov_b32 vcc_lo, 0x3c7fffff
	v_cmp_lt_u32_e32 vcc, vcc_lo, v5
                                        ; implicit-def: $vgpr3
	s_and_saveexec_b64 s[60:61], vcc
	s_xor_b64 s[60:61], exec, s[60:61]
; %bb.6123:
	v_bfe_u32 v3, v64, 20, 1
	s_mov_b32 vcc_lo, 0x407ffff
	v_add3_u32 v3, v64, v3, vcc_lo
	v_lshrrev_b32_e32 v5, 20, v3
	v_and_b32_e32 v3, 0xff00000, v3
	s_mov_b32 vcc_lo, 0x7f00000
	v_mov_b32_e32 v7, 0x7e
	v_cmp_ne_u32_e32 vcc, vcc_lo, v3
	v_cndmask_b32_e32 v3, v7, v5, vcc
; %bb.6124:
	s_andn2_saveexec_b64 vcc, s[60:61]
; %bb.6125:
	s_mov_b32 s60, 0x46800000
	v_add_f32_e64 v3, |v64|, s60
; %bb.6126:
	s_or_b64 exec, exec, vcc
                                        ; implicit-def: $vgpr5
.LBB14_6127:
	s_andn2_saveexec_b64 s[58:59], s[58:59]
; %bb.6128:
	s_mov_b32 vcc_lo, 0x7f800000
	v_mov_b32_e32 v3, 0x7e
	v_mov_b32_e32 v7, 0x7f
	v_cmp_lt_u32_e32 vcc, vcc_lo, v5
	v_cndmask_b32_e32 v3, v3, v7, vcc
; %bb.6129:
	s_or_b64 exec, exec, s[58:59]
	v_lshrrev_b32_e32 v5, 24, v64
	s_movk_i32 vcc_lo, 0x80
	v_and_or_b32 v3, v5, vcc_lo, v3
	flat_store_byte v[66:67], v3
.LBB14_6130:
	s_or_b64 exec, exec, s[56:57]
                                        ; implicit-def: $vgpr64
                                        ; implicit-def: $vgpr66_vgpr67
.LBB14_6131:
	s_andn2_saveexec_b64 s[54:55], s[54:55]
	s_cbranch_execz .LBB14_6141
; %bb.6132:
	v_and_b32_e32 v5, 0x7fffffff, v64
	s_mov_b32 vcc_lo, 0x47800000
	v_cmp_gt_u32_e32 vcc, vcc_lo, v5
                                        ; implicit-def: $vgpr3
	s_and_saveexec_b64 s[56:57], vcc
	s_xor_b64 s[56:57], exec, s[56:57]
	s_cbranch_execz .LBB14_6138
; %bb.6133:
	s_mov_b32 vcc_lo, 0x387fffff
	v_cmp_lt_u32_e32 vcc, vcc_lo, v5
                                        ; implicit-def: $vgpr3
	s_and_saveexec_b64 s[58:59], vcc
	s_xor_b64 vcc, exec, s[58:59]
; %bb.6134:
	v_bfe_u32 v3, v64, 21, 1
	s_mov_b32 s58, 0x80fffff
	v_add3_u32 v3, v64, v3, s58
	v_lshrrev_b32_e32 v3, 21, v3
; %bb.6135:
	s_andn2_saveexec_b64 vcc, vcc
; %bb.6136:
	s_mov_b32 s58, 0x43000000
	v_add_f32_e64 v3, |v64|, s58
; %bb.6137:
	s_or_b64 exec, exec, vcc
                                        ; implicit-def: $vgpr5
.LBB14_6138:
	s_andn2_saveexec_b64 s[56:57], s[56:57]
; %bb.6139:
	s_mov_b32 vcc_lo, 0x7f800000
	v_mov_b32_e32 v3, 0x7c
	v_mov_b32_e32 v7, 0x7f
	v_cmp_lt_u32_e32 vcc, vcc_lo, v5
	v_cndmask_b32_e32 v3, v3, v7, vcc
; %bb.6140:
	s_or_b64 exec, exec, s[56:57]
	v_lshrrev_b32_e32 v5, 24, v64
	s_movk_i32 vcc_lo, 0x80
	v_and_or_b32 v3, v5, vcc_lo, v3
	flat_store_byte v[66:67], v3
.LBB14_6141:
	s_or_b64 exec, exec, s[54:55]
	s_or_b64 s[54:55], s[4:5], exec
                                        ; implicit-def: $vgpr66_vgpr67
                                        ; implicit-def: $vgpr64
.LBB14_6142:
	s_or_saveexec_b64 s[52:53], s[52:53]
	s_mov_b64 s[56:57], s[48:49]
	s_xor_b64 exec, exec, s[52:53]
	s_cbranch_execz .LBB14_6152
; %bb.6143:
	v_mov_b32_e32 v3, 14
	v_cmp_gt_i16_sdwa s[58:59], v11, v3 src0_sel:BYTE_0 src1_sel:DWORD
	s_mov_b64 vcc, s[54:55]
	s_mov_b64 s[56:57], s[48:49]
	s_and_saveexec_b64 s[60:61], s[58:59]
	s_xor_b64 s[58:59], exec, s[60:61]
	s_cbranch_execz .LBB14_6147
; %bb.6144:
	v_mov_b32_e32 v3, 15
	v_cmp_eq_u16_sdwa s[62:63], v11, v3 src0_sel:BYTE_0 src1_sel:DWORD
	s_mov_b64 s[60:61], -1
	s_mov_b64 vcc, s[54:55]
	s_and_saveexec_b64 s[56:57], s[62:63]
	s_cbranch_execz .LBB14_6146
; %bb.6145:
	v_bfe_u32 v3, v64, 16, 1
	s_movk_i32 vcc_lo, 0x7fff
	v_add3_u32 v3, v64, v3, vcc_lo
	v_lshrrev_b32_e32 v3, 16, v3
	v_mov_b32_e32 v5, 0x7fc0
	v_cmp_o_f32_e32 vcc, v64, v64
	v_cndmask_b32_e32 v3, v5, v3, vcc
	flat_store_short v[66:67], v3
	s_xor_b64 s[60:61], exec, -1
	s_or_b64 vcc, s[54:55], exec
.LBB14_6146:
	s_or_b64 exec, exec, s[56:57]
	s_andn2_b64 s[56:57], s[48:49], exec
	s_and_b64 s[60:61], s[60:61], exec
	s_or_b64 s[56:57], s[56:57], s[60:61]
	s_andn2_b64 s[60:61], s[54:55], exec
	s_and_b64 vcc, vcc, exec
	s_or_b64 vcc, s[60:61], vcc
                                        ; implicit-def: $vgpr66_vgpr67
.LBB14_6147:
	s_andn2_saveexec_b64 s[58:59], s[58:59]
	s_cbranch_execz .LBB14_6151
; %bb.6148:
	v_mov_b32_e32 v3, 11
	v_cmp_eq_u16_sdwa s[66:67], v11, v3 src0_sel:BYTE_0 src1_sel:DWORD
	s_mov_b64 s[62:63], -1
	s_mov_b64 s[60:61], vcc
	s_and_saveexec_b64 s[64:65], s[66:67]
	s_cbranch_execz .LBB14_6150
; %bb.6149:
	v_mov_b32_e32 v3, 1
	flat_store_byte v[66:67], v3
	s_xor_b64 s[62:63], exec, -1
	s_or_b64 s[60:61], vcc, exec
.LBB14_6150:
	s_or_b64 exec, exec, s[64:65]
	s_andn2_b64 s[56:57], s[56:57], exec
	s_and_b64 s[62:63], s[62:63], exec
	s_andn2_b64 vcc, vcc, exec
	s_and_b64 s[60:61], s[60:61], exec
	s_or_b64 s[56:57], s[56:57], s[62:63]
	s_or_b64 vcc, vcc, s[60:61]
.LBB14_6151:
	s_or_b64 exec, exec, s[58:59]
	s_andn2_b64 s[58:59], s[48:49], exec
	s_and_b64 s[56:57], s[56:57], exec
	s_andn2_b64 s[54:55], s[54:55], exec
	s_and_b64 vcc, vcc, exec
	s_or_b64 s[56:57], s[58:59], s[56:57]
	s_or_b64 s[54:55], s[54:55], vcc
.LBB14_6152:
	s_or_b64 exec, exec, s[52:53]
	s_andn2_b64 vcc, s[48:49], exec
	s_and_b64 s[48:49], s[56:57], exec
	s_or_b64 s[48:49], vcc, s[48:49]
	s_andn2_b64 s[4:5], s[4:5], exec
	s_and_b64 vcc, s[54:55], exec
	s_or_b64 s[4:5], s[4:5], vcc
.LBB14_6153:
	s_or_b64 exec, exec, s[50:51]
	s_andn2_b64 vcc, s[40:41], exec
	s_and_b64 s[48:49], s[48:49], exec
	s_or_b64 s[48:49], vcc, s[48:49]
	s_and_b64 s[4:5], s[4:5], exec
                                        ; implicit-def: $vgpr64
                                        ; implicit-def: $vgpr66_vgpr67
	s_andn2_saveexec_b64 s[46:47], s[46:47]
	s_cbranch_execz .LBB14_3923
.LBB14_6154:
	v_mov_b32_e32 v3, 4
	v_cmp_gt_i16_sdwa vcc, v11, v3 src0_sel:BYTE_0 src1_sel:DWORD
	s_and_saveexec_b64 s[50:51], vcc
	s_xor_b64 vcc, exec, s[50:51]
	s_cbranch_execz .LBB14_6176
; %bb.6155:
	v_mov_b32_e32 v3, 7
	v_cmp_gt_i16_sdwa s[50:51], v11, v3 src0_sel:BYTE_0 src1_sel:DWORD
	s_and_saveexec_b64 s[52:53], s[50:51]
	s_xor_b64 s[50:51], exec, s[52:53]
	s_cbranch_execz .LBB14_6165
; %bb.6156:
	v_mov_b32_e32 v3, 8
	v_cmp_gt_i16_sdwa s[52:53], v11, v3 src0_sel:BYTE_0 src1_sel:DWORD
	s_and_saveexec_b64 s[54:55], s[52:53]
	s_xor_b64 s[52:53], exec, s[54:55]
	;; [unrolled: 6-line block ×3, first 2 shown]
	s_cbranch_execz .LBB14_6159
; %bb.6158:
	v_mov_b32_e32 v70, 0
	v_cvt_f64_f32_e32 v[68:69], v64
	v_mov_b32_e32 v71, v70
	flat_store_dwordx4 v[66:67], v[68:71]
                                        ; implicit-def: $vgpr64
                                        ; implicit-def: $vgpr66_vgpr67
.LBB14_6159:
	s_andn2_saveexec_b64 s[54:55], s[54:55]
	s_cbranch_execz .LBB14_6161
; %bb.6160:
	v_mov_b32_e32 v65, 0
	flat_store_dwordx2 v[66:67], v[64:65]
.LBB14_6161:
	s_or_b64 exec, exec, s[54:55]
                                        ; implicit-def: $vgpr64
                                        ; implicit-def: $vgpr66_vgpr67
.LBB14_6162:
	s_andn2_saveexec_b64 s[52:53], s[52:53]
	s_cbranch_execz .LBB14_6164
; %bb.6163:
	v_cvt_f16_f32_e32 v3, v64
	flat_store_dword v[66:67], v3
.LBB14_6164:
	s_or_b64 exec, exec, s[52:53]
                                        ; implicit-def: $vgpr64
                                        ; implicit-def: $vgpr66_vgpr67
.LBB14_6165:
	s_andn2_saveexec_b64 s[50:51], s[50:51]
	s_cbranch_execz .LBB14_6175
; %bb.6166:
	v_mov_b32_e32 v3, 5
	v_cmp_gt_i16_sdwa s[52:53], v11, v3 src0_sel:BYTE_0 src1_sel:DWORD
	s_and_saveexec_b64 s[54:55], s[52:53]
	s_xor_b64 s[52:53], exec, s[54:55]
	s_cbranch_execz .LBB14_6172
; %bb.6167:
	v_mov_b32_e32 v3, 6
	v_cmp_gt_i16_sdwa s[54:55], v11, v3 src0_sel:BYTE_0 src1_sel:DWORD
	s_and_saveexec_b64 s[56:57], s[54:55]
	s_xor_b64 s[54:55], exec, s[56:57]
	s_cbranch_execz .LBB14_6169
; %bb.6168:
	v_cvt_f64_f32_e32 v[64:65], v64
	flat_store_dwordx2 v[66:67], v[64:65]
                                        ; implicit-def: $vgpr66_vgpr67
                                        ; implicit-def: $vgpr64
.LBB14_6169:
	s_andn2_saveexec_b64 s[54:55], s[54:55]
	s_cbranch_execz .LBB14_6171
; %bb.6170:
	flat_store_dword v[66:67], v64
.LBB14_6171:
	s_or_b64 exec, exec, s[54:55]
                                        ; implicit-def: $vgpr64
                                        ; implicit-def: $vgpr66_vgpr67
.LBB14_6172:
	s_andn2_saveexec_b64 s[52:53], s[52:53]
	s_cbranch_execz .LBB14_6174
; %bb.6173:
	v_cvt_f16_f32_e32 v3, v64
	flat_store_short v[66:67], v3
.LBB14_6174:
	s_or_b64 exec, exec, s[52:53]
.LBB14_6175:
	s_or_b64 exec, exec, s[50:51]
                                        ; implicit-def: $vgpr64
                                        ; implicit-def: $vgpr66_vgpr67
.LBB14_6176:
	s_andn2_saveexec_b64 s[50:51], vcc
	s_cbranch_execz .LBB14_6194
; %bb.6177:
	v_mov_b32_e32 v3, 1
	v_cmp_gt_i16_sdwa vcc, v11, v3 src0_sel:BYTE_0 src1_sel:DWORD
	s_and_saveexec_b64 s[52:53], vcc
	s_xor_b64 s[52:53], exec, s[52:53]
	s_cbranch_execz .LBB14_6187
; %bb.6178:
	v_mov_b32_e32 v3, 2
	v_cmp_gt_i16_sdwa vcc, v11, v3 src0_sel:BYTE_0 src1_sel:DWORD
	s_and_saveexec_b64 s[54:55], vcc
	s_xor_b64 s[54:55], exec, s[54:55]
	s_cbranch_execz .LBB14_6184
; %bb.6179:
	v_mov_b32_e32 v3, 3
	v_cmp_gt_i16_sdwa vcc, v11, v3 src0_sel:BYTE_0 src1_sel:DWORD
	s_and_saveexec_b64 s[56:57], vcc
	s_xor_b64 s[56:57], exec, s[56:57]
	s_cbranch_execz .LBB14_6181
; %bb.6180:
	v_trunc_f32_e32 v3, v64
	s_mov_b32 s58, 0x2f800000
	v_mul_f32_e64 v5, |v3|, s58
	v_floor_f32_e32 v5, v5
	s_mov_b32 s58, 0xcf800000
	v_cvt_u32_f32_e32 v7, v5
	v_fma_f32 v5, v5, s58, |v3|
	v_cvt_u32_f32_e32 v5, v5
	v_ashrrev_i32_e32 v3, 31, v3
	v_xor_b32_e32 v7, v7, v3
	v_xor_b32_e32 v5, v5, v3
	v_sub_co_u32_e32 v64, vcc, v5, v3
	v_subb_co_u32_e32 v65, vcc, v7, v3, vcc
	flat_store_dwordx2 v[66:67], v[64:65]
                                        ; implicit-def: $vgpr64
                                        ; implicit-def: $vgpr66_vgpr67
.LBB14_6181:
	s_andn2_saveexec_b64 vcc, s[56:57]
	s_cbranch_execz .LBB14_6183
; %bb.6182:
	v_cvt_i32_f32_e32 v3, v64
	flat_store_dword v[66:67], v3
.LBB14_6183:
	s_or_b64 exec, exec, vcc
                                        ; implicit-def: $vgpr64
                                        ; implicit-def: $vgpr66_vgpr67
.LBB14_6184:
	s_andn2_saveexec_b64 vcc, s[54:55]
	s_cbranch_execz .LBB14_6186
; %bb.6185:
	v_cvt_i32_f32_e32 v3, v64
	flat_store_short v[66:67], v3
.LBB14_6186:
	s_or_b64 exec, exec, vcc
                                        ; implicit-def: $vgpr64
                                        ; implicit-def: $vgpr66_vgpr67
.LBB14_6187:
	s_andn2_saveexec_b64 vcc, s[52:53]
	s_cbranch_execz .LBB14_6193
; %bb.6188:
	v_mov_b32_e32 v3, 0
	v_cmp_gt_i16_sdwa s[52:53], v11, v3 src0_sel:BYTE_0 src1_sel:DWORD
	s_and_saveexec_b64 s[54:55], s[52:53]
	s_xor_b64 s[52:53], exec, s[54:55]
	s_cbranch_execz .LBB14_6190
; %bb.6189:
	v_cvt_i32_f32_e32 v3, v64
                                        ; implicit-def: $vgpr64
	flat_store_byte v[66:67], v3
                                        ; implicit-def: $vgpr66_vgpr67
.LBB14_6190:
	s_andn2_saveexec_b64 s[52:53], s[52:53]
	s_cbranch_execz .LBB14_6192
; %bb.6191:
	v_trunc_f32_e32 v3, v64
	s_mov_b32 s54, 0x2f800000
	v_mul_f32_e64 v5, |v3|, s54
	v_floor_f32_e32 v5, v5
	s_mov_b32 s54, 0xcf800000
	v_fma_f32 v5, v5, s54, |v3|
	v_cvt_u32_f32_e32 v5, v5
	v_ashrrev_i32_e32 v3, 31, v3
	v_xor_b32_e32 v5, v5, v3
	v_sub_u32_e32 v3, v5, v3
	flat_store_byte v[66:67], v3
.LBB14_6192:
	s_or_b64 exec, exec, s[52:53]
.LBB14_6193:
	s_or_b64 exec, exec, vcc
.LBB14_6194:
	s_or_b64 exec, exec, s[50:51]
	s_or_b64 s[4:5], s[4:5], exec
	s_or_b64 exec, exec, s[46:47]
	s_mov_b64 vcc, 0
	s_and_saveexec_b64 s[46:47], s[4:5]
	s_cbranch_execnz .LBB14_3924
	s_branch .LBB14_3925
.LBB14_6195:
	v_bfe_u32 v3, v84, 21, 1
	s_mov_b32 s50, 0x88fffff
	v_add3_u32 v3, v84, v3, s50
	s_mov_b64 s[48:49], exec
	v_lshrrev_b32_e32 v3, 21, v3
	s_or_saveexec_b64 s[50:51], vcc
                                        ; implicit-def: $sgpr52
	s_xor_b64 exec, exec, s[50:51]
	s_cbranch_execz .LBB14_5364
.LBB14_6196:
	s_mov_b32 s52, 0x42800000
	v_add_f32_e64 v3, |v84|, s52
	v_and_b32_e32 v3, 0xff, v3
	v_cmp_ne_u32_e32 vcc, 0, v3
	s_andn2_b64 s[48:49], s[48:49], exec
	s_and_b64 vcc, vcc, exec
	s_mov_b32 s52, 0
	s_or_b64 s[48:49], s[48:49], vcc
	s_or_b64 exec, exec, s[50:51]
	v_mov_b32_e32 v5, s52
	s_and_saveexec_b64 vcc, s[48:49]
	s_cbranch_execnz .LBB14_5365
	s_branch .LBB14_5366
.LBB14_6197:
	v_bfe_u32 v3, v82, 20, 1
	s_mov_b32 s52, 0x487ffff
	v_add3_u32 v3, v82, v3, s52
	s_mov_b64 s[50:51], exec
	v_lshrrev_b32_e32 v3, 20, v3
	s_or_saveexec_b64 s[52:53], vcc
                                        ; implicit-def: $sgpr54
	s_xor_b64 exec, exec, s[52:53]
	s_cbranch_execz .LBB14_5475
.LBB14_6198:
	s_mov_b32 s54, 0x46000000
	v_add_f32_e64 v3, |v82|, s54
	v_and_b32_e32 v3, 0xff, v3
	v_cmp_ne_u32_e32 vcc, 0, v3
	s_andn2_b64 s[50:51], s[50:51], exec
	s_and_b64 vcc, vcc, exec
	s_mov_b32 s54, 0
	s_or_b64 s[50:51], s[50:51], vcc
	s_or_b64 exec, exec, s[52:53]
	v_mov_b32_e32 v5, s54
	s_and_saveexec_b64 vcc, s[50:51]
	s_cbranch_execnz .LBB14_5476
	s_branch .LBB14_5477
.LBB14_6199:
	v_mov_b32_e32 v3, 25
	v_readlane_b32 s46, v43, 4
	v_cmp_gt_i16_sdwa vcc, v11, v3 src0_sel:BYTE_0 src1_sel:DWORD
	v_readlane_b32 s47, v43, 5
	s_and_saveexec_b64 s[48:49], vcc
	s_xor_b64 s[48:49], exec, s[48:49]
	s_cbranch_execz .LBB14_6235
; %bb.6200:
	v_mov_b32_e32 v3, 28
	v_readlane_b32 s50, v43, 4
	v_cmp_gt_i16_sdwa vcc, v11, v3 src0_sel:BYTE_0 src1_sel:DWORD
	v_readlane_b32 s51, v43, 5
	s_and_saveexec_b64 s[46:47], vcc
	s_xor_b64 s[46:47], exec, s[46:47]
	s_cbranch_execz .LBB14_6218
; %bb.6201:
	v_mov_b32_e32 v3, 43
	v_readlane_b32 vcc_lo, v43, 4
	v_cmp_gt_i16_sdwa s[50:51], v11, v3 src0_sel:BYTE_0 src1_sel:DWORD
	v_readlane_b32 vcc_hi, v43, 5
	s_and_saveexec_b64 s[52:53], s[50:51]
	s_xor_b64 s[50:51], exec, s[52:53]
	s_cbranch_execz .LBB14_6213
; %bb.6202:
	v_mov_b32_e32 v3, 45
	v_readlane_b32 s54, v43, 4
	v_cmp_gt_i16_sdwa s[4:5], v11, v3 src0_sel:BYTE_0 src1_sel:DWORD
	s_mov_b64 s[52:53], 0
	v_readlane_b32 s55, v43, 5
	s_and_saveexec_b64 vcc, s[4:5]
	s_xor_b64 s[4:5], exec, vcc
	s_cbranch_execz .LBB14_6206
; %bb.6203:
	v_mov_b32_e32 v3, 46
	v_cmp_eq_u16_sdwa s[56:57], v11, v3 src0_sel:BYTE_0 src1_sel:DWORD
	s_mov_b64 vcc, -1
	s_and_saveexec_b64 s[54:55], s[56:57]
	s_cbranch_execz .LBB14_6205
; %bb.6204:
	v_bfe_u32 v3, v54, 16, 1
	s_movk_i32 vcc_lo, 0x7fff
	v_add3_u32 v3, v54, v3, vcc_lo
	v_lshrrev_b32_e32 v3, 16, v3
	v_mov_b32_e32 v5, 0x7fc0
	v_cmp_o_f32_e32 vcc, v54, v54
	v_cndmask_b32_e32 v3, v5, v3, vcc
	s_mov_b64 s[52:53], exec
	flat_store_dword v[64:65], v3
	s_xor_b64 vcc, exec, -1
.LBB14_6205:
	s_or_b64 exec, exec, s[54:55]
	v_readlane_b32 s54, v43, 4
	v_readlane_b32 s55, v43, 5
	s_andn2_b64 s[54:55], s[54:55], exec
	s_and_b64 vcc, vcc, exec
	s_or_b64 s[54:55], s[54:55], vcc
	s_and_b64 s[52:53], s[52:53], exec
                                        ; implicit-def: $vgpr64_vgpr65
                                        ; implicit-def: $vgpr54
.LBB14_6206:
	s_andn2_saveexec_b64 s[56:57], s[4:5]
	s_cbranch_execz .LBB14_6212
; %bb.6207:
	v_mov_b32_e32 v3, 44
	v_cmp_eq_u16_sdwa s[60:61], v11, v3 src0_sel:BYTE_0 src1_sel:DWORD
	s_mov_b64 vcc, -1
	s_mov_b64 s[4:5], s[52:53]
	s_and_saveexec_b64 s[58:59], s[60:61]
	s_cbranch_execz .LBB14_6211
; %bb.6208:
	v_bfe_u32 v3, v54, 23, 8
	s_movk_i32 s4, 0xff
	v_cmp_ne_u32_e32 vcc, s4, v3
	v_mov_b32_e32 v5, 0xff
	s_and_saveexec_b64 s[60:61], vcc
; %bb.6209:
	s_mov_b32 s4, 0x3fffff
	v_and_b32_e32 v7, 0x400000, v54
	v_and_or_b32 v3, v54, s4, v3
	v_cmp_ne_u32_e32 vcc, 0, v7
	v_cmp_ne_u32_e64 s[4:5], 0, v3
	s_and_b64 s[4:5], vcc, s[4:5]
	v_lshrrev_b32_e32 v5, 23, v54
	v_cndmask_b32_e64 v3, 0, 1, s[4:5]
	v_add_u32_e32 v5, v5, v3
; %bb.6210:
	s_or_b64 exec, exec, s[60:61]
	s_xor_b64 vcc, exec, -1
	s_or_b64 s[4:5], s[52:53], exec
	flat_store_byte v[64:65], v5
.LBB14_6211:
	s_or_b64 exec, exec, s[58:59]
	s_andn2_b64 s[54:55], s[54:55], exec
	s_and_b64 vcc, vcc, exec
	s_or_b64 s[54:55], s[54:55], vcc
	s_andn2_b64 vcc, s[52:53], exec
	s_and_b64 s[4:5], s[4:5], exec
	s_or_b64 s[52:53], vcc, s[4:5]
.LBB14_6212:
	s_or_b64 exec, exec, s[56:57]
	v_readlane_b32 s4, v43, 4
	v_readlane_b32 s5, v43, 5
	s_andn2_b64 s[4:5], s[4:5], exec
	s_and_b64 vcc, s[54:55], exec
	s_or_b64 vcc, s[4:5], vcc
	s_and_b64 s[4:5], s[52:53], exec
                                        ; implicit-def: $vgpr54
                                        ; implicit-def: $vgpr64_vgpr65
.LBB14_6213:
	s_andn2_saveexec_b64 s[50:51], s[50:51]
	s_cbranch_execz .LBB14_6217
; %bb.6214:
	v_mov_b32_e32 v3, 29
	v_cmp_eq_u16_sdwa s[58:59], v11, v3 src0_sel:BYTE_0 src1_sel:DWORD
	s_mov_b64 s[56:57], -1
	s_mov_b64 s[54:55], s[4:5]
	s_and_saveexec_b64 s[52:53], s[58:59]
	s_cbranch_execz .LBB14_6216
; %bb.6215:
	v_trunc_f32_e32 v3, v54
	v_mul_f32_e32 v5, 0x2f800000, v3
	v_floor_f32_e32 v5, v5
	v_fmac_f32_e32 v3, 0xcf800000, v5
	v_cvt_u32_f32_e32 v55, v5
	v_cvt_u32_f32_e32 v54, v3
	s_xor_b64 s[56:57], exec, -1
	s_or_b64 s[54:55], s[4:5], exec
	flat_store_dwordx2 v[64:65], v[54:55]
.LBB14_6216:
	s_or_b64 exec, exec, s[52:53]
	s_andn2_b64 vcc, vcc, exec
	s_and_b64 s[52:53], s[56:57], exec
	s_or_b64 vcc, vcc, s[52:53]
	s_andn2_b64 s[4:5], s[4:5], exec
	s_and_b64 s[52:53], s[54:55], exec
	s_or_b64 s[4:5], s[4:5], s[52:53]
.LBB14_6217:
	s_or_b64 exec, exec, s[50:51]
	v_readlane_b32 s50, v43, 4
	v_readlane_b32 s51, v43, 5
	s_andn2_b64 s[50:51], s[50:51], exec
	s_and_b64 vcc, vcc, exec
	s_or_b64 s[50:51], s[50:51], vcc
	s_and_b64 s[4:5], s[4:5], exec
                                        ; implicit-def: $vgpr64_vgpr65
                                        ; implicit-def: $vgpr54
.LBB14_6218:
	s_andn2_saveexec_b64 s[46:47], s[46:47]
	s_cbranch_execz .LBB14_6234
; %bb.6219:
	v_mov_b32_e32 v3, 26
	v_cmp_gt_i16_sdwa vcc, v11, v3 src0_sel:BYTE_0 src1_sel:DWORD
	s_and_saveexec_b64 s[52:53], vcc
	s_xor_b64 vcc, exec, s[52:53]
	s_cbranch_execz .LBB14_6225
; %bb.6220:
	v_cvt_u32_f32_e32 v3, v54
	v_mov_b32_e32 v5, 27
	v_cmp_gt_i16_sdwa s[52:53], v11, v5 src0_sel:BYTE_0 src1_sel:DWORD
	s_and_saveexec_b64 s[54:55], s[52:53]
	s_xor_b64 s[52:53], exec, s[54:55]
	s_cbranch_execz .LBB14_6222
; %bb.6221:
	flat_store_dword v[64:65], v3
                                        ; implicit-def: $vgpr64_vgpr65
                                        ; implicit-def: $vgpr3
.LBB14_6222:
	s_andn2_saveexec_b64 s[52:53], s[52:53]
	s_cbranch_execz .LBB14_6224
; %bb.6223:
	flat_store_short v[64:65], v3
.LBB14_6224:
	s_or_b64 exec, exec, s[52:53]
                                        ; implicit-def: $vgpr64_vgpr65
                                        ; implicit-def: $vgpr54
.LBB14_6225:
	s_andn2_saveexec_b64 s[52:53], vcc
	s_cbranch_execz .LBB14_6233
; %bb.6226:
	v_and_b32_e32 v3, 0x7fffffff, v54
	s_mov_b32 vcc_lo, 0x43800000
	v_cmp_gt_u32_e32 vcc, vcc_lo, v3
	v_mov_b32_e32 v5, 0x80
	s_and_saveexec_b64 s[54:55], vcc
	s_cbranch_execz .LBB14_6232
; %bb.6227:
	s_mov_b32 vcc_lo, 0x3bffffff
	v_cmp_lt_u32_e32 vcc, vcc_lo, v3
	s_mov_b64 s[56:57], 0
                                        ; implicit-def: $vgpr3
	s_and_saveexec_b64 s[58:59], vcc
	s_xor_b64 vcc, exec, s[58:59]
	s_cbranch_execnz .LBB14_6953
; %bb.6228:
	s_or_saveexec_b64 s[58:59], vcc
                                        ; implicit-def: $sgpr60
	s_xor_b64 exec, exec, s[58:59]
	s_cbranch_execnz .LBB14_6954
.LBB14_6229:
	s_or_b64 exec, exec, s[58:59]
	v_mov_b32_e32 v5, s60
	s_and_saveexec_b64 vcc, s[56:57]
.LBB14_6230:
	v_lshrrev_b32_e32 v5, 24, v54
	s_movk_i32 s56, 0x80
	v_and_or_b32 v5, v5, s56, v3
.LBB14_6231:
	s_or_b64 exec, exec, vcc
.LBB14_6232:
	s_or_b64 exec, exec, s[54:55]
	flat_store_byte v[64:65], v5
.LBB14_6233:
	s_or_b64 exec, exec, s[52:53]
	s_or_b64 s[4:5], s[4:5], exec
.LBB14_6234:
	s_or_b64 exec, exec, s[46:47]
	v_readlane_b32 vcc_lo, v43, 4
	v_readlane_b32 vcc_hi, v43, 5
	s_andn2_b64 vcc, vcc, exec
	s_and_b64 s[46:47], s[50:51], exec
	s_or_b64 s[46:47], vcc, s[46:47]
	s_and_b64 s[4:5], s[4:5], exec
                                        ; implicit-def: $vgpr54
                                        ; implicit-def: $vgpr64_vgpr65
.LBB14_6235:
	s_andn2_saveexec_b64 s[48:49], s[48:49]
	s_cbranch_execz .LBB14_6279
; %bb.6236:
	v_mov_b32_e32 v3, 22
	v_cmp_gt_i16_sdwa vcc, v11, v3 src0_sel:BYTE_0 src1_sel:DWORD
	s_mov_b64 s[52:53], s[4:5]
	s_and_saveexec_b64 s[50:51], vcc
	s_xor_b64 s[50:51], exec, s[50:51]
	s_cbranch_execz .LBB14_6268
; %bb.6237:
	v_mov_b32_e32 v3, 23
	v_cmp_gt_i16_sdwa vcc, v11, v3 src0_sel:BYTE_0 src1_sel:DWORD
	s_and_saveexec_b64 s[52:53], vcc
	s_xor_b64 s[52:53], exec, s[52:53]
	s_cbranch_execz .LBB14_6257
; %bb.6238:
	v_mov_b32_e32 v3, 24
	v_cmp_gt_i16_sdwa vcc, v11, v3 src0_sel:BYTE_0 src1_sel:DWORD
	s_and_saveexec_b64 s[54:55], vcc
	s_xor_b64 s[54:55], exec, s[54:55]
	s_cbranch_execz .LBB14_6246
; %bb.6239:
	v_and_b32_e32 v3, 0x7fffffff, v54
	s_mov_b32 vcc_lo, 0x47800000
	v_cmp_gt_u32_e32 vcc, vcc_lo, v3
	v_mov_b32_e32 v5, 0x80
	s_and_saveexec_b64 s[56:57], vcc
	s_cbranch_execz .LBB14_6245
; %bb.6240:
	s_mov_b32 vcc_lo, 0x37ffffff
	v_cmp_lt_u32_e32 vcc, vcc_lo, v3
	s_mov_b64 s[58:59], 0
                                        ; implicit-def: $vgpr3
	s_and_saveexec_b64 s[60:61], vcc
	s_xor_b64 vcc, exec, s[60:61]
	s_cbranch_execnz .LBB14_7077
; %bb.6241:
	s_or_saveexec_b64 s[60:61], vcc
                                        ; implicit-def: $sgpr62
	s_xor_b64 exec, exec, s[60:61]
	s_cbranch_execnz .LBB14_7078
.LBB14_6242:
	s_or_b64 exec, exec, s[60:61]
	v_mov_b32_e32 v5, s62
	s_and_saveexec_b64 vcc, s[58:59]
.LBB14_6243:
	v_lshrrev_b32_e32 v5, 24, v54
	s_movk_i32 s58, 0x80
	v_and_or_b32 v5, v5, s58, v3
.LBB14_6244:
	s_or_b64 exec, exec, vcc
.LBB14_6245:
	s_or_b64 exec, exec, s[56:57]
	flat_store_byte v[64:65], v5
                                        ; implicit-def: $vgpr54
                                        ; implicit-def: $vgpr64_vgpr65
.LBB14_6246:
	s_andn2_saveexec_b64 s[54:55], s[54:55]
	s_cbranch_execz .LBB14_6256
; %bb.6247:
	v_and_b32_e32 v5, 0x7fffffff, v54
	s_mov_b32 vcc_lo, 0x43f00000
	v_cmp_gt_u32_e32 vcc, vcc_lo, v5
                                        ; implicit-def: $vgpr3
	s_and_saveexec_b64 s[56:57], vcc
	s_xor_b64 s[56:57], exec, s[56:57]
	s_cbranch_execz .LBB14_6253
; %bb.6248:
	s_mov_b32 vcc_lo, 0x3c7fffff
	v_cmp_lt_u32_e32 vcc, vcc_lo, v5
                                        ; implicit-def: $vgpr3
	s_and_saveexec_b64 s[58:59], vcc
	s_xor_b64 s[58:59], exec, s[58:59]
; %bb.6249:
	v_bfe_u32 v3, v54, 20, 1
	s_mov_b32 vcc_lo, 0x407ffff
	v_add3_u32 v3, v54, v3, vcc_lo
	v_lshrrev_b32_e32 v5, 20, v3
	v_and_b32_e32 v3, 0xff00000, v3
	s_mov_b32 vcc_lo, 0x7f00000
	v_mov_b32_e32 v7, 0x7e
	v_cmp_ne_u32_e32 vcc, vcc_lo, v3
	v_cndmask_b32_e32 v3, v7, v5, vcc
; %bb.6250:
	s_andn2_saveexec_b64 vcc, s[58:59]
; %bb.6251:
	s_mov_b32 s58, 0x46800000
	v_add_f32_e64 v3, |v54|, s58
; %bb.6252:
	s_or_b64 exec, exec, vcc
                                        ; implicit-def: $vgpr5
.LBB14_6253:
	s_andn2_saveexec_b64 s[56:57], s[56:57]
; %bb.6254:
	s_mov_b32 vcc_lo, 0x7f800000
	v_mov_b32_e32 v3, 0x7e
	v_mov_b32_e32 v7, 0x7f
	v_cmp_lt_u32_e32 vcc, vcc_lo, v5
	v_cndmask_b32_e32 v3, v3, v7, vcc
; %bb.6255:
	s_or_b64 exec, exec, s[56:57]
	v_lshrrev_b32_e32 v5, 24, v54
	s_movk_i32 vcc_lo, 0x80
	v_and_or_b32 v3, v5, vcc_lo, v3
	flat_store_byte v[64:65], v3
.LBB14_6256:
	s_or_b64 exec, exec, s[54:55]
                                        ; implicit-def: $vgpr54
                                        ; implicit-def: $vgpr64_vgpr65
.LBB14_6257:
	s_andn2_saveexec_b64 s[52:53], s[52:53]
	s_cbranch_execz .LBB14_6267
; %bb.6258:
	v_and_b32_e32 v5, 0x7fffffff, v54
	s_mov_b32 vcc_lo, 0x47800000
	v_cmp_gt_u32_e32 vcc, vcc_lo, v5
                                        ; implicit-def: $vgpr3
	s_and_saveexec_b64 s[54:55], vcc
	s_xor_b64 s[54:55], exec, s[54:55]
	s_cbranch_execz .LBB14_6264
; %bb.6259:
	s_mov_b32 vcc_lo, 0x387fffff
	v_cmp_lt_u32_e32 vcc, vcc_lo, v5
                                        ; implicit-def: $vgpr3
	s_and_saveexec_b64 s[56:57], vcc
	s_xor_b64 vcc, exec, s[56:57]
; %bb.6260:
	v_bfe_u32 v3, v54, 21, 1
	s_mov_b32 s56, 0x80fffff
	v_add3_u32 v3, v54, v3, s56
	v_lshrrev_b32_e32 v3, 21, v3
; %bb.6261:
	s_andn2_saveexec_b64 vcc, vcc
; %bb.6262:
	s_mov_b32 s56, 0x43000000
	v_add_f32_e64 v3, |v54|, s56
; %bb.6263:
	s_or_b64 exec, exec, vcc
                                        ; implicit-def: $vgpr5
.LBB14_6264:
	s_andn2_saveexec_b64 s[54:55], s[54:55]
; %bb.6265:
	s_mov_b32 vcc_lo, 0x7f800000
	v_mov_b32_e32 v3, 0x7c
	v_mov_b32_e32 v7, 0x7f
	v_cmp_lt_u32_e32 vcc, vcc_lo, v5
	v_cndmask_b32_e32 v3, v3, v7, vcc
; %bb.6266:
	s_or_b64 exec, exec, s[54:55]
	v_lshrrev_b32_e32 v5, 24, v54
	s_movk_i32 vcc_lo, 0x80
	v_and_or_b32 v3, v5, vcc_lo, v3
	flat_store_byte v[64:65], v3
.LBB14_6267:
	s_or_b64 exec, exec, s[52:53]
	s_or_b64 s[52:53], s[4:5], exec
                                        ; implicit-def: $vgpr64_vgpr65
                                        ; implicit-def: $vgpr54
.LBB14_6268:
	s_or_saveexec_b64 s[50:51], s[50:51]
	s_mov_b64 s[54:55], s[46:47]
	s_xor_b64 exec, exec, s[50:51]
	s_cbranch_execz .LBB14_6278
; %bb.6269:
	v_mov_b32_e32 v3, 14
	v_cmp_gt_i16_sdwa s[56:57], v11, v3 src0_sel:BYTE_0 src1_sel:DWORD
	s_mov_b64 vcc, s[52:53]
	s_mov_b64 s[54:55], s[46:47]
	s_and_saveexec_b64 s[58:59], s[56:57]
	s_xor_b64 s[56:57], exec, s[58:59]
	s_cbranch_execz .LBB14_6273
; %bb.6270:
	v_mov_b32_e32 v3, 15
	v_cmp_eq_u16_sdwa s[60:61], v11, v3 src0_sel:BYTE_0 src1_sel:DWORD
	s_mov_b64 s[58:59], -1
	s_mov_b64 vcc, s[52:53]
	s_and_saveexec_b64 s[54:55], s[60:61]
	s_cbranch_execz .LBB14_6272
; %bb.6271:
	v_bfe_u32 v3, v54, 16, 1
	s_movk_i32 vcc_lo, 0x7fff
	v_add3_u32 v3, v54, v3, vcc_lo
	v_lshrrev_b32_e32 v3, 16, v3
	v_mov_b32_e32 v5, 0x7fc0
	v_cmp_o_f32_e32 vcc, v54, v54
	v_cndmask_b32_e32 v3, v5, v3, vcc
	flat_store_short v[64:65], v3
	s_xor_b64 s[58:59], exec, -1
	s_or_b64 vcc, s[52:53], exec
.LBB14_6272:
	s_or_b64 exec, exec, s[54:55]
	s_andn2_b64 s[54:55], s[46:47], exec
	s_and_b64 s[58:59], s[58:59], exec
	s_or_b64 s[54:55], s[54:55], s[58:59]
	s_andn2_b64 s[58:59], s[52:53], exec
	s_and_b64 vcc, vcc, exec
	s_or_b64 vcc, s[58:59], vcc
                                        ; implicit-def: $vgpr64_vgpr65
.LBB14_6273:
	s_andn2_saveexec_b64 s[56:57], s[56:57]
	s_cbranch_execz .LBB14_6277
; %bb.6274:
	v_mov_b32_e32 v3, 11
	v_cmp_eq_u16_sdwa s[64:65], v11, v3 src0_sel:BYTE_0 src1_sel:DWORD
	s_mov_b64 s[60:61], -1
	s_mov_b64 s[58:59], vcc
	s_and_saveexec_b64 s[62:63], s[64:65]
	s_cbranch_execz .LBB14_6276
; %bb.6275:
	v_mov_b32_e32 v3, 1
	flat_store_byte v[64:65], v3
	s_xor_b64 s[60:61], exec, -1
	s_or_b64 s[58:59], vcc, exec
.LBB14_6276:
	s_or_b64 exec, exec, s[62:63]
	s_andn2_b64 s[54:55], s[54:55], exec
	s_and_b64 s[60:61], s[60:61], exec
	s_andn2_b64 vcc, vcc, exec
	s_and_b64 s[58:59], s[58:59], exec
	s_or_b64 s[54:55], s[54:55], s[60:61]
	s_or_b64 vcc, vcc, s[58:59]
.LBB14_6277:
	s_or_b64 exec, exec, s[56:57]
	s_andn2_b64 s[56:57], s[46:47], exec
	s_and_b64 s[54:55], s[54:55], exec
	s_andn2_b64 s[52:53], s[52:53], exec
	s_and_b64 vcc, vcc, exec
	s_or_b64 s[54:55], s[56:57], s[54:55]
	s_or_b64 s[52:53], s[52:53], vcc
.LBB14_6278:
	s_or_b64 exec, exec, s[50:51]
	s_andn2_b64 vcc, s[46:47], exec
	s_and_b64 s[46:47], s[54:55], exec
	s_or_b64 s[46:47], vcc, s[46:47]
	s_andn2_b64 s[4:5], s[4:5], exec
	s_and_b64 vcc, s[52:53], exec
	s_or_b64 s[4:5], s[4:5], vcc
.LBB14_6279:
	s_or_b64 exec, exec, s[48:49]
	v_readlane_b32 vcc_lo, v43, 4
	v_readlane_b32 vcc_hi, v43, 5
	s_andn2_b64 vcc, vcc, exec
	s_and_b64 s[46:47], s[46:47], exec
	s_or_b64 s[46:47], vcc, s[46:47]
	s_and_b64 s[4:5], s[4:5], exec
                                        ; implicit-def: $vgpr54
                                        ; implicit-def: $vgpr64_vgpr65
	s_andn2_saveexec_b64 s[42:43], s[42:43]
	s_cbranch_execz .LBB14_3930
.LBB14_6280:
	v_mov_b32_e32 v3, 4
	v_cmp_gt_i16_sdwa vcc, v11, v3 src0_sel:BYTE_0 src1_sel:DWORD
	s_and_saveexec_b64 s[48:49], vcc
	s_xor_b64 vcc, exec, s[48:49]
	s_cbranch_execz .LBB14_6302
; %bb.6281:
	v_mov_b32_e32 v3, 7
	v_cmp_gt_i16_sdwa s[48:49], v11, v3 src0_sel:BYTE_0 src1_sel:DWORD
	s_and_saveexec_b64 s[50:51], s[48:49]
	s_xor_b64 s[48:49], exec, s[50:51]
	s_cbranch_execz .LBB14_6291
; %bb.6282:
	v_mov_b32_e32 v3, 8
	v_cmp_gt_i16_sdwa s[50:51], v11, v3 src0_sel:BYTE_0 src1_sel:DWORD
	s_and_saveexec_b64 s[52:53], s[50:51]
	s_xor_b64 s[50:51], exec, s[52:53]
	s_cbranch_execz .LBB14_6288
; %bb.6283:
	v_mov_b32_e32 v3, 9
	v_cmp_gt_i16_sdwa s[52:53], v11, v3 src0_sel:BYTE_0 src1_sel:DWORD
	s_and_saveexec_b64 s[54:55], s[52:53]
	s_xor_b64 s[52:53], exec, s[54:55]
	s_cbranch_execz .LBB14_6285
; %bb.6284:
	v_mov_b32_e32 v68, 0
	v_cvt_f64_f32_e32 v[66:67], v54
	v_mov_b32_e32 v69, v68
	flat_store_dwordx4 v[64:65], v[66:69]
                                        ; implicit-def: $vgpr54
                                        ; implicit-def: $vgpr64_vgpr65
.LBB14_6285:
	s_andn2_saveexec_b64 s[52:53], s[52:53]
	s_cbranch_execz .LBB14_6287
; %bb.6286:
	v_mov_b32_e32 v55, 0
	flat_store_dwordx2 v[64:65], v[54:55]
.LBB14_6287:
	s_or_b64 exec, exec, s[52:53]
                                        ; implicit-def: $vgpr54
                                        ; implicit-def: $vgpr64_vgpr65
.LBB14_6288:
	s_andn2_saveexec_b64 s[50:51], s[50:51]
	s_cbranch_execz .LBB14_6290
; %bb.6289:
	v_cvt_f16_f32_e32 v3, v54
	flat_store_dword v[64:65], v3
.LBB14_6290:
	s_or_b64 exec, exec, s[50:51]
                                        ; implicit-def: $vgpr54
                                        ; implicit-def: $vgpr64_vgpr65
.LBB14_6291:
	s_andn2_saveexec_b64 s[48:49], s[48:49]
	s_cbranch_execz .LBB14_6301
; %bb.6292:
	v_mov_b32_e32 v3, 5
	v_cmp_gt_i16_sdwa s[50:51], v11, v3 src0_sel:BYTE_0 src1_sel:DWORD
	s_and_saveexec_b64 s[52:53], s[50:51]
	s_xor_b64 s[50:51], exec, s[52:53]
	s_cbranch_execz .LBB14_6298
; %bb.6293:
	v_mov_b32_e32 v3, 6
	v_cmp_gt_i16_sdwa s[52:53], v11, v3 src0_sel:BYTE_0 src1_sel:DWORD
	s_and_saveexec_b64 s[54:55], s[52:53]
	s_xor_b64 s[52:53], exec, s[54:55]
	s_cbranch_execz .LBB14_6295
; %bb.6294:
	v_cvt_f64_f32_e32 v[54:55], v54
	flat_store_dwordx2 v[64:65], v[54:55]
                                        ; implicit-def: $vgpr64_vgpr65
                                        ; implicit-def: $vgpr54
.LBB14_6295:
	s_andn2_saveexec_b64 s[52:53], s[52:53]
	s_cbranch_execz .LBB14_6297
; %bb.6296:
	flat_store_dword v[64:65], v54
.LBB14_6297:
	s_or_b64 exec, exec, s[52:53]
                                        ; implicit-def: $vgpr54
                                        ; implicit-def: $vgpr64_vgpr65
.LBB14_6298:
	s_andn2_saveexec_b64 s[50:51], s[50:51]
	s_cbranch_execz .LBB14_6300
; %bb.6299:
	v_cvt_f16_f32_e32 v3, v54
	flat_store_short v[64:65], v3
.LBB14_6300:
	s_or_b64 exec, exec, s[50:51]
.LBB14_6301:
	s_or_b64 exec, exec, s[48:49]
                                        ; implicit-def: $vgpr54
                                        ; implicit-def: $vgpr64_vgpr65
.LBB14_6302:
	s_andn2_saveexec_b64 s[48:49], vcc
	s_cbranch_execz .LBB14_6320
; %bb.6303:
	v_mov_b32_e32 v3, 1
	v_cmp_gt_i16_sdwa vcc, v11, v3 src0_sel:BYTE_0 src1_sel:DWORD
	s_and_saveexec_b64 s[50:51], vcc
	s_xor_b64 s[50:51], exec, s[50:51]
	s_cbranch_execz .LBB14_6313
; %bb.6304:
	v_mov_b32_e32 v3, 2
	v_cmp_gt_i16_sdwa vcc, v11, v3 src0_sel:BYTE_0 src1_sel:DWORD
	s_and_saveexec_b64 s[52:53], vcc
	s_xor_b64 s[52:53], exec, s[52:53]
	;; [unrolled: 6-line block ×3, first 2 shown]
	s_cbranch_execz .LBB14_6307
; %bb.6306:
	v_trunc_f32_e32 v3, v54
	s_mov_b32 s56, 0x2f800000
	v_mul_f32_e64 v5, |v3|, s56
	v_floor_f32_e32 v5, v5
	s_mov_b32 s56, 0xcf800000
	v_cvt_u32_f32_e32 v7, v5
	v_fma_f32 v5, v5, s56, |v3|
	v_cvt_u32_f32_e32 v5, v5
	v_ashrrev_i32_e32 v3, 31, v3
	v_xor_b32_e32 v7, v7, v3
	v_xor_b32_e32 v5, v5, v3
	v_sub_co_u32_e32 v54, vcc, v5, v3
	v_subb_co_u32_e32 v55, vcc, v7, v3, vcc
	flat_store_dwordx2 v[64:65], v[54:55]
                                        ; implicit-def: $vgpr54
                                        ; implicit-def: $vgpr64_vgpr65
.LBB14_6307:
	s_andn2_saveexec_b64 vcc, s[54:55]
	s_cbranch_execz .LBB14_6309
; %bb.6308:
	v_cvt_i32_f32_e32 v3, v54
	flat_store_dword v[64:65], v3
.LBB14_6309:
	s_or_b64 exec, exec, vcc
                                        ; implicit-def: $vgpr54
                                        ; implicit-def: $vgpr64_vgpr65
.LBB14_6310:
	s_andn2_saveexec_b64 vcc, s[52:53]
	s_cbranch_execz .LBB14_6312
; %bb.6311:
	v_cvt_i32_f32_e32 v3, v54
	flat_store_short v[64:65], v3
.LBB14_6312:
	s_or_b64 exec, exec, vcc
                                        ; implicit-def: $vgpr54
                                        ; implicit-def: $vgpr64_vgpr65
.LBB14_6313:
	s_andn2_saveexec_b64 vcc, s[50:51]
	s_cbranch_execz .LBB14_6319
; %bb.6314:
	v_mov_b32_e32 v3, 0
	v_cmp_gt_i16_sdwa s[50:51], v11, v3 src0_sel:BYTE_0 src1_sel:DWORD
	s_and_saveexec_b64 s[52:53], s[50:51]
	s_xor_b64 s[50:51], exec, s[52:53]
	s_cbranch_execz .LBB14_6316
; %bb.6315:
	v_cvt_i32_f32_e32 v3, v54
                                        ; implicit-def: $vgpr54
	flat_store_byte v[64:65], v3
                                        ; implicit-def: $vgpr64_vgpr65
.LBB14_6316:
	s_andn2_saveexec_b64 s[50:51], s[50:51]
	s_cbranch_execz .LBB14_6318
; %bb.6317:
	v_trunc_f32_e32 v3, v54
	s_mov_b32 s52, 0x2f800000
	v_mul_f32_e64 v5, |v3|, s52
	v_floor_f32_e32 v5, v5
	s_mov_b32 s52, 0xcf800000
	v_fma_f32 v5, v5, s52, |v3|
	v_cvt_u32_f32_e32 v5, v5
	v_ashrrev_i32_e32 v3, 31, v3
	v_xor_b32_e32 v5, v5, v3
	v_sub_u32_e32 v3, v5, v3
	flat_store_byte v[64:65], v3
.LBB14_6318:
	s_or_b64 exec, exec, s[50:51]
.LBB14_6319:
	s_or_b64 exec, exec, vcc
.LBB14_6320:
	s_or_b64 exec, exec, s[48:49]
	s_or_b64 s[4:5], s[4:5], exec
	s_or_b64 exec, exec, s[42:43]
	s_mov_b64 vcc, 0
	s_and_saveexec_b64 s[42:43], s[4:5]
	s_cbranch_execnz .LBB14_3931
	s_branch .LBB14_3932
.LBB14_6321:
	v_bfe_u32 v3, v82, 21, 1
	s_mov_b32 s54, 0x88fffff
	v_add3_u32 v3, v82, v3, s54
	s_mov_b64 s[52:53], exec
	v_lshrrev_b32_e32 v3, 21, v3
	s_or_saveexec_b64 s[54:55], vcc
                                        ; implicit-def: $sgpr56
	s_xor_b64 exec, exec, s[54:55]
	s_cbranch_execz .LBB14_5488
.LBB14_6322:
	s_mov_b32 s56, 0x42800000
	v_add_f32_e64 v3, |v82|, s56
	v_and_b32_e32 v3, 0xff, v3
	v_cmp_ne_u32_e32 vcc, 0, v3
	s_andn2_b64 s[52:53], s[52:53], exec
	s_and_b64 vcc, vcc, exec
	s_mov_b32 s56, 0
	s_or_b64 s[52:53], s[52:53], vcc
	s_or_b64 exec, exec, s[54:55]
	v_mov_b32_e32 v5, s56
	s_and_saveexec_b64 vcc, s[52:53]
	s_cbranch_execnz .LBB14_5489
	s_branch .LBB14_5490
.LBB14_6323:
	v_bfe_u32 v3, v80, 20, 1
	s_mov_b32 s56, 0x487ffff
	v_add3_u32 v3, v80, v3, s56
	s_mov_b64 s[54:55], exec
	v_lshrrev_b32_e32 v3, 20, v3
	s_or_saveexec_b64 s[56:57], vcc
                                        ; implicit-def: $sgpr58
	s_xor_b64 exec, exec, s[56:57]
	s_cbranch_execz .LBB14_5599
.LBB14_6324:
	s_mov_b32 s58, 0x46000000
	v_add_f32_e64 v3, |v80|, s58
	v_and_b32_e32 v3, 0xff, v3
	v_cmp_ne_u32_e32 vcc, 0, v3
	s_andn2_b64 s[54:55], s[54:55], exec
	s_and_b64 vcc, vcc, exec
	s_mov_b32 s58, 0
	s_or_b64 s[54:55], s[54:55], vcc
	s_or_b64 exec, exec, s[56:57]
	v_mov_b32_e32 v5, s58
	s_and_saveexec_b64 vcc, s[54:55]
	s_cbranch_execnz .LBB14_5600
	s_branch .LBB14_5601
.LBB14_6325:
	v_mov_b32_e32 v3, 25
	v_cmp_gt_i16_sdwa vcc, v11, v3 src0_sel:BYTE_0 src1_sel:DWORD
	s_mov_b64 s[50:51], s[42:43]
	s_and_saveexec_b64 s[52:53], vcc
	s_xor_b64 s[52:53], exec, s[52:53]
	s_cbranch_execz .LBB14_6361
; %bb.6326:
	v_mov_b32_e32 v3, 28
	v_cmp_gt_i16_sdwa vcc, v11, v3 src0_sel:BYTE_0 src1_sel:DWORD
	s_mov_b64 s[54:55], s[42:43]
	s_and_saveexec_b64 s[50:51], vcc
	s_xor_b64 s[50:51], exec, s[50:51]
	s_cbranch_execz .LBB14_6344
; %bb.6327:
	v_mov_b32_e32 v3, 43
	v_cmp_gt_i16_sdwa s[54:55], v11, v3 src0_sel:BYTE_0 src1_sel:DWORD
	s_mov_b64 vcc, s[42:43]
	s_and_saveexec_b64 s[56:57], s[54:55]
	s_xor_b64 s[54:55], exec, s[56:57]
	s_cbranch_execz .LBB14_6339
; %bb.6328:
	v_mov_b32_e32 v3, 45
	v_cmp_gt_i16_sdwa s[4:5], v11, v3 src0_sel:BYTE_0 src1_sel:DWORD
	s_mov_b64 s[56:57], 0
	s_mov_b64 s[58:59], s[42:43]
	s_and_saveexec_b64 vcc, s[4:5]
	s_xor_b64 s[4:5], exec, vcc
	s_cbranch_execz .LBB14_6332
; %bb.6329:
	v_mov_b32_e32 v3, 46
	v_cmp_eq_u16_sdwa s[60:61], v11, v3 src0_sel:BYTE_0 src1_sel:DWORD
	s_mov_b64 vcc, -1
	s_and_saveexec_b64 s[58:59], s[60:61]
	s_cbranch_execz .LBB14_6331
; %bb.6330:
	v_bfe_u32 v3, v52, 16, 1
	s_movk_i32 vcc_lo, 0x7fff
	v_add3_u32 v3, v52, v3, vcc_lo
	v_lshrrev_b32_e32 v3, 16, v3
	v_mov_b32_e32 v5, 0x7fc0
	v_cmp_o_f32_e32 vcc, v52, v52
	v_cndmask_b32_e32 v3, v5, v3, vcc
	s_mov_b64 s[56:57], exec
	flat_store_dword v[54:55], v3
	s_xor_b64 vcc, exec, -1
.LBB14_6331:
	s_or_b64 exec, exec, s[58:59]
	s_andn2_b64 s[58:59], s[42:43], exec
	s_and_b64 vcc, vcc, exec
	s_or_b64 s[58:59], s[58:59], vcc
	s_and_b64 s[56:57], s[56:57], exec
                                        ; implicit-def: $vgpr54_vgpr55
                                        ; implicit-def: $vgpr52
.LBB14_6332:
	s_andn2_saveexec_b64 s[60:61], s[4:5]
	s_cbranch_execz .LBB14_6338
; %bb.6333:
	v_mov_b32_e32 v3, 44
	v_cmp_eq_u16_sdwa s[64:65], v11, v3 src0_sel:BYTE_0 src1_sel:DWORD
	s_mov_b64 vcc, -1
	s_mov_b64 s[4:5], s[56:57]
	s_and_saveexec_b64 s[62:63], s[64:65]
	s_cbranch_execz .LBB14_6337
; %bb.6334:
	v_bfe_u32 v3, v52, 23, 8
	s_movk_i32 s4, 0xff
	v_cmp_ne_u32_e32 vcc, s4, v3
	v_mov_b32_e32 v5, 0xff
	s_and_saveexec_b64 s[64:65], vcc
; %bb.6335:
	s_mov_b32 s4, 0x3fffff
	v_and_b32_e32 v7, 0x400000, v52
	v_and_or_b32 v3, v52, s4, v3
	v_cmp_ne_u32_e32 vcc, 0, v7
	v_cmp_ne_u32_e64 s[4:5], 0, v3
	s_and_b64 s[4:5], vcc, s[4:5]
	v_lshrrev_b32_e32 v5, 23, v52
	v_cndmask_b32_e64 v3, 0, 1, s[4:5]
	v_add_u32_e32 v5, v5, v3
; %bb.6336:
	s_or_b64 exec, exec, s[64:65]
	s_xor_b64 vcc, exec, -1
	s_or_b64 s[4:5], s[56:57], exec
	flat_store_byte v[54:55], v5
.LBB14_6337:
	s_or_b64 exec, exec, s[62:63]
	s_andn2_b64 s[58:59], s[58:59], exec
	s_and_b64 vcc, vcc, exec
	s_or_b64 s[58:59], s[58:59], vcc
	s_andn2_b64 vcc, s[56:57], exec
	s_and_b64 s[4:5], s[4:5], exec
	s_or_b64 s[56:57], vcc, s[4:5]
.LBB14_6338:
	s_or_b64 exec, exec, s[60:61]
	s_andn2_b64 s[4:5], s[42:43], exec
	s_and_b64 vcc, s[58:59], exec
	s_or_b64 vcc, s[4:5], vcc
	s_and_b64 s[4:5], s[56:57], exec
                                        ; implicit-def: $vgpr52
                                        ; implicit-def: $vgpr54_vgpr55
.LBB14_6339:
	s_andn2_saveexec_b64 s[54:55], s[54:55]
	s_cbranch_execz .LBB14_6343
; %bb.6340:
	v_mov_b32_e32 v3, 29
	v_cmp_eq_u16_sdwa s[62:63], v11, v3 src0_sel:BYTE_0 src1_sel:DWORD
	s_mov_b64 s[60:61], -1
	s_mov_b64 s[58:59], s[4:5]
	s_and_saveexec_b64 s[56:57], s[62:63]
	s_cbranch_execz .LBB14_6342
; %bb.6341:
	v_trunc_f32_e32 v3, v52
	v_mul_f32_e32 v5, 0x2f800000, v3
	v_floor_f32_e32 v5, v5
	v_fmac_f32_e32 v3, 0xcf800000, v5
	v_cvt_u32_f32_e32 v53, v5
	v_cvt_u32_f32_e32 v52, v3
	s_xor_b64 s[60:61], exec, -1
	s_or_b64 s[58:59], s[4:5], exec
	flat_store_dwordx2 v[54:55], v[52:53]
.LBB14_6342:
	s_or_b64 exec, exec, s[56:57]
	s_andn2_b64 vcc, vcc, exec
	s_and_b64 s[56:57], s[60:61], exec
	s_or_b64 vcc, vcc, s[56:57]
	s_andn2_b64 s[4:5], s[4:5], exec
	s_and_b64 s[56:57], s[58:59], exec
	s_or_b64 s[4:5], s[4:5], s[56:57]
.LBB14_6343:
	s_or_b64 exec, exec, s[54:55]
	s_andn2_b64 s[54:55], s[42:43], exec
	s_and_b64 vcc, vcc, exec
	s_or_b64 s[54:55], s[54:55], vcc
	s_and_b64 s[4:5], s[4:5], exec
                                        ; implicit-def: $vgpr54_vgpr55
                                        ; implicit-def: $vgpr52
.LBB14_6344:
	s_andn2_saveexec_b64 s[50:51], s[50:51]
	s_cbranch_execz .LBB14_6360
; %bb.6345:
	v_mov_b32_e32 v3, 26
	v_cmp_gt_i16_sdwa vcc, v11, v3 src0_sel:BYTE_0 src1_sel:DWORD
	s_and_saveexec_b64 s[56:57], vcc
	s_xor_b64 vcc, exec, s[56:57]
	s_cbranch_execz .LBB14_6351
; %bb.6346:
	v_cvt_u32_f32_e32 v3, v52
	v_mov_b32_e32 v5, 27
	v_cmp_gt_i16_sdwa s[56:57], v11, v5 src0_sel:BYTE_0 src1_sel:DWORD
	s_and_saveexec_b64 s[58:59], s[56:57]
	s_xor_b64 s[56:57], exec, s[58:59]
	s_cbranch_execz .LBB14_6348
; %bb.6347:
	flat_store_dword v[54:55], v3
                                        ; implicit-def: $vgpr54_vgpr55
                                        ; implicit-def: $vgpr3
.LBB14_6348:
	s_andn2_saveexec_b64 s[56:57], s[56:57]
	s_cbranch_execz .LBB14_6350
; %bb.6349:
	flat_store_short v[54:55], v3
.LBB14_6350:
	s_or_b64 exec, exec, s[56:57]
                                        ; implicit-def: $vgpr54_vgpr55
                                        ; implicit-def: $vgpr52
.LBB14_6351:
	s_andn2_saveexec_b64 s[56:57], vcc
	s_cbranch_execz .LBB14_6359
; %bb.6352:
	v_and_b32_e32 v3, 0x7fffffff, v52
	s_mov_b32 vcc_lo, 0x43800000
	v_cmp_gt_u32_e32 vcc, vcc_lo, v3
	v_mov_b32_e32 v5, 0x80
	s_and_saveexec_b64 s[58:59], vcc
	s_cbranch_execz .LBB14_6358
; %bb.6353:
	s_mov_b32 vcc_lo, 0x3bffffff
	v_cmp_lt_u32_e32 vcc, vcc_lo, v3
	s_mov_b64 s[60:61], 0
                                        ; implicit-def: $vgpr3
	s_and_saveexec_b64 s[62:63], vcc
	s_xor_b64 vcc, exec, s[62:63]
	s_cbranch_execnz .LBB14_7079
; %bb.6354:
	s_or_saveexec_b64 s[62:63], vcc
                                        ; implicit-def: $sgpr64
	s_xor_b64 exec, exec, s[62:63]
	s_cbranch_execnz .LBB14_7080
.LBB14_6355:
	s_or_b64 exec, exec, s[62:63]
	v_mov_b32_e32 v5, s64
	s_and_saveexec_b64 vcc, s[60:61]
.LBB14_6356:
	v_lshrrev_b32_e32 v5, 24, v52
	s_movk_i32 s60, 0x80
	v_and_or_b32 v5, v5, s60, v3
.LBB14_6357:
	s_or_b64 exec, exec, vcc
.LBB14_6358:
	s_or_b64 exec, exec, s[58:59]
	flat_store_byte v[54:55], v5
.LBB14_6359:
	s_or_b64 exec, exec, s[56:57]
	s_or_b64 s[4:5], s[4:5], exec
.LBB14_6360:
	s_or_b64 exec, exec, s[50:51]
	s_andn2_b64 vcc, s[42:43], exec
	s_and_b64 s[50:51], s[54:55], exec
	s_or_b64 s[50:51], vcc, s[50:51]
	s_and_b64 s[4:5], s[4:5], exec
                                        ; implicit-def: $vgpr52
                                        ; implicit-def: $vgpr54_vgpr55
.LBB14_6361:
	s_andn2_saveexec_b64 s[52:53], s[52:53]
	s_cbranch_execz .LBB14_6405
; %bb.6362:
	v_mov_b32_e32 v3, 22
	v_cmp_gt_i16_sdwa vcc, v11, v3 src0_sel:BYTE_0 src1_sel:DWORD
	s_mov_b64 s[56:57], s[4:5]
	s_and_saveexec_b64 s[54:55], vcc
	s_xor_b64 s[54:55], exec, s[54:55]
	s_cbranch_execz .LBB14_6394
; %bb.6363:
	v_mov_b32_e32 v3, 23
	v_cmp_gt_i16_sdwa vcc, v11, v3 src0_sel:BYTE_0 src1_sel:DWORD
	s_and_saveexec_b64 s[56:57], vcc
	s_xor_b64 s[56:57], exec, s[56:57]
	s_cbranch_execz .LBB14_6383
; %bb.6364:
	v_mov_b32_e32 v3, 24
	v_cmp_gt_i16_sdwa vcc, v11, v3 src0_sel:BYTE_0 src1_sel:DWORD
	s_and_saveexec_b64 s[58:59], vcc
	s_xor_b64 s[58:59], exec, s[58:59]
	s_cbranch_execz .LBB14_6372
; %bb.6365:
	v_and_b32_e32 v3, 0x7fffffff, v52
	s_mov_b32 vcc_lo, 0x47800000
	v_cmp_gt_u32_e32 vcc, vcc_lo, v3
	v_mov_b32_e32 v5, 0x80
	s_and_saveexec_b64 s[60:61], vcc
	s_cbranch_execz .LBB14_6371
; %bb.6366:
	s_mov_b32 vcc_lo, 0x37ffffff
	v_cmp_lt_u32_e32 vcc, vcc_lo, v3
	s_mov_b64 s[62:63], 0
                                        ; implicit-def: $vgpr3
	s_and_saveexec_b64 s[64:65], vcc
	s_xor_b64 vcc, exec, s[64:65]
	s_cbranch_execnz .LBB14_7203
; %bb.6367:
	s_or_saveexec_b64 s[64:65], vcc
                                        ; implicit-def: $sgpr66
	s_xor_b64 exec, exec, s[64:65]
	s_cbranch_execnz .LBB14_7204
.LBB14_6368:
	s_or_b64 exec, exec, s[64:65]
	v_mov_b32_e32 v5, s66
	s_and_saveexec_b64 vcc, s[62:63]
.LBB14_6369:
	v_lshrrev_b32_e32 v5, 24, v52
	s_movk_i32 s62, 0x80
	v_and_or_b32 v5, v5, s62, v3
.LBB14_6370:
	s_or_b64 exec, exec, vcc
.LBB14_6371:
	s_or_b64 exec, exec, s[60:61]
	flat_store_byte v[54:55], v5
                                        ; implicit-def: $vgpr52
                                        ; implicit-def: $vgpr54_vgpr55
.LBB14_6372:
	s_andn2_saveexec_b64 s[58:59], s[58:59]
	s_cbranch_execz .LBB14_6382
; %bb.6373:
	v_and_b32_e32 v5, 0x7fffffff, v52
	s_mov_b32 vcc_lo, 0x43f00000
	v_cmp_gt_u32_e32 vcc, vcc_lo, v5
                                        ; implicit-def: $vgpr3
	s_and_saveexec_b64 s[60:61], vcc
	s_xor_b64 s[60:61], exec, s[60:61]
	s_cbranch_execz .LBB14_6379
; %bb.6374:
	s_mov_b32 vcc_lo, 0x3c7fffff
	v_cmp_lt_u32_e32 vcc, vcc_lo, v5
                                        ; implicit-def: $vgpr3
	s_and_saveexec_b64 s[62:63], vcc
	s_xor_b64 s[62:63], exec, s[62:63]
; %bb.6375:
	v_bfe_u32 v3, v52, 20, 1
	s_mov_b32 vcc_lo, 0x407ffff
	v_add3_u32 v3, v52, v3, vcc_lo
	v_lshrrev_b32_e32 v5, 20, v3
	v_and_b32_e32 v3, 0xff00000, v3
	s_mov_b32 vcc_lo, 0x7f00000
	v_mov_b32_e32 v7, 0x7e
	v_cmp_ne_u32_e32 vcc, vcc_lo, v3
	v_cndmask_b32_e32 v3, v7, v5, vcc
; %bb.6376:
	s_andn2_saveexec_b64 vcc, s[62:63]
; %bb.6377:
	s_mov_b32 s62, 0x46800000
	v_add_f32_e64 v3, |v52|, s62
; %bb.6378:
	s_or_b64 exec, exec, vcc
                                        ; implicit-def: $vgpr5
.LBB14_6379:
	s_andn2_saveexec_b64 s[60:61], s[60:61]
; %bb.6380:
	s_mov_b32 vcc_lo, 0x7f800000
	v_mov_b32_e32 v3, 0x7e
	v_mov_b32_e32 v7, 0x7f
	v_cmp_lt_u32_e32 vcc, vcc_lo, v5
	v_cndmask_b32_e32 v3, v3, v7, vcc
; %bb.6381:
	s_or_b64 exec, exec, s[60:61]
	v_lshrrev_b32_e32 v5, 24, v52
	s_movk_i32 vcc_lo, 0x80
	v_and_or_b32 v3, v5, vcc_lo, v3
	flat_store_byte v[54:55], v3
.LBB14_6382:
	s_or_b64 exec, exec, s[58:59]
                                        ; implicit-def: $vgpr52
                                        ; implicit-def: $vgpr54_vgpr55
.LBB14_6383:
	s_andn2_saveexec_b64 s[56:57], s[56:57]
	s_cbranch_execz .LBB14_6393
; %bb.6384:
	v_and_b32_e32 v5, 0x7fffffff, v52
	s_mov_b32 vcc_lo, 0x47800000
	v_cmp_gt_u32_e32 vcc, vcc_lo, v5
                                        ; implicit-def: $vgpr3
	s_and_saveexec_b64 s[58:59], vcc
	s_xor_b64 s[58:59], exec, s[58:59]
	s_cbranch_execz .LBB14_6390
; %bb.6385:
	s_mov_b32 vcc_lo, 0x387fffff
	v_cmp_lt_u32_e32 vcc, vcc_lo, v5
                                        ; implicit-def: $vgpr3
	s_and_saveexec_b64 s[60:61], vcc
	s_xor_b64 vcc, exec, s[60:61]
; %bb.6386:
	v_bfe_u32 v3, v52, 21, 1
	s_mov_b32 s60, 0x80fffff
	v_add3_u32 v3, v52, v3, s60
	v_lshrrev_b32_e32 v3, 21, v3
; %bb.6387:
	s_andn2_saveexec_b64 vcc, vcc
; %bb.6388:
	s_mov_b32 s60, 0x43000000
	v_add_f32_e64 v3, |v52|, s60
; %bb.6389:
	s_or_b64 exec, exec, vcc
                                        ; implicit-def: $vgpr5
.LBB14_6390:
	s_andn2_saveexec_b64 s[58:59], s[58:59]
; %bb.6391:
	s_mov_b32 vcc_lo, 0x7f800000
	v_mov_b32_e32 v3, 0x7c
	v_mov_b32_e32 v7, 0x7f
	v_cmp_lt_u32_e32 vcc, vcc_lo, v5
	v_cndmask_b32_e32 v3, v3, v7, vcc
; %bb.6392:
	s_or_b64 exec, exec, s[58:59]
	v_lshrrev_b32_e32 v5, 24, v52
	s_movk_i32 vcc_lo, 0x80
	v_and_or_b32 v3, v5, vcc_lo, v3
	flat_store_byte v[54:55], v3
.LBB14_6393:
	s_or_b64 exec, exec, s[56:57]
	s_or_b64 s[56:57], s[4:5], exec
                                        ; implicit-def: $vgpr54_vgpr55
                                        ; implicit-def: $vgpr52
.LBB14_6394:
	s_or_saveexec_b64 s[54:55], s[54:55]
	s_mov_b64 s[58:59], s[50:51]
	s_xor_b64 exec, exec, s[54:55]
	s_cbranch_execz .LBB14_6404
; %bb.6395:
	v_mov_b32_e32 v3, 14
	v_cmp_gt_i16_sdwa s[60:61], v11, v3 src0_sel:BYTE_0 src1_sel:DWORD
	s_mov_b64 vcc, s[56:57]
	s_mov_b64 s[58:59], s[50:51]
	s_and_saveexec_b64 s[62:63], s[60:61]
	s_xor_b64 s[60:61], exec, s[62:63]
	s_cbranch_execz .LBB14_6399
; %bb.6396:
	v_mov_b32_e32 v3, 15
	v_cmp_eq_u16_sdwa s[64:65], v11, v3 src0_sel:BYTE_0 src1_sel:DWORD
	s_mov_b64 s[62:63], -1
	s_mov_b64 vcc, s[56:57]
	s_and_saveexec_b64 s[58:59], s[64:65]
	s_cbranch_execz .LBB14_6398
; %bb.6397:
	v_bfe_u32 v3, v52, 16, 1
	s_movk_i32 vcc_lo, 0x7fff
	v_add3_u32 v3, v52, v3, vcc_lo
	v_lshrrev_b32_e32 v3, 16, v3
	v_mov_b32_e32 v5, 0x7fc0
	v_cmp_o_f32_e32 vcc, v52, v52
	v_cndmask_b32_e32 v3, v5, v3, vcc
	flat_store_short v[54:55], v3
	s_xor_b64 s[62:63], exec, -1
	s_or_b64 vcc, s[56:57], exec
.LBB14_6398:
	s_or_b64 exec, exec, s[58:59]
	s_andn2_b64 s[58:59], s[50:51], exec
	s_and_b64 s[62:63], s[62:63], exec
	s_or_b64 s[58:59], s[58:59], s[62:63]
	s_andn2_b64 s[62:63], s[56:57], exec
	s_and_b64 vcc, vcc, exec
	s_or_b64 vcc, s[62:63], vcc
                                        ; implicit-def: $vgpr54_vgpr55
.LBB14_6399:
	s_andn2_saveexec_b64 s[60:61], s[60:61]
	s_cbranch_execz .LBB14_6403
; %bb.6400:
	v_mov_b32_e32 v3, 11
	v_cmp_eq_u16_sdwa s[68:69], v11, v3 src0_sel:BYTE_0 src1_sel:DWORD
	s_mov_b64 s[64:65], -1
	s_mov_b64 s[62:63], vcc
	s_and_saveexec_b64 s[66:67], s[68:69]
	s_cbranch_execz .LBB14_6402
; %bb.6401:
	v_mov_b32_e32 v3, 1
	flat_store_byte v[54:55], v3
	s_xor_b64 s[64:65], exec, -1
	s_or_b64 s[62:63], vcc, exec
.LBB14_6402:
	s_or_b64 exec, exec, s[66:67]
	s_andn2_b64 s[58:59], s[58:59], exec
	s_and_b64 s[64:65], s[64:65], exec
	s_andn2_b64 vcc, vcc, exec
	s_and_b64 s[62:63], s[62:63], exec
	s_or_b64 s[58:59], s[58:59], s[64:65]
	s_or_b64 vcc, vcc, s[62:63]
.LBB14_6403:
	s_or_b64 exec, exec, s[60:61]
	s_andn2_b64 s[60:61], s[50:51], exec
	s_and_b64 s[58:59], s[58:59], exec
	s_andn2_b64 s[56:57], s[56:57], exec
	s_and_b64 vcc, vcc, exec
	s_or_b64 s[58:59], s[60:61], s[58:59]
	s_or_b64 s[56:57], s[56:57], vcc
.LBB14_6404:
	s_or_b64 exec, exec, s[54:55]
	s_andn2_b64 vcc, s[50:51], exec
	s_and_b64 s[50:51], s[58:59], exec
	s_or_b64 s[50:51], vcc, s[50:51]
	s_andn2_b64 s[4:5], s[4:5], exec
	s_and_b64 vcc, s[56:57], exec
	s_or_b64 s[4:5], s[4:5], vcc
.LBB14_6405:
	s_or_b64 exec, exec, s[52:53]
	s_andn2_b64 vcc, s[42:43], exec
	s_and_b64 s[50:51], s[50:51], exec
	s_or_b64 s[50:51], vcc, s[50:51]
	s_and_b64 s[4:5], s[4:5], exec
                                        ; implicit-def: $vgpr52
                                        ; implicit-def: $vgpr54_vgpr55
	s_andn2_saveexec_b64 s[46:47], s[46:47]
	s_cbranch_execz .LBB14_3937
.LBB14_6406:
	v_mov_b32_e32 v3, 4
	v_cmp_gt_i16_sdwa vcc, v11, v3 src0_sel:BYTE_0 src1_sel:DWORD
	s_and_saveexec_b64 s[52:53], vcc
	s_xor_b64 vcc, exec, s[52:53]
	s_cbranch_execz .LBB14_6428
; %bb.6407:
	v_mov_b32_e32 v3, 7
	v_cmp_gt_i16_sdwa s[52:53], v11, v3 src0_sel:BYTE_0 src1_sel:DWORD
	s_and_saveexec_b64 s[54:55], s[52:53]
	s_xor_b64 s[52:53], exec, s[54:55]
	s_cbranch_execz .LBB14_6417
; %bb.6408:
	v_mov_b32_e32 v3, 8
	v_cmp_gt_i16_sdwa s[54:55], v11, v3 src0_sel:BYTE_0 src1_sel:DWORD
	s_and_saveexec_b64 s[56:57], s[54:55]
	s_xor_b64 s[54:55], exec, s[56:57]
	;; [unrolled: 6-line block ×3, first 2 shown]
	s_cbranch_execz .LBB14_6411
; %bb.6410:
	s_waitcnt vmcnt(0) lgkmcnt(0)
	v_mov_b32_e32 v66, 0
	v_cvt_f64_f32_e32 v[64:65], v52
	v_mov_b32_e32 v67, v66
	flat_store_dwordx4 v[54:55], v[64:67]
                                        ; implicit-def: $vgpr52
                                        ; implicit-def: $vgpr54_vgpr55
.LBB14_6411:
	s_andn2_saveexec_b64 s[56:57], s[56:57]
	s_cbranch_execz .LBB14_6413
; %bb.6412:
	v_mov_b32_e32 v53, 0
	flat_store_dwordx2 v[54:55], v[52:53]
.LBB14_6413:
	s_or_b64 exec, exec, s[56:57]
                                        ; implicit-def: $vgpr52
                                        ; implicit-def: $vgpr54_vgpr55
.LBB14_6414:
	s_andn2_saveexec_b64 s[54:55], s[54:55]
	s_cbranch_execz .LBB14_6416
; %bb.6415:
	v_cvt_f16_f32_e32 v3, v52
	flat_store_dword v[54:55], v3
.LBB14_6416:
	s_or_b64 exec, exec, s[54:55]
                                        ; implicit-def: $vgpr52
                                        ; implicit-def: $vgpr54_vgpr55
.LBB14_6417:
	s_andn2_saveexec_b64 s[52:53], s[52:53]
	s_cbranch_execz .LBB14_6427
; %bb.6418:
	v_mov_b32_e32 v3, 5
	v_cmp_gt_i16_sdwa s[54:55], v11, v3 src0_sel:BYTE_0 src1_sel:DWORD
	s_and_saveexec_b64 s[56:57], s[54:55]
	s_xor_b64 s[54:55], exec, s[56:57]
	s_cbranch_execz .LBB14_6424
; %bb.6419:
	v_mov_b32_e32 v3, 6
	v_cmp_gt_i16_sdwa s[56:57], v11, v3 src0_sel:BYTE_0 src1_sel:DWORD
	s_and_saveexec_b64 s[58:59], s[56:57]
	s_xor_b64 s[56:57], exec, s[58:59]
	s_cbranch_execz .LBB14_6421
; %bb.6420:
	v_cvt_f64_f32_e32 v[52:53], v52
	flat_store_dwordx2 v[54:55], v[52:53]
                                        ; implicit-def: $vgpr54_vgpr55
                                        ; implicit-def: $vgpr52
.LBB14_6421:
	s_andn2_saveexec_b64 s[56:57], s[56:57]
	s_cbranch_execz .LBB14_6423
; %bb.6422:
	flat_store_dword v[54:55], v52
.LBB14_6423:
	s_or_b64 exec, exec, s[56:57]
                                        ; implicit-def: $vgpr52
                                        ; implicit-def: $vgpr54_vgpr55
.LBB14_6424:
	s_andn2_saveexec_b64 s[54:55], s[54:55]
	s_cbranch_execz .LBB14_6426
; %bb.6425:
	v_cvt_f16_f32_e32 v3, v52
	flat_store_short v[54:55], v3
.LBB14_6426:
	s_or_b64 exec, exec, s[54:55]
.LBB14_6427:
	s_or_b64 exec, exec, s[52:53]
                                        ; implicit-def: $vgpr52
                                        ; implicit-def: $vgpr54_vgpr55
.LBB14_6428:
	s_andn2_saveexec_b64 s[52:53], vcc
	s_cbranch_execz .LBB14_6446
; %bb.6429:
	v_mov_b32_e32 v3, 1
	v_cmp_gt_i16_sdwa vcc, v11, v3 src0_sel:BYTE_0 src1_sel:DWORD
	s_and_saveexec_b64 s[54:55], vcc
	s_xor_b64 s[54:55], exec, s[54:55]
	s_cbranch_execz .LBB14_6439
; %bb.6430:
	v_mov_b32_e32 v3, 2
	v_cmp_gt_i16_sdwa vcc, v11, v3 src0_sel:BYTE_0 src1_sel:DWORD
	s_and_saveexec_b64 s[56:57], vcc
	s_xor_b64 s[56:57], exec, s[56:57]
	;; [unrolled: 6-line block ×3, first 2 shown]
	s_cbranch_execz .LBB14_6433
; %bb.6432:
	v_trunc_f32_e32 v3, v52
	s_mov_b32 s60, 0x2f800000
	v_mul_f32_e64 v5, |v3|, s60
	v_floor_f32_e32 v5, v5
	s_mov_b32 s60, 0xcf800000
	v_cvt_u32_f32_e32 v7, v5
	v_fma_f32 v5, v5, s60, |v3|
	v_cvt_u32_f32_e32 v5, v5
	v_ashrrev_i32_e32 v3, 31, v3
	v_xor_b32_e32 v7, v7, v3
	v_xor_b32_e32 v5, v5, v3
	v_sub_co_u32_e32 v52, vcc, v5, v3
	v_subb_co_u32_e32 v53, vcc, v7, v3, vcc
	flat_store_dwordx2 v[54:55], v[52:53]
                                        ; implicit-def: $vgpr52
                                        ; implicit-def: $vgpr54_vgpr55
.LBB14_6433:
	s_andn2_saveexec_b64 vcc, s[58:59]
	s_cbranch_execz .LBB14_6435
; %bb.6434:
	v_cvt_i32_f32_e32 v3, v52
	flat_store_dword v[54:55], v3
.LBB14_6435:
	s_or_b64 exec, exec, vcc
                                        ; implicit-def: $vgpr52
                                        ; implicit-def: $vgpr54_vgpr55
.LBB14_6436:
	s_andn2_saveexec_b64 vcc, s[56:57]
	s_cbranch_execz .LBB14_6438
; %bb.6437:
	v_cvt_i32_f32_e32 v3, v52
	flat_store_short v[54:55], v3
.LBB14_6438:
	s_or_b64 exec, exec, vcc
                                        ; implicit-def: $vgpr52
                                        ; implicit-def: $vgpr54_vgpr55
.LBB14_6439:
	s_andn2_saveexec_b64 vcc, s[54:55]
	s_cbranch_execz .LBB14_6445
; %bb.6440:
	v_mov_b32_e32 v3, 0
	v_cmp_gt_i16_sdwa s[54:55], v11, v3 src0_sel:BYTE_0 src1_sel:DWORD
	s_and_saveexec_b64 s[56:57], s[54:55]
	s_xor_b64 s[54:55], exec, s[56:57]
	s_cbranch_execz .LBB14_6442
; %bb.6441:
	v_cvt_i32_f32_e32 v3, v52
                                        ; implicit-def: $vgpr52
	flat_store_byte v[54:55], v3
                                        ; implicit-def: $vgpr54_vgpr55
.LBB14_6442:
	s_andn2_saveexec_b64 s[54:55], s[54:55]
	s_cbranch_execz .LBB14_6444
; %bb.6443:
	v_trunc_f32_e32 v3, v52
	s_mov_b32 s56, 0x2f800000
	v_mul_f32_e64 v5, |v3|, s56
	v_floor_f32_e32 v5, v5
	s_mov_b32 s56, 0xcf800000
	v_fma_f32 v5, v5, s56, |v3|
	v_cvt_u32_f32_e32 v5, v5
	v_ashrrev_i32_e32 v3, 31, v3
	v_xor_b32_e32 v5, v5, v3
	v_sub_u32_e32 v3, v5, v3
	flat_store_byte v[54:55], v3
.LBB14_6444:
	s_or_b64 exec, exec, s[54:55]
.LBB14_6445:
	s_or_b64 exec, exec, vcc
.LBB14_6446:
	s_or_b64 exec, exec, s[52:53]
	s_or_b64 s[4:5], s[4:5], exec
	s_or_b64 exec, exec, s[46:47]
	s_mov_b64 vcc, 0
	s_and_saveexec_b64 s[46:47], s[4:5]
	s_cbranch_execnz .LBB14_3938
	s_branch .LBB14_3939
.LBB14_6447:
	v_bfe_u32 v3, v80, 21, 1
	s_mov_b32 s58, 0x88fffff
	v_add3_u32 v3, v80, v3, s58
	s_mov_b64 s[56:57], exec
	v_lshrrev_b32_e32 v3, 21, v3
	s_or_saveexec_b64 s[58:59], vcc
                                        ; implicit-def: $sgpr60
	s_xor_b64 exec, exec, s[58:59]
	s_cbranch_execz .LBB14_5612
.LBB14_6448:
	s_mov_b32 s60, 0x42800000
	v_add_f32_e64 v3, |v80|, s60
	v_and_b32_e32 v3, 0xff, v3
	v_cmp_ne_u32_e32 vcc, 0, v3
	s_andn2_b64 s[56:57], s[56:57], exec
	s_and_b64 vcc, vcc, exec
	s_mov_b32 s60, 0
	s_or_b64 s[56:57], s[56:57], vcc
	s_or_b64 exec, exec, s[58:59]
	v_mov_b32_e32 v5, s60
	s_and_saveexec_b64 vcc, s[56:57]
	s_cbranch_execnz .LBB14_5613
	s_branch .LBB14_5614
.LBB14_6449:
	v_bfe_u32 v3, v70, 20, 1
	s_mov_b32 s58, 0x487ffff
	v_add3_u32 v3, v70, v3, s58
	s_mov_b64 s[56:57], exec
	v_lshrrev_b32_e32 v3, 20, v3
	s_or_saveexec_b64 s[58:59], vcc
                                        ; implicit-def: $sgpr60
	s_xor_b64 exec, exec, s[58:59]
	s_cbranch_execz .LBB14_5725
.LBB14_6450:
	s_mov_b32 s60, 0x46000000
	v_add_f32_e64 v3, |v70|, s60
	v_and_b32_e32 v3, 0xff, v3
	v_cmp_ne_u32_e32 vcc, 0, v3
	s_andn2_b64 s[56:57], s[56:57], exec
	s_and_b64 vcc, vcc, exec
	s_mov_b32 s60, 0
	s_or_b64 s[56:57], s[56:57], vcc
	s_or_b64 exec, exec, s[58:59]
	v_mov_b32_e32 v5, s60
	s_and_saveexec_b64 vcc, s[56:57]
	s_cbranch_execnz .LBB14_5726
	s_branch .LBB14_5727
.LBB14_6451:
	v_mov_b32_e32 v3, 25
	v_cmp_gt_i16_sdwa vcc, v11, v3 src0_sel:BYTE_0 src1_sel:DWORD
	s_mov_b64 s[54:55], s[46:47]
	s_and_saveexec_b64 s[56:57], vcc
	s_xor_b64 s[56:57], exec, s[56:57]
	s_cbranch_execz .LBB14_6487
; %bb.6452:
	v_mov_b32_e32 v3, 28
	v_cmp_gt_i16_sdwa vcc, v11, v3 src0_sel:BYTE_0 src1_sel:DWORD
	s_mov_b64 s[58:59], s[46:47]
	s_and_saveexec_b64 s[54:55], vcc
	s_xor_b64 s[54:55], exec, s[54:55]
	s_cbranch_execz .LBB14_6470
; %bb.6453:
	v_mov_b32_e32 v3, 43
	v_cmp_gt_i16_sdwa s[58:59], v11, v3 src0_sel:BYTE_0 src1_sel:DWORD
	s_mov_b64 vcc, s[46:47]
	s_and_saveexec_b64 s[60:61], s[58:59]
	s_xor_b64 s[58:59], exec, s[60:61]
	s_cbranch_execz .LBB14_6465
; %bb.6454:
	v_mov_b32_e32 v3, 45
	v_cmp_gt_i16_sdwa s[4:5], v11, v3 src0_sel:BYTE_0 src1_sel:DWORD
	s_mov_b64 s[60:61], 0
	s_mov_b64 s[62:63], s[46:47]
	s_and_saveexec_b64 vcc, s[4:5]
	s_xor_b64 s[4:5], exec, vcc
	s_cbranch_execz .LBB14_6458
; %bb.6455:
	v_mov_b32_e32 v3, 46
	v_cmp_eq_u16_sdwa s[64:65], v11, v3 src0_sel:BYTE_0 src1_sel:DWORD
	s_mov_b64 vcc, -1
	s_and_saveexec_b64 s[62:63], s[64:65]
	s_cbranch_execz .LBB14_6457
; %bb.6456:
	v_bfe_u32 v3, v50, 16, 1
	s_movk_i32 vcc_lo, 0x7fff
	v_add3_u32 v3, v50, v3, vcc_lo
	v_lshrrev_b32_e32 v3, 16, v3
	v_mov_b32_e32 v5, 0x7fc0
	v_cmp_o_f32_e32 vcc, v50, v50
	v_cndmask_b32_e32 v3, v5, v3, vcc
	s_mov_b64 s[60:61], exec
	flat_store_dword v[52:53], v3
	s_xor_b64 vcc, exec, -1
.LBB14_6457:
	s_or_b64 exec, exec, s[62:63]
	s_andn2_b64 s[62:63], s[46:47], exec
	s_and_b64 vcc, vcc, exec
	s_or_b64 s[62:63], s[62:63], vcc
	s_and_b64 s[60:61], s[60:61], exec
                                        ; implicit-def: $vgpr52_vgpr53
                                        ; implicit-def: $vgpr50
.LBB14_6458:
	s_andn2_saveexec_b64 s[64:65], s[4:5]
	s_cbranch_execz .LBB14_6464
; %bb.6459:
	v_mov_b32_e32 v3, 44
	v_cmp_eq_u16_sdwa s[68:69], v11, v3 src0_sel:BYTE_0 src1_sel:DWORD
	s_mov_b64 vcc, -1
	s_mov_b64 s[4:5], s[60:61]
	s_and_saveexec_b64 s[66:67], s[68:69]
	s_cbranch_execz .LBB14_6463
; %bb.6460:
	v_bfe_u32 v3, v50, 23, 8
	s_movk_i32 s4, 0xff
	v_cmp_ne_u32_e32 vcc, s4, v3
	v_mov_b32_e32 v5, 0xff
	s_and_saveexec_b64 s[68:69], vcc
; %bb.6461:
	s_mov_b32 s4, 0x3fffff
	v_and_b32_e32 v7, 0x400000, v50
	v_and_or_b32 v3, v50, s4, v3
	v_cmp_ne_u32_e32 vcc, 0, v7
	v_cmp_ne_u32_e64 s[4:5], 0, v3
	s_and_b64 s[4:5], vcc, s[4:5]
	v_lshrrev_b32_e32 v5, 23, v50
	v_cndmask_b32_e64 v3, 0, 1, s[4:5]
	v_add_u32_e32 v5, v5, v3
; %bb.6462:
	s_or_b64 exec, exec, s[68:69]
	s_xor_b64 vcc, exec, -1
	s_or_b64 s[4:5], s[60:61], exec
	flat_store_byte v[52:53], v5
.LBB14_6463:
	s_or_b64 exec, exec, s[66:67]
	s_andn2_b64 s[62:63], s[62:63], exec
	s_and_b64 vcc, vcc, exec
	s_or_b64 s[62:63], s[62:63], vcc
	s_andn2_b64 vcc, s[60:61], exec
	s_and_b64 s[4:5], s[4:5], exec
	s_or_b64 s[60:61], vcc, s[4:5]
.LBB14_6464:
	s_or_b64 exec, exec, s[64:65]
	s_andn2_b64 s[4:5], s[46:47], exec
	s_and_b64 vcc, s[62:63], exec
	s_or_b64 vcc, s[4:5], vcc
	s_and_b64 s[4:5], s[60:61], exec
                                        ; implicit-def: $vgpr50
                                        ; implicit-def: $vgpr52_vgpr53
.LBB14_6465:
	s_andn2_saveexec_b64 s[58:59], s[58:59]
	s_cbranch_execz .LBB14_6469
; %bb.6466:
	v_mov_b32_e32 v3, 29
	v_cmp_eq_u16_sdwa s[66:67], v11, v3 src0_sel:BYTE_0 src1_sel:DWORD
	s_mov_b64 s[64:65], -1
	s_mov_b64 s[62:63], s[4:5]
	s_and_saveexec_b64 s[60:61], s[66:67]
	s_cbranch_execz .LBB14_6468
; %bb.6467:
	v_trunc_f32_e32 v3, v50
	v_mul_f32_e32 v5, 0x2f800000, v3
	v_floor_f32_e32 v5, v5
	v_fmac_f32_e32 v3, 0xcf800000, v5
	v_cvt_u32_f32_e32 v51, v5
	v_cvt_u32_f32_e32 v50, v3
	s_xor_b64 s[64:65], exec, -1
	s_or_b64 s[62:63], s[4:5], exec
	flat_store_dwordx2 v[52:53], v[50:51]
.LBB14_6468:
	s_or_b64 exec, exec, s[60:61]
	s_andn2_b64 vcc, vcc, exec
	s_and_b64 s[60:61], s[64:65], exec
	s_or_b64 vcc, vcc, s[60:61]
	s_andn2_b64 s[4:5], s[4:5], exec
	s_and_b64 s[60:61], s[62:63], exec
	s_or_b64 s[4:5], s[4:5], s[60:61]
.LBB14_6469:
	s_or_b64 exec, exec, s[58:59]
	s_andn2_b64 s[58:59], s[46:47], exec
	s_and_b64 vcc, vcc, exec
	s_or_b64 s[58:59], s[58:59], vcc
	s_and_b64 s[4:5], s[4:5], exec
                                        ; implicit-def: $vgpr52_vgpr53
                                        ; implicit-def: $vgpr50
.LBB14_6470:
	s_andn2_saveexec_b64 s[54:55], s[54:55]
	s_cbranch_execz .LBB14_6486
; %bb.6471:
	v_mov_b32_e32 v3, 26
	v_cmp_gt_i16_sdwa vcc, v11, v3 src0_sel:BYTE_0 src1_sel:DWORD
	s_and_saveexec_b64 s[60:61], vcc
	s_xor_b64 vcc, exec, s[60:61]
	s_cbranch_execz .LBB14_6477
; %bb.6472:
	v_cvt_u32_f32_e32 v3, v50
	v_mov_b32_e32 v5, 27
	v_cmp_gt_i16_sdwa s[60:61], v11, v5 src0_sel:BYTE_0 src1_sel:DWORD
	s_and_saveexec_b64 s[62:63], s[60:61]
	s_xor_b64 s[60:61], exec, s[62:63]
	s_cbranch_execz .LBB14_6474
; %bb.6473:
	flat_store_dword v[52:53], v3
                                        ; implicit-def: $vgpr52_vgpr53
                                        ; implicit-def: $vgpr3
.LBB14_6474:
	s_andn2_saveexec_b64 s[60:61], s[60:61]
	s_cbranch_execz .LBB14_6476
; %bb.6475:
	flat_store_short v[52:53], v3
.LBB14_6476:
	s_or_b64 exec, exec, s[60:61]
                                        ; implicit-def: $vgpr52_vgpr53
                                        ; implicit-def: $vgpr50
.LBB14_6477:
	s_andn2_saveexec_b64 s[60:61], vcc
	s_cbranch_execz .LBB14_6485
; %bb.6478:
	v_and_b32_e32 v3, 0x7fffffff, v50
	s_mov_b32 vcc_lo, 0x43800000
	v_cmp_gt_u32_e32 vcc, vcc_lo, v3
	v_mov_b32_e32 v5, 0x80
	s_and_saveexec_b64 s[62:63], vcc
	s_cbranch_execz .LBB14_6484
; %bb.6479:
	s_mov_b32 vcc_lo, 0x3bffffff
	v_cmp_lt_u32_e32 vcc, vcc_lo, v3
	s_mov_b64 s[64:65], 0
                                        ; implicit-def: $vgpr3
	s_and_saveexec_b64 s[66:67], vcc
	s_xor_b64 vcc, exec, s[66:67]
	s_cbranch_execnz .LBB14_7205
; %bb.6480:
	s_or_saveexec_b64 s[66:67], vcc
                                        ; implicit-def: $sgpr68
	s_xor_b64 exec, exec, s[66:67]
	s_cbranch_execnz .LBB14_7206
.LBB14_6481:
	s_or_b64 exec, exec, s[66:67]
	v_mov_b32_e32 v5, s68
	s_and_saveexec_b64 vcc, s[64:65]
.LBB14_6482:
	v_lshrrev_b32_e32 v5, 24, v50
	s_movk_i32 s64, 0x80
	v_and_or_b32 v5, v5, s64, v3
.LBB14_6483:
	s_or_b64 exec, exec, vcc
.LBB14_6484:
	s_or_b64 exec, exec, s[62:63]
	flat_store_byte v[52:53], v5
.LBB14_6485:
	s_or_b64 exec, exec, s[60:61]
	s_or_b64 s[4:5], s[4:5], exec
.LBB14_6486:
	s_or_b64 exec, exec, s[54:55]
	s_andn2_b64 vcc, s[46:47], exec
	s_and_b64 s[54:55], s[58:59], exec
	s_or_b64 s[54:55], vcc, s[54:55]
	s_and_b64 s[4:5], s[4:5], exec
                                        ; implicit-def: $vgpr50
                                        ; implicit-def: $vgpr52_vgpr53
.LBB14_6487:
	s_andn2_saveexec_b64 s[56:57], s[56:57]
	s_cbranch_execz .LBB14_6531
; %bb.6488:
	v_mov_b32_e32 v3, 22
	v_cmp_gt_i16_sdwa vcc, v11, v3 src0_sel:BYTE_0 src1_sel:DWORD
	s_mov_b64 s[60:61], s[4:5]
	s_and_saveexec_b64 s[58:59], vcc
	s_xor_b64 s[58:59], exec, s[58:59]
	s_cbranch_execz .LBB14_6520
; %bb.6489:
	v_mov_b32_e32 v3, 23
	v_cmp_gt_i16_sdwa vcc, v11, v3 src0_sel:BYTE_0 src1_sel:DWORD
	s_and_saveexec_b64 s[60:61], vcc
	s_xor_b64 s[60:61], exec, s[60:61]
	s_cbranch_execz .LBB14_6509
; %bb.6490:
	v_mov_b32_e32 v3, 24
	v_cmp_gt_i16_sdwa vcc, v11, v3 src0_sel:BYTE_0 src1_sel:DWORD
	s_and_saveexec_b64 s[62:63], vcc
	s_xor_b64 s[62:63], exec, s[62:63]
	s_cbranch_execz .LBB14_6498
; %bb.6491:
	v_and_b32_e32 v3, 0x7fffffff, v50
	s_mov_b32 vcc_lo, 0x47800000
	v_cmp_gt_u32_e32 vcc, vcc_lo, v3
	v_mov_b32_e32 v5, 0x80
	s_and_saveexec_b64 s[64:65], vcc
	s_cbranch_execz .LBB14_6497
; %bb.6492:
	s_mov_b32 vcc_lo, 0x37ffffff
	v_cmp_lt_u32_e32 vcc, vcc_lo, v3
	s_mov_b64 s[66:67], 0
                                        ; implicit-def: $vgpr3
	s_and_saveexec_b64 s[68:69], vcc
	s_xor_b64 vcc, exec, s[68:69]
	s_cbranch_execnz .LBB14_7329
; %bb.6493:
	s_or_saveexec_b64 s[68:69], vcc
                                        ; implicit-def: $sgpr70
	s_xor_b64 exec, exec, s[68:69]
	s_cbranch_execnz .LBB14_7330
.LBB14_6494:
	s_or_b64 exec, exec, s[68:69]
	v_mov_b32_e32 v5, s70
	s_and_saveexec_b64 vcc, s[66:67]
.LBB14_6495:
	v_lshrrev_b32_e32 v5, 24, v50
	s_movk_i32 s66, 0x80
	v_and_or_b32 v5, v5, s66, v3
.LBB14_6496:
	s_or_b64 exec, exec, vcc
.LBB14_6497:
	s_or_b64 exec, exec, s[64:65]
	flat_store_byte v[52:53], v5
                                        ; implicit-def: $vgpr50
                                        ; implicit-def: $vgpr52_vgpr53
.LBB14_6498:
	s_andn2_saveexec_b64 s[62:63], s[62:63]
	s_cbranch_execz .LBB14_6508
; %bb.6499:
	v_and_b32_e32 v5, 0x7fffffff, v50
	s_mov_b32 vcc_lo, 0x43f00000
	v_cmp_gt_u32_e32 vcc, vcc_lo, v5
                                        ; implicit-def: $vgpr3
	s_and_saveexec_b64 s[64:65], vcc
	s_xor_b64 s[64:65], exec, s[64:65]
	s_cbranch_execz .LBB14_6505
; %bb.6500:
	s_mov_b32 vcc_lo, 0x3c7fffff
	v_cmp_lt_u32_e32 vcc, vcc_lo, v5
                                        ; implicit-def: $vgpr3
	s_and_saveexec_b64 s[66:67], vcc
	s_xor_b64 s[66:67], exec, s[66:67]
; %bb.6501:
	v_bfe_u32 v3, v50, 20, 1
	s_mov_b32 vcc_lo, 0x407ffff
	v_add3_u32 v3, v50, v3, vcc_lo
	v_lshrrev_b32_e32 v5, 20, v3
	v_and_b32_e32 v3, 0xff00000, v3
	s_mov_b32 vcc_lo, 0x7f00000
	v_mov_b32_e32 v7, 0x7e
	v_cmp_ne_u32_e32 vcc, vcc_lo, v3
	v_cndmask_b32_e32 v3, v7, v5, vcc
; %bb.6502:
	s_andn2_saveexec_b64 vcc, s[66:67]
; %bb.6503:
	s_mov_b32 s66, 0x46800000
	v_add_f32_e64 v3, |v50|, s66
; %bb.6504:
	s_or_b64 exec, exec, vcc
                                        ; implicit-def: $vgpr5
.LBB14_6505:
	s_andn2_saveexec_b64 s[64:65], s[64:65]
; %bb.6506:
	s_mov_b32 vcc_lo, 0x7f800000
	v_mov_b32_e32 v3, 0x7e
	v_mov_b32_e32 v7, 0x7f
	v_cmp_lt_u32_e32 vcc, vcc_lo, v5
	v_cndmask_b32_e32 v3, v3, v7, vcc
; %bb.6507:
	s_or_b64 exec, exec, s[64:65]
	v_lshrrev_b32_e32 v5, 24, v50
	s_movk_i32 vcc_lo, 0x80
	v_and_or_b32 v3, v5, vcc_lo, v3
	flat_store_byte v[52:53], v3
.LBB14_6508:
	s_or_b64 exec, exec, s[62:63]
                                        ; implicit-def: $vgpr50
                                        ; implicit-def: $vgpr52_vgpr53
.LBB14_6509:
	s_andn2_saveexec_b64 s[60:61], s[60:61]
	s_cbranch_execz .LBB14_6519
; %bb.6510:
	v_and_b32_e32 v5, 0x7fffffff, v50
	s_mov_b32 vcc_lo, 0x47800000
	v_cmp_gt_u32_e32 vcc, vcc_lo, v5
                                        ; implicit-def: $vgpr3
	s_and_saveexec_b64 s[62:63], vcc
	s_xor_b64 s[62:63], exec, s[62:63]
	s_cbranch_execz .LBB14_6516
; %bb.6511:
	s_mov_b32 vcc_lo, 0x387fffff
	v_cmp_lt_u32_e32 vcc, vcc_lo, v5
                                        ; implicit-def: $vgpr3
	s_and_saveexec_b64 s[64:65], vcc
	s_xor_b64 vcc, exec, s[64:65]
; %bb.6512:
	v_bfe_u32 v3, v50, 21, 1
	s_mov_b32 s64, 0x80fffff
	v_add3_u32 v3, v50, v3, s64
	v_lshrrev_b32_e32 v3, 21, v3
; %bb.6513:
	s_andn2_saveexec_b64 vcc, vcc
; %bb.6514:
	s_mov_b32 s64, 0x43000000
	v_add_f32_e64 v3, |v50|, s64
; %bb.6515:
	s_or_b64 exec, exec, vcc
                                        ; implicit-def: $vgpr5
.LBB14_6516:
	s_andn2_saveexec_b64 s[62:63], s[62:63]
; %bb.6517:
	s_mov_b32 vcc_lo, 0x7f800000
	v_mov_b32_e32 v3, 0x7c
	v_mov_b32_e32 v7, 0x7f
	v_cmp_lt_u32_e32 vcc, vcc_lo, v5
	v_cndmask_b32_e32 v3, v3, v7, vcc
; %bb.6518:
	s_or_b64 exec, exec, s[62:63]
	v_lshrrev_b32_e32 v5, 24, v50
	s_movk_i32 vcc_lo, 0x80
	v_and_or_b32 v3, v5, vcc_lo, v3
	flat_store_byte v[52:53], v3
.LBB14_6519:
	s_or_b64 exec, exec, s[60:61]
	s_or_b64 s[60:61], s[4:5], exec
                                        ; implicit-def: $vgpr52_vgpr53
                                        ; implicit-def: $vgpr50
.LBB14_6520:
	s_or_saveexec_b64 s[58:59], s[58:59]
	s_mov_b64 s[62:63], s[54:55]
	s_xor_b64 exec, exec, s[58:59]
	s_cbranch_execz .LBB14_6530
; %bb.6521:
	v_mov_b32_e32 v3, 14
	v_cmp_gt_i16_sdwa s[64:65], v11, v3 src0_sel:BYTE_0 src1_sel:DWORD
	s_mov_b64 vcc, s[60:61]
	s_mov_b64 s[62:63], s[54:55]
	s_and_saveexec_b64 s[66:67], s[64:65]
	s_xor_b64 s[64:65], exec, s[66:67]
	s_cbranch_execz .LBB14_6525
; %bb.6522:
	v_mov_b32_e32 v3, 15
	v_cmp_eq_u16_sdwa s[68:69], v11, v3 src0_sel:BYTE_0 src1_sel:DWORD
	s_mov_b64 s[66:67], -1
	s_mov_b64 vcc, s[60:61]
	s_and_saveexec_b64 s[62:63], s[68:69]
	s_cbranch_execz .LBB14_6524
; %bb.6523:
	v_bfe_u32 v3, v50, 16, 1
	s_movk_i32 vcc_lo, 0x7fff
	v_add3_u32 v3, v50, v3, vcc_lo
	v_lshrrev_b32_e32 v3, 16, v3
	v_mov_b32_e32 v5, 0x7fc0
	v_cmp_o_f32_e32 vcc, v50, v50
	v_cndmask_b32_e32 v3, v5, v3, vcc
	flat_store_short v[52:53], v3
	s_xor_b64 s[66:67], exec, -1
	s_or_b64 vcc, s[60:61], exec
.LBB14_6524:
	s_or_b64 exec, exec, s[62:63]
	s_andn2_b64 s[62:63], s[54:55], exec
	s_and_b64 s[66:67], s[66:67], exec
	s_or_b64 s[62:63], s[62:63], s[66:67]
	s_andn2_b64 s[66:67], s[60:61], exec
	s_and_b64 vcc, vcc, exec
	s_or_b64 vcc, s[66:67], vcc
                                        ; implicit-def: $vgpr52_vgpr53
.LBB14_6525:
	s_andn2_saveexec_b64 s[64:65], s[64:65]
	s_cbranch_execz .LBB14_6529
; %bb.6526:
	v_mov_b32_e32 v3, 11
	v_cmp_eq_u16_sdwa s[72:73], v11, v3 src0_sel:BYTE_0 src1_sel:DWORD
	s_mov_b64 s[68:69], -1
	s_mov_b64 s[66:67], vcc
	s_and_saveexec_b64 s[70:71], s[72:73]
	s_cbranch_execz .LBB14_6528
; %bb.6527:
	v_mov_b32_e32 v3, 1
	flat_store_byte v[52:53], v3
	s_xor_b64 s[68:69], exec, -1
	s_or_b64 s[66:67], vcc, exec
.LBB14_6528:
	s_or_b64 exec, exec, s[70:71]
	s_andn2_b64 s[62:63], s[62:63], exec
	s_and_b64 s[68:69], s[68:69], exec
	s_andn2_b64 vcc, vcc, exec
	s_and_b64 s[66:67], s[66:67], exec
	s_or_b64 s[62:63], s[62:63], s[68:69]
	s_or_b64 vcc, vcc, s[66:67]
.LBB14_6529:
	s_or_b64 exec, exec, s[64:65]
	s_andn2_b64 s[64:65], s[54:55], exec
	s_and_b64 s[62:63], s[62:63], exec
	s_andn2_b64 s[60:61], s[60:61], exec
	s_and_b64 vcc, vcc, exec
	s_or_b64 s[62:63], s[64:65], s[62:63]
	s_or_b64 s[60:61], s[60:61], vcc
.LBB14_6530:
	s_or_b64 exec, exec, s[58:59]
	s_andn2_b64 vcc, s[54:55], exec
	s_and_b64 s[54:55], s[62:63], exec
	s_or_b64 s[54:55], vcc, s[54:55]
	s_andn2_b64 s[4:5], s[4:5], exec
	s_and_b64 vcc, s[60:61], exec
	s_or_b64 s[4:5], s[4:5], vcc
.LBB14_6531:
	s_or_b64 exec, exec, s[56:57]
	s_andn2_b64 vcc, s[46:47], exec
	s_and_b64 s[54:55], s[54:55], exec
	s_or_b64 s[54:55], vcc, s[54:55]
	s_and_b64 s[4:5], s[4:5], exec
                                        ; implicit-def: $vgpr50
                                        ; implicit-def: $vgpr52_vgpr53
	s_andn2_saveexec_b64 s[50:51], s[50:51]
	s_cbranch_execz .LBB14_3944
.LBB14_6532:
	v_mov_b32_e32 v3, 4
	v_cmp_gt_i16_sdwa vcc, v11, v3 src0_sel:BYTE_0 src1_sel:DWORD
	s_and_saveexec_b64 s[56:57], vcc
	s_xor_b64 vcc, exec, s[56:57]
	s_cbranch_execz .LBB14_6554
; %bb.6533:
	v_mov_b32_e32 v3, 7
	v_cmp_gt_i16_sdwa s[56:57], v11, v3 src0_sel:BYTE_0 src1_sel:DWORD
	s_and_saveexec_b64 s[58:59], s[56:57]
	s_xor_b64 s[56:57], exec, s[58:59]
	s_cbranch_execz .LBB14_6543
; %bb.6534:
	v_mov_b32_e32 v3, 8
	v_cmp_gt_i16_sdwa s[58:59], v11, v3 src0_sel:BYTE_0 src1_sel:DWORD
	s_and_saveexec_b64 s[60:61], s[58:59]
	s_xor_b64 s[58:59], exec, s[60:61]
	;; [unrolled: 6-line block ×3, first 2 shown]
	s_cbranch_execz .LBB14_6537
; %bb.6536:
	s_waitcnt vmcnt(0) lgkmcnt(0)
	v_mov_b32_e32 v66, 0
	v_cvt_f64_f32_e32 v[64:65], v50
	v_mov_b32_e32 v67, v66
	flat_store_dwordx4 v[52:53], v[64:67]
                                        ; implicit-def: $vgpr50
                                        ; implicit-def: $vgpr52_vgpr53
.LBB14_6537:
	s_andn2_saveexec_b64 s[60:61], s[60:61]
	s_cbranch_execz .LBB14_6539
; %bb.6538:
	v_mov_b32_e32 v51, 0
	flat_store_dwordx2 v[52:53], v[50:51]
.LBB14_6539:
	s_or_b64 exec, exec, s[60:61]
                                        ; implicit-def: $vgpr50
                                        ; implicit-def: $vgpr52_vgpr53
.LBB14_6540:
	s_andn2_saveexec_b64 s[58:59], s[58:59]
	s_cbranch_execz .LBB14_6542
; %bb.6541:
	v_cvt_f16_f32_e32 v3, v50
	flat_store_dword v[52:53], v3
.LBB14_6542:
	s_or_b64 exec, exec, s[58:59]
                                        ; implicit-def: $vgpr50
                                        ; implicit-def: $vgpr52_vgpr53
.LBB14_6543:
	s_andn2_saveexec_b64 s[56:57], s[56:57]
	s_cbranch_execz .LBB14_6553
; %bb.6544:
	v_mov_b32_e32 v3, 5
	v_cmp_gt_i16_sdwa s[58:59], v11, v3 src0_sel:BYTE_0 src1_sel:DWORD
	s_and_saveexec_b64 s[60:61], s[58:59]
	s_xor_b64 s[58:59], exec, s[60:61]
	s_cbranch_execz .LBB14_6550
; %bb.6545:
	v_mov_b32_e32 v3, 6
	v_cmp_gt_i16_sdwa s[60:61], v11, v3 src0_sel:BYTE_0 src1_sel:DWORD
	s_and_saveexec_b64 s[62:63], s[60:61]
	s_xor_b64 s[60:61], exec, s[62:63]
	s_cbranch_execz .LBB14_6547
; %bb.6546:
	v_cvt_f64_f32_e32 v[50:51], v50
	flat_store_dwordx2 v[52:53], v[50:51]
                                        ; implicit-def: $vgpr52_vgpr53
                                        ; implicit-def: $vgpr50
.LBB14_6547:
	s_andn2_saveexec_b64 s[60:61], s[60:61]
	s_cbranch_execz .LBB14_6549
; %bb.6548:
	flat_store_dword v[52:53], v50
.LBB14_6549:
	s_or_b64 exec, exec, s[60:61]
                                        ; implicit-def: $vgpr50
                                        ; implicit-def: $vgpr52_vgpr53
.LBB14_6550:
	s_andn2_saveexec_b64 s[58:59], s[58:59]
	s_cbranch_execz .LBB14_6552
; %bb.6551:
	v_cvt_f16_f32_e32 v3, v50
	flat_store_short v[52:53], v3
.LBB14_6552:
	s_or_b64 exec, exec, s[58:59]
.LBB14_6553:
	s_or_b64 exec, exec, s[56:57]
                                        ; implicit-def: $vgpr50
                                        ; implicit-def: $vgpr52_vgpr53
.LBB14_6554:
	s_andn2_saveexec_b64 s[56:57], vcc
	s_cbranch_execz .LBB14_6572
; %bb.6555:
	v_mov_b32_e32 v3, 1
	v_cmp_gt_i16_sdwa vcc, v11, v3 src0_sel:BYTE_0 src1_sel:DWORD
	s_and_saveexec_b64 s[58:59], vcc
	s_xor_b64 s[58:59], exec, s[58:59]
	s_cbranch_execz .LBB14_6565
; %bb.6556:
	v_mov_b32_e32 v3, 2
	v_cmp_gt_i16_sdwa vcc, v11, v3 src0_sel:BYTE_0 src1_sel:DWORD
	s_and_saveexec_b64 s[60:61], vcc
	s_xor_b64 s[60:61], exec, s[60:61]
	;; [unrolled: 6-line block ×3, first 2 shown]
	s_cbranch_execz .LBB14_6559
; %bb.6558:
	v_trunc_f32_e32 v3, v50
	s_mov_b32 s64, 0x2f800000
	v_mul_f32_e64 v5, |v3|, s64
	v_floor_f32_e32 v5, v5
	s_mov_b32 s64, 0xcf800000
	v_cvt_u32_f32_e32 v7, v5
	v_fma_f32 v5, v5, s64, |v3|
	v_cvt_u32_f32_e32 v5, v5
	v_ashrrev_i32_e32 v3, 31, v3
	v_xor_b32_e32 v7, v7, v3
	v_xor_b32_e32 v5, v5, v3
	v_sub_co_u32_e32 v50, vcc, v5, v3
	v_subb_co_u32_e32 v51, vcc, v7, v3, vcc
	flat_store_dwordx2 v[52:53], v[50:51]
                                        ; implicit-def: $vgpr50
                                        ; implicit-def: $vgpr52_vgpr53
.LBB14_6559:
	s_andn2_saveexec_b64 vcc, s[62:63]
	s_cbranch_execz .LBB14_6561
; %bb.6560:
	v_cvt_i32_f32_e32 v3, v50
	flat_store_dword v[52:53], v3
.LBB14_6561:
	s_or_b64 exec, exec, vcc
                                        ; implicit-def: $vgpr50
                                        ; implicit-def: $vgpr52_vgpr53
.LBB14_6562:
	s_andn2_saveexec_b64 vcc, s[60:61]
	s_cbranch_execz .LBB14_6564
; %bb.6563:
	v_cvt_i32_f32_e32 v3, v50
	flat_store_short v[52:53], v3
.LBB14_6564:
	s_or_b64 exec, exec, vcc
                                        ; implicit-def: $vgpr50
                                        ; implicit-def: $vgpr52_vgpr53
.LBB14_6565:
	s_andn2_saveexec_b64 vcc, s[58:59]
	s_cbranch_execz .LBB14_6571
; %bb.6566:
	v_mov_b32_e32 v3, 0
	v_cmp_gt_i16_sdwa s[58:59], v11, v3 src0_sel:BYTE_0 src1_sel:DWORD
	s_and_saveexec_b64 s[60:61], s[58:59]
	s_xor_b64 s[58:59], exec, s[60:61]
	s_cbranch_execz .LBB14_6568
; %bb.6567:
	v_cvt_i32_f32_e32 v3, v50
                                        ; implicit-def: $vgpr50
	flat_store_byte v[52:53], v3
                                        ; implicit-def: $vgpr52_vgpr53
.LBB14_6568:
	s_andn2_saveexec_b64 s[58:59], s[58:59]
	s_cbranch_execz .LBB14_6570
; %bb.6569:
	v_trunc_f32_e32 v3, v50
	s_mov_b32 s60, 0x2f800000
	v_mul_f32_e64 v5, |v3|, s60
	v_floor_f32_e32 v5, v5
	s_mov_b32 s60, 0xcf800000
	v_fma_f32 v5, v5, s60, |v3|
	v_cvt_u32_f32_e32 v5, v5
	v_ashrrev_i32_e32 v3, 31, v3
	v_xor_b32_e32 v5, v5, v3
	v_sub_u32_e32 v3, v5, v3
	flat_store_byte v[52:53], v3
.LBB14_6570:
	s_or_b64 exec, exec, s[58:59]
.LBB14_6571:
	s_or_b64 exec, exec, vcc
.LBB14_6572:
	s_or_b64 exec, exec, s[56:57]
	s_or_b64 s[4:5], s[4:5], exec
	s_or_b64 exec, exec, s[50:51]
	s_mov_b64 vcc, 0
	s_and_saveexec_b64 s[50:51], s[4:5]
	s_cbranch_execnz .LBB14_3945
	s_branch .LBB14_3946
.LBB14_6573:
	v_bfe_u32 v3, v70, 21, 1
	s_mov_b32 s60, 0x88fffff
	v_add3_u32 v3, v70, v3, s60
	s_mov_b64 s[58:59], exec
	v_lshrrev_b32_e32 v3, 21, v3
	s_or_saveexec_b64 s[60:61], vcc
                                        ; implicit-def: $sgpr62
	s_xor_b64 exec, exec, s[60:61]
	s_cbranch_execz .LBB14_5738
.LBB14_6574:
	s_mov_b32 s62, 0x42800000
	v_add_f32_e64 v3, |v70|, s62
	v_and_b32_e32 v3, 0xff, v3
	v_cmp_ne_u32_e32 vcc, 0, v3
	s_andn2_b64 s[58:59], s[58:59], exec
	s_and_b64 vcc, vcc, exec
	s_mov_b32 s62, 0
	s_or_b64 s[58:59], s[58:59], vcc
	s_or_b64 exec, exec, s[60:61]
	v_mov_b32_e32 v5, s62
	s_and_saveexec_b64 vcc, s[58:59]
	s_cbranch_execnz .LBB14_5739
	s_branch .LBB14_5740
.LBB14_6575:
	v_bfe_u32 v3, v68, 20, 1
	s_mov_b32 s58, 0x487ffff
	v_add3_u32 v3, v68, v3, s58
	s_mov_b64 s[56:57], exec
	v_lshrrev_b32_e32 v3, 20, v3
	s_or_saveexec_b64 s[58:59], vcc
                                        ; implicit-def: $sgpr60
	s_xor_b64 exec, exec, s[58:59]
	s_cbranch_execz .LBB14_5851
.LBB14_6576:
	s_mov_b32 s60, 0x46000000
	v_add_f32_e64 v3, |v68|, s60
	v_and_b32_e32 v3, 0xff, v3
	v_cmp_ne_u32_e32 vcc, 0, v3
	s_andn2_b64 s[56:57], s[56:57], exec
	s_and_b64 vcc, vcc, exec
	s_mov_b32 s60, 0
	s_or_b64 s[56:57], s[56:57], vcc
	s_or_b64 exec, exec, s[58:59]
	v_mov_b32_e32 v5, s60
	s_and_saveexec_b64 vcc, s[56:57]
	s_cbranch_execnz .LBB14_5852
	s_branch .LBB14_5853
.LBB14_6577:
	v_mov_b32_e32 v3, 25
	v_cmp_gt_i16_sdwa vcc, v11, v3 src0_sel:BYTE_0 src1_sel:DWORD
	s_mov_b64 s[58:59], s[50:51]
	s_and_saveexec_b64 s[60:61], vcc
	s_xor_b64 s[60:61], exec, s[60:61]
	s_cbranch_execz .LBB14_6613
; %bb.6578:
	v_mov_b32_e32 v3, 28
	v_cmp_gt_i16_sdwa vcc, v11, v3 src0_sel:BYTE_0 src1_sel:DWORD
	s_mov_b64 s[62:63], s[50:51]
	s_and_saveexec_b64 s[58:59], vcc
	s_xor_b64 s[58:59], exec, s[58:59]
	s_cbranch_execz .LBB14_6596
; %bb.6579:
	v_mov_b32_e32 v3, 43
	v_cmp_gt_i16_sdwa s[62:63], v11, v3 src0_sel:BYTE_0 src1_sel:DWORD
	s_mov_b64 vcc, s[50:51]
	s_and_saveexec_b64 s[64:65], s[62:63]
	s_xor_b64 s[62:63], exec, s[64:65]
	s_cbranch_execz .LBB14_6591
; %bb.6580:
	v_mov_b32_e32 v3, 45
	v_cmp_gt_i16_sdwa s[4:5], v11, v3 src0_sel:BYTE_0 src1_sel:DWORD
	s_mov_b64 s[64:65], 0
	s_mov_b64 s[66:67], s[50:51]
	s_and_saveexec_b64 vcc, s[4:5]
	s_xor_b64 s[4:5], exec, vcc
	s_cbranch_execz .LBB14_6584
; %bb.6581:
	v_mov_b32_e32 v3, 46
	v_cmp_eq_u16_sdwa s[68:69], v11, v3 src0_sel:BYTE_0 src1_sel:DWORD
	s_mov_b64 vcc, -1
	s_and_saveexec_b64 s[66:67], s[68:69]
	s_cbranch_execz .LBB14_6583
; %bb.6582:
	v_bfe_u32 v3, v48, 16, 1
	s_movk_i32 vcc_lo, 0x7fff
	v_add3_u32 v3, v48, v3, vcc_lo
	v_lshrrev_b32_e32 v3, 16, v3
	v_mov_b32_e32 v5, 0x7fc0
	v_cmp_o_f32_e32 vcc, v48, v48
	v_cndmask_b32_e32 v3, v5, v3, vcc
	s_mov_b64 s[64:65], exec
	flat_store_dword v[50:51], v3
	s_xor_b64 vcc, exec, -1
.LBB14_6583:
	s_or_b64 exec, exec, s[66:67]
	s_andn2_b64 s[66:67], s[50:51], exec
	s_and_b64 vcc, vcc, exec
	s_or_b64 s[66:67], s[66:67], vcc
	s_and_b64 s[64:65], s[64:65], exec
                                        ; implicit-def: $vgpr50_vgpr51
                                        ; implicit-def: $vgpr48
.LBB14_6584:
	s_andn2_saveexec_b64 s[68:69], s[4:5]
	s_cbranch_execz .LBB14_6590
; %bb.6585:
	v_mov_b32_e32 v3, 44
	v_cmp_eq_u16_sdwa s[72:73], v11, v3 src0_sel:BYTE_0 src1_sel:DWORD
	s_mov_b64 vcc, -1
	s_mov_b64 s[4:5], s[64:65]
	s_and_saveexec_b64 s[70:71], s[72:73]
	s_cbranch_execz .LBB14_6589
; %bb.6586:
	v_bfe_u32 v3, v48, 23, 8
	s_movk_i32 s4, 0xff
	v_cmp_ne_u32_e32 vcc, s4, v3
	v_mov_b32_e32 v5, 0xff
	s_and_saveexec_b64 s[72:73], vcc
; %bb.6587:
	s_mov_b32 s4, 0x3fffff
	v_and_b32_e32 v7, 0x400000, v48
	v_and_or_b32 v3, v48, s4, v3
	v_cmp_ne_u32_e32 vcc, 0, v7
	v_cmp_ne_u32_e64 s[4:5], 0, v3
	s_and_b64 s[4:5], vcc, s[4:5]
	v_lshrrev_b32_e32 v5, 23, v48
	v_cndmask_b32_e64 v3, 0, 1, s[4:5]
	v_add_u32_e32 v5, v5, v3
; %bb.6588:
	s_or_b64 exec, exec, s[72:73]
	s_xor_b64 vcc, exec, -1
	s_or_b64 s[4:5], s[64:65], exec
	flat_store_byte v[50:51], v5
.LBB14_6589:
	s_or_b64 exec, exec, s[70:71]
	s_andn2_b64 s[66:67], s[66:67], exec
	s_and_b64 vcc, vcc, exec
	s_or_b64 s[66:67], s[66:67], vcc
	s_andn2_b64 vcc, s[64:65], exec
	s_and_b64 s[4:5], s[4:5], exec
	s_or_b64 s[64:65], vcc, s[4:5]
.LBB14_6590:
	s_or_b64 exec, exec, s[68:69]
	s_andn2_b64 s[4:5], s[50:51], exec
	s_and_b64 vcc, s[66:67], exec
	s_or_b64 vcc, s[4:5], vcc
	s_and_b64 s[4:5], s[64:65], exec
                                        ; implicit-def: $vgpr48
                                        ; implicit-def: $vgpr50_vgpr51
.LBB14_6591:
	s_andn2_saveexec_b64 s[62:63], s[62:63]
	s_cbranch_execz .LBB14_6595
; %bb.6592:
	v_mov_b32_e32 v3, 29
	v_cmp_eq_u16_sdwa s[70:71], v11, v3 src0_sel:BYTE_0 src1_sel:DWORD
	s_mov_b64 s[68:69], -1
	s_mov_b64 s[66:67], s[4:5]
	s_and_saveexec_b64 s[64:65], s[70:71]
	s_cbranch_execz .LBB14_6594
; %bb.6593:
	v_trunc_f32_e32 v3, v48
	v_mul_f32_e32 v5, 0x2f800000, v3
	v_floor_f32_e32 v5, v5
	v_fmac_f32_e32 v3, 0xcf800000, v5
	v_cvt_u32_f32_e32 v49, v5
	v_cvt_u32_f32_e32 v48, v3
	s_xor_b64 s[68:69], exec, -1
	s_or_b64 s[66:67], s[4:5], exec
	flat_store_dwordx2 v[50:51], v[48:49]
.LBB14_6594:
	s_or_b64 exec, exec, s[64:65]
	s_andn2_b64 vcc, vcc, exec
	s_and_b64 s[64:65], s[68:69], exec
	s_or_b64 vcc, vcc, s[64:65]
	s_andn2_b64 s[4:5], s[4:5], exec
	s_and_b64 s[64:65], s[66:67], exec
	s_or_b64 s[4:5], s[4:5], s[64:65]
.LBB14_6595:
	s_or_b64 exec, exec, s[62:63]
	s_andn2_b64 s[62:63], s[50:51], exec
	s_and_b64 vcc, vcc, exec
	s_or_b64 s[62:63], s[62:63], vcc
	s_and_b64 s[4:5], s[4:5], exec
                                        ; implicit-def: $vgpr50_vgpr51
                                        ; implicit-def: $vgpr48
.LBB14_6596:
	s_andn2_saveexec_b64 s[58:59], s[58:59]
	s_cbranch_execz .LBB14_6612
; %bb.6597:
	v_mov_b32_e32 v3, 26
	v_cmp_gt_i16_sdwa vcc, v11, v3 src0_sel:BYTE_0 src1_sel:DWORD
	s_and_saveexec_b64 s[64:65], vcc
	s_xor_b64 vcc, exec, s[64:65]
	s_cbranch_execz .LBB14_6603
; %bb.6598:
	v_cvt_u32_f32_e32 v3, v48
	v_mov_b32_e32 v5, 27
	v_cmp_gt_i16_sdwa s[64:65], v11, v5 src0_sel:BYTE_0 src1_sel:DWORD
	s_and_saveexec_b64 s[66:67], s[64:65]
	s_xor_b64 s[64:65], exec, s[66:67]
	s_cbranch_execz .LBB14_6600
; %bb.6599:
	flat_store_dword v[50:51], v3
                                        ; implicit-def: $vgpr50_vgpr51
                                        ; implicit-def: $vgpr3
.LBB14_6600:
	s_andn2_saveexec_b64 s[64:65], s[64:65]
	s_cbranch_execz .LBB14_6602
; %bb.6601:
	flat_store_short v[50:51], v3
.LBB14_6602:
	s_or_b64 exec, exec, s[64:65]
                                        ; implicit-def: $vgpr50_vgpr51
                                        ; implicit-def: $vgpr48
.LBB14_6603:
	s_andn2_saveexec_b64 s[64:65], vcc
	s_cbranch_execz .LBB14_6611
; %bb.6604:
	v_and_b32_e32 v3, 0x7fffffff, v48
	s_mov_b32 vcc_lo, 0x43800000
	v_cmp_gt_u32_e32 vcc, vcc_lo, v3
	v_mov_b32_e32 v5, 0x80
	s_and_saveexec_b64 s[66:67], vcc
	s_cbranch_execz .LBB14_6610
; %bb.6605:
	s_mov_b32 vcc_lo, 0x3bffffff
	v_cmp_lt_u32_e32 vcc, vcc_lo, v3
	s_mov_b64 s[68:69], 0
                                        ; implicit-def: $vgpr3
	s_and_saveexec_b64 s[70:71], vcc
	s_xor_b64 vcc, exec, s[70:71]
	s_cbranch_execnz .LBB14_7331
; %bb.6606:
	s_or_saveexec_b64 s[70:71], vcc
                                        ; implicit-def: $sgpr72
	s_xor_b64 exec, exec, s[70:71]
	s_cbranch_execnz .LBB14_7332
.LBB14_6607:
	s_or_b64 exec, exec, s[70:71]
	v_mov_b32_e32 v5, s72
	s_and_saveexec_b64 vcc, s[68:69]
.LBB14_6608:
	v_lshrrev_b32_e32 v5, 24, v48
	s_movk_i32 s68, 0x80
	v_and_or_b32 v5, v5, s68, v3
.LBB14_6609:
	s_or_b64 exec, exec, vcc
.LBB14_6610:
	s_or_b64 exec, exec, s[66:67]
	flat_store_byte v[50:51], v5
.LBB14_6611:
	s_or_b64 exec, exec, s[64:65]
	s_or_b64 s[4:5], s[4:5], exec
.LBB14_6612:
	s_or_b64 exec, exec, s[58:59]
	s_andn2_b64 vcc, s[50:51], exec
	s_and_b64 s[58:59], s[62:63], exec
	s_or_b64 s[58:59], vcc, s[58:59]
	s_and_b64 s[4:5], s[4:5], exec
                                        ; implicit-def: $vgpr48
                                        ; implicit-def: $vgpr50_vgpr51
.LBB14_6613:
	s_andn2_saveexec_b64 s[60:61], s[60:61]
	s_cbranch_execz .LBB14_6657
; %bb.6614:
	v_mov_b32_e32 v3, 22
	v_cmp_gt_i16_sdwa vcc, v11, v3 src0_sel:BYTE_0 src1_sel:DWORD
	s_mov_b64 s[64:65], s[4:5]
	s_and_saveexec_b64 s[62:63], vcc
	s_xor_b64 s[62:63], exec, s[62:63]
	s_cbranch_execz .LBB14_6646
; %bb.6615:
	v_mov_b32_e32 v3, 23
	v_cmp_gt_i16_sdwa vcc, v11, v3 src0_sel:BYTE_0 src1_sel:DWORD
	s_and_saveexec_b64 s[64:65], vcc
	s_xor_b64 s[64:65], exec, s[64:65]
	s_cbranch_execz .LBB14_6635
; %bb.6616:
	v_mov_b32_e32 v3, 24
	v_cmp_gt_i16_sdwa vcc, v11, v3 src0_sel:BYTE_0 src1_sel:DWORD
	s_and_saveexec_b64 s[66:67], vcc
	s_xor_b64 s[66:67], exec, s[66:67]
	s_cbranch_execz .LBB14_6624
; %bb.6617:
	v_and_b32_e32 v3, 0x7fffffff, v48
	s_mov_b32 vcc_lo, 0x47800000
	v_cmp_gt_u32_e32 vcc, vcc_lo, v3
	v_mov_b32_e32 v5, 0x80
	s_and_saveexec_b64 s[68:69], vcc
	s_cbranch_execz .LBB14_6623
; %bb.6618:
	s_mov_b32 vcc_lo, 0x37ffffff
	v_cmp_lt_u32_e32 vcc, vcc_lo, v3
	s_mov_b64 s[70:71], 0
                                        ; implicit-def: $vgpr3
	s_and_saveexec_b64 s[72:73], vcc
	s_xor_b64 vcc, exec, s[72:73]
	s_cbranch_execnz .LBB14_7455
; %bb.6619:
	s_or_saveexec_b64 s[72:73], vcc
                                        ; implicit-def: $sgpr74
	s_xor_b64 exec, exec, s[72:73]
	s_cbranch_execnz .LBB14_7456
.LBB14_6620:
	s_or_b64 exec, exec, s[72:73]
	v_mov_b32_e32 v5, s74
	s_and_saveexec_b64 vcc, s[70:71]
.LBB14_6621:
	v_lshrrev_b32_e32 v5, 24, v48
	s_movk_i32 s70, 0x80
	v_and_or_b32 v5, v5, s70, v3
.LBB14_6622:
	s_or_b64 exec, exec, vcc
.LBB14_6623:
	s_or_b64 exec, exec, s[68:69]
	flat_store_byte v[50:51], v5
                                        ; implicit-def: $vgpr48
                                        ; implicit-def: $vgpr50_vgpr51
.LBB14_6624:
	s_andn2_saveexec_b64 s[66:67], s[66:67]
	s_cbranch_execz .LBB14_6634
; %bb.6625:
	v_and_b32_e32 v5, 0x7fffffff, v48
	s_mov_b32 vcc_lo, 0x43f00000
	v_cmp_gt_u32_e32 vcc, vcc_lo, v5
                                        ; implicit-def: $vgpr3
	s_and_saveexec_b64 s[68:69], vcc
	s_xor_b64 s[68:69], exec, s[68:69]
	s_cbranch_execz .LBB14_6631
; %bb.6626:
	s_mov_b32 vcc_lo, 0x3c7fffff
	v_cmp_lt_u32_e32 vcc, vcc_lo, v5
                                        ; implicit-def: $vgpr3
	s_and_saveexec_b64 s[70:71], vcc
	s_xor_b64 s[70:71], exec, s[70:71]
; %bb.6627:
	v_bfe_u32 v3, v48, 20, 1
	s_mov_b32 vcc_lo, 0x407ffff
	v_add3_u32 v3, v48, v3, vcc_lo
	v_lshrrev_b32_e32 v5, 20, v3
	v_and_b32_e32 v3, 0xff00000, v3
	s_mov_b32 vcc_lo, 0x7f00000
	v_mov_b32_e32 v7, 0x7e
	v_cmp_ne_u32_e32 vcc, vcc_lo, v3
	v_cndmask_b32_e32 v3, v7, v5, vcc
; %bb.6628:
	s_andn2_saveexec_b64 vcc, s[70:71]
; %bb.6629:
	s_mov_b32 s70, 0x46800000
	v_add_f32_e64 v3, |v48|, s70
; %bb.6630:
	s_or_b64 exec, exec, vcc
                                        ; implicit-def: $vgpr5
.LBB14_6631:
	s_andn2_saveexec_b64 s[68:69], s[68:69]
; %bb.6632:
	s_mov_b32 vcc_lo, 0x7f800000
	v_mov_b32_e32 v3, 0x7e
	v_mov_b32_e32 v7, 0x7f
	v_cmp_lt_u32_e32 vcc, vcc_lo, v5
	v_cndmask_b32_e32 v3, v3, v7, vcc
; %bb.6633:
	s_or_b64 exec, exec, s[68:69]
	v_lshrrev_b32_e32 v5, 24, v48
	s_movk_i32 vcc_lo, 0x80
	v_and_or_b32 v3, v5, vcc_lo, v3
	flat_store_byte v[50:51], v3
.LBB14_6634:
	s_or_b64 exec, exec, s[66:67]
                                        ; implicit-def: $vgpr48
                                        ; implicit-def: $vgpr50_vgpr51
.LBB14_6635:
	s_andn2_saveexec_b64 s[64:65], s[64:65]
	s_cbranch_execz .LBB14_6645
; %bb.6636:
	v_and_b32_e32 v5, 0x7fffffff, v48
	s_mov_b32 vcc_lo, 0x47800000
	v_cmp_gt_u32_e32 vcc, vcc_lo, v5
                                        ; implicit-def: $vgpr3
	s_and_saveexec_b64 s[66:67], vcc
	s_xor_b64 s[66:67], exec, s[66:67]
	s_cbranch_execz .LBB14_6642
; %bb.6637:
	s_mov_b32 vcc_lo, 0x387fffff
	v_cmp_lt_u32_e32 vcc, vcc_lo, v5
                                        ; implicit-def: $vgpr3
	s_and_saveexec_b64 s[68:69], vcc
	s_xor_b64 vcc, exec, s[68:69]
; %bb.6638:
	v_bfe_u32 v3, v48, 21, 1
	s_mov_b32 s68, 0x80fffff
	v_add3_u32 v3, v48, v3, s68
	v_lshrrev_b32_e32 v3, 21, v3
; %bb.6639:
	s_andn2_saveexec_b64 vcc, vcc
; %bb.6640:
	s_mov_b32 s68, 0x43000000
	v_add_f32_e64 v3, |v48|, s68
; %bb.6641:
	s_or_b64 exec, exec, vcc
                                        ; implicit-def: $vgpr5
.LBB14_6642:
	s_andn2_saveexec_b64 s[66:67], s[66:67]
; %bb.6643:
	s_mov_b32 vcc_lo, 0x7f800000
	v_mov_b32_e32 v3, 0x7c
	v_mov_b32_e32 v7, 0x7f
	v_cmp_lt_u32_e32 vcc, vcc_lo, v5
	v_cndmask_b32_e32 v3, v3, v7, vcc
; %bb.6644:
	s_or_b64 exec, exec, s[66:67]
	v_lshrrev_b32_e32 v5, 24, v48
	s_movk_i32 vcc_lo, 0x80
	v_and_or_b32 v3, v5, vcc_lo, v3
	flat_store_byte v[50:51], v3
.LBB14_6645:
	s_or_b64 exec, exec, s[64:65]
	s_or_b64 s[64:65], s[4:5], exec
                                        ; implicit-def: $vgpr50_vgpr51
                                        ; implicit-def: $vgpr48
.LBB14_6646:
	s_or_saveexec_b64 s[62:63], s[62:63]
	s_mov_b64 s[66:67], s[58:59]
	s_xor_b64 exec, exec, s[62:63]
	s_cbranch_execz .LBB14_6656
; %bb.6647:
	v_mov_b32_e32 v3, 14
	v_cmp_gt_i16_sdwa s[68:69], v11, v3 src0_sel:BYTE_0 src1_sel:DWORD
	s_mov_b64 vcc, s[64:65]
	s_mov_b64 s[66:67], s[58:59]
	s_and_saveexec_b64 s[70:71], s[68:69]
	s_xor_b64 s[68:69], exec, s[70:71]
	s_cbranch_execz .LBB14_6651
; %bb.6648:
	v_mov_b32_e32 v3, 15
	v_cmp_eq_u16_sdwa s[72:73], v11, v3 src0_sel:BYTE_0 src1_sel:DWORD
	s_mov_b64 s[70:71], -1
	s_mov_b64 vcc, s[64:65]
	s_and_saveexec_b64 s[66:67], s[72:73]
	s_cbranch_execz .LBB14_6650
; %bb.6649:
	v_bfe_u32 v3, v48, 16, 1
	s_movk_i32 vcc_lo, 0x7fff
	v_add3_u32 v3, v48, v3, vcc_lo
	v_lshrrev_b32_e32 v3, 16, v3
	v_mov_b32_e32 v5, 0x7fc0
	v_cmp_o_f32_e32 vcc, v48, v48
	v_cndmask_b32_e32 v3, v5, v3, vcc
	flat_store_short v[50:51], v3
	s_xor_b64 s[70:71], exec, -1
	s_or_b64 vcc, s[64:65], exec
.LBB14_6650:
	s_or_b64 exec, exec, s[66:67]
	s_andn2_b64 s[66:67], s[58:59], exec
	s_and_b64 s[70:71], s[70:71], exec
	s_or_b64 s[66:67], s[66:67], s[70:71]
	s_andn2_b64 s[70:71], s[64:65], exec
	s_and_b64 vcc, vcc, exec
	s_or_b64 vcc, s[70:71], vcc
                                        ; implicit-def: $vgpr50_vgpr51
.LBB14_6651:
	s_andn2_saveexec_b64 s[68:69], s[68:69]
	s_cbranch_execz .LBB14_6655
; %bb.6652:
	v_mov_b32_e32 v3, 11
	v_cmp_eq_u16_sdwa s[76:77], v11, v3 src0_sel:BYTE_0 src1_sel:DWORD
	s_mov_b64 s[72:73], -1
	s_mov_b64 s[70:71], vcc
	s_and_saveexec_b64 s[74:75], s[76:77]
	s_cbranch_execz .LBB14_6654
; %bb.6653:
	v_mov_b32_e32 v3, 1
	flat_store_byte v[50:51], v3
	s_xor_b64 s[72:73], exec, -1
	s_or_b64 s[70:71], vcc, exec
.LBB14_6654:
	s_or_b64 exec, exec, s[74:75]
	s_andn2_b64 s[66:67], s[66:67], exec
	s_and_b64 s[72:73], s[72:73], exec
	s_andn2_b64 vcc, vcc, exec
	s_and_b64 s[70:71], s[70:71], exec
	s_or_b64 s[66:67], s[66:67], s[72:73]
	s_or_b64 vcc, vcc, s[70:71]
.LBB14_6655:
	s_or_b64 exec, exec, s[68:69]
	s_andn2_b64 s[68:69], s[58:59], exec
	s_and_b64 s[66:67], s[66:67], exec
	s_andn2_b64 s[64:65], s[64:65], exec
	s_and_b64 vcc, vcc, exec
	s_or_b64 s[66:67], s[68:69], s[66:67]
	s_or_b64 s[64:65], s[64:65], vcc
.LBB14_6656:
	s_or_b64 exec, exec, s[62:63]
	s_andn2_b64 vcc, s[58:59], exec
	s_and_b64 s[58:59], s[66:67], exec
	s_or_b64 s[58:59], vcc, s[58:59]
	s_andn2_b64 s[4:5], s[4:5], exec
	s_and_b64 vcc, s[64:65], exec
	s_or_b64 s[4:5], s[4:5], vcc
.LBB14_6657:
	s_or_b64 exec, exec, s[60:61]
	s_andn2_b64 vcc, s[50:51], exec
	s_and_b64 s[58:59], s[58:59], exec
	s_or_b64 s[58:59], vcc, s[58:59]
	s_and_b64 s[4:5], s[4:5], exec
                                        ; implicit-def: $vgpr48
                                        ; implicit-def: $vgpr50_vgpr51
	s_andn2_saveexec_b64 s[54:55], s[54:55]
	s_cbranch_execz .LBB14_3951
.LBB14_6658:
	v_mov_b32_e32 v3, 4
	v_cmp_gt_i16_sdwa vcc, v11, v3 src0_sel:BYTE_0 src1_sel:DWORD
	s_and_saveexec_b64 s[60:61], vcc
	s_xor_b64 vcc, exec, s[60:61]
	s_cbranch_execz .LBB14_6680
; %bb.6659:
	v_mov_b32_e32 v3, 7
	v_cmp_gt_i16_sdwa s[60:61], v11, v3 src0_sel:BYTE_0 src1_sel:DWORD
	s_and_saveexec_b64 s[62:63], s[60:61]
	s_xor_b64 s[60:61], exec, s[62:63]
	s_cbranch_execz .LBB14_6669
; %bb.6660:
	v_mov_b32_e32 v3, 8
	v_cmp_gt_i16_sdwa s[62:63], v11, v3 src0_sel:BYTE_0 src1_sel:DWORD
	s_and_saveexec_b64 s[64:65], s[62:63]
	s_xor_b64 s[62:63], exec, s[64:65]
	;; [unrolled: 6-line block ×3, first 2 shown]
	s_cbranch_execz .LBB14_6663
; %bb.6662:
	v_mov_b32_e32 v54, 0
	v_cvt_f64_f32_e32 v[52:53], v48
	v_mov_b32_e32 v55, v54
	flat_store_dwordx4 v[50:51], v[52:55]
                                        ; implicit-def: $vgpr48
                                        ; implicit-def: $vgpr50_vgpr51
.LBB14_6663:
	s_andn2_saveexec_b64 s[64:65], s[64:65]
	s_cbranch_execz .LBB14_6665
; %bb.6664:
	v_mov_b32_e32 v49, 0
	flat_store_dwordx2 v[50:51], v[48:49]
.LBB14_6665:
	s_or_b64 exec, exec, s[64:65]
                                        ; implicit-def: $vgpr48
                                        ; implicit-def: $vgpr50_vgpr51
.LBB14_6666:
	s_andn2_saveexec_b64 s[62:63], s[62:63]
	s_cbranch_execz .LBB14_6668
; %bb.6667:
	v_cvt_f16_f32_e32 v3, v48
	flat_store_dword v[50:51], v3
.LBB14_6668:
	s_or_b64 exec, exec, s[62:63]
                                        ; implicit-def: $vgpr48
                                        ; implicit-def: $vgpr50_vgpr51
.LBB14_6669:
	s_andn2_saveexec_b64 s[60:61], s[60:61]
	s_cbranch_execz .LBB14_6679
; %bb.6670:
	v_mov_b32_e32 v3, 5
	v_cmp_gt_i16_sdwa s[62:63], v11, v3 src0_sel:BYTE_0 src1_sel:DWORD
	s_and_saveexec_b64 s[64:65], s[62:63]
	s_xor_b64 s[62:63], exec, s[64:65]
	s_cbranch_execz .LBB14_6676
; %bb.6671:
	v_mov_b32_e32 v3, 6
	v_cmp_gt_i16_sdwa s[64:65], v11, v3 src0_sel:BYTE_0 src1_sel:DWORD
	s_and_saveexec_b64 s[66:67], s[64:65]
	s_xor_b64 s[64:65], exec, s[66:67]
	s_cbranch_execz .LBB14_6673
; %bb.6672:
	v_cvt_f64_f32_e32 v[48:49], v48
	flat_store_dwordx2 v[50:51], v[48:49]
                                        ; implicit-def: $vgpr50_vgpr51
                                        ; implicit-def: $vgpr48
.LBB14_6673:
	s_andn2_saveexec_b64 s[64:65], s[64:65]
	s_cbranch_execz .LBB14_6675
; %bb.6674:
	flat_store_dword v[50:51], v48
.LBB14_6675:
	s_or_b64 exec, exec, s[64:65]
                                        ; implicit-def: $vgpr48
                                        ; implicit-def: $vgpr50_vgpr51
.LBB14_6676:
	s_andn2_saveexec_b64 s[62:63], s[62:63]
	s_cbranch_execz .LBB14_6678
; %bb.6677:
	v_cvt_f16_f32_e32 v3, v48
	flat_store_short v[50:51], v3
.LBB14_6678:
	s_or_b64 exec, exec, s[62:63]
.LBB14_6679:
	s_or_b64 exec, exec, s[60:61]
                                        ; implicit-def: $vgpr48
                                        ; implicit-def: $vgpr50_vgpr51
.LBB14_6680:
	s_andn2_saveexec_b64 s[60:61], vcc
	s_cbranch_execz .LBB14_6698
; %bb.6681:
	v_mov_b32_e32 v3, 1
	v_cmp_gt_i16_sdwa vcc, v11, v3 src0_sel:BYTE_0 src1_sel:DWORD
	s_and_saveexec_b64 s[62:63], vcc
	s_xor_b64 s[62:63], exec, s[62:63]
	s_cbranch_execz .LBB14_6691
; %bb.6682:
	v_mov_b32_e32 v3, 2
	v_cmp_gt_i16_sdwa vcc, v11, v3 src0_sel:BYTE_0 src1_sel:DWORD
	s_and_saveexec_b64 s[64:65], vcc
	s_xor_b64 s[64:65], exec, s[64:65]
	;; [unrolled: 6-line block ×3, first 2 shown]
	s_cbranch_execz .LBB14_6685
; %bb.6684:
	v_trunc_f32_e32 v3, v48
	s_mov_b32 s68, 0x2f800000
	v_mul_f32_e64 v5, |v3|, s68
	v_floor_f32_e32 v5, v5
	s_mov_b32 s68, 0xcf800000
	v_cvt_u32_f32_e32 v7, v5
	v_fma_f32 v5, v5, s68, |v3|
	v_cvt_u32_f32_e32 v5, v5
	v_ashrrev_i32_e32 v3, 31, v3
	v_xor_b32_e32 v7, v7, v3
	v_xor_b32_e32 v5, v5, v3
	v_sub_co_u32_e32 v48, vcc, v5, v3
	v_subb_co_u32_e32 v49, vcc, v7, v3, vcc
	flat_store_dwordx2 v[50:51], v[48:49]
                                        ; implicit-def: $vgpr48
                                        ; implicit-def: $vgpr50_vgpr51
.LBB14_6685:
	s_andn2_saveexec_b64 vcc, s[66:67]
	s_cbranch_execz .LBB14_6687
; %bb.6686:
	v_cvt_i32_f32_e32 v3, v48
	flat_store_dword v[50:51], v3
.LBB14_6687:
	s_or_b64 exec, exec, vcc
                                        ; implicit-def: $vgpr48
                                        ; implicit-def: $vgpr50_vgpr51
.LBB14_6688:
	s_andn2_saveexec_b64 vcc, s[64:65]
	s_cbranch_execz .LBB14_6690
; %bb.6689:
	v_cvt_i32_f32_e32 v3, v48
	flat_store_short v[50:51], v3
.LBB14_6690:
	s_or_b64 exec, exec, vcc
                                        ; implicit-def: $vgpr48
                                        ; implicit-def: $vgpr50_vgpr51
.LBB14_6691:
	s_andn2_saveexec_b64 vcc, s[62:63]
	s_cbranch_execz .LBB14_6697
; %bb.6692:
	v_mov_b32_e32 v3, 0
	v_cmp_gt_i16_sdwa s[62:63], v11, v3 src0_sel:BYTE_0 src1_sel:DWORD
	s_and_saveexec_b64 s[64:65], s[62:63]
	s_xor_b64 s[62:63], exec, s[64:65]
	s_cbranch_execz .LBB14_6694
; %bb.6693:
	v_cvt_i32_f32_e32 v3, v48
                                        ; implicit-def: $vgpr48
	flat_store_byte v[50:51], v3
                                        ; implicit-def: $vgpr50_vgpr51
.LBB14_6694:
	s_andn2_saveexec_b64 s[62:63], s[62:63]
	s_cbranch_execz .LBB14_6696
; %bb.6695:
	v_trunc_f32_e32 v3, v48
	s_mov_b32 s64, 0x2f800000
	v_mul_f32_e64 v5, |v3|, s64
	v_floor_f32_e32 v5, v5
	s_mov_b32 s64, 0xcf800000
	v_fma_f32 v5, v5, s64, |v3|
	v_cvt_u32_f32_e32 v5, v5
	v_ashrrev_i32_e32 v3, 31, v3
	v_xor_b32_e32 v5, v5, v3
	v_sub_u32_e32 v3, v5, v3
	flat_store_byte v[50:51], v3
.LBB14_6696:
	s_or_b64 exec, exec, s[62:63]
.LBB14_6697:
	s_or_b64 exec, exec, vcc
.LBB14_6698:
	s_or_b64 exec, exec, s[60:61]
	s_or_b64 s[4:5], s[4:5], exec
	s_or_b64 exec, exec, s[54:55]
	s_mov_b64 vcc, 0
	s_and_saveexec_b64 s[54:55], s[4:5]
	s_cbranch_execnz .LBB14_3952
	s_branch .LBB14_3953
.LBB14_6699:
	v_bfe_u32 v3, v68, 21, 1
	s_mov_b32 s60, 0x88fffff
	v_add3_u32 v3, v68, v3, s60
	s_mov_b64 s[58:59], exec
	v_lshrrev_b32_e32 v3, 21, v3
	s_or_saveexec_b64 s[60:61], vcc
                                        ; implicit-def: $sgpr62
	s_xor_b64 exec, exec, s[60:61]
	s_cbranch_execz .LBB14_5864
.LBB14_6700:
	s_mov_b32 s62, 0x42800000
	v_add_f32_e64 v3, |v68|, s62
	v_and_b32_e32 v3, 0xff, v3
	v_cmp_ne_u32_e32 vcc, 0, v3
	s_andn2_b64 s[58:59], s[58:59], exec
	s_and_b64 vcc, vcc, exec
	s_mov_b32 s62, 0
	s_or_b64 s[58:59], s[58:59], vcc
	s_or_b64 exec, exec, s[60:61]
	v_mov_b32_e32 v5, s62
	s_and_saveexec_b64 vcc, s[58:59]
	s_cbranch_execnz .LBB14_5865
	s_branch .LBB14_5866
.LBB14_6701:
	v_bfe_u32 v3, v66, 20, 1
	s_mov_b32 s58, 0x487ffff
	v_add3_u32 v3, v66, v3, s58
	s_mov_b64 s[56:57], exec
	v_lshrrev_b32_e32 v3, 20, v3
	s_or_saveexec_b64 s[58:59], vcc
                                        ; implicit-def: $sgpr60
	s_xor_b64 exec, exec, s[58:59]
	s_cbranch_execz .LBB14_5977
.LBB14_6702:
	s_mov_b32 s60, 0x46000000
	v_add_f32_e64 v3, |v66|, s60
	v_and_b32_e32 v3, 0xff, v3
	v_cmp_ne_u32_e32 vcc, 0, v3
	s_andn2_b64 s[56:57], s[56:57], exec
	s_and_b64 vcc, vcc, exec
	s_mov_b32 s60, 0
	s_or_b64 s[56:57], s[56:57], vcc
	s_or_b64 exec, exec, s[58:59]
	v_mov_b32_e32 v5, s60
	s_and_saveexec_b64 vcc, s[56:57]
	s_cbranch_execnz .LBB14_5978
	s_branch .LBB14_5979
.LBB14_6703:
	v_mov_b32_e32 v3, 25
	v_cmp_gt_i16_sdwa vcc, v11, v3 src0_sel:BYTE_0 src1_sel:DWORD
	s_mov_b64 s[62:63], s[54:55]
	s_and_saveexec_b64 s[64:65], vcc
	s_xor_b64 s[64:65], exec, s[64:65]
	s_cbranch_execz .LBB14_6739
; %bb.6704:
	v_mov_b32_e32 v3, 28
	v_cmp_gt_i16_sdwa vcc, v11, v3 src0_sel:BYTE_0 src1_sel:DWORD
	s_mov_b64 s[66:67], s[54:55]
	s_and_saveexec_b64 s[62:63], vcc
	s_xor_b64 s[62:63], exec, s[62:63]
	s_cbranch_execz .LBB14_6722
; %bb.6705:
	v_mov_b32_e32 v3, 43
	v_cmp_gt_i16_sdwa s[66:67], v11, v3 src0_sel:BYTE_0 src1_sel:DWORD
	s_mov_b64 vcc, s[54:55]
	s_and_saveexec_b64 s[68:69], s[66:67]
	s_xor_b64 s[66:67], exec, s[68:69]
	s_cbranch_execz .LBB14_6717
; %bb.6706:
	v_mov_b32_e32 v3, 45
	v_cmp_gt_i16_sdwa s[4:5], v11, v3 src0_sel:BYTE_0 src1_sel:DWORD
	s_mov_b64 s[68:69], 0
	s_mov_b64 s[70:71], s[54:55]
	s_and_saveexec_b64 vcc, s[4:5]
	s_xor_b64 s[4:5], exec, vcc
	s_cbranch_execz .LBB14_6710
; %bb.6707:
	v_mov_b32_e32 v3, 46
	v_cmp_eq_u16_sdwa s[72:73], v11, v3 src0_sel:BYTE_0 src1_sel:DWORD
	s_mov_b64 vcc, -1
	s_and_saveexec_b64 s[70:71], s[72:73]
	s_cbranch_execz .LBB14_6709
; %bb.6708:
	v_bfe_u32 v3, v38, 16, 1
	s_movk_i32 vcc_lo, 0x7fff
	v_add3_u32 v3, v38, v3, vcc_lo
	v_lshrrev_b32_e32 v3, 16, v3
	v_mov_b32_e32 v5, 0x7fc0
	v_cmp_o_f32_e32 vcc, v38, v38
	v_cndmask_b32_e32 v3, v5, v3, vcc
	s_mov_b64 s[68:69], exec
	flat_store_dword v[48:49], v3
	s_xor_b64 vcc, exec, -1
.LBB14_6709:
	s_or_b64 exec, exec, s[70:71]
	s_andn2_b64 s[70:71], s[54:55], exec
	s_and_b64 vcc, vcc, exec
	s_or_b64 s[70:71], s[70:71], vcc
	s_and_b64 s[68:69], s[68:69], exec
                                        ; implicit-def: $vgpr48_vgpr49
                                        ; implicit-def: $vgpr38
.LBB14_6710:
	s_andn2_saveexec_b64 s[72:73], s[4:5]
	s_cbranch_execz .LBB14_6716
; %bb.6711:
	v_mov_b32_e32 v3, 44
	v_cmp_eq_u16_sdwa s[76:77], v11, v3 src0_sel:BYTE_0 src1_sel:DWORD
	s_mov_b64 vcc, -1
	s_mov_b64 s[4:5], s[68:69]
	s_and_saveexec_b64 s[74:75], s[76:77]
	s_cbranch_execz .LBB14_6715
; %bb.6712:
	v_bfe_u32 v3, v38, 23, 8
	s_movk_i32 s4, 0xff
	v_cmp_ne_u32_e32 vcc, s4, v3
	v_mov_b32_e32 v5, 0xff
	s_and_saveexec_b64 s[76:77], vcc
; %bb.6713:
	s_mov_b32 s4, 0x3fffff
	v_and_b32_e32 v7, 0x400000, v38
	v_and_or_b32 v3, v38, s4, v3
	v_cmp_ne_u32_e32 vcc, 0, v7
	v_cmp_ne_u32_e64 s[4:5], 0, v3
	s_and_b64 s[4:5], vcc, s[4:5]
	v_lshrrev_b32_e32 v5, 23, v38
	v_cndmask_b32_e64 v3, 0, 1, s[4:5]
	v_add_u32_e32 v5, v5, v3
; %bb.6714:
	s_or_b64 exec, exec, s[76:77]
	s_xor_b64 vcc, exec, -1
	s_or_b64 s[4:5], s[68:69], exec
	flat_store_byte v[48:49], v5
.LBB14_6715:
	s_or_b64 exec, exec, s[74:75]
	s_andn2_b64 s[70:71], s[70:71], exec
	s_and_b64 vcc, vcc, exec
	s_or_b64 s[70:71], s[70:71], vcc
	s_andn2_b64 vcc, s[68:69], exec
	s_and_b64 s[4:5], s[4:5], exec
	s_or_b64 s[68:69], vcc, s[4:5]
.LBB14_6716:
	s_or_b64 exec, exec, s[72:73]
	s_andn2_b64 s[4:5], s[54:55], exec
	s_and_b64 vcc, s[70:71], exec
	s_or_b64 vcc, s[4:5], vcc
	s_and_b64 s[4:5], s[68:69], exec
                                        ; implicit-def: $vgpr38
                                        ; implicit-def: $vgpr48_vgpr49
.LBB14_6717:
	s_andn2_saveexec_b64 s[66:67], s[66:67]
	s_cbranch_execz .LBB14_6721
; %bb.6718:
	v_mov_b32_e32 v3, 29
	v_cmp_eq_u16_sdwa s[74:75], v11, v3 src0_sel:BYTE_0 src1_sel:DWORD
	s_mov_b64 s[72:73], -1
	s_mov_b64 s[70:71], s[4:5]
	s_and_saveexec_b64 s[68:69], s[74:75]
	s_cbranch_execz .LBB14_6720
; %bb.6719:
	v_trunc_f32_e32 v3, v38
	v_mul_f32_e32 v5, 0x2f800000, v3
	v_floor_f32_e32 v5, v5
	v_fmac_f32_e32 v3, 0xcf800000, v5
	v_cvt_u32_f32_e32 v39, v5
	v_cvt_u32_f32_e32 v38, v3
	s_xor_b64 s[72:73], exec, -1
	s_or_b64 s[70:71], s[4:5], exec
	flat_store_dwordx2 v[48:49], v[38:39]
.LBB14_6720:
	s_or_b64 exec, exec, s[68:69]
	s_andn2_b64 vcc, vcc, exec
	s_and_b64 s[68:69], s[72:73], exec
	s_or_b64 vcc, vcc, s[68:69]
	s_andn2_b64 s[4:5], s[4:5], exec
	s_and_b64 s[68:69], s[70:71], exec
	s_or_b64 s[4:5], s[4:5], s[68:69]
.LBB14_6721:
	s_or_b64 exec, exec, s[66:67]
	s_andn2_b64 s[66:67], s[54:55], exec
	s_and_b64 vcc, vcc, exec
	s_or_b64 s[66:67], s[66:67], vcc
	s_and_b64 s[4:5], s[4:5], exec
                                        ; implicit-def: $vgpr48_vgpr49
                                        ; implicit-def: $vgpr38
.LBB14_6722:
	s_andn2_saveexec_b64 s[62:63], s[62:63]
	s_cbranch_execz .LBB14_6738
; %bb.6723:
	v_mov_b32_e32 v3, 26
	v_cmp_gt_i16_sdwa vcc, v11, v3 src0_sel:BYTE_0 src1_sel:DWORD
	s_and_saveexec_b64 s[68:69], vcc
	s_xor_b64 vcc, exec, s[68:69]
	s_cbranch_execz .LBB14_6729
; %bb.6724:
	v_cvt_u32_f32_e32 v3, v38
	v_mov_b32_e32 v5, 27
	v_cmp_gt_i16_sdwa s[68:69], v11, v5 src0_sel:BYTE_0 src1_sel:DWORD
	s_and_saveexec_b64 s[70:71], s[68:69]
	s_xor_b64 s[68:69], exec, s[70:71]
	s_cbranch_execz .LBB14_6726
; %bb.6725:
	flat_store_dword v[48:49], v3
                                        ; implicit-def: $vgpr48_vgpr49
                                        ; implicit-def: $vgpr3
.LBB14_6726:
	s_andn2_saveexec_b64 s[68:69], s[68:69]
	s_cbranch_execz .LBB14_6728
; %bb.6727:
	flat_store_short v[48:49], v3
.LBB14_6728:
	s_or_b64 exec, exec, s[68:69]
                                        ; implicit-def: $vgpr48_vgpr49
                                        ; implicit-def: $vgpr38
.LBB14_6729:
	s_andn2_saveexec_b64 s[68:69], vcc
	s_cbranch_execz .LBB14_6737
; %bb.6730:
	v_and_b32_e32 v3, 0x7fffffff, v38
	s_mov_b32 vcc_lo, 0x43800000
	v_cmp_gt_u32_e32 vcc, vcc_lo, v3
	v_mov_b32_e32 v5, 0x80
	s_and_saveexec_b64 s[70:71], vcc
	s_cbranch_execz .LBB14_6736
; %bb.6731:
	s_mov_b32 vcc_lo, 0x3bffffff
	v_cmp_lt_u32_e32 vcc, vcc_lo, v3
	s_mov_b64 s[72:73], 0
                                        ; implicit-def: $vgpr3
	s_and_saveexec_b64 s[74:75], vcc
	s_xor_b64 vcc, exec, s[74:75]
	s_cbranch_execnz .LBB14_7457
; %bb.6732:
	s_or_saveexec_b64 s[74:75], vcc
                                        ; implicit-def: $sgpr76
	s_xor_b64 exec, exec, s[74:75]
	s_cbranch_execnz .LBB14_7458
.LBB14_6733:
	s_or_b64 exec, exec, s[74:75]
	v_mov_b32_e32 v5, s76
	s_and_saveexec_b64 vcc, s[72:73]
.LBB14_6734:
	v_lshrrev_b32_e32 v5, 24, v38
	s_movk_i32 s72, 0x80
	v_and_or_b32 v5, v5, s72, v3
.LBB14_6735:
	s_or_b64 exec, exec, vcc
.LBB14_6736:
	s_or_b64 exec, exec, s[70:71]
	flat_store_byte v[48:49], v5
.LBB14_6737:
	s_or_b64 exec, exec, s[68:69]
	s_or_b64 s[4:5], s[4:5], exec
.LBB14_6738:
	s_or_b64 exec, exec, s[62:63]
	s_andn2_b64 vcc, s[54:55], exec
	s_and_b64 s[62:63], s[66:67], exec
	s_or_b64 s[62:63], vcc, s[62:63]
	s_and_b64 s[4:5], s[4:5], exec
                                        ; implicit-def: $vgpr38
                                        ; implicit-def: $vgpr48_vgpr49
.LBB14_6739:
	s_andn2_saveexec_b64 s[64:65], s[64:65]
	s_cbranch_execz .LBB14_6783
; %bb.6740:
	v_mov_b32_e32 v3, 22
	v_cmp_gt_i16_sdwa vcc, v11, v3 src0_sel:BYTE_0 src1_sel:DWORD
	s_mov_b64 s[68:69], s[4:5]
	s_and_saveexec_b64 s[66:67], vcc
	s_xor_b64 s[66:67], exec, s[66:67]
	s_cbranch_execz .LBB14_6772
; %bb.6741:
	v_mov_b32_e32 v3, 23
	v_cmp_gt_i16_sdwa vcc, v11, v3 src0_sel:BYTE_0 src1_sel:DWORD
	s_and_saveexec_b64 s[68:69], vcc
	s_xor_b64 s[68:69], exec, s[68:69]
	s_cbranch_execz .LBB14_6761
; %bb.6742:
	v_mov_b32_e32 v3, 24
	v_cmp_gt_i16_sdwa vcc, v11, v3 src0_sel:BYTE_0 src1_sel:DWORD
	s_and_saveexec_b64 s[70:71], vcc
	s_xor_b64 s[70:71], exec, s[70:71]
	s_cbranch_execz .LBB14_6750
; %bb.6743:
	v_and_b32_e32 v3, 0x7fffffff, v38
	s_mov_b32 vcc_lo, 0x47800000
	v_cmp_gt_u32_e32 vcc, vcc_lo, v3
	v_mov_b32_e32 v5, 0x80
	s_and_saveexec_b64 s[72:73], vcc
	s_cbranch_execz .LBB14_6749
; %bb.6744:
	s_mov_b32 vcc_lo, 0x37ffffff
	v_cmp_lt_u32_e32 vcc, vcc_lo, v3
	s_mov_b64 s[74:75], 0
                                        ; implicit-def: $vgpr3
	s_and_saveexec_b64 s[76:77], vcc
	s_xor_b64 vcc, exec, s[76:77]
	s_cbranch_execnz .LBB14_7581
; %bb.6745:
	s_or_saveexec_b64 s[76:77], vcc
                                        ; implicit-def: $sgpr78
	s_xor_b64 exec, exec, s[76:77]
	s_cbranch_execnz .LBB14_7582
.LBB14_6746:
	s_or_b64 exec, exec, s[76:77]
	v_mov_b32_e32 v5, s78
	s_and_saveexec_b64 vcc, s[74:75]
.LBB14_6747:
	v_lshrrev_b32_e32 v5, 24, v38
	s_movk_i32 s74, 0x80
	v_and_or_b32 v5, v5, s74, v3
.LBB14_6748:
	s_or_b64 exec, exec, vcc
.LBB14_6749:
	s_or_b64 exec, exec, s[72:73]
	flat_store_byte v[48:49], v5
                                        ; implicit-def: $vgpr38
                                        ; implicit-def: $vgpr48_vgpr49
.LBB14_6750:
	s_andn2_saveexec_b64 s[70:71], s[70:71]
	s_cbranch_execz .LBB14_6760
; %bb.6751:
	v_and_b32_e32 v5, 0x7fffffff, v38
	s_mov_b32 vcc_lo, 0x43f00000
	v_cmp_gt_u32_e32 vcc, vcc_lo, v5
                                        ; implicit-def: $vgpr3
	s_and_saveexec_b64 s[72:73], vcc
	s_xor_b64 s[72:73], exec, s[72:73]
	s_cbranch_execz .LBB14_6757
; %bb.6752:
	s_mov_b32 vcc_lo, 0x3c7fffff
	v_cmp_lt_u32_e32 vcc, vcc_lo, v5
                                        ; implicit-def: $vgpr3
	s_and_saveexec_b64 s[74:75], vcc
	s_xor_b64 s[74:75], exec, s[74:75]
; %bb.6753:
	v_bfe_u32 v3, v38, 20, 1
	s_mov_b32 vcc_lo, 0x407ffff
	v_add3_u32 v3, v38, v3, vcc_lo
	v_lshrrev_b32_e32 v5, 20, v3
	v_and_b32_e32 v3, 0xff00000, v3
	s_mov_b32 vcc_lo, 0x7f00000
	v_mov_b32_e32 v7, 0x7e
	v_cmp_ne_u32_e32 vcc, vcc_lo, v3
	v_cndmask_b32_e32 v3, v7, v5, vcc
; %bb.6754:
	s_andn2_saveexec_b64 vcc, s[74:75]
; %bb.6755:
	s_mov_b32 s74, 0x46800000
	v_add_f32_e64 v3, |v38|, s74
; %bb.6756:
	s_or_b64 exec, exec, vcc
                                        ; implicit-def: $vgpr5
.LBB14_6757:
	s_andn2_saveexec_b64 s[72:73], s[72:73]
; %bb.6758:
	s_mov_b32 vcc_lo, 0x7f800000
	v_mov_b32_e32 v3, 0x7e
	v_mov_b32_e32 v7, 0x7f
	v_cmp_lt_u32_e32 vcc, vcc_lo, v5
	v_cndmask_b32_e32 v3, v3, v7, vcc
; %bb.6759:
	s_or_b64 exec, exec, s[72:73]
	v_lshrrev_b32_e32 v5, 24, v38
	s_movk_i32 vcc_lo, 0x80
	v_and_or_b32 v3, v5, vcc_lo, v3
	flat_store_byte v[48:49], v3
.LBB14_6760:
	s_or_b64 exec, exec, s[70:71]
                                        ; implicit-def: $vgpr38
                                        ; implicit-def: $vgpr48_vgpr49
.LBB14_6761:
	s_andn2_saveexec_b64 s[68:69], s[68:69]
	s_cbranch_execz .LBB14_6771
; %bb.6762:
	v_and_b32_e32 v5, 0x7fffffff, v38
	s_mov_b32 vcc_lo, 0x47800000
	v_cmp_gt_u32_e32 vcc, vcc_lo, v5
                                        ; implicit-def: $vgpr3
	s_and_saveexec_b64 s[70:71], vcc
	s_xor_b64 s[70:71], exec, s[70:71]
	s_cbranch_execz .LBB14_6768
; %bb.6763:
	s_mov_b32 vcc_lo, 0x387fffff
	v_cmp_lt_u32_e32 vcc, vcc_lo, v5
                                        ; implicit-def: $vgpr3
	s_and_saveexec_b64 s[72:73], vcc
	s_xor_b64 vcc, exec, s[72:73]
; %bb.6764:
	v_bfe_u32 v3, v38, 21, 1
	s_mov_b32 s72, 0x80fffff
	v_add3_u32 v3, v38, v3, s72
	v_lshrrev_b32_e32 v3, 21, v3
; %bb.6765:
	s_andn2_saveexec_b64 vcc, vcc
; %bb.6766:
	s_mov_b32 s72, 0x43000000
	v_add_f32_e64 v3, |v38|, s72
; %bb.6767:
	s_or_b64 exec, exec, vcc
                                        ; implicit-def: $vgpr5
.LBB14_6768:
	s_andn2_saveexec_b64 s[70:71], s[70:71]
; %bb.6769:
	s_mov_b32 vcc_lo, 0x7f800000
	v_mov_b32_e32 v3, 0x7c
	v_mov_b32_e32 v7, 0x7f
	v_cmp_lt_u32_e32 vcc, vcc_lo, v5
	v_cndmask_b32_e32 v3, v3, v7, vcc
; %bb.6770:
	s_or_b64 exec, exec, s[70:71]
	v_lshrrev_b32_e32 v5, 24, v38
	s_movk_i32 vcc_lo, 0x80
	v_and_or_b32 v3, v5, vcc_lo, v3
	flat_store_byte v[48:49], v3
.LBB14_6771:
	s_or_b64 exec, exec, s[68:69]
	s_or_b64 s[68:69], s[4:5], exec
                                        ; implicit-def: $vgpr48_vgpr49
                                        ; implicit-def: $vgpr38
.LBB14_6772:
	s_or_saveexec_b64 s[66:67], s[66:67]
	s_mov_b64 s[70:71], s[62:63]
	s_xor_b64 exec, exec, s[66:67]
	s_cbranch_execz .LBB14_6782
; %bb.6773:
	v_mov_b32_e32 v3, 14
	v_cmp_gt_i16_sdwa s[72:73], v11, v3 src0_sel:BYTE_0 src1_sel:DWORD
	s_mov_b64 vcc, s[68:69]
	s_mov_b64 s[70:71], s[62:63]
	s_and_saveexec_b64 s[74:75], s[72:73]
	s_xor_b64 s[72:73], exec, s[74:75]
	s_cbranch_execz .LBB14_6777
; %bb.6774:
	v_mov_b32_e32 v3, 15
	v_cmp_eq_u16_sdwa s[76:77], v11, v3 src0_sel:BYTE_0 src1_sel:DWORD
	s_mov_b64 s[74:75], -1
	s_mov_b64 vcc, s[68:69]
	s_and_saveexec_b64 s[70:71], s[76:77]
	s_cbranch_execz .LBB14_6776
; %bb.6775:
	v_bfe_u32 v3, v38, 16, 1
	s_movk_i32 vcc_lo, 0x7fff
	v_add3_u32 v3, v38, v3, vcc_lo
	v_lshrrev_b32_e32 v3, 16, v3
	v_mov_b32_e32 v5, 0x7fc0
	v_cmp_o_f32_e32 vcc, v38, v38
	v_cndmask_b32_e32 v3, v5, v3, vcc
	flat_store_short v[48:49], v3
	s_xor_b64 s[74:75], exec, -1
	s_or_b64 vcc, s[68:69], exec
.LBB14_6776:
	s_or_b64 exec, exec, s[70:71]
	s_andn2_b64 s[70:71], s[62:63], exec
	s_and_b64 s[74:75], s[74:75], exec
	s_or_b64 s[70:71], s[70:71], s[74:75]
	s_andn2_b64 s[74:75], s[68:69], exec
	s_and_b64 vcc, vcc, exec
	s_or_b64 vcc, s[74:75], vcc
                                        ; implicit-def: $vgpr48_vgpr49
.LBB14_6777:
	s_andn2_saveexec_b64 s[72:73], s[72:73]
	s_cbranch_execz .LBB14_6781
; %bb.6778:
	v_mov_b32_e32 v3, 11
	v_cmp_eq_u16_sdwa s[80:81], v11, v3 src0_sel:BYTE_0 src1_sel:DWORD
	s_mov_b64 s[76:77], -1
	s_mov_b64 s[74:75], vcc
	s_and_saveexec_b64 s[78:79], s[80:81]
	s_cbranch_execz .LBB14_6780
; %bb.6779:
	v_mov_b32_e32 v3, 1
	flat_store_byte v[48:49], v3
	s_xor_b64 s[76:77], exec, -1
	s_or_b64 s[74:75], vcc, exec
.LBB14_6780:
	s_or_b64 exec, exec, s[78:79]
	s_andn2_b64 s[70:71], s[70:71], exec
	s_and_b64 s[76:77], s[76:77], exec
	s_andn2_b64 vcc, vcc, exec
	s_and_b64 s[74:75], s[74:75], exec
	s_or_b64 s[70:71], s[70:71], s[76:77]
	s_or_b64 vcc, vcc, s[74:75]
.LBB14_6781:
	s_or_b64 exec, exec, s[72:73]
	s_andn2_b64 s[72:73], s[62:63], exec
	s_and_b64 s[70:71], s[70:71], exec
	s_andn2_b64 s[68:69], s[68:69], exec
	s_and_b64 vcc, vcc, exec
	s_or_b64 s[70:71], s[72:73], s[70:71]
	s_or_b64 s[68:69], s[68:69], vcc
.LBB14_6782:
	s_or_b64 exec, exec, s[66:67]
	s_andn2_b64 vcc, s[62:63], exec
	s_and_b64 s[62:63], s[70:71], exec
	s_or_b64 s[62:63], vcc, s[62:63]
	s_andn2_b64 s[4:5], s[4:5], exec
	s_and_b64 vcc, s[68:69], exec
	s_or_b64 s[4:5], s[4:5], vcc
.LBB14_6783:
	s_or_b64 exec, exec, s[64:65]
	s_andn2_b64 vcc, s[54:55], exec
	s_and_b64 s[62:63], s[62:63], exec
	s_or_b64 s[62:63], vcc, s[62:63]
	s_and_b64 s[4:5], s[4:5], exec
                                        ; implicit-def: $vgpr38
                                        ; implicit-def: $vgpr48_vgpr49
	s_andn2_saveexec_b64 s[58:59], s[58:59]
	s_cbranch_execz .LBB14_3958
.LBB14_6784:
	v_mov_b32_e32 v3, 4
	v_cmp_gt_i16_sdwa vcc, v11, v3 src0_sel:BYTE_0 src1_sel:DWORD
	s_and_saveexec_b64 s[64:65], vcc
	s_xor_b64 vcc, exec, s[64:65]
	s_cbranch_execz .LBB14_6806
; %bb.6785:
	v_mov_b32_e32 v3, 7
	v_cmp_gt_i16_sdwa s[64:65], v11, v3 src0_sel:BYTE_0 src1_sel:DWORD
	s_and_saveexec_b64 s[66:67], s[64:65]
	s_xor_b64 s[64:65], exec, s[66:67]
	s_cbranch_execz .LBB14_6795
; %bb.6786:
	v_mov_b32_e32 v3, 8
	v_cmp_gt_i16_sdwa s[66:67], v11, v3 src0_sel:BYTE_0 src1_sel:DWORD
	s_and_saveexec_b64 s[68:69], s[66:67]
	s_xor_b64 s[66:67], exec, s[68:69]
	;; [unrolled: 6-line block ×3, first 2 shown]
	s_cbranch_execz .LBB14_6789
; %bb.6788:
	v_mov_b32_e32 v52, 0
	v_cvt_f64_f32_e32 v[50:51], v38
	v_mov_b32_e32 v53, v52
	flat_store_dwordx4 v[48:49], v[50:53]
                                        ; implicit-def: $vgpr38
                                        ; implicit-def: $vgpr48_vgpr49
.LBB14_6789:
	s_andn2_saveexec_b64 s[68:69], s[68:69]
	s_cbranch_execz .LBB14_6791
; %bb.6790:
	v_mov_b32_e32 v39, 0
	flat_store_dwordx2 v[48:49], v[38:39]
.LBB14_6791:
	s_or_b64 exec, exec, s[68:69]
                                        ; implicit-def: $vgpr38
                                        ; implicit-def: $vgpr48_vgpr49
.LBB14_6792:
	s_andn2_saveexec_b64 s[66:67], s[66:67]
	s_cbranch_execz .LBB14_6794
; %bb.6793:
	v_cvt_f16_f32_e32 v3, v38
	flat_store_dword v[48:49], v3
.LBB14_6794:
	s_or_b64 exec, exec, s[66:67]
                                        ; implicit-def: $vgpr38
                                        ; implicit-def: $vgpr48_vgpr49
.LBB14_6795:
	s_andn2_saveexec_b64 s[64:65], s[64:65]
	s_cbranch_execz .LBB14_6805
; %bb.6796:
	v_mov_b32_e32 v3, 5
	v_cmp_gt_i16_sdwa s[66:67], v11, v3 src0_sel:BYTE_0 src1_sel:DWORD
	s_and_saveexec_b64 s[68:69], s[66:67]
	s_xor_b64 s[66:67], exec, s[68:69]
	s_cbranch_execz .LBB14_6802
; %bb.6797:
	v_mov_b32_e32 v3, 6
	v_cmp_gt_i16_sdwa s[68:69], v11, v3 src0_sel:BYTE_0 src1_sel:DWORD
	s_and_saveexec_b64 s[70:71], s[68:69]
	s_xor_b64 s[68:69], exec, s[70:71]
	s_cbranch_execz .LBB14_6799
; %bb.6798:
	v_cvt_f64_f32_e32 v[38:39], v38
	flat_store_dwordx2 v[48:49], v[38:39]
                                        ; implicit-def: $vgpr48_vgpr49
                                        ; implicit-def: $vgpr38
.LBB14_6799:
	s_andn2_saveexec_b64 s[68:69], s[68:69]
	s_cbranch_execz .LBB14_6801
; %bb.6800:
	flat_store_dword v[48:49], v38
.LBB14_6801:
	s_or_b64 exec, exec, s[68:69]
                                        ; implicit-def: $vgpr38
                                        ; implicit-def: $vgpr48_vgpr49
.LBB14_6802:
	s_andn2_saveexec_b64 s[66:67], s[66:67]
	s_cbranch_execz .LBB14_6804
; %bb.6803:
	v_cvt_f16_f32_e32 v3, v38
	flat_store_short v[48:49], v3
.LBB14_6804:
	s_or_b64 exec, exec, s[66:67]
.LBB14_6805:
	s_or_b64 exec, exec, s[64:65]
                                        ; implicit-def: $vgpr38
                                        ; implicit-def: $vgpr48_vgpr49
.LBB14_6806:
	s_andn2_saveexec_b64 s[64:65], vcc
	s_cbranch_execz .LBB14_6824
; %bb.6807:
	v_mov_b32_e32 v3, 1
	v_cmp_gt_i16_sdwa vcc, v11, v3 src0_sel:BYTE_0 src1_sel:DWORD
	s_and_saveexec_b64 s[66:67], vcc
	s_xor_b64 s[66:67], exec, s[66:67]
	s_cbranch_execz .LBB14_6817
; %bb.6808:
	v_mov_b32_e32 v3, 2
	v_cmp_gt_i16_sdwa vcc, v11, v3 src0_sel:BYTE_0 src1_sel:DWORD
	s_and_saveexec_b64 s[68:69], vcc
	s_xor_b64 s[68:69], exec, s[68:69]
	;; [unrolled: 6-line block ×3, first 2 shown]
	s_cbranch_execz .LBB14_6811
; %bb.6810:
	v_trunc_f32_e32 v3, v38
	s_mov_b32 s72, 0x2f800000
	v_mul_f32_e64 v5, |v3|, s72
	v_floor_f32_e32 v5, v5
	s_mov_b32 s72, 0xcf800000
	v_cvt_u32_f32_e32 v7, v5
	v_fma_f32 v5, v5, s72, |v3|
	v_cvt_u32_f32_e32 v5, v5
	v_ashrrev_i32_e32 v3, 31, v3
	v_xor_b32_e32 v7, v7, v3
	v_xor_b32_e32 v5, v5, v3
	v_sub_co_u32_e32 v38, vcc, v5, v3
	v_subb_co_u32_e32 v39, vcc, v7, v3, vcc
	flat_store_dwordx2 v[48:49], v[38:39]
                                        ; implicit-def: $vgpr38
                                        ; implicit-def: $vgpr48_vgpr49
.LBB14_6811:
	s_andn2_saveexec_b64 vcc, s[70:71]
	s_cbranch_execz .LBB14_6813
; %bb.6812:
	v_cvt_i32_f32_e32 v3, v38
	flat_store_dword v[48:49], v3
.LBB14_6813:
	s_or_b64 exec, exec, vcc
                                        ; implicit-def: $vgpr38
                                        ; implicit-def: $vgpr48_vgpr49
.LBB14_6814:
	s_andn2_saveexec_b64 vcc, s[68:69]
	s_cbranch_execz .LBB14_6816
; %bb.6815:
	v_cvt_i32_f32_e32 v3, v38
	flat_store_short v[48:49], v3
.LBB14_6816:
	s_or_b64 exec, exec, vcc
                                        ; implicit-def: $vgpr38
                                        ; implicit-def: $vgpr48_vgpr49
.LBB14_6817:
	s_andn2_saveexec_b64 vcc, s[66:67]
	s_cbranch_execz .LBB14_6823
; %bb.6818:
	v_mov_b32_e32 v3, 0
	v_cmp_gt_i16_sdwa s[66:67], v11, v3 src0_sel:BYTE_0 src1_sel:DWORD
	s_and_saveexec_b64 s[68:69], s[66:67]
	s_xor_b64 s[66:67], exec, s[68:69]
	s_cbranch_execz .LBB14_6820
; %bb.6819:
	v_cvt_i32_f32_e32 v3, v38
                                        ; implicit-def: $vgpr38
	flat_store_byte v[48:49], v3
                                        ; implicit-def: $vgpr48_vgpr49
.LBB14_6820:
	s_andn2_saveexec_b64 s[66:67], s[66:67]
	s_cbranch_execz .LBB14_6822
; %bb.6821:
	v_trunc_f32_e32 v3, v38
	s_mov_b32 s68, 0x2f800000
	v_mul_f32_e64 v5, |v3|, s68
	v_floor_f32_e32 v5, v5
	s_mov_b32 s68, 0xcf800000
	v_fma_f32 v5, v5, s68, |v3|
	v_cvt_u32_f32_e32 v5, v5
	v_ashrrev_i32_e32 v3, 31, v3
	v_xor_b32_e32 v5, v5, v3
	v_sub_u32_e32 v3, v5, v3
	flat_store_byte v[48:49], v3
.LBB14_6822:
	s_or_b64 exec, exec, s[66:67]
.LBB14_6823:
	s_or_b64 exec, exec, vcc
.LBB14_6824:
	s_or_b64 exec, exec, s[64:65]
	s_or_b64 s[4:5], s[4:5], exec
	s_or_b64 exec, exec, s[58:59]
	s_mov_b64 vcc, 0
	s_and_saveexec_b64 s[58:59], s[4:5]
	s_cbranch_execnz .LBB14_3959
	s_branch .LBB14_3960
.LBB14_6825:
	v_bfe_u32 v3, v66, 21, 1
	s_mov_b32 s60, 0x88fffff
	v_add3_u32 v3, v66, v3, s60
	s_mov_b64 s[58:59], exec
	v_lshrrev_b32_e32 v3, 21, v3
	s_or_saveexec_b64 s[60:61], vcc
                                        ; implicit-def: $sgpr62
	s_xor_b64 exec, exec, s[60:61]
	s_cbranch_execz .LBB14_5990
.LBB14_6826:
	s_mov_b32 s62, 0x42800000
	v_add_f32_e64 v3, |v66|, s62
	v_and_b32_e32 v3, 0xff, v3
	v_cmp_ne_u32_e32 vcc, 0, v3
	s_andn2_b64 s[58:59], s[58:59], exec
	s_and_b64 vcc, vcc, exec
	s_mov_b32 s62, 0
	s_or_b64 s[58:59], s[58:59], vcc
	s_or_b64 exec, exec, s[60:61]
	v_mov_b32_e32 v5, s62
	s_and_saveexec_b64 vcc, s[58:59]
	s_cbranch_execnz .LBB14_5991
	s_branch .LBB14_5992
.LBB14_6827:
	v_bfe_u32 v3, v64, 20, 1
	s_mov_b32 s60, 0x487ffff
	v_add3_u32 v3, v64, v3, s60
	s_mov_b64 s[58:59], exec
	v_lshrrev_b32_e32 v3, 20, v3
	s_or_saveexec_b64 s[60:61], vcc
                                        ; implicit-def: $sgpr62
	s_xor_b64 exec, exec, s[60:61]
	s_cbranch_execz .LBB14_6103
.LBB14_6828:
	s_mov_b32 s62, 0x46000000
	v_add_f32_e64 v3, |v64|, s62
	v_and_b32_e32 v3, 0xff, v3
	v_cmp_ne_u32_e32 vcc, 0, v3
	s_andn2_b64 s[58:59], s[58:59], exec
	s_and_b64 vcc, vcc, exec
	s_mov_b32 s62, 0
	s_or_b64 s[58:59], s[58:59], vcc
	s_or_b64 exec, exec, s[60:61]
	v_mov_b32_e32 v5, s62
	s_and_saveexec_b64 vcc, s[58:59]
	s_cbranch_execnz .LBB14_6104
	s_branch .LBB14_6105
.LBB14_6829:
	v_mov_b32_e32 v3, 25
	v_cmp_gt_i16_sdwa vcc, v11, v3 src0_sel:BYTE_0 src1_sel:DWORD
	s_mov_b64 s[66:67], s[58:59]
	s_and_saveexec_b64 s[68:69], vcc
	s_xor_b64 s[68:69], exec, s[68:69]
	s_cbranch_execz .LBB14_6865
; %bb.6830:
	v_mov_b32_e32 v3, 28
	v_cmp_gt_i16_sdwa vcc, v11, v3 src0_sel:BYTE_0 src1_sel:DWORD
	s_mov_b64 s[70:71], s[58:59]
	s_and_saveexec_b64 s[66:67], vcc
	s_xor_b64 s[66:67], exec, s[66:67]
	s_cbranch_execz .LBB14_6848
; %bb.6831:
	v_mov_b32_e32 v3, 43
	v_cmp_gt_i16_sdwa s[70:71], v11, v3 src0_sel:BYTE_0 src1_sel:DWORD
	s_mov_b64 vcc, s[58:59]
	s_and_saveexec_b64 s[72:73], s[70:71]
	s_xor_b64 s[70:71], exec, s[72:73]
	s_cbranch_execz .LBB14_6843
; %bb.6832:
	v_mov_b32_e32 v3, 45
	v_cmp_gt_i16_sdwa s[4:5], v11, v3 src0_sel:BYTE_0 src1_sel:DWORD
	s_mov_b64 s[72:73], 0
	s_mov_b64 s[74:75], s[58:59]
	s_and_saveexec_b64 vcc, s[4:5]
	s_xor_b64 s[4:5], exec, vcc
	s_cbranch_execz .LBB14_6836
; %bb.6833:
	v_mov_b32_e32 v3, 46
	v_cmp_eq_u16_sdwa s[76:77], v11, v3 src0_sel:BYTE_0 src1_sel:DWORD
	s_mov_b64 vcc, -1
	s_and_saveexec_b64 s[74:75], s[76:77]
	s_cbranch_execz .LBB14_6835
; %bb.6834:
	v_bfe_u32 v3, v36, 16, 1
	s_movk_i32 vcc_lo, 0x7fff
	v_add3_u32 v3, v36, v3, vcc_lo
	v_lshrrev_b32_e32 v3, 16, v3
	v_mov_b32_e32 v5, 0x7fc0
	v_cmp_o_f32_e32 vcc, v36, v36
	v_cndmask_b32_e32 v3, v5, v3, vcc
	s_mov_b64 s[72:73], exec
	flat_store_dword v[38:39], v3
	s_xor_b64 vcc, exec, -1
.LBB14_6835:
	s_or_b64 exec, exec, s[74:75]
	s_andn2_b64 s[74:75], s[58:59], exec
	s_and_b64 vcc, vcc, exec
	s_or_b64 s[74:75], s[74:75], vcc
	s_and_b64 s[72:73], s[72:73], exec
                                        ; implicit-def: $vgpr38_vgpr39
                                        ; implicit-def: $vgpr36
.LBB14_6836:
	s_andn2_saveexec_b64 s[76:77], s[4:5]
	s_cbranch_execz .LBB14_6842
; %bb.6837:
	v_mov_b32_e32 v3, 44
	v_cmp_eq_u16_sdwa s[80:81], v11, v3 src0_sel:BYTE_0 src1_sel:DWORD
	s_mov_b64 vcc, -1
	s_mov_b64 s[4:5], s[72:73]
	s_and_saveexec_b64 s[78:79], s[80:81]
	s_cbranch_execz .LBB14_6841
; %bb.6838:
	v_bfe_u32 v3, v36, 23, 8
	s_movk_i32 s4, 0xff
	v_cmp_ne_u32_e32 vcc, s4, v3
	v_mov_b32_e32 v5, 0xff
	s_and_saveexec_b64 s[80:81], vcc
; %bb.6839:
	s_mov_b32 s4, 0x3fffff
	v_and_b32_e32 v7, 0x400000, v36
	v_and_or_b32 v3, v36, s4, v3
	v_cmp_ne_u32_e32 vcc, 0, v7
	v_cmp_ne_u32_e64 s[4:5], 0, v3
	s_and_b64 s[4:5], vcc, s[4:5]
	v_lshrrev_b32_e32 v5, 23, v36
	v_cndmask_b32_e64 v3, 0, 1, s[4:5]
	v_add_u32_e32 v5, v5, v3
; %bb.6840:
	s_or_b64 exec, exec, s[80:81]
	s_xor_b64 vcc, exec, -1
	s_or_b64 s[4:5], s[72:73], exec
	flat_store_byte v[38:39], v5
.LBB14_6841:
	s_or_b64 exec, exec, s[78:79]
	s_andn2_b64 s[74:75], s[74:75], exec
	s_and_b64 vcc, vcc, exec
	s_or_b64 s[74:75], s[74:75], vcc
	s_andn2_b64 vcc, s[72:73], exec
	s_and_b64 s[4:5], s[4:5], exec
	s_or_b64 s[72:73], vcc, s[4:5]
.LBB14_6842:
	s_or_b64 exec, exec, s[76:77]
	s_andn2_b64 s[4:5], s[58:59], exec
	s_and_b64 vcc, s[74:75], exec
	s_or_b64 vcc, s[4:5], vcc
	s_and_b64 s[4:5], s[72:73], exec
                                        ; implicit-def: $vgpr36
                                        ; implicit-def: $vgpr38_vgpr39
.LBB14_6843:
	s_andn2_saveexec_b64 s[70:71], s[70:71]
	s_cbranch_execz .LBB14_6847
; %bb.6844:
	v_mov_b32_e32 v3, 29
	v_cmp_eq_u16_sdwa s[78:79], v11, v3 src0_sel:BYTE_0 src1_sel:DWORD
	s_mov_b64 s[76:77], -1
	s_mov_b64 s[74:75], s[4:5]
	s_and_saveexec_b64 s[72:73], s[78:79]
	s_cbranch_execz .LBB14_6846
; %bb.6845:
	v_trunc_f32_e32 v3, v36
	v_mul_f32_e32 v5, 0x2f800000, v3
	v_floor_f32_e32 v5, v5
	v_fmac_f32_e32 v3, 0xcf800000, v5
	v_cvt_u32_f32_e32 v37, v5
	v_cvt_u32_f32_e32 v36, v3
	s_xor_b64 s[76:77], exec, -1
	s_or_b64 s[74:75], s[4:5], exec
	flat_store_dwordx2 v[38:39], v[36:37]
.LBB14_6846:
	s_or_b64 exec, exec, s[72:73]
	s_andn2_b64 vcc, vcc, exec
	s_and_b64 s[72:73], s[76:77], exec
	s_or_b64 vcc, vcc, s[72:73]
	s_andn2_b64 s[4:5], s[4:5], exec
	s_and_b64 s[72:73], s[74:75], exec
	s_or_b64 s[4:5], s[4:5], s[72:73]
.LBB14_6847:
	s_or_b64 exec, exec, s[70:71]
	s_andn2_b64 s[70:71], s[58:59], exec
	s_and_b64 vcc, vcc, exec
	s_or_b64 s[70:71], s[70:71], vcc
	s_and_b64 s[4:5], s[4:5], exec
                                        ; implicit-def: $vgpr38_vgpr39
                                        ; implicit-def: $vgpr36
.LBB14_6848:
	s_andn2_saveexec_b64 s[66:67], s[66:67]
	s_cbranch_execz .LBB14_6864
; %bb.6849:
	v_mov_b32_e32 v3, 26
	v_cmp_gt_i16_sdwa vcc, v11, v3 src0_sel:BYTE_0 src1_sel:DWORD
	s_and_saveexec_b64 s[72:73], vcc
	s_xor_b64 vcc, exec, s[72:73]
	s_cbranch_execz .LBB14_6855
; %bb.6850:
	v_cvt_u32_f32_e32 v3, v36
	v_mov_b32_e32 v5, 27
	v_cmp_gt_i16_sdwa s[72:73], v11, v5 src0_sel:BYTE_0 src1_sel:DWORD
	s_and_saveexec_b64 s[74:75], s[72:73]
	s_xor_b64 s[72:73], exec, s[74:75]
	s_cbranch_execz .LBB14_6852
; %bb.6851:
	flat_store_dword v[38:39], v3
                                        ; implicit-def: $vgpr38_vgpr39
                                        ; implicit-def: $vgpr3
.LBB14_6852:
	s_andn2_saveexec_b64 s[72:73], s[72:73]
	s_cbranch_execz .LBB14_6854
; %bb.6853:
	flat_store_short v[38:39], v3
.LBB14_6854:
	s_or_b64 exec, exec, s[72:73]
                                        ; implicit-def: $vgpr38_vgpr39
                                        ; implicit-def: $vgpr36
.LBB14_6855:
	s_andn2_saveexec_b64 s[72:73], vcc
	s_cbranch_execz .LBB14_6863
; %bb.6856:
	v_and_b32_e32 v3, 0x7fffffff, v36
	s_mov_b32 vcc_lo, 0x43800000
	v_cmp_gt_u32_e32 vcc, vcc_lo, v3
	v_mov_b32_e32 v5, 0x80
	s_and_saveexec_b64 s[74:75], vcc
	s_cbranch_execz .LBB14_6862
; %bb.6857:
	s_mov_b32 vcc_lo, 0x3bffffff
	v_cmp_lt_u32_e32 vcc, vcc_lo, v3
	s_mov_b64 s[76:77], 0
                                        ; implicit-def: $vgpr3
	s_and_saveexec_b64 s[78:79], vcc
	s_xor_b64 vcc, exec, s[78:79]
	s_cbranch_execnz .LBB14_7583
; %bb.6858:
	s_or_saveexec_b64 s[78:79], vcc
                                        ; implicit-def: $sgpr80
	s_xor_b64 exec, exec, s[78:79]
	s_cbranch_execnz .LBB14_7584
.LBB14_6859:
	s_or_b64 exec, exec, s[78:79]
	v_mov_b32_e32 v5, s80
	s_and_saveexec_b64 vcc, s[76:77]
.LBB14_6860:
	v_lshrrev_b32_e32 v5, 24, v36
	s_movk_i32 s76, 0x80
	v_and_or_b32 v5, v5, s76, v3
.LBB14_6861:
	s_or_b64 exec, exec, vcc
.LBB14_6862:
	s_or_b64 exec, exec, s[74:75]
	flat_store_byte v[38:39], v5
.LBB14_6863:
	s_or_b64 exec, exec, s[72:73]
	s_or_b64 s[4:5], s[4:5], exec
.LBB14_6864:
	s_or_b64 exec, exec, s[66:67]
	s_andn2_b64 vcc, s[58:59], exec
	s_and_b64 s[66:67], s[70:71], exec
	s_or_b64 s[66:67], vcc, s[66:67]
	s_and_b64 s[4:5], s[4:5], exec
                                        ; implicit-def: $vgpr36
                                        ; implicit-def: $vgpr38_vgpr39
.LBB14_6865:
	s_andn2_saveexec_b64 s[68:69], s[68:69]
	s_cbranch_execz .LBB14_6909
; %bb.6866:
	v_mov_b32_e32 v3, 22
	v_cmp_gt_i16_sdwa vcc, v11, v3 src0_sel:BYTE_0 src1_sel:DWORD
	s_mov_b64 s[72:73], s[4:5]
	s_and_saveexec_b64 s[70:71], vcc
	s_xor_b64 s[70:71], exec, s[70:71]
	s_cbranch_execz .LBB14_6898
; %bb.6867:
	v_mov_b32_e32 v3, 23
	v_cmp_gt_i16_sdwa vcc, v11, v3 src0_sel:BYTE_0 src1_sel:DWORD
	s_and_saveexec_b64 s[72:73], vcc
	s_xor_b64 s[72:73], exec, s[72:73]
	s_cbranch_execz .LBB14_6887
; %bb.6868:
	v_mov_b32_e32 v3, 24
	v_cmp_gt_i16_sdwa vcc, v11, v3 src0_sel:BYTE_0 src1_sel:DWORD
	s_and_saveexec_b64 s[74:75], vcc
	s_xor_b64 s[74:75], exec, s[74:75]
	s_cbranch_execz .LBB14_6876
; %bb.6869:
	v_and_b32_e32 v3, 0x7fffffff, v36
	s_mov_b32 vcc_lo, 0x47800000
	v_cmp_gt_u32_e32 vcc, vcc_lo, v3
	v_mov_b32_e32 v5, 0x80
	s_and_saveexec_b64 s[76:77], vcc
	s_cbranch_execz .LBB14_6875
; %bb.6870:
	s_mov_b32 vcc_lo, 0x37ffffff
	v_cmp_lt_u32_e32 vcc, vcc_lo, v3
	s_mov_b64 s[78:79], 0
                                        ; implicit-def: $vgpr3
	s_and_saveexec_b64 s[80:81], vcc
	s_xor_b64 vcc, exec, s[80:81]
	s_cbranch_execnz .LBB14_7707
; %bb.6871:
	s_or_saveexec_b64 s[80:81], vcc
                                        ; implicit-def: $sgpr82
	s_xor_b64 exec, exec, s[80:81]
	s_cbranch_execnz .LBB14_7708
.LBB14_6872:
	s_or_b64 exec, exec, s[80:81]
	v_mov_b32_e32 v5, s82
	s_and_saveexec_b64 vcc, s[78:79]
.LBB14_6873:
	v_lshrrev_b32_e32 v5, 24, v36
	s_movk_i32 s78, 0x80
	v_and_or_b32 v5, v5, s78, v3
.LBB14_6874:
	s_or_b64 exec, exec, vcc
.LBB14_6875:
	s_or_b64 exec, exec, s[76:77]
	flat_store_byte v[38:39], v5
                                        ; implicit-def: $vgpr36
                                        ; implicit-def: $vgpr38_vgpr39
.LBB14_6876:
	s_andn2_saveexec_b64 s[74:75], s[74:75]
	s_cbranch_execz .LBB14_6886
; %bb.6877:
	v_and_b32_e32 v5, 0x7fffffff, v36
	s_mov_b32 vcc_lo, 0x43f00000
	v_cmp_gt_u32_e32 vcc, vcc_lo, v5
                                        ; implicit-def: $vgpr3
	s_and_saveexec_b64 s[76:77], vcc
	s_xor_b64 s[76:77], exec, s[76:77]
	s_cbranch_execz .LBB14_6883
; %bb.6878:
	s_mov_b32 vcc_lo, 0x3c7fffff
	v_cmp_lt_u32_e32 vcc, vcc_lo, v5
                                        ; implicit-def: $vgpr3
	s_and_saveexec_b64 s[78:79], vcc
	s_xor_b64 s[78:79], exec, s[78:79]
; %bb.6879:
	v_bfe_u32 v3, v36, 20, 1
	s_mov_b32 vcc_lo, 0x407ffff
	v_add3_u32 v3, v36, v3, vcc_lo
	v_lshrrev_b32_e32 v5, 20, v3
	v_and_b32_e32 v3, 0xff00000, v3
	s_mov_b32 vcc_lo, 0x7f00000
	v_mov_b32_e32 v7, 0x7e
	v_cmp_ne_u32_e32 vcc, vcc_lo, v3
	v_cndmask_b32_e32 v3, v7, v5, vcc
; %bb.6880:
	s_andn2_saveexec_b64 vcc, s[78:79]
; %bb.6881:
	s_mov_b32 s78, 0x46800000
	v_add_f32_e64 v3, |v36|, s78
; %bb.6882:
	s_or_b64 exec, exec, vcc
                                        ; implicit-def: $vgpr5
.LBB14_6883:
	s_andn2_saveexec_b64 s[76:77], s[76:77]
; %bb.6884:
	s_mov_b32 vcc_lo, 0x7f800000
	v_mov_b32_e32 v3, 0x7e
	v_mov_b32_e32 v7, 0x7f
	v_cmp_lt_u32_e32 vcc, vcc_lo, v5
	v_cndmask_b32_e32 v3, v3, v7, vcc
; %bb.6885:
	s_or_b64 exec, exec, s[76:77]
	v_lshrrev_b32_e32 v5, 24, v36
	s_movk_i32 vcc_lo, 0x80
	v_and_or_b32 v3, v5, vcc_lo, v3
	flat_store_byte v[38:39], v3
.LBB14_6886:
	s_or_b64 exec, exec, s[74:75]
                                        ; implicit-def: $vgpr36
                                        ; implicit-def: $vgpr38_vgpr39
.LBB14_6887:
	s_andn2_saveexec_b64 s[72:73], s[72:73]
	s_cbranch_execz .LBB14_6897
; %bb.6888:
	v_and_b32_e32 v5, 0x7fffffff, v36
	s_mov_b32 vcc_lo, 0x47800000
	v_cmp_gt_u32_e32 vcc, vcc_lo, v5
                                        ; implicit-def: $vgpr3
	s_and_saveexec_b64 s[74:75], vcc
	s_xor_b64 s[74:75], exec, s[74:75]
	s_cbranch_execz .LBB14_6894
; %bb.6889:
	s_mov_b32 vcc_lo, 0x387fffff
	v_cmp_lt_u32_e32 vcc, vcc_lo, v5
                                        ; implicit-def: $vgpr3
	s_and_saveexec_b64 s[76:77], vcc
	s_xor_b64 vcc, exec, s[76:77]
; %bb.6890:
	v_bfe_u32 v3, v36, 21, 1
	s_mov_b32 s76, 0x80fffff
	v_add3_u32 v3, v36, v3, s76
	v_lshrrev_b32_e32 v3, 21, v3
; %bb.6891:
	s_andn2_saveexec_b64 vcc, vcc
; %bb.6892:
	s_mov_b32 s76, 0x43000000
	v_add_f32_e64 v3, |v36|, s76
; %bb.6893:
	s_or_b64 exec, exec, vcc
                                        ; implicit-def: $vgpr5
.LBB14_6894:
	s_andn2_saveexec_b64 s[74:75], s[74:75]
; %bb.6895:
	s_mov_b32 vcc_lo, 0x7f800000
	v_mov_b32_e32 v3, 0x7c
	v_mov_b32_e32 v7, 0x7f
	v_cmp_lt_u32_e32 vcc, vcc_lo, v5
	v_cndmask_b32_e32 v3, v3, v7, vcc
; %bb.6896:
	s_or_b64 exec, exec, s[74:75]
	v_lshrrev_b32_e32 v5, 24, v36
	s_movk_i32 vcc_lo, 0x80
	v_and_or_b32 v3, v5, vcc_lo, v3
	flat_store_byte v[38:39], v3
.LBB14_6897:
	s_or_b64 exec, exec, s[72:73]
	s_or_b64 s[72:73], s[4:5], exec
                                        ; implicit-def: $vgpr38_vgpr39
                                        ; implicit-def: $vgpr36
.LBB14_6898:
	s_or_saveexec_b64 s[70:71], s[70:71]
	s_mov_b64 s[74:75], s[66:67]
	s_xor_b64 exec, exec, s[70:71]
	s_cbranch_execz .LBB14_6908
; %bb.6899:
	v_mov_b32_e32 v3, 14
	v_cmp_gt_i16_sdwa s[76:77], v11, v3 src0_sel:BYTE_0 src1_sel:DWORD
	s_mov_b64 vcc, s[72:73]
	s_mov_b64 s[74:75], s[66:67]
	s_and_saveexec_b64 s[78:79], s[76:77]
	s_xor_b64 s[76:77], exec, s[78:79]
	s_cbranch_execz .LBB14_6903
; %bb.6900:
	v_mov_b32_e32 v3, 15
	v_cmp_eq_u16_sdwa s[80:81], v11, v3 src0_sel:BYTE_0 src1_sel:DWORD
	s_mov_b64 s[78:79], -1
	s_mov_b64 vcc, s[72:73]
	s_and_saveexec_b64 s[74:75], s[80:81]
	s_cbranch_execz .LBB14_6902
; %bb.6901:
	v_bfe_u32 v3, v36, 16, 1
	s_movk_i32 vcc_lo, 0x7fff
	v_add3_u32 v3, v36, v3, vcc_lo
	v_lshrrev_b32_e32 v3, 16, v3
	v_mov_b32_e32 v5, 0x7fc0
	v_cmp_o_f32_e32 vcc, v36, v36
	v_cndmask_b32_e32 v3, v5, v3, vcc
	flat_store_short v[38:39], v3
	s_xor_b64 s[78:79], exec, -1
	s_or_b64 vcc, s[72:73], exec
.LBB14_6902:
	s_or_b64 exec, exec, s[74:75]
	s_andn2_b64 s[74:75], s[66:67], exec
	s_and_b64 s[78:79], s[78:79], exec
	s_or_b64 s[74:75], s[74:75], s[78:79]
	s_andn2_b64 s[78:79], s[72:73], exec
	s_and_b64 vcc, vcc, exec
	s_or_b64 vcc, s[78:79], vcc
                                        ; implicit-def: $vgpr38_vgpr39
.LBB14_6903:
	s_andn2_saveexec_b64 s[76:77], s[76:77]
	s_cbranch_execz .LBB14_6907
; %bb.6904:
	v_mov_b32_e32 v3, 11
	v_cmp_eq_u16_sdwa s[84:85], v11, v3 src0_sel:BYTE_0 src1_sel:DWORD
	s_mov_b64 s[80:81], -1
	s_mov_b64 s[78:79], vcc
	s_and_saveexec_b64 s[82:83], s[84:85]
	s_cbranch_execz .LBB14_6906
; %bb.6905:
	v_mov_b32_e32 v3, 1
	flat_store_byte v[38:39], v3
	s_xor_b64 s[80:81], exec, -1
	s_or_b64 s[78:79], vcc, exec
.LBB14_6906:
	s_or_b64 exec, exec, s[82:83]
	s_andn2_b64 s[74:75], s[74:75], exec
	s_and_b64 s[80:81], s[80:81], exec
	s_andn2_b64 vcc, vcc, exec
	s_and_b64 s[78:79], s[78:79], exec
	s_or_b64 s[74:75], s[74:75], s[80:81]
	s_or_b64 vcc, vcc, s[78:79]
.LBB14_6907:
	s_or_b64 exec, exec, s[76:77]
	s_andn2_b64 s[76:77], s[66:67], exec
	s_and_b64 s[74:75], s[74:75], exec
	s_andn2_b64 s[72:73], s[72:73], exec
	s_and_b64 vcc, vcc, exec
	s_or_b64 s[74:75], s[76:77], s[74:75]
	s_or_b64 s[72:73], s[72:73], vcc
.LBB14_6908:
	s_or_b64 exec, exec, s[70:71]
	s_andn2_b64 vcc, s[66:67], exec
	s_and_b64 s[66:67], s[74:75], exec
	s_or_b64 s[66:67], vcc, s[66:67]
	s_andn2_b64 s[4:5], s[4:5], exec
	s_and_b64 vcc, s[72:73], exec
	s_or_b64 s[4:5], s[4:5], vcc
.LBB14_6909:
	s_or_b64 exec, exec, s[68:69]
	s_andn2_b64 vcc, s[58:59], exec
	s_and_b64 s[66:67], s[66:67], exec
	s_or_b64 s[66:67], vcc, s[66:67]
	s_and_b64 s[4:5], s[4:5], exec
                                        ; implicit-def: $vgpr36
                                        ; implicit-def: $vgpr38_vgpr39
	s_andn2_saveexec_b64 s[62:63], s[62:63]
	s_cbranch_execz .LBB14_3965
.LBB14_6910:
	v_mov_b32_e32 v3, 4
	v_cmp_gt_i16_sdwa vcc, v11, v3 src0_sel:BYTE_0 src1_sel:DWORD
	s_and_saveexec_b64 s[68:69], vcc
	s_xor_b64 vcc, exec, s[68:69]
	s_cbranch_execz .LBB14_6932
; %bb.6911:
	v_mov_b32_e32 v3, 7
	v_cmp_gt_i16_sdwa s[68:69], v11, v3 src0_sel:BYTE_0 src1_sel:DWORD
	s_and_saveexec_b64 s[70:71], s[68:69]
	s_xor_b64 s[68:69], exec, s[70:71]
	s_cbranch_execz .LBB14_6921
; %bb.6912:
	v_mov_b32_e32 v3, 8
	v_cmp_gt_i16_sdwa s[70:71], v11, v3 src0_sel:BYTE_0 src1_sel:DWORD
	s_and_saveexec_b64 s[72:73], s[70:71]
	s_xor_b64 s[70:71], exec, s[72:73]
	;; [unrolled: 6-line block ×3, first 2 shown]
	s_cbranch_execz .LBB14_6915
; %bb.6914:
	v_mov_b32_e32 v50, 0
	v_cvt_f64_f32_e32 v[48:49], v36
	v_mov_b32_e32 v51, v50
	flat_store_dwordx4 v[38:39], v[48:51]
                                        ; implicit-def: $vgpr36
                                        ; implicit-def: $vgpr38_vgpr39
.LBB14_6915:
	s_andn2_saveexec_b64 s[72:73], s[72:73]
	s_cbranch_execz .LBB14_6917
; %bb.6916:
	v_mov_b32_e32 v37, 0
	flat_store_dwordx2 v[38:39], v[36:37]
.LBB14_6917:
	s_or_b64 exec, exec, s[72:73]
                                        ; implicit-def: $vgpr36
                                        ; implicit-def: $vgpr38_vgpr39
.LBB14_6918:
	s_andn2_saveexec_b64 s[70:71], s[70:71]
	s_cbranch_execz .LBB14_6920
; %bb.6919:
	v_cvt_f16_f32_e32 v3, v36
	flat_store_dword v[38:39], v3
.LBB14_6920:
	s_or_b64 exec, exec, s[70:71]
                                        ; implicit-def: $vgpr36
                                        ; implicit-def: $vgpr38_vgpr39
.LBB14_6921:
	s_andn2_saveexec_b64 s[68:69], s[68:69]
	s_cbranch_execz .LBB14_6931
; %bb.6922:
	v_mov_b32_e32 v3, 5
	v_cmp_gt_i16_sdwa s[70:71], v11, v3 src0_sel:BYTE_0 src1_sel:DWORD
	s_and_saveexec_b64 s[72:73], s[70:71]
	s_xor_b64 s[70:71], exec, s[72:73]
	s_cbranch_execz .LBB14_6928
; %bb.6923:
	v_mov_b32_e32 v3, 6
	v_cmp_gt_i16_sdwa s[72:73], v11, v3 src0_sel:BYTE_0 src1_sel:DWORD
	s_and_saveexec_b64 s[74:75], s[72:73]
	s_xor_b64 s[72:73], exec, s[74:75]
	s_cbranch_execz .LBB14_6925
; %bb.6924:
	v_cvt_f64_f32_e32 v[36:37], v36
	flat_store_dwordx2 v[38:39], v[36:37]
                                        ; implicit-def: $vgpr38_vgpr39
                                        ; implicit-def: $vgpr36
.LBB14_6925:
	s_andn2_saveexec_b64 s[72:73], s[72:73]
	s_cbranch_execz .LBB14_6927
; %bb.6926:
	flat_store_dword v[38:39], v36
.LBB14_6927:
	s_or_b64 exec, exec, s[72:73]
                                        ; implicit-def: $vgpr36
                                        ; implicit-def: $vgpr38_vgpr39
.LBB14_6928:
	s_andn2_saveexec_b64 s[70:71], s[70:71]
	s_cbranch_execz .LBB14_6930
; %bb.6929:
	v_cvt_f16_f32_e32 v3, v36
	flat_store_short v[38:39], v3
.LBB14_6930:
	s_or_b64 exec, exec, s[70:71]
.LBB14_6931:
	s_or_b64 exec, exec, s[68:69]
                                        ; implicit-def: $vgpr36
                                        ; implicit-def: $vgpr38_vgpr39
.LBB14_6932:
	s_andn2_saveexec_b64 s[68:69], vcc
	s_cbranch_execz .LBB14_6950
; %bb.6933:
	v_mov_b32_e32 v3, 1
	v_cmp_gt_i16_sdwa vcc, v11, v3 src0_sel:BYTE_0 src1_sel:DWORD
	s_and_saveexec_b64 s[70:71], vcc
	s_xor_b64 s[70:71], exec, s[70:71]
	s_cbranch_execz .LBB14_6943
; %bb.6934:
	v_mov_b32_e32 v3, 2
	v_cmp_gt_i16_sdwa vcc, v11, v3 src0_sel:BYTE_0 src1_sel:DWORD
	s_and_saveexec_b64 s[72:73], vcc
	s_xor_b64 s[72:73], exec, s[72:73]
	;; [unrolled: 6-line block ×3, first 2 shown]
	s_cbranch_execz .LBB14_6937
; %bb.6936:
	v_trunc_f32_e32 v3, v36
	s_mov_b32 s76, 0x2f800000
	v_mul_f32_e64 v5, |v3|, s76
	v_floor_f32_e32 v5, v5
	s_mov_b32 s76, 0xcf800000
	v_cvt_u32_f32_e32 v7, v5
	v_fma_f32 v5, v5, s76, |v3|
	v_cvt_u32_f32_e32 v5, v5
	v_ashrrev_i32_e32 v3, 31, v3
	v_xor_b32_e32 v7, v7, v3
	v_xor_b32_e32 v5, v5, v3
	v_sub_co_u32_e32 v36, vcc, v5, v3
	v_subb_co_u32_e32 v37, vcc, v7, v3, vcc
	flat_store_dwordx2 v[38:39], v[36:37]
                                        ; implicit-def: $vgpr36
                                        ; implicit-def: $vgpr38_vgpr39
.LBB14_6937:
	s_andn2_saveexec_b64 vcc, s[74:75]
	s_cbranch_execz .LBB14_6939
; %bb.6938:
	v_cvt_i32_f32_e32 v3, v36
	flat_store_dword v[38:39], v3
.LBB14_6939:
	s_or_b64 exec, exec, vcc
                                        ; implicit-def: $vgpr36
                                        ; implicit-def: $vgpr38_vgpr39
.LBB14_6940:
	s_andn2_saveexec_b64 vcc, s[72:73]
	s_cbranch_execz .LBB14_6942
; %bb.6941:
	v_cvt_i32_f32_e32 v3, v36
	flat_store_short v[38:39], v3
.LBB14_6942:
	s_or_b64 exec, exec, vcc
                                        ; implicit-def: $vgpr36
                                        ; implicit-def: $vgpr38_vgpr39
.LBB14_6943:
	s_andn2_saveexec_b64 vcc, s[70:71]
	s_cbranch_execz .LBB14_6949
; %bb.6944:
	v_mov_b32_e32 v3, 0
	v_cmp_gt_i16_sdwa s[70:71], v11, v3 src0_sel:BYTE_0 src1_sel:DWORD
	s_and_saveexec_b64 s[72:73], s[70:71]
	s_xor_b64 s[70:71], exec, s[72:73]
	s_cbranch_execz .LBB14_6946
; %bb.6945:
	v_cvt_i32_f32_e32 v3, v36
                                        ; implicit-def: $vgpr36
	flat_store_byte v[38:39], v3
                                        ; implicit-def: $vgpr38_vgpr39
.LBB14_6946:
	s_andn2_saveexec_b64 s[70:71], s[70:71]
	s_cbranch_execz .LBB14_6948
; %bb.6947:
	v_trunc_f32_e32 v3, v36
	s_mov_b32 s72, 0x2f800000
	v_mul_f32_e64 v5, |v3|, s72
	v_floor_f32_e32 v5, v5
	s_mov_b32 s72, 0xcf800000
	v_fma_f32 v5, v5, s72, |v3|
	v_cvt_u32_f32_e32 v5, v5
	v_ashrrev_i32_e32 v3, 31, v3
	v_xor_b32_e32 v5, v5, v3
	v_sub_u32_e32 v3, v5, v3
	flat_store_byte v[38:39], v3
.LBB14_6948:
	s_or_b64 exec, exec, s[70:71]
.LBB14_6949:
	s_or_b64 exec, exec, vcc
.LBB14_6950:
	s_or_b64 exec, exec, s[68:69]
	s_or_b64 s[4:5], s[4:5], exec
	s_or_b64 exec, exec, s[62:63]
	s_mov_b64 vcc, 0
	s_and_saveexec_b64 s[62:63], s[4:5]
	s_cbranch_execnz .LBB14_3966
	s_branch .LBB14_3967
.LBB14_6951:
	v_bfe_u32 v3, v64, 21, 1
	s_mov_b32 s62, 0x88fffff
	v_add3_u32 v3, v64, v3, s62
	s_mov_b64 s[60:61], exec
	v_lshrrev_b32_e32 v3, 21, v3
	s_or_saveexec_b64 s[62:63], vcc
                                        ; implicit-def: $sgpr64
	s_xor_b64 exec, exec, s[62:63]
	s_cbranch_execz .LBB14_6116
.LBB14_6952:
	s_mov_b32 s64, 0x42800000
	v_add_f32_e64 v3, |v64|, s64
	v_and_b32_e32 v3, 0xff, v3
	v_cmp_ne_u32_e32 vcc, 0, v3
	s_andn2_b64 s[60:61], s[60:61], exec
	s_and_b64 vcc, vcc, exec
	s_mov_b32 s64, 0
	s_or_b64 s[60:61], s[60:61], vcc
	s_or_b64 exec, exec, s[62:63]
	v_mov_b32_e32 v5, s64
	s_and_saveexec_b64 vcc, s[60:61]
	s_cbranch_execnz .LBB14_6117
	s_branch .LBB14_6118
.LBB14_6953:
	v_bfe_u32 v3, v54, 20, 1
	s_mov_b32 s58, 0x487ffff
	v_add3_u32 v3, v54, v3, s58
	s_mov_b64 s[56:57], exec
	v_lshrrev_b32_e32 v3, 20, v3
	s_or_saveexec_b64 s[58:59], vcc
                                        ; implicit-def: $sgpr60
	s_xor_b64 exec, exec, s[58:59]
	s_cbranch_execz .LBB14_6229
.LBB14_6954:
	s_mov_b32 s60, 0x46000000
	v_add_f32_e64 v3, |v54|, s60
	v_and_b32_e32 v3, 0xff, v3
	v_cmp_ne_u32_e32 vcc, 0, v3
	s_andn2_b64 s[56:57], s[56:57], exec
	s_and_b64 vcc, vcc, exec
	s_mov_b32 s60, 0
	s_or_b64 s[56:57], s[56:57], vcc
	s_or_b64 exec, exec, s[58:59]
	v_mov_b32_e32 v5, s60
	s_and_saveexec_b64 vcc, s[56:57]
	s_cbranch_execnz .LBB14_6230
	s_branch .LBB14_6231
.LBB14_6955:
	v_mov_b32_e32 v3, 25
	v_cmp_gt_i16_sdwa vcc, v11, v3 src0_sel:BYTE_0 src1_sel:DWORD
	s_mov_b64 s[70:71], s[62:63]
	s_and_saveexec_b64 s[72:73], vcc
	s_xor_b64 s[72:73], exec, s[72:73]
	s_cbranch_execz .LBB14_6991
; %bb.6956:
	v_mov_b32_e32 v3, 28
	v_cmp_gt_i16_sdwa vcc, v11, v3 src0_sel:BYTE_0 src1_sel:DWORD
	s_mov_b64 s[74:75], s[62:63]
	s_and_saveexec_b64 s[70:71], vcc
	s_xor_b64 s[70:71], exec, s[70:71]
	s_cbranch_execz .LBB14_6974
; %bb.6957:
	v_mov_b32_e32 v3, 43
	v_cmp_gt_i16_sdwa s[74:75], v11, v3 src0_sel:BYTE_0 src1_sel:DWORD
	s_mov_b64 vcc, s[62:63]
	s_and_saveexec_b64 s[76:77], s[74:75]
	s_xor_b64 s[74:75], exec, s[76:77]
	s_cbranch_execz .LBB14_6969
; %bb.6958:
	v_mov_b32_e32 v3, 45
	v_cmp_gt_i16_sdwa s[4:5], v11, v3 src0_sel:BYTE_0 src1_sel:DWORD
	s_mov_b64 s[76:77], 0
	s_mov_b64 s[78:79], s[62:63]
	s_and_saveexec_b64 vcc, s[4:5]
	s_xor_b64 s[4:5], exec, vcc
	s_cbranch_execz .LBB14_6962
; %bb.6959:
	v_mov_b32_e32 v3, 46
	v_cmp_eq_u16_sdwa s[80:81], v11, v3 src0_sel:BYTE_0 src1_sel:DWORD
	s_mov_b64 vcc, -1
	s_and_saveexec_b64 s[78:79], s[80:81]
	s_cbranch_execz .LBB14_6961
; %bb.6960:
	v_bfe_u32 v3, v34, 16, 1
	s_movk_i32 vcc_lo, 0x7fff
	v_add3_u32 v3, v34, v3, vcc_lo
	v_lshrrev_b32_e32 v3, 16, v3
	v_mov_b32_e32 v5, 0x7fc0
	v_cmp_o_f32_e32 vcc, v34, v34
	v_cndmask_b32_e32 v3, v5, v3, vcc
	s_mov_b64 s[76:77], exec
	flat_store_dword v[36:37], v3
	s_xor_b64 vcc, exec, -1
.LBB14_6961:
	s_or_b64 exec, exec, s[78:79]
	s_andn2_b64 s[78:79], s[62:63], exec
	s_and_b64 vcc, vcc, exec
	s_or_b64 s[78:79], s[78:79], vcc
	s_and_b64 s[76:77], s[76:77], exec
                                        ; implicit-def: $vgpr36_vgpr37
                                        ; implicit-def: $vgpr34
.LBB14_6962:
	s_andn2_saveexec_b64 s[80:81], s[4:5]
	s_cbranch_execz .LBB14_6968
; %bb.6963:
	v_mov_b32_e32 v3, 44
	v_cmp_eq_u16_sdwa s[84:85], v11, v3 src0_sel:BYTE_0 src1_sel:DWORD
	s_mov_b64 vcc, -1
	s_mov_b64 s[4:5], s[76:77]
	s_and_saveexec_b64 s[82:83], s[84:85]
	s_cbranch_execz .LBB14_6967
; %bb.6964:
	v_bfe_u32 v3, v34, 23, 8
	s_movk_i32 s4, 0xff
	v_cmp_ne_u32_e32 vcc, s4, v3
	v_mov_b32_e32 v5, 0xff
	s_and_saveexec_b64 s[84:85], vcc
; %bb.6965:
	s_mov_b32 s4, 0x3fffff
	v_and_b32_e32 v7, 0x400000, v34
	v_and_or_b32 v3, v34, s4, v3
	v_cmp_ne_u32_e32 vcc, 0, v7
	v_cmp_ne_u32_e64 s[4:5], 0, v3
	s_and_b64 s[4:5], vcc, s[4:5]
	v_lshrrev_b32_e32 v5, 23, v34
	v_cndmask_b32_e64 v3, 0, 1, s[4:5]
	v_add_u32_e32 v5, v5, v3
; %bb.6966:
	s_or_b64 exec, exec, s[84:85]
	s_xor_b64 vcc, exec, -1
	s_or_b64 s[4:5], s[76:77], exec
	flat_store_byte v[36:37], v5
.LBB14_6967:
	s_or_b64 exec, exec, s[82:83]
	s_andn2_b64 s[78:79], s[78:79], exec
	s_and_b64 vcc, vcc, exec
	s_or_b64 s[78:79], s[78:79], vcc
	s_andn2_b64 vcc, s[76:77], exec
	s_and_b64 s[4:5], s[4:5], exec
	s_or_b64 s[76:77], vcc, s[4:5]
.LBB14_6968:
	s_or_b64 exec, exec, s[80:81]
	s_andn2_b64 s[4:5], s[62:63], exec
	s_and_b64 vcc, s[78:79], exec
	s_or_b64 vcc, s[4:5], vcc
	s_and_b64 s[4:5], s[76:77], exec
                                        ; implicit-def: $vgpr34
                                        ; implicit-def: $vgpr36_vgpr37
.LBB14_6969:
	s_andn2_saveexec_b64 s[74:75], s[74:75]
	s_cbranch_execz .LBB14_6973
; %bb.6970:
	v_mov_b32_e32 v3, 29
	v_cmp_eq_u16_sdwa s[82:83], v11, v3 src0_sel:BYTE_0 src1_sel:DWORD
	s_mov_b64 s[80:81], -1
	s_mov_b64 s[78:79], s[4:5]
	s_and_saveexec_b64 s[76:77], s[82:83]
	s_cbranch_execz .LBB14_6972
; %bb.6971:
	v_trunc_f32_e32 v3, v34
	v_mul_f32_e32 v5, 0x2f800000, v3
	v_floor_f32_e32 v5, v5
	v_fmac_f32_e32 v3, 0xcf800000, v5
	v_cvt_u32_f32_e32 v35, v5
	v_cvt_u32_f32_e32 v34, v3
	s_xor_b64 s[80:81], exec, -1
	s_or_b64 s[78:79], s[4:5], exec
	flat_store_dwordx2 v[36:37], v[34:35]
.LBB14_6972:
	s_or_b64 exec, exec, s[76:77]
	s_andn2_b64 vcc, vcc, exec
	s_and_b64 s[76:77], s[80:81], exec
	s_or_b64 vcc, vcc, s[76:77]
	s_andn2_b64 s[4:5], s[4:5], exec
	s_and_b64 s[76:77], s[78:79], exec
	s_or_b64 s[4:5], s[4:5], s[76:77]
.LBB14_6973:
	s_or_b64 exec, exec, s[74:75]
	s_andn2_b64 s[74:75], s[62:63], exec
	s_and_b64 vcc, vcc, exec
	s_or_b64 s[74:75], s[74:75], vcc
	s_and_b64 s[4:5], s[4:5], exec
                                        ; implicit-def: $vgpr36_vgpr37
                                        ; implicit-def: $vgpr34
.LBB14_6974:
	s_andn2_saveexec_b64 s[70:71], s[70:71]
	s_cbranch_execz .LBB14_6990
; %bb.6975:
	v_mov_b32_e32 v3, 26
	v_cmp_gt_i16_sdwa vcc, v11, v3 src0_sel:BYTE_0 src1_sel:DWORD
	s_and_saveexec_b64 s[76:77], vcc
	s_xor_b64 vcc, exec, s[76:77]
	s_cbranch_execz .LBB14_6981
; %bb.6976:
	v_cvt_u32_f32_e32 v3, v34
	v_mov_b32_e32 v5, 27
	v_cmp_gt_i16_sdwa s[76:77], v11, v5 src0_sel:BYTE_0 src1_sel:DWORD
	s_and_saveexec_b64 s[78:79], s[76:77]
	s_xor_b64 s[76:77], exec, s[78:79]
	s_cbranch_execz .LBB14_6978
; %bb.6977:
	flat_store_dword v[36:37], v3
                                        ; implicit-def: $vgpr36_vgpr37
                                        ; implicit-def: $vgpr3
.LBB14_6978:
	s_andn2_saveexec_b64 s[76:77], s[76:77]
	s_cbranch_execz .LBB14_6980
; %bb.6979:
	flat_store_short v[36:37], v3
.LBB14_6980:
	s_or_b64 exec, exec, s[76:77]
                                        ; implicit-def: $vgpr36_vgpr37
                                        ; implicit-def: $vgpr34
.LBB14_6981:
	s_andn2_saveexec_b64 s[76:77], vcc
	s_cbranch_execz .LBB14_6989
; %bb.6982:
	v_and_b32_e32 v3, 0x7fffffff, v34
	s_mov_b32 vcc_lo, 0x43800000
	v_cmp_gt_u32_e32 vcc, vcc_lo, v3
	v_mov_b32_e32 v5, 0x80
	s_and_saveexec_b64 s[78:79], vcc
	s_cbranch_execz .LBB14_6988
; %bb.6983:
	s_mov_b32 vcc_lo, 0x3bffffff
	v_cmp_lt_u32_e32 vcc, vcc_lo, v3
	s_mov_b64 s[80:81], 0
                                        ; implicit-def: $vgpr3
	s_and_saveexec_b64 s[82:83], vcc
	s_xor_b64 vcc, exec, s[82:83]
	s_cbranch_execnz .LBB14_7709
; %bb.6984:
	s_or_saveexec_b64 s[82:83], vcc
                                        ; implicit-def: $sgpr84
	s_xor_b64 exec, exec, s[82:83]
	s_cbranch_execnz .LBB14_7710
.LBB14_6985:
	s_or_b64 exec, exec, s[82:83]
	v_mov_b32_e32 v5, s84
	s_and_saveexec_b64 vcc, s[80:81]
.LBB14_6986:
	v_lshrrev_b32_e32 v5, 24, v34
	s_movk_i32 s80, 0x80
	v_and_or_b32 v5, v5, s80, v3
.LBB14_6987:
	s_or_b64 exec, exec, vcc
.LBB14_6988:
	s_or_b64 exec, exec, s[78:79]
	flat_store_byte v[36:37], v5
.LBB14_6989:
	s_or_b64 exec, exec, s[76:77]
	s_or_b64 s[4:5], s[4:5], exec
.LBB14_6990:
	s_or_b64 exec, exec, s[70:71]
	s_andn2_b64 vcc, s[62:63], exec
	s_and_b64 s[70:71], s[74:75], exec
	s_or_b64 s[70:71], vcc, s[70:71]
	s_and_b64 s[4:5], s[4:5], exec
                                        ; implicit-def: $vgpr34
                                        ; implicit-def: $vgpr36_vgpr37
.LBB14_6991:
	s_andn2_saveexec_b64 s[72:73], s[72:73]
	s_cbranch_execz .LBB14_7035
; %bb.6992:
	v_mov_b32_e32 v3, 22
	v_cmp_gt_i16_sdwa vcc, v11, v3 src0_sel:BYTE_0 src1_sel:DWORD
	s_mov_b64 s[76:77], s[4:5]
	s_and_saveexec_b64 s[74:75], vcc
	s_xor_b64 s[74:75], exec, s[74:75]
	s_cbranch_execz .LBB14_7024
; %bb.6993:
	v_mov_b32_e32 v3, 23
	v_cmp_gt_i16_sdwa vcc, v11, v3 src0_sel:BYTE_0 src1_sel:DWORD
	s_and_saveexec_b64 s[76:77], vcc
	s_xor_b64 s[76:77], exec, s[76:77]
	s_cbranch_execz .LBB14_7013
; %bb.6994:
	v_mov_b32_e32 v3, 24
	v_cmp_gt_i16_sdwa vcc, v11, v3 src0_sel:BYTE_0 src1_sel:DWORD
	s_and_saveexec_b64 s[78:79], vcc
	s_xor_b64 s[78:79], exec, s[78:79]
	s_cbranch_execz .LBB14_7002
; %bb.6995:
	v_and_b32_e32 v3, 0x7fffffff, v34
	s_mov_b32 vcc_lo, 0x47800000
	v_cmp_gt_u32_e32 vcc, vcc_lo, v3
	v_mov_b32_e32 v5, 0x80
	s_and_saveexec_b64 s[80:81], vcc
	s_cbranch_execz .LBB14_7001
; %bb.6996:
	s_mov_b32 vcc_lo, 0x37ffffff
	v_cmp_lt_u32_e32 vcc, vcc_lo, v3
	s_mov_b64 s[82:83], 0
                                        ; implicit-def: $vgpr3
	s_and_saveexec_b64 s[84:85], vcc
	s_xor_b64 vcc, exec, s[84:85]
	s_cbranch_execnz .LBB14_7833
; %bb.6997:
	s_or_saveexec_b64 s[84:85], vcc
                                        ; implicit-def: $sgpr86
	s_xor_b64 exec, exec, s[84:85]
	s_cbranch_execnz .LBB14_7834
.LBB14_6998:
	s_or_b64 exec, exec, s[84:85]
	v_mov_b32_e32 v5, s86
	s_and_saveexec_b64 vcc, s[82:83]
.LBB14_6999:
	v_lshrrev_b32_e32 v5, 24, v34
	s_movk_i32 s82, 0x80
	v_and_or_b32 v5, v5, s82, v3
.LBB14_7000:
	s_or_b64 exec, exec, vcc
.LBB14_7001:
	s_or_b64 exec, exec, s[80:81]
	flat_store_byte v[36:37], v5
                                        ; implicit-def: $vgpr34
                                        ; implicit-def: $vgpr36_vgpr37
.LBB14_7002:
	s_andn2_saveexec_b64 s[78:79], s[78:79]
	s_cbranch_execz .LBB14_7012
; %bb.7003:
	v_and_b32_e32 v5, 0x7fffffff, v34
	s_mov_b32 vcc_lo, 0x43f00000
	v_cmp_gt_u32_e32 vcc, vcc_lo, v5
                                        ; implicit-def: $vgpr3
	s_and_saveexec_b64 s[80:81], vcc
	s_xor_b64 s[80:81], exec, s[80:81]
	s_cbranch_execz .LBB14_7009
; %bb.7004:
	s_mov_b32 vcc_lo, 0x3c7fffff
	v_cmp_lt_u32_e32 vcc, vcc_lo, v5
                                        ; implicit-def: $vgpr3
	s_and_saveexec_b64 s[82:83], vcc
	s_xor_b64 s[82:83], exec, s[82:83]
; %bb.7005:
	v_bfe_u32 v3, v34, 20, 1
	s_mov_b32 vcc_lo, 0x407ffff
	v_add3_u32 v3, v34, v3, vcc_lo
	v_lshrrev_b32_e32 v5, 20, v3
	v_and_b32_e32 v3, 0xff00000, v3
	s_mov_b32 vcc_lo, 0x7f00000
	v_mov_b32_e32 v7, 0x7e
	v_cmp_ne_u32_e32 vcc, vcc_lo, v3
	v_cndmask_b32_e32 v3, v7, v5, vcc
; %bb.7006:
	s_andn2_saveexec_b64 vcc, s[82:83]
; %bb.7007:
	s_mov_b32 s82, 0x46800000
	v_add_f32_e64 v3, |v34|, s82
; %bb.7008:
	s_or_b64 exec, exec, vcc
                                        ; implicit-def: $vgpr5
.LBB14_7009:
	s_andn2_saveexec_b64 s[80:81], s[80:81]
; %bb.7010:
	s_mov_b32 vcc_lo, 0x7f800000
	v_mov_b32_e32 v3, 0x7e
	v_mov_b32_e32 v7, 0x7f
	v_cmp_lt_u32_e32 vcc, vcc_lo, v5
	v_cndmask_b32_e32 v3, v3, v7, vcc
; %bb.7011:
	s_or_b64 exec, exec, s[80:81]
	v_lshrrev_b32_e32 v5, 24, v34
	s_movk_i32 vcc_lo, 0x80
	v_and_or_b32 v3, v5, vcc_lo, v3
	flat_store_byte v[36:37], v3
.LBB14_7012:
	s_or_b64 exec, exec, s[78:79]
                                        ; implicit-def: $vgpr34
                                        ; implicit-def: $vgpr36_vgpr37
.LBB14_7013:
	s_andn2_saveexec_b64 s[76:77], s[76:77]
	s_cbranch_execz .LBB14_7023
; %bb.7014:
	v_and_b32_e32 v5, 0x7fffffff, v34
	s_mov_b32 vcc_lo, 0x47800000
	v_cmp_gt_u32_e32 vcc, vcc_lo, v5
                                        ; implicit-def: $vgpr3
	s_and_saveexec_b64 s[78:79], vcc
	s_xor_b64 s[78:79], exec, s[78:79]
	s_cbranch_execz .LBB14_7020
; %bb.7015:
	s_mov_b32 vcc_lo, 0x387fffff
	v_cmp_lt_u32_e32 vcc, vcc_lo, v5
                                        ; implicit-def: $vgpr3
	s_and_saveexec_b64 s[80:81], vcc
	s_xor_b64 vcc, exec, s[80:81]
; %bb.7016:
	v_bfe_u32 v3, v34, 21, 1
	s_mov_b32 s80, 0x80fffff
	v_add3_u32 v3, v34, v3, s80
	v_lshrrev_b32_e32 v3, 21, v3
; %bb.7017:
	s_andn2_saveexec_b64 vcc, vcc
; %bb.7018:
	s_mov_b32 s80, 0x43000000
	v_add_f32_e64 v3, |v34|, s80
; %bb.7019:
	s_or_b64 exec, exec, vcc
                                        ; implicit-def: $vgpr5
.LBB14_7020:
	s_andn2_saveexec_b64 s[78:79], s[78:79]
; %bb.7021:
	s_mov_b32 vcc_lo, 0x7f800000
	v_mov_b32_e32 v3, 0x7c
	v_mov_b32_e32 v7, 0x7f
	v_cmp_lt_u32_e32 vcc, vcc_lo, v5
	v_cndmask_b32_e32 v3, v3, v7, vcc
; %bb.7022:
	s_or_b64 exec, exec, s[78:79]
	v_lshrrev_b32_e32 v5, 24, v34
	s_movk_i32 vcc_lo, 0x80
	v_and_or_b32 v3, v5, vcc_lo, v3
	flat_store_byte v[36:37], v3
.LBB14_7023:
	s_or_b64 exec, exec, s[76:77]
	s_or_b64 s[76:77], s[4:5], exec
                                        ; implicit-def: $vgpr36_vgpr37
                                        ; implicit-def: $vgpr34
.LBB14_7024:
	s_or_saveexec_b64 s[74:75], s[74:75]
	s_mov_b64 s[78:79], s[70:71]
	s_xor_b64 exec, exec, s[74:75]
	s_cbranch_execz .LBB14_7034
; %bb.7025:
	v_mov_b32_e32 v3, 14
	v_cmp_gt_i16_sdwa s[80:81], v11, v3 src0_sel:BYTE_0 src1_sel:DWORD
	s_mov_b64 vcc, s[76:77]
	s_mov_b64 s[78:79], s[70:71]
	s_and_saveexec_b64 s[82:83], s[80:81]
	s_xor_b64 s[80:81], exec, s[82:83]
	s_cbranch_execz .LBB14_7029
; %bb.7026:
	v_mov_b32_e32 v3, 15
	v_cmp_eq_u16_sdwa s[84:85], v11, v3 src0_sel:BYTE_0 src1_sel:DWORD
	s_mov_b64 s[82:83], -1
	s_mov_b64 vcc, s[76:77]
	s_and_saveexec_b64 s[78:79], s[84:85]
	s_cbranch_execz .LBB14_7028
; %bb.7027:
	v_bfe_u32 v3, v34, 16, 1
	s_movk_i32 vcc_lo, 0x7fff
	v_add3_u32 v3, v34, v3, vcc_lo
	v_lshrrev_b32_e32 v3, 16, v3
	v_mov_b32_e32 v5, 0x7fc0
	v_cmp_o_f32_e32 vcc, v34, v34
	v_cndmask_b32_e32 v3, v5, v3, vcc
	flat_store_short v[36:37], v3
	s_xor_b64 s[82:83], exec, -1
	s_or_b64 vcc, s[76:77], exec
.LBB14_7028:
	s_or_b64 exec, exec, s[78:79]
	s_andn2_b64 s[78:79], s[70:71], exec
	s_and_b64 s[82:83], s[82:83], exec
	s_or_b64 s[78:79], s[78:79], s[82:83]
	s_andn2_b64 s[82:83], s[76:77], exec
	s_and_b64 vcc, vcc, exec
	s_or_b64 vcc, s[82:83], vcc
                                        ; implicit-def: $vgpr36_vgpr37
.LBB14_7029:
	s_andn2_saveexec_b64 s[80:81], s[80:81]
	s_cbranch_execz .LBB14_7033
; %bb.7030:
	v_mov_b32_e32 v3, 11
	v_cmp_eq_u16_sdwa s[88:89], v11, v3 src0_sel:BYTE_0 src1_sel:DWORD
	s_mov_b64 s[84:85], -1
	s_mov_b64 s[82:83], vcc
	s_and_saveexec_b64 s[86:87], s[88:89]
	s_cbranch_execz .LBB14_7032
; %bb.7031:
	v_mov_b32_e32 v3, 1
	flat_store_byte v[36:37], v3
	s_xor_b64 s[84:85], exec, -1
	s_or_b64 s[82:83], vcc, exec
.LBB14_7032:
	s_or_b64 exec, exec, s[86:87]
	s_andn2_b64 s[78:79], s[78:79], exec
	s_and_b64 s[84:85], s[84:85], exec
	s_andn2_b64 vcc, vcc, exec
	s_and_b64 s[82:83], s[82:83], exec
	s_or_b64 s[78:79], s[78:79], s[84:85]
	s_or_b64 vcc, vcc, s[82:83]
.LBB14_7033:
	s_or_b64 exec, exec, s[80:81]
	s_andn2_b64 s[80:81], s[70:71], exec
	s_and_b64 s[78:79], s[78:79], exec
	s_andn2_b64 s[76:77], s[76:77], exec
	s_and_b64 vcc, vcc, exec
	s_or_b64 s[78:79], s[80:81], s[78:79]
	s_or_b64 s[76:77], s[76:77], vcc
.LBB14_7034:
	s_or_b64 exec, exec, s[74:75]
	s_andn2_b64 vcc, s[70:71], exec
	s_and_b64 s[70:71], s[78:79], exec
	s_or_b64 s[70:71], vcc, s[70:71]
	s_andn2_b64 s[4:5], s[4:5], exec
	s_and_b64 vcc, s[76:77], exec
	s_or_b64 s[4:5], s[4:5], vcc
.LBB14_7035:
	s_or_b64 exec, exec, s[72:73]
	s_andn2_b64 vcc, s[62:63], exec
	s_and_b64 s[70:71], s[70:71], exec
	s_or_b64 s[70:71], vcc, s[70:71]
	s_and_b64 s[4:5], s[4:5], exec
                                        ; implicit-def: $vgpr34
                                        ; implicit-def: $vgpr36_vgpr37
	s_andn2_saveexec_b64 s[66:67], s[66:67]
	s_cbranch_execz .LBB14_3972
.LBB14_7036:
	v_mov_b32_e32 v3, 4
	v_cmp_gt_i16_sdwa vcc, v11, v3 src0_sel:BYTE_0 src1_sel:DWORD
	s_and_saveexec_b64 s[72:73], vcc
	s_xor_b64 vcc, exec, s[72:73]
	s_cbranch_execz .LBB14_7058
; %bb.7037:
	v_mov_b32_e32 v3, 7
	v_cmp_gt_i16_sdwa s[72:73], v11, v3 src0_sel:BYTE_0 src1_sel:DWORD
	s_and_saveexec_b64 s[74:75], s[72:73]
	s_xor_b64 s[72:73], exec, s[74:75]
	s_cbranch_execz .LBB14_7047
; %bb.7038:
	v_mov_b32_e32 v3, 8
	v_cmp_gt_i16_sdwa s[74:75], v11, v3 src0_sel:BYTE_0 src1_sel:DWORD
	s_and_saveexec_b64 s[76:77], s[74:75]
	s_xor_b64 s[74:75], exec, s[76:77]
	;; [unrolled: 6-line block ×3, first 2 shown]
	s_cbranch_execz .LBB14_7041
; %bb.7040:
	v_mov_b32_e32 v50, 0
	v_cvt_f64_f32_e32 v[48:49], v34
	v_mov_b32_e32 v51, v50
	flat_store_dwordx4 v[36:37], v[48:51]
                                        ; implicit-def: $vgpr34
                                        ; implicit-def: $vgpr36_vgpr37
.LBB14_7041:
	s_andn2_saveexec_b64 s[76:77], s[76:77]
	s_cbranch_execz .LBB14_7043
; %bb.7042:
	v_mov_b32_e32 v35, 0
	flat_store_dwordx2 v[36:37], v[34:35]
.LBB14_7043:
	s_or_b64 exec, exec, s[76:77]
                                        ; implicit-def: $vgpr34
                                        ; implicit-def: $vgpr36_vgpr37
.LBB14_7044:
	s_andn2_saveexec_b64 s[74:75], s[74:75]
	s_cbranch_execz .LBB14_7046
; %bb.7045:
	v_cvt_f16_f32_e32 v3, v34
	flat_store_dword v[36:37], v3
.LBB14_7046:
	s_or_b64 exec, exec, s[74:75]
                                        ; implicit-def: $vgpr34
                                        ; implicit-def: $vgpr36_vgpr37
.LBB14_7047:
	s_andn2_saveexec_b64 s[72:73], s[72:73]
	s_cbranch_execz .LBB14_7057
; %bb.7048:
	v_mov_b32_e32 v3, 5
	v_cmp_gt_i16_sdwa s[74:75], v11, v3 src0_sel:BYTE_0 src1_sel:DWORD
	s_and_saveexec_b64 s[76:77], s[74:75]
	s_xor_b64 s[74:75], exec, s[76:77]
	s_cbranch_execz .LBB14_7054
; %bb.7049:
	v_mov_b32_e32 v3, 6
	v_cmp_gt_i16_sdwa s[76:77], v11, v3 src0_sel:BYTE_0 src1_sel:DWORD
	s_and_saveexec_b64 s[78:79], s[76:77]
	s_xor_b64 s[76:77], exec, s[78:79]
	s_cbranch_execz .LBB14_7051
; %bb.7050:
	v_cvt_f64_f32_e32 v[34:35], v34
	flat_store_dwordx2 v[36:37], v[34:35]
                                        ; implicit-def: $vgpr36_vgpr37
                                        ; implicit-def: $vgpr34
.LBB14_7051:
	s_andn2_saveexec_b64 s[76:77], s[76:77]
	s_cbranch_execz .LBB14_7053
; %bb.7052:
	flat_store_dword v[36:37], v34
.LBB14_7053:
	s_or_b64 exec, exec, s[76:77]
                                        ; implicit-def: $vgpr34
                                        ; implicit-def: $vgpr36_vgpr37
.LBB14_7054:
	s_andn2_saveexec_b64 s[74:75], s[74:75]
	s_cbranch_execz .LBB14_7056
; %bb.7055:
	v_cvt_f16_f32_e32 v3, v34
	flat_store_short v[36:37], v3
.LBB14_7056:
	s_or_b64 exec, exec, s[74:75]
.LBB14_7057:
	s_or_b64 exec, exec, s[72:73]
                                        ; implicit-def: $vgpr34
                                        ; implicit-def: $vgpr36_vgpr37
.LBB14_7058:
	s_andn2_saveexec_b64 s[72:73], vcc
	s_cbranch_execz .LBB14_7076
; %bb.7059:
	v_mov_b32_e32 v3, 1
	v_cmp_gt_i16_sdwa vcc, v11, v3 src0_sel:BYTE_0 src1_sel:DWORD
	s_and_saveexec_b64 s[74:75], vcc
	s_xor_b64 s[74:75], exec, s[74:75]
	s_cbranch_execz .LBB14_7069
; %bb.7060:
	v_mov_b32_e32 v3, 2
	v_cmp_gt_i16_sdwa vcc, v11, v3 src0_sel:BYTE_0 src1_sel:DWORD
	s_and_saveexec_b64 s[76:77], vcc
	s_xor_b64 s[76:77], exec, s[76:77]
	;; [unrolled: 6-line block ×3, first 2 shown]
	s_cbranch_execz .LBB14_7063
; %bb.7062:
	v_trunc_f32_e32 v3, v34
	s_mov_b32 s80, 0x2f800000
	v_mul_f32_e64 v5, |v3|, s80
	v_floor_f32_e32 v5, v5
	s_mov_b32 s80, 0xcf800000
	v_cvt_u32_f32_e32 v7, v5
	v_fma_f32 v5, v5, s80, |v3|
	v_cvt_u32_f32_e32 v5, v5
	v_ashrrev_i32_e32 v3, 31, v3
	v_xor_b32_e32 v7, v7, v3
	v_xor_b32_e32 v5, v5, v3
	v_sub_co_u32_e32 v34, vcc, v5, v3
	v_subb_co_u32_e32 v35, vcc, v7, v3, vcc
	flat_store_dwordx2 v[36:37], v[34:35]
                                        ; implicit-def: $vgpr34
                                        ; implicit-def: $vgpr36_vgpr37
.LBB14_7063:
	s_andn2_saveexec_b64 vcc, s[78:79]
	s_cbranch_execz .LBB14_7065
; %bb.7064:
	v_cvt_i32_f32_e32 v3, v34
	flat_store_dword v[36:37], v3
.LBB14_7065:
	s_or_b64 exec, exec, vcc
                                        ; implicit-def: $vgpr34
                                        ; implicit-def: $vgpr36_vgpr37
.LBB14_7066:
	s_andn2_saveexec_b64 vcc, s[76:77]
	s_cbranch_execz .LBB14_7068
; %bb.7067:
	v_cvt_i32_f32_e32 v3, v34
	flat_store_short v[36:37], v3
.LBB14_7068:
	s_or_b64 exec, exec, vcc
                                        ; implicit-def: $vgpr34
                                        ; implicit-def: $vgpr36_vgpr37
.LBB14_7069:
	s_andn2_saveexec_b64 vcc, s[74:75]
	s_cbranch_execz .LBB14_7075
; %bb.7070:
	v_mov_b32_e32 v3, 0
	v_cmp_gt_i16_sdwa s[74:75], v11, v3 src0_sel:BYTE_0 src1_sel:DWORD
	s_and_saveexec_b64 s[76:77], s[74:75]
	s_xor_b64 s[74:75], exec, s[76:77]
	s_cbranch_execz .LBB14_7072
; %bb.7071:
	v_cvt_i32_f32_e32 v3, v34
                                        ; implicit-def: $vgpr34
	flat_store_byte v[36:37], v3
                                        ; implicit-def: $vgpr36_vgpr37
.LBB14_7072:
	s_andn2_saveexec_b64 s[74:75], s[74:75]
	s_cbranch_execz .LBB14_7074
; %bb.7073:
	v_trunc_f32_e32 v3, v34
	s_mov_b32 s76, 0x2f800000
	v_mul_f32_e64 v5, |v3|, s76
	v_floor_f32_e32 v5, v5
	s_mov_b32 s76, 0xcf800000
	v_fma_f32 v5, v5, s76, |v3|
	v_cvt_u32_f32_e32 v5, v5
	v_ashrrev_i32_e32 v3, 31, v3
	v_xor_b32_e32 v5, v5, v3
	v_sub_u32_e32 v3, v5, v3
	flat_store_byte v[36:37], v3
.LBB14_7074:
	s_or_b64 exec, exec, s[74:75]
.LBB14_7075:
	s_or_b64 exec, exec, vcc
.LBB14_7076:
	s_or_b64 exec, exec, s[72:73]
	s_or_b64 s[4:5], s[4:5], exec
	s_or_b64 exec, exec, s[66:67]
	s_mov_b64 vcc, 0
	s_and_saveexec_b64 s[66:67], s[4:5]
	s_cbranch_execnz .LBB14_3973
	s_branch .LBB14_3974
.LBB14_7077:
	v_bfe_u32 v3, v54, 21, 1
	s_mov_b32 s60, 0x88fffff
	v_add3_u32 v3, v54, v3, s60
	s_mov_b64 s[58:59], exec
	v_lshrrev_b32_e32 v3, 21, v3
	s_or_saveexec_b64 s[60:61], vcc
                                        ; implicit-def: $sgpr62
	s_xor_b64 exec, exec, s[60:61]
	s_cbranch_execz .LBB14_6242
.LBB14_7078:
	s_mov_b32 s62, 0x42800000
	v_add_f32_e64 v3, |v54|, s62
	v_and_b32_e32 v3, 0xff, v3
	v_cmp_ne_u32_e32 vcc, 0, v3
	s_andn2_b64 s[58:59], s[58:59], exec
	s_and_b64 vcc, vcc, exec
	s_mov_b32 s62, 0
	s_or_b64 s[58:59], s[58:59], vcc
	s_or_b64 exec, exec, s[60:61]
	v_mov_b32_e32 v5, s62
	s_and_saveexec_b64 vcc, s[58:59]
	s_cbranch_execnz .LBB14_6243
	s_branch .LBB14_6244
.LBB14_7079:
	v_bfe_u32 v3, v52, 20, 1
	s_mov_b32 s62, 0x487ffff
	v_add3_u32 v3, v52, v3, s62
	s_mov_b64 s[60:61], exec
	v_lshrrev_b32_e32 v3, 20, v3
	s_or_saveexec_b64 s[62:63], vcc
                                        ; implicit-def: $sgpr64
	s_xor_b64 exec, exec, s[62:63]
	s_cbranch_execz .LBB14_6355
.LBB14_7080:
	s_mov_b32 s64, 0x46000000
	v_add_f32_e64 v3, |v52|, s64
	v_and_b32_e32 v3, 0xff, v3
	v_cmp_ne_u32_e32 vcc, 0, v3
	s_andn2_b64 s[60:61], s[60:61], exec
	s_and_b64 vcc, vcc, exec
	s_mov_b32 s64, 0
	s_or_b64 s[60:61], s[60:61], vcc
	s_or_b64 exec, exec, s[62:63]
	v_mov_b32_e32 v5, s64
	s_and_saveexec_b64 vcc, s[60:61]
	s_cbranch_execnz .LBB14_6356
	s_branch .LBB14_6357
.LBB14_7081:
	v_mov_b32_e32 v3, 25
	v_cmp_gt_i16_sdwa vcc, v11, v3 src0_sel:BYTE_0 src1_sel:DWORD
	s_mov_b64 s[74:75], s[66:67]
	s_and_saveexec_b64 s[76:77], vcc
	s_xor_b64 s[76:77], exec, s[76:77]
	s_cbranch_execz .LBB14_7117
; %bb.7082:
	v_mov_b32_e32 v3, 28
	v_cmp_gt_i16_sdwa vcc, v11, v3 src0_sel:BYTE_0 src1_sel:DWORD
	s_mov_b64 s[78:79], s[66:67]
	s_and_saveexec_b64 s[74:75], vcc
	s_xor_b64 s[74:75], exec, s[74:75]
	s_cbranch_execz .LBB14_7100
; %bb.7083:
	v_mov_b32_e32 v3, 43
	v_cmp_gt_i16_sdwa s[78:79], v11, v3 src0_sel:BYTE_0 src1_sel:DWORD
	s_mov_b64 vcc, s[66:67]
	s_and_saveexec_b64 s[80:81], s[78:79]
	s_xor_b64 s[78:79], exec, s[80:81]
	s_cbranch_execz .LBB14_7095
; %bb.7084:
	v_mov_b32_e32 v3, 45
	v_cmp_gt_i16_sdwa s[4:5], v11, v3 src0_sel:BYTE_0 src1_sel:DWORD
	s_mov_b64 s[80:81], 0
	s_mov_b64 s[82:83], s[66:67]
	s_and_saveexec_b64 vcc, s[4:5]
	s_xor_b64 s[4:5], exec, vcc
	s_cbranch_execz .LBB14_7088
; %bb.7085:
	v_mov_b32_e32 v3, 46
	v_cmp_eq_u16_sdwa s[84:85], v11, v3 src0_sel:BYTE_0 src1_sel:DWORD
	s_mov_b64 vcc, -1
	s_and_saveexec_b64 s[82:83], s[84:85]
	s_cbranch_execz .LBB14_7087
; %bb.7086:
	v_bfe_u32 v3, v32, 16, 1
	s_movk_i32 vcc_lo, 0x7fff
	v_add3_u32 v3, v32, v3, vcc_lo
	v_lshrrev_b32_e32 v3, 16, v3
	v_mov_b32_e32 v5, 0x7fc0
	v_cmp_o_f32_e32 vcc, v32, v32
	v_cndmask_b32_e32 v3, v5, v3, vcc
	s_mov_b64 s[80:81], exec
	flat_store_dword v[34:35], v3
	s_xor_b64 vcc, exec, -1
.LBB14_7087:
	s_or_b64 exec, exec, s[82:83]
	s_andn2_b64 s[82:83], s[66:67], exec
	s_and_b64 vcc, vcc, exec
	s_or_b64 s[82:83], s[82:83], vcc
	s_and_b64 s[80:81], s[80:81], exec
                                        ; implicit-def: $vgpr34_vgpr35
                                        ; implicit-def: $vgpr32
.LBB14_7088:
	s_andn2_saveexec_b64 s[84:85], s[4:5]
	s_cbranch_execz .LBB14_7094
; %bb.7089:
	v_mov_b32_e32 v3, 44
	v_cmp_eq_u16_sdwa s[88:89], v11, v3 src0_sel:BYTE_0 src1_sel:DWORD
	s_mov_b64 vcc, -1
	s_mov_b64 s[4:5], s[80:81]
	s_and_saveexec_b64 s[86:87], s[88:89]
	s_cbranch_execz .LBB14_7093
; %bb.7090:
	v_bfe_u32 v3, v32, 23, 8
	s_movk_i32 s4, 0xff
	v_cmp_ne_u32_e32 vcc, s4, v3
	v_mov_b32_e32 v5, 0xff
	s_and_saveexec_b64 s[88:89], vcc
; %bb.7091:
	s_mov_b32 s4, 0x3fffff
	v_and_b32_e32 v7, 0x400000, v32
	v_and_or_b32 v3, v32, s4, v3
	v_cmp_ne_u32_e32 vcc, 0, v7
	v_cmp_ne_u32_e64 s[4:5], 0, v3
	s_and_b64 s[4:5], vcc, s[4:5]
	v_lshrrev_b32_e32 v5, 23, v32
	v_cndmask_b32_e64 v3, 0, 1, s[4:5]
	v_add_u32_e32 v5, v5, v3
; %bb.7092:
	s_or_b64 exec, exec, s[88:89]
	s_xor_b64 vcc, exec, -1
	s_or_b64 s[4:5], s[80:81], exec
	flat_store_byte v[34:35], v5
.LBB14_7093:
	s_or_b64 exec, exec, s[86:87]
	s_andn2_b64 s[82:83], s[82:83], exec
	s_and_b64 vcc, vcc, exec
	s_or_b64 s[82:83], s[82:83], vcc
	s_andn2_b64 vcc, s[80:81], exec
	s_and_b64 s[4:5], s[4:5], exec
	s_or_b64 s[80:81], vcc, s[4:5]
.LBB14_7094:
	s_or_b64 exec, exec, s[84:85]
	s_andn2_b64 s[4:5], s[66:67], exec
	s_and_b64 vcc, s[82:83], exec
	s_or_b64 vcc, s[4:5], vcc
	s_and_b64 s[4:5], s[80:81], exec
                                        ; implicit-def: $vgpr32
                                        ; implicit-def: $vgpr34_vgpr35
.LBB14_7095:
	s_andn2_saveexec_b64 s[78:79], s[78:79]
	s_cbranch_execz .LBB14_7099
; %bb.7096:
	v_mov_b32_e32 v3, 29
	v_cmp_eq_u16_sdwa s[86:87], v11, v3 src0_sel:BYTE_0 src1_sel:DWORD
	s_mov_b64 s[84:85], -1
	s_mov_b64 s[82:83], s[4:5]
	s_and_saveexec_b64 s[80:81], s[86:87]
	s_cbranch_execz .LBB14_7098
; %bb.7097:
	v_trunc_f32_e32 v3, v32
	v_mul_f32_e32 v5, 0x2f800000, v3
	v_floor_f32_e32 v5, v5
	v_fmac_f32_e32 v3, 0xcf800000, v5
	v_cvt_u32_f32_e32 v33, v5
	v_cvt_u32_f32_e32 v32, v3
	s_xor_b64 s[84:85], exec, -1
	s_or_b64 s[82:83], s[4:5], exec
	flat_store_dwordx2 v[34:35], v[32:33]
.LBB14_7098:
	s_or_b64 exec, exec, s[80:81]
	s_andn2_b64 vcc, vcc, exec
	s_and_b64 s[80:81], s[84:85], exec
	s_or_b64 vcc, vcc, s[80:81]
	s_andn2_b64 s[4:5], s[4:5], exec
	s_and_b64 s[80:81], s[82:83], exec
	s_or_b64 s[4:5], s[4:5], s[80:81]
.LBB14_7099:
	s_or_b64 exec, exec, s[78:79]
	s_andn2_b64 s[78:79], s[66:67], exec
	s_and_b64 vcc, vcc, exec
	s_or_b64 s[78:79], s[78:79], vcc
	s_and_b64 s[4:5], s[4:5], exec
                                        ; implicit-def: $vgpr34_vgpr35
                                        ; implicit-def: $vgpr32
.LBB14_7100:
	s_andn2_saveexec_b64 s[74:75], s[74:75]
	s_cbranch_execz .LBB14_7116
; %bb.7101:
	v_mov_b32_e32 v3, 26
	v_cmp_gt_i16_sdwa vcc, v11, v3 src0_sel:BYTE_0 src1_sel:DWORD
	s_and_saveexec_b64 s[80:81], vcc
	s_xor_b64 vcc, exec, s[80:81]
	s_cbranch_execz .LBB14_7107
; %bb.7102:
	v_cvt_u32_f32_e32 v3, v32
	v_mov_b32_e32 v5, 27
	v_cmp_gt_i16_sdwa s[80:81], v11, v5 src0_sel:BYTE_0 src1_sel:DWORD
	s_and_saveexec_b64 s[82:83], s[80:81]
	s_xor_b64 s[80:81], exec, s[82:83]
	s_cbranch_execz .LBB14_7104
; %bb.7103:
	flat_store_dword v[34:35], v3
                                        ; implicit-def: $vgpr34_vgpr35
                                        ; implicit-def: $vgpr3
.LBB14_7104:
	s_andn2_saveexec_b64 s[80:81], s[80:81]
	s_cbranch_execz .LBB14_7106
; %bb.7105:
	flat_store_short v[34:35], v3
.LBB14_7106:
	s_or_b64 exec, exec, s[80:81]
                                        ; implicit-def: $vgpr34_vgpr35
                                        ; implicit-def: $vgpr32
.LBB14_7107:
	s_andn2_saveexec_b64 s[80:81], vcc
	s_cbranch_execz .LBB14_7115
; %bb.7108:
	v_and_b32_e32 v3, 0x7fffffff, v32
	s_mov_b32 vcc_lo, 0x43800000
	v_cmp_gt_u32_e32 vcc, vcc_lo, v3
	v_mov_b32_e32 v5, 0x80
	s_and_saveexec_b64 s[82:83], vcc
	s_cbranch_execz .LBB14_7114
; %bb.7109:
	s_mov_b32 vcc_lo, 0x3bffffff
	v_cmp_lt_u32_e32 vcc, vcc_lo, v3
	s_mov_b64 s[84:85], 0
                                        ; implicit-def: $vgpr3
	s_and_saveexec_b64 s[86:87], vcc
	s_xor_b64 vcc, exec, s[86:87]
	s_cbranch_execnz .LBB14_7835
; %bb.7110:
	s_or_saveexec_b64 s[86:87], vcc
                                        ; implicit-def: $sgpr88
	s_xor_b64 exec, exec, s[86:87]
	s_cbranch_execnz .LBB14_7836
.LBB14_7111:
	s_or_b64 exec, exec, s[86:87]
	v_mov_b32_e32 v5, s88
	s_and_saveexec_b64 vcc, s[84:85]
.LBB14_7112:
	v_lshrrev_b32_e32 v5, 24, v32
	s_movk_i32 s84, 0x80
	v_and_or_b32 v5, v5, s84, v3
.LBB14_7113:
	s_or_b64 exec, exec, vcc
.LBB14_7114:
	s_or_b64 exec, exec, s[82:83]
	flat_store_byte v[34:35], v5
.LBB14_7115:
	s_or_b64 exec, exec, s[80:81]
	s_or_b64 s[4:5], s[4:5], exec
.LBB14_7116:
	s_or_b64 exec, exec, s[74:75]
	s_andn2_b64 vcc, s[66:67], exec
	s_and_b64 s[74:75], s[78:79], exec
	s_or_b64 s[74:75], vcc, s[74:75]
	s_and_b64 s[4:5], s[4:5], exec
                                        ; implicit-def: $vgpr32
                                        ; implicit-def: $vgpr34_vgpr35
.LBB14_7117:
	s_andn2_saveexec_b64 s[76:77], s[76:77]
	s_cbranch_execz .LBB14_7161
; %bb.7118:
	v_mov_b32_e32 v3, 22
	v_cmp_gt_i16_sdwa vcc, v11, v3 src0_sel:BYTE_0 src1_sel:DWORD
	s_mov_b64 s[80:81], s[4:5]
	s_and_saveexec_b64 s[78:79], vcc
	s_xor_b64 s[78:79], exec, s[78:79]
	s_cbranch_execz .LBB14_7150
; %bb.7119:
	v_mov_b32_e32 v3, 23
	v_cmp_gt_i16_sdwa vcc, v11, v3 src0_sel:BYTE_0 src1_sel:DWORD
	s_and_saveexec_b64 s[80:81], vcc
	s_xor_b64 s[80:81], exec, s[80:81]
	s_cbranch_execz .LBB14_7139
; %bb.7120:
	v_mov_b32_e32 v3, 24
	v_cmp_gt_i16_sdwa vcc, v11, v3 src0_sel:BYTE_0 src1_sel:DWORD
	s_and_saveexec_b64 s[82:83], vcc
	s_xor_b64 s[82:83], exec, s[82:83]
	s_cbranch_execz .LBB14_7128
; %bb.7121:
	v_and_b32_e32 v3, 0x7fffffff, v32
	s_mov_b32 vcc_lo, 0x47800000
	v_cmp_gt_u32_e32 vcc, vcc_lo, v3
	v_mov_b32_e32 v5, 0x80
	s_and_saveexec_b64 s[84:85], vcc
	s_cbranch_execz .LBB14_7127
; %bb.7122:
	s_mov_b32 vcc_lo, 0x37ffffff
	v_cmp_lt_u32_e32 vcc, vcc_lo, v3
	s_mov_b64 s[86:87], 0
                                        ; implicit-def: $vgpr3
	s_and_saveexec_b64 s[88:89], vcc
	s_xor_b64 vcc, exec, s[88:89]
	s_cbranch_execnz .LBB14_7837
; %bb.7123:
	s_or_saveexec_b64 s[88:89], vcc
                                        ; implicit-def: $sgpr90
	s_xor_b64 exec, exec, s[88:89]
	s_cbranch_execnz .LBB14_7838
.LBB14_7124:
	s_or_b64 exec, exec, s[88:89]
	v_mov_b32_e32 v5, s90
	s_and_saveexec_b64 vcc, s[86:87]
.LBB14_7125:
	v_lshrrev_b32_e32 v5, 24, v32
	s_movk_i32 s86, 0x80
	v_and_or_b32 v5, v5, s86, v3
.LBB14_7126:
	s_or_b64 exec, exec, vcc
.LBB14_7127:
	s_or_b64 exec, exec, s[84:85]
	flat_store_byte v[34:35], v5
                                        ; implicit-def: $vgpr32
                                        ; implicit-def: $vgpr34_vgpr35
.LBB14_7128:
	s_andn2_saveexec_b64 s[82:83], s[82:83]
	s_cbranch_execz .LBB14_7138
; %bb.7129:
	v_and_b32_e32 v5, 0x7fffffff, v32
	s_mov_b32 vcc_lo, 0x43f00000
	v_cmp_gt_u32_e32 vcc, vcc_lo, v5
                                        ; implicit-def: $vgpr3
	s_and_saveexec_b64 s[84:85], vcc
	s_xor_b64 s[84:85], exec, s[84:85]
	s_cbranch_execz .LBB14_7135
; %bb.7130:
	s_mov_b32 vcc_lo, 0x3c7fffff
	v_cmp_lt_u32_e32 vcc, vcc_lo, v5
                                        ; implicit-def: $vgpr3
	s_and_saveexec_b64 s[86:87], vcc
	s_xor_b64 s[86:87], exec, s[86:87]
; %bb.7131:
	v_bfe_u32 v3, v32, 20, 1
	s_mov_b32 vcc_lo, 0x407ffff
	v_add3_u32 v3, v32, v3, vcc_lo
	v_lshrrev_b32_e32 v5, 20, v3
	v_and_b32_e32 v3, 0xff00000, v3
	s_mov_b32 vcc_lo, 0x7f00000
	v_mov_b32_e32 v7, 0x7e
	v_cmp_ne_u32_e32 vcc, vcc_lo, v3
	v_cndmask_b32_e32 v3, v7, v5, vcc
; %bb.7132:
	s_andn2_saveexec_b64 vcc, s[86:87]
; %bb.7133:
	s_mov_b32 s86, 0x46800000
	v_add_f32_e64 v3, |v32|, s86
; %bb.7134:
	s_or_b64 exec, exec, vcc
                                        ; implicit-def: $vgpr5
.LBB14_7135:
	s_andn2_saveexec_b64 s[84:85], s[84:85]
; %bb.7136:
	s_mov_b32 vcc_lo, 0x7f800000
	v_mov_b32_e32 v3, 0x7e
	v_mov_b32_e32 v7, 0x7f
	v_cmp_lt_u32_e32 vcc, vcc_lo, v5
	v_cndmask_b32_e32 v3, v3, v7, vcc
; %bb.7137:
	s_or_b64 exec, exec, s[84:85]
	v_lshrrev_b32_e32 v5, 24, v32
	s_movk_i32 vcc_lo, 0x80
	v_and_or_b32 v3, v5, vcc_lo, v3
	flat_store_byte v[34:35], v3
.LBB14_7138:
	s_or_b64 exec, exec, s[82:83]
                                        ; implicit-def: $vgpr32
                                        ; implicit-def: $vgpr34_vgpr35
.LBB14_7139:
	s_andn2_saveexec_b64 s[80:81], s[80:81]
	s_cbranch_execz .LBB14_7149
; %bb.7140:
	v_and_b32_e32 v5, 0x7fffffff, v32
	s_mov_b32 vcc_lo, 0x47800000
	v_cmp_gt_u32_e32 vcc, vcc_lo, v5
                                        ; implicit-def: $vgpr3
	s_and_saveexec_b64 s[82:83], vcc
	s_xor_b64 s[82:83], exec, s[82:83]
	s_cbranch_execz .LBB14_7146
; %bb.7141:
	s_mov_b32 vcc_lo, 0x387fffff
	v_cmp_lt_u32_e32 vcc, vcc_lo, v5
                                        ; implicit-def: $vgpr3
	s_and_saveexec_b64 s[84:85], vcc
	s_xor_b64 vcc, exec, s[84:85]
; %bb.7142:
	v_bfe_u32 v3, v32, 21, 1
	s_mov_b32 s84, 0x80fffff
	v_add3_u32 v3, v32, v3, s84
	v_lshrrev_b32_e32 v3, 21, v3
; %bb.7143:
	s_andn2_saveexec_b64 vcc, vcc
; %bb.7144:
	s_mov_b32 s84, 0x43000000
	v_add_f32_e64 v3, |v32|, s84
; %bb.7145:
	s_or_b64 exec, exec, vcc
                                        ; implicit-def: $vgpr5
.LBB14_7146:
	s_andn2_saveexec_b64 s[82:83], s[82:83]
; %bb.7147:
	s_mov_b32 vcc_lo, 0x7f800000
	v_mov_b32_e32 v3, 0x7c
	v_mov_b32_e32 v7, 0x7f
	v_cmp_lt_u32_e32 vcc, vcc_lo, v5
	v_cndmask_b32_e32 v3, v3, v7, vcc
; %bb.7148:
	s_or_b64 exec, exec, s[82:83]
	v_lshrrev_b32_e32 v5, 24, v32
	s_movk_i32 vcc_lo, 0x80
	v_and_or_b32 v3, v5, vcc_lo, v3
	flat_store_byte v[34:35], v3
.LBB14_7149:
	s_or_b64 exec, exec, s[80:81]
	s_or_b64 s[80:81], s[4:5], exec
                                        ; implicit-def: $vgpr34_vgpr35
                                        ; implicit-def: $vgpr32
.LBB14_7150:
	s_or_saveexec_b64 s[78:79], s[78:79]
	s_mov_b64 s[82:83], s[74:75]
	s_xor_b64 exec, exec, s[78:79]
	s_cbranch_execz .LBB14_7160
; %bb.7151:
	v_mov_b32_e32 v3, 14
	v_cmp_gt_i16_sdwa s[84:85], v11, v3 src0_sel:BYTE_0 src1_sel:DWORD
	s_mov_b64 vcc, s[80:81]
	s_mov_b64 s[82:83], s[74:75]
	s_and_saveexec_b64 s[86:87], s[84:85]
	s_xor_b64 s[84:85], exec, s[86:87]
	s_cbranch_execz .LBB14_7155
; %bb.7152:
	v_mov_b32_e32 v3, 15
	v_cmp_eq_u16_sdwa s[88:89], v11, v3 src0_sel:BYTE_0 src1_sel:DWORD
	s_mov_b64 s[86:87], -1
	s_mov_b64 vcc, s[80:81]
	s_and_saveexec_b64 s[82:83], s[88:89]
	s_cbranch_execz .LBB14_7154
; %bb.7153:
	v_bfe_u32 v3, v32, 16, 1
	s_movk_i32 vcc_lo, 0x7fff
	v_add3_u32 v3, v32, v3, vcc_lo
	v_lshrrev_b32_e32 v3, 16, v3
	v_mov_b32_e32 v5, 0x7fc0
	v_cmp_o_f32_e32 vcc, v32, v32
	v_cndmask_b32_e32 v3, v5, v3, vcc
	flat_store_short v[34:35], v3
	s_xor_b64 s[86:87], exec, -1
	s_or_b64 vcc, s[80:81], exec
.LBB14_7154:
	s_or_b64 exec, exec, s[82:83]
	s_andn2_b64 s[82:83], s[74:75], exec
	s_and_b64 s[86:87], s[86:87], exec
	s_or_b64 s[82:83], s[82:83], s[86:87]
	s_andn2_b64 s[86:87], s[80:81], exec
	s_and_b64 vcc, vcc, exec
	s_or_b64 vcc, s[86:87], vcc
                                        ; implicit-def: $vgpr34_vgpr35
.LBB14_7155:
	s_andn2_saveexec_b64 s[84:85], s[84:85]
	s_cbranch_execz .LBB14_7159
; %bb.7156:
	v_mov_b32_e32 v3, 11
	v_cmp_eq_u16_sdwa s[92:93], v11, v3 src0_sel:BYTE_0 src1_sel:DWORD
	s_mov_b64 s[88:89], -1
	s_mov_b64 s[86:87], vcc
	s_and_saveexec_b64 s[90:91], s[92:93]
	s_cbranch_execz .LBB14_7158
; %bb.7157:
	v_mov_b32_e32 v3, 1
	flat_store_byte v[34:35], v3
	s_xor_b64 s[88:89], exec, -1
	s_or_b64 s[86:87], vcc, exec
.LBB14_7158:
	s_or_b64 exec, exec, s[90:91]
	s_andn2_b64 s[82:83], s[82:83], exec
	s_and_b64 s[88:89], s[88:89], exec
	s_andn2_b64 vcc, vcc, exec
	s_and_b64 s[86:87], s[86:87], exec
	s_or_b64 s[82:83], s[82:83], s[88:89]
	s_or_b64 vcc, vcc, s[86:87]
.LBB14_7159:
	s_or_b64 exec, exec, s[84:85]
	s_andn2_b64 s[84:85], s[74:75], exec
	s_and_b64 s[82:83], s[82:83], exec
	s_andn2_b64 s[80:81], s[80:81], exec
	s_and_b64 vcc, vcc, exec
	s_or_b64 s[82:83], s[84:85], s[82:83]
	s_or_b64 s[80:81], s[80:81], vcc
.LBB14_7160:
	s_or_b64 exec, exec, s[78:79]
	s_andn2_b64 vcc, s[74:75], exec
	s_and_b64 s[74:75], s[82:83], exec
	s_or_b64 s[74:75], vcc, s[74:75]
	s_andn2_b64 s[4:5], s[4:5], exec
	s_and_b64 vcc, s[80:81], exec
	s_or_b64 s[4:5], s[4:5], vcc
.LBB14_7161:
	s_or_b64 exec, exec, s[76:77]
	s_andn2_b64 vcc, s[66:67], exec
	s_and_b64 s[74:75], s[74:75], exec
	s_or_b64 s[74:75], vcc, s[74:75]
	s_and_b64 s[4:5], s[4:5], exec
                                        ; implicit-def: $vgpr32
                                        ; implicit-def: $vgpr34_vgpr35
	s_andn2_saveexec_b64 s[70:71], s[70:71]
	s_cbranch_execz .LBB14_3979
.LBB14_7162:
	v_mov_b32_e32 v3, 4
	v_cmp_gt_i16_sdwa vcc, v11, v3 src0_sel:BYTE_0 src1_sel:DWORD
	s_and_saveexec_b64 s[76:77], vcc
	s_xor_b64 vcc, exec, s[76:77]
	s_cbranch_execz .LBB14_7184
; %bb.7163:
	v_mov_b32_e32 v3, 7
	v_cmp_gt_i16_sdwa s[76:77], v11, v3 src0_sel:BYTE_0 src1_sel:DWORD
	s_and_saveexec_b64 s[78:79], s[76:77]
	s_xor_b64 s[76:77], exec, s[78:79]
	s_cbranch_execz .LBB14_7173
; %bb.7164:
	v_mov_b32_e32 v3, 8
	v_cmp_gt_i16_sdwa s[78:79], v11, v3 src0_sel:BYTE_0 src1_sel:DWORD
	s_and_saveexec_b64 s[80:81], s[78:79]
	s_xor_b64 s[78:79], exec, s[80:81]
	;; [unrolled: 6-line block ×3, first 2 shown]
	s_cbranch_execz .LBB14_7167
; %bb.7166:
	v_mov_b32_e32 v38, 0
	v_cvt_f64_f32_e32 v[36:37], v32
	v_mov_b32_e32 v39, v38
	flat_store_dwordx4 v[34:35], v[36:39]
                                        ; implicit-def: $vgpr32
                                        ; implicit-def: $vgpr34_vgpr35
.LBB14_7167:
	s_andn2_saveexec_b64 s[80:81], s[80:81]
	s_cbranch_execz .LBB14_7169
; %bb.7168:
	v_mov_b32_e32 v33, 0
	flat_store_dwordx2 v[34:35], v[32:33]
.LBB14_7169:
	s_or_b64 exec, exec, s[80:81]
                                        ; implicit-def: $vgpr32
                                        ; implicit-def: $vgpr34_vgpr35
.LBB14_7170:
	s_andn2_saveexec_b64 s[78:79], s[78:79]
	s_cbranch_execz .LBB14_7172
; %bb.7171:
	v_cvt_f16_f32_e32 v3, v32
	flat_store_dword v[34:35], v3
.LBB14_7172:
	s_or_b64 exec, exec, s[78:79]
                                        ; implicit-def: $vgpr32
                                        ; implicit-def: $vgpr34_vgpr35
.LBB14_7173:
	s_andn2_saveexec_b64 s[76:77], s[76:77]
	s_cbranch_execz .LBB14_7183
; %bb.7174:
	v_mov_b32_e32 v3, 5
	v_cmp_gt_i16_sdwa s[78:79], v11, v3 src0_sel:BYTE_0 src1_sel:DWORD
	s_and_saveexec_b64 s[80:81], s[78:79]
	s_xor_b64 s[78:79], exec, s[80:81]
	s_cbranch_execz .LBB14_7180
; %bb.7175:
	v_mov_b32_e32 v3, 6
	v_cmp_gt_i16_sdwa s[80:81], v11, v3 src0_sel:BYTE_0 src1_sel:DWORD
	s_and_saveexec_b64 s[82:83], s[80:81]
	s_xor_b64 s[80:81], exec, s[82:83]
	s_cbranch_execz .LBB14_7177
; %bb.7176:
	v_cvt_f64_f32_e32 v[32:33], v32
	flat_store_dwordx2 v[34:35], v[32:33]
                                        ; implicit-def: $vgpr34_vgpr35
                                        ; implicit-def: $vgpr32
.LBB14_7177:
	s_andn2_saveexec_b64 s[80:81], s[80:81]
	s_cbranch_execz .LBB14_7179
; %bb.7178:
	flat_store_dword v[34:35], v32
.LBB14_7179:
	s_or_b64 exec, exec, s[80:81]
                                        ; implicit-def: $vgpr32
                                        ; implicit-def: $vgpr34_vgpr35
.LBB14_7180:
	s_andn2_saveexec_b64 s[78:79], s[78:79]
	s_cbranch_execz .LBB14_7182
; %bb.7181:
	v_cvt_f16_f32_e32 v3, v32
	flat_store_short v[34:35], v3
.LBB14_7182:
	s_or_b64 exec, exec, s[78:79]
.LBB14_7183:
	s_or_b64 exec, exec, s[76:77]
                                        ; implicit-def: $vgpr32
                                        ; implicit-def: $vgpr34_vgpr35
.LBB14_7184:
	s_andn2_saveexec_b64 s[76:77], vcc
	s_cbranch_execz .LBB14_7202
; %bb.7185:
	v_mov_b32_e32 v3, 1
	v_cmp_gt_i16_sdwa vcc, v11, v3 src0_sel:BYTE_0 src1_sel:DWORD
	s_and_saveexec_b64 s[78:79], vcc
	s_xor_b64 s[78:79], exec, s[78:79]
	s_cbranch_execz .LBB14_7195
; %bb.7186:
	v_mov_b32_e32 v3, 2
	v_cmp_gt_i16_sdwa vcc, v11, v3 src0_sel:BYTE_0 src1_sel:DWORD
	s_and_saveexec_b64 s[80:81], vcc
	s_xor_b64 s[80:81], exec, s[80:81]
	;; [unrolled: 6-line block ×3, first 2 shown]
	s_cbranch_execz .LBB14_7189
; %bb.7188:
	v_trunc_f32_e32 v3, v32
	s_mov_b32 s84, 0x2f800000
	v_mul_f32_e64 v5, |v3|, s84
	v_floor_f32_e32 v5, v5
	s_mov_b32 s84, 0xcf800000
	v_cvt_u32_f32_e32 v7, v5
	v_fma_f32 v5, v5, s84, |v3|
	v_cvt_u32_f32_e32 v5, v5
	v_ashrrev_i32_e32 v3, 31, v3
	v_xor_b32_e32 v7, v7, v3
	v_xor_b32_e32 v5, v5, v3
	v_sub_co_u32_e32 v32, vcc, v5, v3
	v_subb_co_u32_e32 v33, vcc, v7, v3, vcc
	flat_store_dwordx2 v[34:35], v[32:33]
                                        ; implicit-def: $vgpr32
                                        ; implicit-def: $vgpr34_vgpr35
.LBB14_7189:
	s_andn2_saveexec_b64 vcc, s[82:83]
	s_cbranch_execz .LBB14_7191
; %bb.7190:
	v_cvt_i32_f32_e32 v3, v32
	flat_store_dword v[34:35], v3
.LBB14_7191:
	s_or_b64 exec, exec, vcc
                                        ; implicit-def: $vgpr32
                                        ; implicit-def: $vgpr34_vgpr35
.LBB14_7192:
	s_andn2_saveexec_b64 vcc, s[80:81]
	s_cbranch_execz .LBB14_7194
; %bb.7193:
	v_cvt_i32_f32_e32 v3, v32
	flat_store_short v[34:35], v3
.LBB14_7194:
	s_or_b64 exec, exec, vcc
                                        ; implicit-def: $vgpr32
                                        ; implicit-def: $vgpr34_vgpr35
.LBB14_7195:
	s_andn2_saveexec_b64 vcc, s[78:79]
	s_cbranch_execz .LBB14_7201
; %bb.7196:
	v_mov_b32_e32 v3, 0
	v_cmp_gt_i16_sdwa s[78:79], v11, v3 src0_sel:BYTE_0 src1_sel:DWORD
	s_and_saveexec_b64 s[80:81], s[78:79]
	s_xor_b64 s[78:79], exec, s[80:81]
	s_cbranch_execz .LBB14_7198
; %bb.7197:
	v_cvt_i32_f32_e32 v3, v32
                                        ; implicit-def: $vgpr32
	flat_store_byte v[34:35], v3
                                        ; implicit-def: $vgpr34_vgpr35
.LBB14_7198:
	s_andn2_saveexec_b64 s[78:79], s[78:79]
	s_cbranch_execz .LBB14_7200
; %bb.7199:
	v_trunc_f32_e32 v3, v32
	s_mov_b32 s80, 0x2f800000
	v_mul_f32_e64 v5, |v3|, s80
	v_floor_f32_e32 v5, v5
	s_mov_b32 s80, 0xcf800000
	v_fma_f32 v5, v5, s80, |v3|
	v_cvt_u32_f32_e32 v5, v5
	v_ashrrev_i32_e32 v3, 31, v3
	v_xor_b32_e32 v5, v5, v3
	v_sub_u32_e32 v3, v5, v3
	flat_store_byte v[34:35], v3
.LBB14_7200:
	s_or_b64 exec, exec, s[78:79]
.LBB14_7201:
	s_or_b64 exec, exec, vcc
.LBB14_7202:
	s_or_b64 exec, exec, s[76:77]
	s_or_b64 s[4:5], s[4:5], exec
	s_or_b64 exec, exec, s[70:71]
	s_mov_b64 vcc, 0
	s_and_saveexec_b64 s[70:71], s[4:5]
	s_cbranch_execnz .LBB14_3980
	s_branch .LBB14_3981
.LBB14_7203:
	v_bfe_u32 v3, v52, 21, 1
	s_mov_b32 s64, 0x88fffff
	v_add3_u32 v3, v52, v3, s64
	s_mov_b64 s[62:63], exec
	v_lshrrev_b32_e32 v3, 21, v3
	s_or_saveexec_b64 s[64:65], vcc
                                        ; implicit-def: $sgpr66
	s_xor_b64 exec, exec, s[64:65]
	s_cbranch_execz .LBB14_6368
.LBB14_7204:
	s_mov_b32 s66, 0x42800000
	v_add_f32_e64 v3, |v52|, s66
	v_and_b32_e32 v3, 0xff, v3
	v_cmp_ne_u32_e32 vcc, 0, v3
	s_andn2_b64 s[62:63], s[62:63], exec
	s_and_b64 vcc, vcc, exec
	s_mov_b32 s66, 0
	s_or_b64 s[62:63], s[62:63], vcc
	s_or_b64 exec, exec, s[64:65]
	v_mov_b32_e32 v5, s66
	s_and_saveexec_b64 vcc, s[62:63]
	s_cbranch_execnz .LBB14_6369
	s_branch .LBB14_6370
.LBB14_7205:
	v_bfe_u32 v3, v50, 20, 1
	s_mov_b32 s66, 0x487ffff
	v_add3_u32 v3, v50, v3, s66
	s_mov_b64 s[64:65], exec
	v_lshrrev_b32_e32 v3, 20, v3
	s_or_saveexec_b64 s[66:67], vcc
                                        ; implicit-def: $sgpr68
	s_xor_b64 exec, exec, s[66:67]
	s_cbranch_execz .LBB14_6481
.LBB14_7206:
	s_mov_b32 s68, 0x46000000
	v_add_f32_e64 v3, |v50|, s68
	v_and_b32_e32 v3, 0xff, v3
	v_cmp_ne_u32_e32 vcc, 0, v3
	s_andn2_b64 s[64:65], s[64:65], exec
	s_and_b64 vcc, vcc, exec
	s_mov_b32 s68, 0
	s_or_b64 s[64:65], s[64:65], vcc
	s_or_b64 exec, exec, s[66:67]
	v_mov_b32_e32 v5, s68
	s_and_saveexec_b64 vcc, s[64:65]
	s_cbranch_execnz .LBB14_6482
	s_branch .LBB14_6483
.LBB14_7207:
	v_mov_b32_e32 v3, 25
	v_cmp_gt_i16_sdwa vcc, v11, v3 src0_sel:BYTE_0 src1_sel:DWORD
	s_mov_b64 s[78:79], s[70:71]
	s_and_saveexec_b64 s[80:81], vcc
	s_xor_b64 s[80:81], exec, s[80:81]
	s_cbranch_execz .LBB14_7243
; %bb.7208:
	v_mov_b32_e32 v3, 28
	v_cmp_gt_i16_sdwa vcc, v11, v3 src0_sel:BYTE_0 src1_sel:DWORD
	s_mov_b64 s[82:83], s[70:71]
	s_and_saveexec_b64 s[78:79], vcc
	s_xor_b64 s[78:79], exec, s[78:79]
	s_cbranch_execz .LBB14_7226
; %bb.7209:
	v_mov_b32_e32 v3, 43
	v_cmp_gt_i16_sdwa s[82:83], v11, v3 src0_sel:BYTE_0 src1_sel:DWORD
	s_mov_b64 vcc, s[70:71]
	s_and_saveexec_b64 s[84:85], s[82:83]
	s_xor_b64 s[82:83], exec, s[84:85]
	s_cbranch_execz .LBB14_7221
; %bb.7210:
	v_mov_b32_e32 v3, 45
	v_cmp_gt_i16_sdwa s[4:5], v11, v3 src0_sel:BYTE_0 src1_sel:DWORD
	s_mov_b64 s[84:85], 0
	s_mov_b64 s[86:87], s[70:71]
	s_and_saveexec_b64 vcc, s[4:5]
	s_xor_b64 s[4:5], exec, vcc
	s_cbranch_execz .LBB14_7214
; %bb.7211:
	v_mov_b32_e32 v3, 46
	v_cmp_eq_u16_sdwa s[88:89], v11, v3 src0_sel:BYTE_0 src1_sel:DWORD
	s_mov_b64 vcc, -1
	s_and_saveexec_b64 s[86:87], s[88:89]
	s_cbranch_execz .LBB14_7213
; %bb.7212:
	v_bfe_u32 v3, v30, 16, 1
	s_movk_i32 vcc_lo, 0x7fff
	v_add3_u32 v3, v30, v3, vcc_lo
	v_lshrrev_b32_e32 v3, 16, v3
	v_mov_b32_e32 v5, 0x7fc0
	v_cmp_o_f32_e32 vcc, v30, v30
	v_cndmask_b32_e32 v3, v5, v3, vcc
	s_mov_b64 s[84:85], exec
	flat_store_dword v[32:33], v3
	s_xor_b64 vcc, exec, -1
.LBB14_7213:
	s_or_b64 exec, exec, s[86:87]
	s_andn2_b64 s[86:87], s[70:71], exec
	s_and_b64 vcc, vcc, exec
	s_or_b64 s[86:87], s[86:87], vcc
	s_and_b64 s[84:85], s[84:85], exec
                                        ; implicit-def: $vgpr32_vgpr33
                                        ; implicit-def: $vgpr30
.LBB14_7214:
	s_andn2_saveexec_b64 s[88:89], s[4:5]
	s_cbranch_execz .LBB14_7220
; %bb.7215:
	v_mov_b32_e32 v3, 44
	v_cmp_eq_u16_sdwa s[92:93], v11, v3 src0_sel:BYTE_0 src1_sel:DWORD
	s_mov_b64 vcc, -1
	s_mov_b64 s[4:5], s[84:85]
	s_and_saveexec_b64 s[90:91], s[92:93]
	s_cbranch_execz .LBB14_7219
; %bb.7216:
	v_bfe_u32 v3, v30, 23, 8
	s_movk_i32 s4, 0xff
	v_cmp_ne_u32_e32 vcc, s4, v3
	v_mov_b32_e32 v5, 0xff
	s_and_saveexec_b64 s[92:93], vcc
; %bb.7217:
	s_mov_b32 s4, 0x3fffff
	v_and_b32_e32 v7, 0x400000, v30
	v_and_or_b32 v3, v30, s4, v3
	v_cmp_ne_u32_e32 vcc, 0, v7
	v_cmp_ne_u32_e64 s[4:5], 0, v3
	s_and_b64 s[4:5], vcc, s[4:5]
	v_lshrrev_b32_e32 v5, 23, v30
	v_cndmask_b32_e64 v3, 0, 1, s[4:5]
	v_add_u32_e32 v5, v5, v3
; %bb.7218:
	s_or_b64 exec, exec, s[92:93]
	s_xor_b64 vcc, exec, -1
	s_or_b64 s[4:5], s[84:85], exec
	flat_store_byte v[32:33], v5
.LBB14_7219:
	s_or_b64 exec, exec, s[90:91]
	s_andn2_b64 s[86:87], s[86:87], exec
	s_and_b64 vcc, vcc, exec
	s_or_b64 s[86:87], s[86:87], vcc
	s_andn2_b64 vcc, s[84:85], exec
	s_and_b64 s[4:5], s[4:5], exec
	s_or_b64 s[84:85], vcc, s[4:5]
.LBB14_7220:
	s_or_b64 exec, exec, s[88:89]
	s_andn2_b64 s[4:5], s[70:71], exec
	s_and_b64 vcc, s[86:87], exec
	s_or_b64 vcc, s[4:5], vcc
	s_and_b64 s[4:5], s[84:85], exec
                                        ; implicit-def: $vgpr30
                                        ; implicit-def: $vgpr32_vgpr33
.LBB14_7221:
	s_andn2_saveexec_b64 s[82:83], s[82:83]
	s_cbranch_execz .LBB14_7225
; %bb.7222:
	v_mov_b32_e32 v3, 29
	v_cmp_eq_u16_sdwa s[90:91], v11, v3 src0_sel:BYTE_0 src1_sel:DWORD
	s_mov_b64 s[88:89], -1
	s_mov_b64 s[86:87], s[4:5]
	s_and_saveexec_b64 s[84:85], s[90:91]
	s_cbranch_execz .LBB14_7224
; %bb.7223:
	v_trunc_f32_e32 v3, v30
	v_mul_f32_e32 v5, 0x2f800000, v3
	v_floor_f32_e32 v5, v5
	v_fmac_f32_e32 v3, 0xcf800000, v5
	v_cvt_u32_f32_e32 v31, v5
	v_cvt_u32_f32_e32 v30, v3
	s_xor_b64 s[88:89], exec, -1
	s_or_b64 s[86:87], s[4:5], exec
	flat_store_dwordx2 v[32:33], v[30:31]
.LBB14_7224:
	s_or_b64 exec, exec, s[84:85]
	s_andn2_b64 vcc, vcc, exec
	s_and_b64 s[84:85], s[88:89], exec
	s_or_b64 vcc, vcc, s[84:85]
	s_andn2_b64 s[4:5], s[4:5], exec
	s_and_b64 s[84:85], s[86:87], exec
	s_or_b64 s[4:5], s[4:5], s[84:85]
.LBB14_7225:
	s_or_b64 exec, exec, s[82:83]
	s_andn2_b64 s[82:83], s[70:71], exec
	s_and_b64 vcc, vcc, exec
	s_or_b64 s[82:83], s[82:83], vcc
	s_and_b64 s[4:5], s[4:5], exec
                                        ; implicit-def: $vgpr32_vgpr33
                                        ; implicit-def: $vgpr30
.LBB14_7226:
	s_andn2_saveexec_b64 s[78:79], s[78:79]
	s_cbranch_execz .LBB14_7242
; %bb.7227:
	v_mov_b32_e32 v3, 26
	v_cmp_gt_i16_sdwa vcc, v11, v3 src0_sel:BYTE_0 src1_sel:DWORD
	s_and_saveexec_b64 s[84:85], vcc
	s_xor_b64 vcc, exec, s[84:85]
	s_cbranch_execz .LBB14_7233
; %bb.7228:
	v_cvt_u32_f32_e32 v3, v30
	v_mov_b32_e32 v5, 27
	v_cmp_gt_i16_sdwa s[84:85], v11, v5 src0_sel:BYTE_0 src1_sel:DWORD
	s_and_saveexec_b64 s[86:87], s[84:85]
	s_xor_b64 s[84:85], exec, s[86:87]
	s_cbranch_execz .LBB14_7230
; %bb.7229:
	flat_store_dword v[32:33], v3
                                        ; implicit-def: $vgpr32_vgpr33
                                        ; implicit-def: $vgpr3
.LBB14_7230:
	s_andn2_saveexec_b64 s[84:85], s[84:85]
	s_cbranch_execz .LBB14_7232
; %bb.7231:
	flat_store_short v[32:33], v3
.LBB14_7232:
	s_or_b64 exec, exec, s[84:85]
                                        ; implicit-def: $vgpr32_vgpr33
                                        ; implicit-def: $vgpr30
.LBB14_7233:
	s_andn2_saveexec_b64 s[84:85], vcc
	s_cbranch_execz .LBB14_7241
; %bb.7234:
	v_and_b32_e32 v3, 0x7fffffff, v30
	s_mov_b32 vcc_lo, 0x43800000
	v_cmp_gt_u32_e32 vcc, vcc_lo, v3
	v_mov_b32_e32 v5, 0x80
	s_and_saveexec_b64 s[86:87], vcc
	s_cbranch_execz .LBB14_7240
; %bb.7235:
	s_mov_b32 vcc_lo, 0x3bffffff
	v_cmp_lt_u32_e32 vcc, vcc_lo, v3
	s_mov_b64 s[88:89], 0
                                        ; implicit-def: $vgpr3
	s_and_saveexec_b64 s[90:91], vcc
	s_xor_b64 vcc, exec, s[90:91]
	s_cbranch_execnz .LBB14_7839
; %bb.7236:
	s_or_saveexec_b64 s[90:91], vcc
                                        ; implicit-def: $sgpr92
	s_xor_b64 exec, exec, s[90:91]
	s_cbranch_execnz .LBB14_7840
.LBB14_7237:
	s_or_b64 exec, exec, s[90:91]
	v_mov_b32_e32 v5, s92
	s_and_saveexec_b64 vcc, s[88:89]
.LBB14_7238:
	v_lshrrev_b32_e32 v5, 24, v30
	s_movk_i32 s88, 0x80
	v_and_or_b32 v5, v5, s88, v3
.LBB14_7239:
	s_or_b64 exec, exec, vcc
.LBB14_7240:
	s_or_b64 exec, exec, s[86:87]
	flat_store_byte v[32:33], v5
.LBB14_7241:
	s_or_b64 exec, exec, s[84:85]
	s_or_b64 s[4:5], s[4:5], exec
.LBB14_7242:
	s_or_b64 exec, exec, s[78:79]
	s_andn2_b64 vcc, s[70:71], exec
	s_and_b64 s[78:79], s[82:83], exec
	s_or_b64 s[78:79], vcc, s[78:79]
	s_and_b64 s[4:5], s[4:5], exec
                                        ; implicit-def: $vgpr30
                                        ; implicit-def: $vgpr32_vgpr33
.LBB14_7243:
	s_andn2_saveexec_b64 s[80:81], s[80:81]
	s_cbranch_execz .LBB14_7287
; %bb.7244:
	v_mov_b32_e32 v3, 22
	v_cmp_gt_i16_sdwa vcc, v11, v3 src0_sel:BYTE_0 src1_sel:DWORD
	s_mov_b64 s[84:85], s[4:5]
	s_and_saveexec_b64 s[82:83], vcc
	s_xor_b64 s[82:83], exec, s[82:83]
	s_cbranch_execz .LBB14_7276
; %bb.7245:
	v_mov_b32_e32 v3, 23
	v_cmp_gt_i16_sdwa vcc, v11, v3 src0_sel:BYTE_0 src1_sel:DWORD
	s_and_saveexec_b64 s[84:85], vcc
	s_xor_b64 s[84:85], exec, s[84:85]
	s_cbranch_execz .LBB14_7265
; %bb.7246:
	v_mov_b32_e32 v3, 24
	v_cmp_gt_i16_sdwa vcc, v11, v3 src0_sel:BYTE_0 src1_sel:DWORD
	s_and_saveexec_b64 s[86:87], vcc
	s_xor_b64 s[86:87], exec, s[86:87]
	s_cbranch_execz .LBB14_7254
; %bb.7247:
	v_and_b32_e32 v3, 0x7fffffff, v30
	s_mov_b32 vcc_lo, 0x47800000
	v_cmp_gt_u32_e32 vcc, vcc_lo, v3
	v_mov_b32_e32 v5, 0x80
	s_and_saveexec_b64 s[88:89], vcc
	s_cbranch_execz .LBB14_7253
; %bb.7248:
	s_mov_b32 vcc_lo, 0x37ffffff
	v_cmp_lt_u32_e32 vcc, vcc_lo, v3
	s_mov_b64 s[90:91], 0
                                        ; implicit-def: $vgpr3
	s_and_saveexec_b64 s[92:93], vcc
	s_xor_b64 vcc, exec, s[92:93]
	s_cbranch_execnz .LBB14_7841
; %bb.7249:
	s_or_saveexec_b64 s[92:93], vcc
                                        ; implicit-def: $sgpr94
	s_xor_b64 exec, exec, s[92:93]
	s_cbranch_execnz .LBB14_7842
.LBB14_7250:
	s_or_b64 exec, exec, s[92:93]
	v_mov_b32_e32 v5, s94
	s_and_saveexec_b64 vcc, s[90:91]
.LBB14_7251:
	v_lshrrev_b32_e32 v5, 24, v30
	s_movk_i32 s90, 0x80
	v_and_or_b32 v5, v5, s90, v3
.LBB14_7252:
	s_or_b64 exec, exec, vcc
.LBB14_7253:
	s_or_b64 exec, exec, s[88:89]
	flat_store_byte v[32:33], v5
                                        ; implicit-def: $vgpr30
                                        ; implicit-def: $vgpr32_vgpr33
.LBB14_7254:
	s_andn2_saveexec_b64 s[86:87], s[86:87]
	s_cbranch_execz .LBB14_7264
; %bb.7255:
	v_and_b32_e32 v5, 0x7fffffff, v30
	s_mov_b32 vcc_lo, 0x43f00000
	v_cmp_gt_u32_e32 vcc, vcc_lo, v5
                                        ; implicit-def: $vgpr3
	s_and_saveexec_b64 s[88:89], vcc
	s_xor_b64 s[88:89], exec, s[88:89]
	s_cbranch_execz .LBB14_7261
; %bb.7256:
	s_mov_b32 vcc_lo, 0x3c7fffff
	v_cmp_lt_u32_e32 vcc, vcc_lo, v5
                                        ; implicit-def: $vgpr3
	s_and_saveexec_b64 s[90:91], vcc
	s_xor_b64 s[90:91], exec, s[90:91]
; %bb.7257:
	v_bfe_u32 v3, v30, 20, 1
	s_mov_b32 vcc_lo, 0x407ffff
	v_add3_u32 v3, v30, v3, vcc_lo
	v_lshrrev_b32_e32 v5, 20, v3
	v_and_b32_e32 v3, 0xff00000, v3
	s_mov_b32 vcc_lo, 0x7f00000
	v_mov_b32_e32 v7, 0x7e
	v_cmp_ne_u32_e32 vcc, vcc_lo, v3
	v_cndmask_b32_e32 v3, v7, v5, vcc
; %bb.7258:
	s_andn2_saveexec_b64 vcc, s[90:91]
; %bb.7259:
	s_mov_b32 s90, 0x46800000
	v_add_f32_e64 v3, |v30|, s90
; %bb.7260:
	s_or_b64 exec, exec, vcc
                                        ; implicit-def: $vgpr5
.LBB14_7261:
	s_andn2_saveexec_b64 s[88:89], s[88:89]
; %bb.7262:
	s_mov_b32 vcc_lo, 0x7f800000
	v_mov_b32_e32 v3, 0x7e
	v_mov_b32_e32 v7, 0x7f
	v_cmp_lt_u32_e32 vcc, vcc_lo, v5
	v_cndmask_b32_e32 v3, v3, v7, vcc
; %bb.7263:
	s_or_b64 exec, exec, s[88:89]
	v_lshrrev_b32_e32 v5, 24, v30
	s_movk_i32 vcc_lo, 0x80
	v_and_or_b32 v3, v5, vcc_lo, v3
	flat_store_byte v[32:33], v3
.LBB14_7264:
	s_or_b64 exec, exec, s[86:87]
                                        ; implicit-def: $vgpr30
                                        ; implicit-def: $vgpr32_vgpr33
.LBB14_7265:
	s_andn2_saveexec_b64 s[84:85], s[84:85]
	s_cbranch_execz .LBB14_7275
; %bb.7266:
	v_and_b32_e32 v5, 0x7fffffff, v30
	s_mov_b32 vcc_lo, 0x47800000
	v_cmp_gt_u32_e32 vcc, vcc_lo, v5
                                        ; implicit-def: $vgpr3
	s_and_saveexec_b64 s[86:87], vcc
	s_xor_b64 s[86:87], exec, s[86:87]
	s_cbranch_execz .LBB14_7272
; %bb.7267:
	s_mov_b32 vcc_lo, 0x387fffff
	v_cmp_lt_u32_e32 vcc, vcc_lo, v5
                                        ; implicit-def: $vgpr3
	s_and_saveexec_b64 s[88:89], vcc
	s_xor_b64 vcc, exec, s[88:89]
; %bb.7268:
	v_bfe_u32 v3, v30, 21, 1
	s_mov_b32 s88, 0x80fffff
	v_add3_u32 v3, v30, v3, s88
	v_lshrrev_b32_e32 v3, 21, v3
; %bb.7269:
	s_andn2_saveexec_b64 vcc, vcc
; %bb.7270:
	s_mov_b32 s88, 0x43000000
	v_add_f32_e64 v3, |v30|, s88
; %bb.7271:
	s_or_b64 exec, exec, vcc
                                        ; implicit-def: $vgpr5
.LBB14_7272:
	s_andn2_saveexec_b64 s[86:87], s[86:87]
; %bb.7273:
	s_mov_b32 vcc_lo, 0x7f800000
	v_mov_b32_e32 v3, 0x7c
	v_mov_b32_e32 v7, 0x7f
	v_cmp_lt_u32_e32 vcc, vcc_lo, v5
	v_cndmask_b32_e32 v3, v3, v7, vcc
; %bb.7274:
	s_or_b64 exec, exec, s[86:87]
	v_lshrrev_b32_e32 v5, 24, v30
	s_movk_i32 vcc_lo, 0x80
	v_and_or_b32 v3, v5, vcc_lo, v3
	flat_store_byte v[32:33], v3
.LBB14_7275:
	s_or_b64 exec, exec, s[84:85]
	s_or_b64 s[84:85], s[4:5], exec
                                        ; implicit-def: $vgpr32_vgpr33
                                        ; implicit-def: $vgpr30
.LBB14_7276:
	s_or_saveexec_b64 s[82:83], s[82:83]
	s_mov_b64 s[86:87], s[78:79]
	s_xor_b64 exec, exec, s[82:83]
	s_cbranch_execz .LBB14_7286
; %bb.7277:
	v_mov_b32_e32 v3, 14
	v_cmp_gt_i16_sdwa s[88:89], v11, v3 src0_sel:BYTE_0 src1_sel:DWORD
	s_mov_b64 vcc, s[84:85]
	s_mov_b64 s[86:87], s[78:79]
	s_and_saveexec_b64 s[90:91], s[88:89]
	s_xor_b64 s[88:89], exec, s[90:91]
	s_cbranch_execz .LBB14_7281
; %bb.7278:
	v_mov_b32_e32 v3, 15
	v_cmp_eq_u16_sdwa s[92:93], v11, v3 src0_sel:BYTE_0 src1_sel:DWORD
	s_mov_b64 s[90:91], -1
	s_mov_b64 vcc, s[84:85]
	s_and_saveexec_b64 s[86:87], s[92:93]
	s_cbranch_execz .LBB14_7280
; %bb.7279:
	v_bfe_u32 v3, v30, 16, 1
	s_movk_i32 vcc_lo, 0x7fff
	v_add3_u32 v3, v30, v3, vcc_lo
	v_lshrrev_b32_e32 v3, 16, v3
	v_mov_b32_e32 v5, 0x7fc0
	v_cmp_o_f32_e32 vcc, v30, v30
	v_cndmask_b32_e32 v3, v5, v3, vcc
	flat_store_short v[32:33], v3
	s_xor_b64 s[90:91], exec, -1
	s_or_b64 vcc, s[84:85], exec
.LBB14_7280:
	s_or_b64 exec, exec, s[86:87]
	s_andn2_b64 s[86:87], s[78:79], exec
	s_and_b64 s[90:91], s[90:91], exec
	s_or_b64 s[86:87], s[86:87], s[90:91]
	s_andn2_b64 s[90:91], s[84:85], exec
	s_and_b64 vcc, vcc, exec
	s_or_b64 vcc, s[90:91], vcc
                                        ; implicit-def: $vgpr32_vgpr33
.LBB14_7281:
	s_andn2_saveexec_b64 s[88:89], s[88:89]
	s_cbranch_execz .LBB14_7285
; %bb.7282:
	v_mov_b32_e32 v3, 11
	v_cmp_eq_u16_sdwa s[96:97], v11, v3 src0_sel:BYTE_0 src1_sel:DWORD
	s_mov_b64 s[92:93], -1
	s_mov_b64 s[90:91], vcc
	s_and_saveexec_b64 s[94:95], s[96:97]
	s_cbranch_execz .LBB14_7284
; %bb.7283:
	v_mov_b32_e32 v3, 1
	flat_store_byte v[32:33], v3
	s_xor_b64 s[92:93], exec, -1
	s_or_b64 s[90:91], vcc, exec
.LBB14_7284:
	s_or_b64 exec, exec, s[94:95]
	s_andn2_b64 s[86:87], s[86:87], exec
	s_and_b64 s[92:93], s[92:93], exec
	s_andn2_b64 vcc, vcc, exec
	s_and_b64 s[90:91], s[90:91], exec
	s_or_b64 s[86:87], s[86:87], s[92:93]
	s_or_b64 vcc, vcc, s[90:91]
.LBB14_7285:
	s_or_b64 exec, exec, s[88:89]
	s_andn2_b64 s[88:89], s[78:79], exec
	s_and_b64 s[86:87], s[86:87], exec
	s_andn2_b64 s[84:85], s[84:85], exec
	s_and_b64 vcc, vcc, exec
	s_or_b64 s[86:87], s[88:89], s[86:87]
	s_or_b64 s[84:85], s[84:85], vcc
.LBB14_7286:
	s_or_b64 exec, exec, s[82:83]
	s_andn2_b64 vcc, s[78:79], exec
	s_and_b64 s[78:79], s[86:87], exec
	s_or_b64 s[78:79], vcc, s[78:79]
	s_andn2_b64 s[4:5], s[4:5], exec
	s_and_b64 vcc, s[84:85], exec
	s_or_b64 s[4:5], s[4:5], vcc
.LBB14_7287:
	s_or_b64 exec, exec, s[80:81]
	s_andn2_b64 vcc, s[70:71], exec
	s_and_b64 s[78:79], s[78:79], exec
	s_or_b64 s[78:79], vcc, s[78:79]
	s_and_b64 s[4:5], s[4:5], exec
                                        ; implicit-def: $vgpr30
                                        ; implicit-def: $vgpr32_vgpr33
	s_andn2_saveexec_b64 s[74:75], s[74:75]
	s_cbranch_execz .LBB14_3986
.LBB14_7288:
	v_mov_b32_e32 v3, 4
	v_cmp_gt_i16_sdwa vcc, v11, v3 src0_sel:BYTE_0 src1_sel:DWORD
	s_and_saveexec_b64 s[80:81], vcc
	s_xor_b64 vcc, exec, s[80:81]
	s_cbranch_execz .LBB14_7310
; %bb.7289:
	v_mov_b32_e32 v3, 7
	v_cmp_gt_i16_sdwa s[80:81], v11, v3 src0_sel:BYTE_0 src1_sel:DWORD
	s_and_saveexec_b64 s[82:83], s[80:81]
	s_xor_b64 s[80:81], exec, s[82:83]
	s_cbranch_execz .LBB14_7299
; %bb.7290:
	v_mov_b32_e32 v3, 8
	v_cmp_gt_i16_sdwa s[82:83], v11, v3 src0_sel:BYTE_0 src1_sel:DWORD
	s_and_saveexec_b64 s[84:85], s[82:83]
	s_xor_b64 s[82:83], exec, s[84:85]
	;; [unrolled: 6-line block ×3, first 2 shown]
	s_cbranch_execz .LBB14_7293
; %bb.7292:
	v_mov_b32_e32 v36, 0
	v_cvt_f64_f32_e32 v[34:35], v30
	v_mov_b32_e32 v37, v36
	flat_store_dwordx4 v[32:33], v[34:37]
                                        ; implicit-def: $vgpr30
                                        ; implicit-def: $vgpr32_vgpr33
.LBB14_7293:
	s_andn2_saveexec_b64 s[84:85], s[84:85]
	s_cbranch_execz .LBB14_7295
; %bb.7294:
	v_mov_b32_e32 v31, 0
	flat_store_dwordx2 v[32:33], v[30:31]
.LBB14_7295:
	s_or_b64 exec, exec, s[84:85]
                                        ; implicit-def: $vgpr30
                                        ; implicit-def: $vgpr32_vgpr33
.LBB14_7296:
	s_andn2_saveexec_b64 s[82:83], s[82:83]
	s_cbranch_execz .LBB14_7298
; %bb.7297:
	v_cvt_f16_f32_e32 v3, v30
	flat_store_dword v[32:33], v3
.LBB14_7298:
	s_or_b64 exec, exec, s[82:83]
                                        ; implicit-def: $vgpr30
                                        ; implicit-def: $vgpr32_vgpr33
.LBB14_7299:
	s_andn2_saveexec_b64 s[80:81], s[80:81]
	s_cbranch_execz .LBB14_7309
; %bb.7300:
	v_mov_b32_e32 v3, 5
	v_cmp_gt_i16_sdwa s[82:83], v11, v3 src0_sel:BYTE_0 src1_sel:DWORD
	s_and_saveexec_b64 s[84:85], s[82:83]
	s_xor_b64 s[82:83], exec, s[84:85]
	s_cbranch_execz .LBB14_7306
; %bb.7301:
	v_mov_b32_e32 v3, 6
	v_cmp_gt_i16_sdwa s[84:85], v11, v3 src0_sel:BYTE_0 src1_sel:DWORD
	s_and_saveexec_b64 s[86:87], s[84:85]
	s_xor_b64 s[84:85], exec, s[86:87]
	s_cbranch_execz .LBB14_7303
; %bb.7302:
	v_cvt_f64_f32_e32 v[30:31], v30
	flat_store_dwordx2 v[32:33], v[30:31]
                                        ; implicit-def: $vgpr32_vgpr33
                                        ; implicit-def: $vgpr30
.LBB14_7303:
	s_andn2_saveexec_b64 s[84:85], s[84:85]
	s_cbranch_execz .LBB14_7305
; %bb.7304:
	flat_store_dword v[32:33], v30
.LBB14_7305:
	s_or_b64 exec, exec, s[84:85]
                                        ; implicit-def: $vgpr30
                                        ; implicit-def: $vgpr32_vgpr33
.LBB14_7306:
	s_andn2_saveexec_b64 s[82:83], s[82:83]
	s_cbranch_execz .LBB14_7308
; %bb.7307:
	v_cvt_f16_f32_e32 v3, v30
	flat_store_short v[32:33], v3
.LBB14_7308:
	s_or_b64 exec, exec, s[82:83]
.LBB14_7309:
	s_or_b64 exec, exec, s[80:81]
                                        ; implicit-def: $vgpr30
                                        ; implicit-def: $vgpr32_vgpr33
.LBB14_7310:
	s_andn2_saveexec_b64 s[80:81], vcc
	s_cbranch_execz .LBB14_7328
; %bb.7311:
	v_mov_b32_e32 v3, 1
	v_cmp_gt_i16_sdwa vcc, v11, v3 src0_sel:BYTE_0 src1_sel:DWORD
	s_and_saveexec_b64 s[82:83], vcc
	s_xor_b64 s[82:83], exec, s[82:83]
	s_cbranch_execz .LBB14_7321
; %bb.7312:
	v_mov_b32_e32 v3, 2
	v_cmp_gt_i16_sdwa vcc, v11, v3 src0_sel:BYTE_0 src1_sel:DWORD
	s_and_saveexec_b64 s[84:85], vcc
	s_xor_b64 s[84:85], exec, s[84:85]
	;; [unrolled: 6-line block ×3, first 2 shown]
	s_cbranch_execz .LBB14_7315
; %bb.7314:
	v_trunc_f32_e32 v3, v30
	s_mov_b32 s88, 0x2f800000
	v_mul_f32_e64 v5, |v3|, s88
	v_floor_f32_e32 v5, v5
	s_mov_b32 s88, 0xcf800000
	v_cvt_u32_f32_e32 v7, v5
	v_fma_f32 v5, v5, s88, |v3|
	v_cvt_u32_f32_e32 v5, v5
	v_ashrrev_i32_e32 v3, 31, v3
	v_xor_b32_e32 v7, v7, v3
	v_xor_b32_e32 v5, v5, v3
	v_sub_co_u32_e32 v30, vcc, v5, v3
	v_subb_co_u32_e32 v31, vcc, v7, v3, vcc
	flat_store_dwordx2 v[32:33], v[30:31]
                                        ; implicit-def: $vgpr30
                                        ; implicit-def: $vgpr32_vgpr33
.LBB14_7315:
	s_andn2_saveexec_b64 vcc, s[86:87]
	s_cbranch_execz .LBB14_7317
; %bb.7316:
	v_cvt_i32_f32_e32 v3, v30
	flat_store_dword v[32:33], v3
.LBB14_7317:
	s_or_b64 exec, exec, vcc
                                        ; implicit-def: $vgpr30
                                        ; implicit-def: $vgpr32_vgpr33
.LBB14_7318:
	s_andn2_saveexec_b64 vcc, s[84:85]
	s_cbranch_execz .LBB14_7320
; %bb.7319:
	v_cvt_i32_f32_e32 v3, v30
	flat_store_short v[32:33], v3
.LBB14_7320:
	s_or_b64 exec, exec, vcc
                                        ; implicit-def: $vgpr30
                                        ; implicit-def: $vgpr32_vgpr33
.LBB14_7321:
	s_andn2_saveexec_b64 vcc, s[82:83]
	s_cbranch_execz .LBB14_7327
; %bb.7322:
	v_mov_b32_e32 v3, 0
	v_cmp_gt_i16_sdwa s[82:83], v11, v3 src0_sel:BYTE_0 src1_sel:DWORD
	s_and_saveexec_b64 s[84:85], s[82:83]
	s_xor_b64 s[82:83], exec, s[84:85]
	s_cbranch_execz .LBB14_7324
; %bb.7323:
	v_cvt_i32_f32_e32 v3, v30
                                        ; implicit-def: $vgpr30
	flat_store_byte v[32:33], v3
                                        ; implicit-def: $vgpr32_vgpr33
.LBB14_7324:
	s_andn2_saveexec_b64 s[82:83], s[82:83]
	s_cbranch_execz .LBB14_7326
; %bb.7325:
	v_trunc_f32_e32 v3, v30
	s_mov_b32 s84, 0x2f800000
	v_mul_f32_e64 v5, |v3|, s84
	v_floor_f32_e32 v5, v5
	s_mov_b32 s84, 0xcf800000
	v_fma_f32 v5, v5, s84, |v3|
	v_cvt_u32_f32_e32 v5, v5
	v_ashrrev_i32_e32 v3, 31, v3
	v_xor_b32_e32 v5, v5, v3
	v_sub_u32_e32 v3, v5, v3
	flat_store_byte v[32:33], v3
.LBB14_7326:
	s_or_b64 exec, exec, s[82:83]
.LBB14_7327:
	s_or_b64 exec, exec, vcc
.LBB14_7328:
	s_or_b64 exec, exec, s[80:81]
	s_or_b64 s[4:5], s[4:5], exec
	s_or_b64 exec, exec, s[74:75]
	s_mov_b64 vcc, 0
	s_and_saveexec_b64 s[74:75], s[4:5]
	s_cbranch_execnz .LBB14_3987
	s_branch .LBB14_3988
.LBB14_7329:
	v_bfe_u32 v3, v50, 21, 1
	s_mov_b32 s68, 0x88fffff
	v_add3_u32 v3, v50, v3, s68
	s_mov_b64 s[66:67], exec
	v_lshrrev_b32_e32 v3, 21, v3
	s_or_saveexec_b64 s[68:69], vcc
                                        ; implicit-def: $sgpr70
	s_xor_b64 exec, exec, s[68:69]
	s_cbranch_execz .LBB14_6494
.LBB14_7330:
	s_mov_b32 s70, 0x42800000
	v_add_f32_e64 v3, |v50|, s70
	v_and_b32_e32 v3, 0xff, v3
	v_cmp_ne_u32_e32 vcc, 0, v3
	s_andn2_b64 s[66:67], s[66:67], exec
	s_and_b64 vcc, vcc, exec
	s_mov_b32 s70, 0
	s_or_b64 s[66:67], s[66:67], vcc
	s_or_b64 exec, exec, s[68:69]
	v_mov_b32_e32 v5, s70
	s_and_saveexec_b64 vcc, s[66:67]
	s_cbranch_execnz .LBB14_6495
	s_branch .LBB14_6496
.LBB14_7331:
	v_bfe_u32 v3, v48, 20, 1
	s_mov_b32 s70, 0x487ffff
	v_add3_u32 v3, v48, v3, s70
	s_mov_b64 s[68:69], exec
	v_lshrrev_b32_e32 v3, 20, v3
	s_or_saveexec_b64 s[70:71], vcc
                                        ; implicit-def: $sgpr72
	s_xor_b64 exec, exec, s[70:71]
	s_cbranch_execz .LBB14_6607
.LBB14_7332:
	s_mov_b32 s72, 0x46000000
	v_add_f32_e64 v3, |v48|, s72
	v_and_b32_e32 v3, 0xff, v3
	v_cmp_ne_u32_e32 vcc, 0, v3
	s_andn2_b64 s[68:69], s[68:69], exec
	s_and_b64 vcc, vcc, exec
	s_mov_b32 s72, 0
	s_or_b64 s[68:69], s[68:69], vcc
	s_or_b64 exec, exec, s[70:71]
	v_mov_b32_e32 v5, s72
	s_and_saveexec_b64 vcc, s[68:69]
	s_cbranch_execnz .LBB14_6608
	s_branch .LBB14_6609
.LBB14_7333:
	v_mov_b32_e32 v3, 25
	v_readlane_b32 s82, v43, 10
	v_cmp_gt_i16_sdwa vcc, v11, v3 src0_sel:BYTE_0 src1_sel:DWORD
	v_readlane_b32 s83, v43, 11
	s_and_saveexec_b64 s[76:77], vcc
	s_xor_b64 s[84:85], exec, s[76:77]
	s_cbranch_execz .LBB14_7369
; %bb.7334:
	v_mov_b32_e32 v3, 28
	v_readlane_b32 s86, v43, 10
	v_cmp_gt_i16_sdwa vcc, v11, v3 src0_sel:BYTE_0 src1_sel:DWORD
	v_readlane_b32 s87, v43, 11
	s_and_saveexec_b64 s[76:77], vcc
	s_xor_b64 s[82:83], exec, s[76:77]
	s_cbranch_execz .LBB14_7352
; %bb.7335:
	v_mov_b32_e32 v3, 43
	v_readlane_b32 vcc_lo, v43, 10
	v_cmp_gt_i16_sdwa s[76:77], v11, v3 src0_sel:BYTE_0 src1_sel:DWORD
	v_readlane_b32 vcc_hi, v43, 11
	s_and_saveexec_b64 s[86:87], s[76:77]
	s_xor_b64 s[86:87], exec, s[86:87]
	s_cbranch_execz .LBB14_7347
; %bb.7336:
	v_mov_b32_e32 v3, 45
	v_readlane_b32 s90, v43, 10
	v_cmp_gt_i16_sdwa s[4:5], v11, v3 src0_sel:BYTE_0 src1_sel:DWORD
	s_mov_b64 s[88:89], 0
	v_readlane_b32 s91, v43, 11
	s_and_saveexec_b64 vcc, s[4:5]
	s_xor_b64 s[4:5], exec, vcc
	s_cbranch_execz .LBB14_7340
; %bb.7337:
	v_mov_b32_e32 v3, 46
	v_cmp_eq_u16_sdwa s[76:77], v11, v3 src0_sel:BYTE_0 src1_sel:DWORD
	s_mov_b64 vcc, -1
	s_and_saveexec_b64 s[90:91], s[76:77]
	s_cbranch_execz .LBB14_7339
; %bb.7338:
	v_bfe_u32 v3, v28, 16, 1
	s_movk_i32 vcc_lo, 0x7fff
	v_add3_u32 v3, v28, v3, vcc_lo
	v_lshrrev_b32_e32 v3, 16, v3
	v_mov_b32_e32 v5, 0x7fc0
	v_cmp_o_f32_e32 vcc, v28, v28
	v_cndmask_b32_e32 v3, v5, v3, vcc
	s_mov_b64 s[88:89], exec
	flat_store_dword v[30:31], v3
	s_xor_b64 vcc, exec, -1
.LBB14_7339:
	s_or_b64 exec, exec, s[90:91]
	v_readlane_b32 s74, v43, 10
	v_readlane_b32 s75, v43, 11
	s_andn2_b64 s[76:77], s[74:75], exec
	s_and_b64 vcc, vcc, exec
	s_or_b64 s[90:91], s[76:77], vcc
	s_and_b64 s[88:89], s[88:89], exec
                                        ; implicit-def: $vgpr30_vgpr31
                                        ; implicit-def: $vgpr28
.LBB14_7340:
	s_andn2_saveexec_b64 s[92:93], s[4:5]
	s_cbranch_execz .LBB14_7346
; %bb.7341:
	v_mov_b32_e32 v3, 44
	v_cmp_eq_u16_sdwa s[76:77], v11, v3 src0_sel:BYTE_0 src1_sel:DWORD
	s_mov_b64 vcc, -1
	s_mov_b64 s[4:5], s[88:89]
	s_and_saveexec_b64 s[94:95], s[76:77]
	s_cbranch_execz .LBB14_7345
; %bb.7342:
	v_bfe_u32 v3, v28, 23, 8
	s_movk_i32 s4, 0xff
	v_cmp_ne_u32_e32 vcc, s4, v3
	v_mov_b32_e32 v5, 0xff
	s_and_saveexec_b64 s[96:97], vcc
; %bb.7343:
	s_mov_b32 s4, 0x3fffff
	v_and_b32_e32 v7, 0x400000, v28
	v_and_or_b32 v3, v28, s4, v3
	v_cmp_ne_u32_e32 vcc, 0, v7
	v_cmp_ne_u32_e64 s[4:5], 0, v3
	s_and_b64 s[4:5], vcc, s[4:5]
	v_lshrrev_b32_e32 v5, 23, v28
	v_cndmask_b32_e64 v3, 0, 1, s[4:5]
	v_add_u32_e32 v5, v5, v3
; %bb.7344:
	s_or_b64 exec, exec, s[96:97]
	s_xor_b64 vcc, exec, -1
	s_or_b64 s[4:5], s[88:89], exec
	flat_store_byte v[30:31], v5
.LBB14_7345:
	s_or_b64 exec, exec, s[94:95]
	s_andn2_b64 s[74:75], s[90:91], exec
	s_and_b64 vcc, vcc, exec
	s_or_b64 s[90:91], s[74:75], vcc
	s_andn2_b64 vcc, s[88:89], exec
	s_and_b64 s[4:5], s[4:5], exec
	s_or_b64 s[88:89], vcc, s[4:5]
.LBB14_7346:
	s_or_b64 exec, exec, s[92:93]
	v_readlane_b32 s4, v43, 10
	v_readlane_b32 s5, v43, 11
	s_andn2_b64 s[4:5], s[4:5], exec
	s_and_b64 vcc, s[90:91], exec
	s_or_b64 vcc, s[4:5], vcc
	s_and_b64 s[4:5], s[88:89], exec
                                        ; implicit-def: $vgpr28
                                        ; implicit-def: $vgpr30_vgpr31
.LBB14_7347:
	s_andn2_saveexec_b64 s[86:87], s[86:87]
	s_cbranch_execz .LBB14_7351
; %bb.7348:
	v_mov_b32_e32 v3, 29
	v_cmp_eq_u16_sdwa s[76:77], v11, v3 src0_sel:BYTE_0 src1_sel:DWORD
	s_mov_b64 s[92:93], -1
	s_mov_b64 s[90:91], s[4:5]
	s_and_saveexec_b64 s[88:89], s[76:77]
	s_cbranch_execz .LBB14_7350
; %bb.7349:
	v_trunc_f32_e32 v3, v28
	v_mul_f32_e32 v5, 0x2f800000, v3
	v_floor_f32_e32 v5, v5
	v_fmac_f32_e32 v3, 0xcf800000, v5
	v_cvt_u32_f32_e32 v29, v5
	v_cvt_u32_f32_e32 v28, v3
	s_xor_b64 s[92:93], exec, -1
	s_or_b64 s[90:91], s[4:5], exec
	flat_store_dwordx2 v[30:31], v[28:29]
.LBB14_7350:
	s_or_b64 exec, exec, s[88:89]
	s_andn2_b64 vcc, vcc, exec
	s_and_b64 s[76:77], s[92:93], exec
	s_or_b64 vcc, vcc, s[76:77]
	s_andn2_b64 s[4:5], s[4:5], exec
	s_and_b64 s[76:77], s[90:91], exec
	s_or_b64 s[4:5], s[4:5], s[76:77]
.LBB14_7351:
	s_or_b64 exec, exec, s[86:87]
	v_readlane_b32 s74, v43, 10
	v_readlane_b32 s75, v43, 11
	s_andn2_b64 s[74:75], s[74:75], exec
	s_and_b64 vcc, vcc, exec
	s_or_b64 s[86:87], s[74:75], vcc
	s_and_b64 s[4:5], s[4:5], exec
                                        ; implicit-def: $vgpr30_vgpr31
                                        ; implicit-def: $vgpr28
.LBB14_7352:
	s_andn2_saveexec_b64 s[82:83], s[82:83]
	s_cbranch_execz .LBB14_7368
; %bb.7353:
	v_mov_b32_e32 v3, 26
	v_cmp_gt_i16_sdwa vcc, v11, v3 src0_sel:BYTE_0 src1_sel:DWORD
	s_and_saveexec_b64 s[76:77], vcc
	s_xor_b64 vcc, exec, s[76:77]
	s_cbranch_execz .LBB14_7359
; %bb.7354:
	v_cvt_u32_f32_e32 v3, v28
	v_mov_b32_e32 v5, 27
	v_cmp_gt_i16_sdwa s[76:77], v11, v5 src0_sel:BYTE_0 src1_sel:DWORD
	s_and_saveexec_b64 s[88:89], s[76:77]
	s_xor_b64 s[76:77], exec, s[88:89]
	s_cbranch_execz .LBB14_7356
; %bb.7355:
	flat_store_dword v[30:31], v3
                                        ; implicit-def: $vgpr30_vgpr31
                                        ; implicit-def: $vgpr3
.LBB14_7356:
	s_andn2_saveexec_b64 s[76:77], s[76:77]
	s_cbranch_execz .LBB14_7358
; %bb.7357:
	flat_store_short v[30:31], v3
.LBB14_7358:
	s_or_b64 exec, exec, s[76:77]
                                        ; implicit-def: $vgpr30_vgpr31
                                        ; implicit-def: $vgpr28
.LBB14_7359:
	s_andn2_saveexec_b64 s[88:89], vcc
	s_cbranch_execz .LBB14_7367
; %bb.7360:
	v_and_b32_e32 v3, 0x7fffffff, v28
	s_mov_b32 vcc_lo, 0x43800000
	v_cmp_gt_u32_e32 vcc, vcc_lo, v3
	v_mov_b32_e32 v5, 0x80
	s_and_saveexec_b64 s[90:91], vcc
	s_cbranch_execz .LBB14_7366
; %bb.7361:
	s_mov_b32 vcc_lo, 0x3bffffff
	v_cmp_lt_u32_e32 vcc, vcc_lo, v3
	s_mov_b64 s[92:93], 0
                                        ; implicit-def: $vgpr3
	s_and_saveexec_b64 s[74:75], vcc
	s_xor_b64 vcc, exec, s[74:75]
	s_cbranch_execnz .LBB14_7843
; %bb.7362:
	s_or_saveexec_b64 s[94:95], vcc
                                        ; implicit-def: $sgpr76
	s_xor_b64 exec, exec, s[94:95]
	s_cbranch_execnz .LBB14_7844
.LBB14_7363:
	s_or_b64 exec, exec, s[94:95]
	v_mov_b32_e32 v5, s76
	s_and_saveexec_b64 vcc, s[92:93]
.LBB14_7364:
	v_lshrrev_b32_e32 v5, 24, v28
	s_movk_i32 s74, 0x80
	v_and_or_b32 v5, v5, s74, v3
.LBB14_7365:
	s_or_b64 exec, exec, vcc
.LBB14_7366:
	s_or_b64 exec, exec, s[90:91]
	flat_store_byte v[30:31], v5
.LBB14_7367:
	s_or_b64 exec, exec, s[88:89]
	s_or_b64 s[4:5], s[4:5], exec
.LBB14_7368:
	s_or_b64 exec, exec, s[82:83]
	v_readlane_b32 vcc_lo, v43, 10
	v_readlane_b32 vcc_hi, v43, 11
	s_andn2_b64 vcc, vcc, exec
	s_and_b64 s[76:77], s[86:87], exec
	s_or_b64 s[82:83], vcc, s[76:77]
	s_and_b64 s[4:5], s[4:5], exec
                                        ; implicit-def: $vgpr28
                                        ; implicit-def: $vgpr30_vgpr31
.LBB14_7369:
	s_andn2_saveexec_b64 s[84:85], s[84:85]
	s_cbranch_execz .LBB14_7413
; %bb.7370:
	v_mov_b32_e32 v3, 22
	v_cmp_gt_i16_sdwa vcc, v11, v3 src0_sel:BYTE_0 src1_sel:DWORD
	s_mov_b64 s[88:89], s[4:5]
	s_and_saveexec_b64 s[76:77], vcc
	s_xor_b64 s[86:87], exec, s[76:77]
	s_cbranch_execz .LBB14_7402
; %bb.7371:
	v_mov_b32_e32 v3, 23
	v_cmp_gt_i16_sdwa vcc, v11, v3 src0_sel:BYTE_0 src1_sel:DWORD
	s_and_saveexec_b64 s[76:77], vcc
	s_xor_b64 s[88:89], exec, s[76:77]
	s_cbranch_execz .LBB14_7391
; %bb.7372:
	v_mov_b32_e32 v3, 24
	v_cmp_gt_i16_sdwa vcc, v11, v3 src0_sel:BYTE_0 src1_sel:DWORD
	s_and_saveexec_b64 s[76:77], vcc
	s_xor_b64 s[90:91], exec, s[76:77]
	s_cbranch_execz .LBB14_7380
; %bb.7373:
	v_and_b32_e32 v3, 0x7fffffff, v28
	s_mov_b32 vcc_lo, 0x47800000
	v_cmp_gt_u32_e32 vcc, vcc_lo, v3
	v_mov_b32_e32 v5, 0x80
	s_and_saveexec_b64 s[92:93], vcc
	s_cbranch_execz .LBB14_7379
; %bb.7374:
	s_mov_b32 vcc_lo, 0x37ffffff
	v_cmp_lt_u32_e32 vcc, vcc_lo, v3
	s_mov_b64 s[94:95], 0
                                        ; implicit-def: $vgpr3
	s_and_saveexec_b64 s[74:75], vcc
	s_xor_b64 vcc, exec, s[74:75]
	s_cbranch_execnz .LBB14_7845
; %bb.7375:
	s_or_saveexec_b64 s[96:97], vcc
                                        ; implicit-def: $sgpr76
	s_xor_b64 exec, exec, s[96:97]
	s_cbranch_execnz .LBB14_7846
.LBB14_7376:
	s_or_b64 exec, exec, s[96:97]
	v_mov_b32_e32 v5, s76
	s_and_saveexec_b64 vcc, s[94:95]
.LBB14_7377:
	v_lshrrev_b32_e32 v5, 24, v28
	s_movk_i32 s74, 0x80
	v_and_or_b32 v5, v5, s74, v3
.LBB14_7378:
	s_or_b64 exec, exec, vcc
.LBB14_7379:
	s_or_b64 exec, exec, s[92:93]
	flat_store_byte v[30:31], v5
                                        ; implicit-def: $vgpr28
                                        ; implicit-def: $vgpr30_vgpr31
.LBB14_7380:
	s_andn2_saveexec_b64 s[90:91], s[90:91]
	s_cbranch_execz .LBB14_7390
; %bb.7381:
	v_and_b32_e32 v5, 0x7fffffff, v28
	s_mov_b32 vcc_lo, 0x43f00000
	v_cmp_gt_u32_e32 vcc, vcc_lo, v5
                                        ; implicit-def: $vgpr3
	s_and_saveexec_b64 s[74:75], vcc
	s_xor_b64 s[92:93], exec, s[74:75]
	s_cbranch_execz .LBB14_7387
; %bb.7382:
	s_mov_b32 vcc_lo, 0x3c7fffff
	v_cmp_lt_u32_e32 vcc, vcc_lo, v5
                                        ; implicit-def: $vgpr3
	s_and_saveexec_b64 s[74:75], vcc
	s_xor_b64 s[94:95], exec, s[74:75]
; %bb.7383:
	v_bfe_u32 v3, v28, 20, 1
	s_mov_b32 vcc_lo, 0x407ffff
	v_add3_u32 v3, v28, v3, vcc_lo
	v_lshrrev_b32_e32 v5, 20, v3
	v_and_b32_e32 v3, 0xff00000, v3
	s_mov_b32 vcc_lo, 0x7f00000
	v_mov_b32_e32 v7, 0x7e
	v_cmp_ne_u32_e32 vcc, vcc_lo, v3
	v_cndmask_b32_e32 v3, v7, v5, vcc
; %bb.7384:
	s_andn2_saveexec_b64 vcc, s[94:95]
; %bb.7385:
	s_mov_b32 s74, 0x46800000
	v_add_f32_e64 v3, |v28|, s74
; %bb.7386:
	s_or_b64 exec, exec, vcc
                                        ; implicit-def: $vgpr5
.LBB14_7387:
	s_andn2_saveexec_b64 s[92:93], s[92:93]
; %bb.7388:
	s_mov_b32 vcc_lo, 0x7f800000
	v_mov_b32_e32 v3, 0x7e
	v_mov_b32_e32 v7, 0x7f
	v_cmp_lt_u32_e32 vcc, vcc_lo, v5
	v_cndmask_b32_e32 v3, v3, v7, vcc
; %bb.7389:
	s_or_b64 exec, exec, s[92:93]
	v_lshrrev_b32_e32 v5, 24, v28
	s_movk_i32 vcc_lo, 0x80
	v_and_or_b32 v3, v5, vcc_lo, v3
	flat_store_byte v[30:31], v3
.LBB14_7390:
	s_or_b64 exec, exec, s[90:91]
                                        ; implicit-def: $vgpr28
                                        ; implicit-def: $vgpr30_vgpr31
.LBB14_7391:
	s_andn2_saveexec_b64 s[88:89], s[88:89]
	s_cbranch_execz .LBB14_7401
; %bb.7392:
	v_and_b32_e32 v5, 0x7fffffff, v28
	s_mov_b32 vcc_lo, 0x47800000
	v_cmp_gt_u32_e32 vcc, vcc_lo, v5
                                        ; implicit-def: $vgpr3
	s_and_saveexec_b64 s[74:75], vcc
	s_xor_b64 s[90:91], exec, s[74:75]
	s_cbranch_execz .LBB14_7398
; %bb.7393:
	s_mov_b32 vcc_lo, 0x387fffff
	v_cmp_lt_u32_e32 vcc, vcc_lo, v5
                                        ; implicit-def: $vgpr3
	s_and_saveexec_b64 s[74:75], vcc
	s_xor_b64 vcc, exec, s[74:75]
; %bb.7394:
	v_bfe_u32 v3, v28, 21, 1
	s_mov_b32 s74, 0x80fffff
	v_add3_u32 v3, v28, v3, s74
	v_lshrrev_b32_e32 v3, 21, v3
; %bb.7395:
	s_andn2_saveexec_b64 vcc, vcc
; %bb.7396:
	s_mov_b32 s74, 0x43000000
	v_add_f32_e64 v3, |v28|, s74
; %bb.7397:
	s_or_b64 exec, exec, vcc
                                        ; implicit-def: $vgpr5
.LBB14_7398:
	s_andn2_saveexec_b64 s[90:91], s[90:91]
; %bb.7399:
	s_mov_b32 vcc_lo, 0x7f800000
	v_mov_b32_e32 v3, 0x7c
	v_mov_b32_e32 v7, 0x7f
	v_cmp_lt_u32_e32 vcc, vcc_lo, v5
	v_cndmask_b32_e32 v3, v3, v7, vcc
; %bb.7400:
	s_or_b64 exec, exec, s[90:91]
	v_lshrrev_b32_e32 v5, 24, v28
	s_movk_i32 vcc_lo, 0x80
	v_and_or_b32 v3, v5, vcc_lo, v3
	flat_store_byte v[30:31], v3
.LBB14_7401:
	s_or_b64 exec, exec, s[88:89]
	s_or_b64 s[88:89], s[4:5], exec
                                        ; implicit-def: $vgpr30_vgpr31
                                        ; implicit-def: $vgpr28
.LBB14_7402:
	s_or_saveexec_b64 s[86:87], s[86:87]
	s_mov_b64 s[90:91], s[82:83]
	s_xor_b64 exec, exec, s[86:87]
	s_cbranch_execz .LBB14_7412
; %bb.7403:
	v_mov_b32_e32 v3, 14
	v_cmp_gt_i16_sdwa s[76:77], v11, v3 src0_sel:BYTE_0 src1_sel:DWORD
	s_mov_b64 vcc, s[88:89]
	s_mov_b64 s[90:91], s[82:83]
	s_and_saveexec_b64 s[92:93], s[76:77]
	s_xor_b64 s[92:93], exec, s[92:93]
	s_cbranch_execz .LBB14_7407
; %bb.7404:
	v_mov_b32_e32 v3, 15
	v_cmp_eq_u16_sdwa s[76:77], v11, v3 src0_sel:BYTE_0 src1_sel:DWORD
	s_mov_b64 s[94:95], -1
	s_mov_b64 vcc, s[88:89]
	s_and_saveexec_b64 s[90:91], s[76:77]
	s_cbranch_execz .LBB14_7406
; %bb.7405:
	v_bfe_u32 v3, v28, 16, 1
	s_movk_i32 vcc_lo, 0x7fff
	v_add3_u32 v3, v28, v3, vcc_lo
	v_lshrrev_b32_e32 v3, 16, v3
	v_mov_b32_e32 v5, 0x7fc0
	v_cmp_o_f32_e32 vcc, v28, v28
	v_cndmask_b32_e32 v3, v5, v3, vcc
	flat_store_short v[30:31], v3
	s_xor_b64 s[94:95], exec, -1
	s_or_b64 vcc, s[88:89], exec
.LBB14_7406:
	s_or_b64 exec, exec, s[90:91]
	s_andn2_b64 s[76:77], s[82:83], exec
	s_and_b64 s[90:91], s[94:95], exec
	s_or_b64 s[90:91], s[76:77], s[90:91]
	s_andn2_b64 s[76:77], s[88:89], exec
	s_and_b64 vcc, vcc, exec
	s_or_b64 vcc, s[76:77], vcc
                                        ; implicit-def: $vgpr30_vgpr31
.LBB14_7407:
	s_andn2_saveexec_b64 s[92:93], s[92:93]
	s_cbranch_execz .LBB14_7411
; %bb.7408:
	v_mov_b32_e32 v3, 11
	v_cmp_eq_u16_sdwa s[74:75], v11, v3 src0_sel:BYTE_0 src1_sel:DWORD
	s_mov_b64 s[96:97], -1
	s_mov_b64 s[94:95], vcc
	s_and_saveexec_b64 s[76:77], s[74:75]
	s_cbranch_execz .LBB14_7410
; %bb.7409:
	v_mov_b32_e32 v3, 1
	flat_store_byte v[30:31], v3
	s_xor_b64 s[96:97], exec, -1
	s_or_b64 s[94:95], vcc, exec
.LBB14_7410:
	s_or_b64 exec, exec, s[76:77]
	s_andn2_b64 s[74:75], s[90:91], exec
	s_and_b64 s[76:77], s[96:97], exec
	s_or_b64 s[90:91], s[74:75], s[76:77]
	s_andn2_b64 vcc, vcc, exec
	s_and_b64 s[74:75], s[94:95], exec
	s_or_b64 vcc, vcc, s[74:75]
.LBB14_7411:
	s_or_b64 exec, exec, s[92:93]
	s_andn2_b64 s[74:75], s[82:83], exec
	s_and_b64 s[76:77], s[90:91], exec
	s_or_b64 s[90:91], s[74:75], s[76:77]
	s_andn2_b64 s[74:75], s[88:89], exec
	s_and_b64 vcc, vcc, exec
	s_or_b64 s[88:89], s[74:75], vcc
.LBB14_7412:
	s_or_b64 exec, exec, s[86:87]
	s_andn2_b64 vcc, s[82:83], exec
	s_and_b64 s[76:77], s[90:91], exec
	s_or_b64 s[82:83], vcc, s[76:77]
	s_andn2_b64 s[4:5], s[4:5], exec
	s_and_b64 vcc, s[88:89], exec
	s_or_b64 s[4:5], s[4:5], vcc
.LBB14_7413:
	s_or_b64 exec, exec, s[84:85]
	v_readlane_b32 vcc_lo, v43, 10
	v_readlane_b32 vcc_hi, v43, 11
	s_andn2_b64 vcc, vcc, exec
	s_and_b64 s[76:77], s[82:83], exec
	s_or_b64 s[82:83], vcc, s[76:77]
	s_and_b64 s[4:5], s[4:5], exec
                                        ; implicit-def: $vgpr28
                                        ; implicit-def: $vgpr30_vgpr31
	s_andn2_saveexec_b64 s[78:79], s[78:79]
	s_cbranch_execz .LBB14_3993
.LBB14_7414:
	v_mov_b32_e32 v3, 4
	v_cmp_gt_i16_sdwa vcc, v11, v3 src0_sel:BYTE_0 src1_sel:DWORD
	s_and_saveexec_b64 s[74:75], vcc
	s_xor_b64 vcc, exec, s[74:75]
	s_cbranch_execz .LBB14_7436
; %bb.7415:
	v_mov_b32_e32 v3, 7
	v_cmp_gt_i16_sdwa s[74:75], v11, v3 src0_sel:BYTE_0 src1_sel:DWORD
	s_and_saveexec_b64 s[76:77], s[74:75]
	s_xor_b64 s[84:85], exec, s[76:77]
	s_cbranch_execz .LBB14_7425
; %bb.7416:
	v_mov_b32_e32 v3, 8
	v_cmp_gt_i16_sdwa s[74:75], v11, v3 src0_sel:BYTE_0 src1_sel:DWORD
	s_and_saveexec_b64 s[76:77], s[74:75]
	s_xor_b64 s[86:87], exec, s[76:77]
	s_cbranch_execz .LBB14_7422
; %bb.7417:
	v_mov_b32_e32 v3, 9
	v_cmp_gt_i16_sdwa s[74:75], v11, v3 src0_sel:BYTE_0 src1_sel:DWORD
	s_and_saveexec_b64 s[76:77], s[74:75]
	s_xor_b64 s[88:89], exec, s[76:77]
	s_cbranch_execz .LBB14_7419
; %bb.7418:
	v_mov_b32_e32 v34, 0
	v_cvt_f64_f32_e32 v[32:33], v28
	v_mov_b32_e32 v35, v34
	flat_store_dwordx4 v[30:31], v[32:35]
                                        ; implicit-def: $vgpr28
                                        ; implicit-def: $vgpr30_vgpr31
.LBB14_7419:
	s_andn2_saveexec_b64 s[76:77], s[88:89]
	s_cbranch_execz .LBB14_7421
; %bb.7420:
	v_mov_b32_e32 v29, 0
	flat_store_dwordx2 v[30:31], v[28:29]
.LBB14_7421:
	s_or_b64 exec, exec, s[76:77]
                                        ; implicit-def: $vgpr28
                                        ; implicit-def: $vgpr30_vgpr31
.LBB14_7422:
	s_andn2_saveexec_b64 s[76:77], s[86:87]
	s_cbranch_execz .LBB14_7424
; %bb.7423:
	v_cvt_f16_f32_e32 v3, v28
	flat_store_dword v[30:31], v3
.LBB14_7424:
	s_or_b64 exec, exec, s[76:77]
                                        ; implicit-def: $vgpr28
                                        ; implicit-def: $vgpr30_vgpr31
.LBB14_7425:
	s_andn2_saveexec_b64 s[84:85], s[84:85]
	s_cbranch_execz .LBB14_7435
; %bb.7426:
	v_mov_b32_e32 v3, 5
	v_cmp_gt_i16_sdwa s[74:75], v11, v3 src0_sel:BYTE_0 src1_sel:DWORD
	s_and_saveexec_b64 s[76:77], s[74:75]
	s_xor_b64 s[86:87], exec, s[76:77]
	s_cbranch_execz .LBB14_7432
; %bb.7427:
	v_mov_b32_e32 v3, 6
	v_cmp_gt_i16_sdwa s[74:75], v11, v3 src0_sel:BYTE_0 src1_sel:DWORD
	s_and_saveexec_b64 s[76:77], s[74:75]
	s_xor_b64 s[76:77], exec, s[76:77]
	s_cbranch_execz .LBB14_7429
; %bb.7428:
	v_cvt_f64_f32_e32 v[28:29], v28
	flat_store_dwordx2 v[30:31], v[28:29]
                                        ; implicit-def: $vgpr30_vgpr31
                                        ; implicit-def: $vgpr28
.LBB14_7429:
	s_andn2_saveexec_b64 s[76:77], s[76:77]
	s_cbranch_execz .LBB14_7431
; %bb.7430:
	flat_store_dword v[30:31], v28
.LBB14_7431:
	s_or_b64 exec, exec, s[76:77]
                                        ; implicit-def: $vgpr28
                                        ; implicit-def: $vgpr30_vgpr31
.LBB14_7432:
	s_andn2_saveexec_b64 s[76:77], s[86:87]
	s_cbranch_execz .LBB14_7434
; %bb.7433:
	v_cvt_f16_f32_e32 v3, v28
	flat_store_short v[30:31], v3
.LBB14_7434:
	s_or_b64 exec, exec, s[76:77]
.LBB14_7435:
	s_or_b64 exec, exec, s[84:85]
                                        ; implicit-def: $vgpr28
                                        ; implicit-def: $vgpr30_vgpr31
.LBB14_7436:
	s_andn2_saveexec_b64 s[84:85], vcc
	s_cbranch_execz .LBB14_7454
; %bb.7437:
	v_mov_b32_e32 v3, 1
	v_cmp_gt_i16_sdwa vcc, v11, v3 src0_sel:BYTE_0 src1_sel:DWORD
	s_and_saveexec_b64 s[74:75], vcc
	s_xor_b64 s[86:87], exec, s[74:75]
	s_cbranch_execz .LBB14_7447
; %bb.7438:
	v_mov_b32_e32 v3, 2
	v_cmp_gt_i16_sdwa vcc, v11, v3 src0_sel:BYTE_0 src1_sel:DWORD
	s_and_saveexec_b64 s[74:75], vcc
	s_xor_b64 s[88:89], exec, s[74:75]
	;; [unrolled: 6-line block ×3, first 2 shown]
	s_cbranch_execz .LBB14_7441
; %bb.7440:
	v_trunc_f32_e32 v3, v28
	s_mov_b32 s74, 0x2f800000
	v_mul_f32_e64 v5, |v3|, s74
	v_floor_f32_e32 v5, v5
	s_mov_b32 s74, 0xcf800000
	v_cvt_u32_f32_e32 v7, v5
	v_fma_f32 v5, v5, s74, |v3|
	v_cvt_u32_f32_e32 v5, v5
	v_ashrrev_i32_e32 v3, 31, v3
	v_xor_b32_e32 v7, v7, v3
	v_xor_b32_e32 v5, v5, v3
	v_sub_co_u32_e32 v28, vcc, v5, v3
	v_subb_co_u32_e32 v29, vcc, v7, v3, vcc
	flat_store_dwordx2 v[30:31], v[28:29]
                                        ; implicit-def: $vgpr28
                                        ; implicit-def: $vgpr30_vgpr31
.LBB14_7441:
	s_andn2_saveexec_b64 vcc, s[90:91]
	s_cbranch_execz .LBB14_7443
; %bb.7442:
	v_cvt_i32_f32_e32 v3, v28
	flat_store_dword v[30:31], v3
.LBB14_7443:
	s_or_b64 exec, exec, vcc
                                        ; implicit-def: $vgpr28
                                        ; implicit-def: $vgpr30_vgpr31
.LBB14_7444:
	s_andn2_saveexec_b64 vcc, s[88:89]
	s_cbranch_execz .LBB14_7446
; %bb.7445:
	v_cvt_i32_f32_e32 v3, v28
	flat_store_short v[30:31], v3
.LBB14_7446:
	s_or_b64 exec, exec, vcc
                                        ; implicit-def: $vgpr28
                                        ; implicit-def: $vgpr30_vgpr31
.LBB14_7447:
	s_andn2_saveexec_b64 vcc, s[86:87]
	s_cbranch_execz .LBB14_7453
; %bb.7448:
	v_mov_b32_e32 v3, 0
	v_cmp_gt_i16_sdwa s[74:75], v11, v3 src0_sel:BYTE_0 src1_sel:DWORD
	s_and_saveexec_b64 s[76:77], s[74:75]
	s_xor_b64 s[76:77], exec, s[76:77]
	s_cbranch_execz .LBB14_7450
; %bb.7449:
	v_cvt_i32_f32_e32 v3, v28
                                        ; implicit-def: $vgpr28
	flat_store_byte v[30:31], v3
                                        ; implicit-def: $vgpr30_vgpr31
.LBB14_7450:
	s_andn2_saveexec_b64 s[86:87], s[76:77]
	s_cbranch_execz .LBB14_7452
; %bb.7451:
	v_trunc_f32_e32 v3, v28
	s_mov_b32 s74, 0x2f800000
	v_mul_f32_e64 v5, |v3|, s74
	v_floor_f32_e32 v5, v5
	s_mov_b32 s74, 0xcf800000
	v_fma_f32 v5, v5, s74, |v3|
	v_cvt_u32_f32_e32 v5, v5
	v_ashrrev_i32_e32 v3, 31, v3
	v_xor_b32_e32 v5, v5, v3
	v_sub_u32_e32 v3, v5, v3
	flat_store_byte v[30:31], v3
.LBB14_7452:
	s_or_b64 exec, exec, s[86:87]
.LBB14_7453:
	s_or_b64 exec, exec, vcc
.LBB14_7454:
	s_or_b64 exec, exec, s[84:85]
	s_or_b64 s[4:5], s[4:5], exec
	s_or_b64 exec, exec, s[78:79]
	s_mov_b64 vcc, 0
	s_and_saveexec_b64 s[76:77], s[4:5]
	s_cbranch_execnz .LBB14_3994
	s_branch .LBB14_3995
.LBB14_7455:
	v_bfe_u32 v3, v48, 21, 1
	s_mov_b32 s72, 0x88fffff
	v_add3_u32 v3, v48, v3, s72
	s_mov_b64 s[70:71], exec
	v_lshrrev_b32_e32 v3, 21, v3
	s_or_saveexec_b64 s[72:73], vcc
                                        ; implicit-def: $sgpr74
	s_xor_b64 exec, exec, s[72:73]
	s_cbranch_execz .LBB14_6620
.LBB14_7456:
	s_mov_b32 s74, 0x42800000
	v_add_f32_e64 v3, |v48|, s74
	v_and_b32_e32 v3, 0xff, v3
	v_cmp_ne_u32_e32 vcc, 0, v3
	s_andn2_b64 s[70:71], s[70:71], exec
	s_and_b64 vcc, vcc, exec
	s_mov_b32 s74, 0
	s_or_b64 s[70:71], s[70:71], vcc
	s_or_b64 exec, exec, s[72:73]
	v_mov_b32_e32 v5, s74
	s_and_saveexec_b64 vcc, s[70:71]
	s_cbranch_execnz .LBB14_6621
	s_branch .LBB14_6622
.LBB14_7457:
	v_bfe_u32 v3, v38, 20, 1
	s_mov_b32 s74, 0x487ffff
	v_add3_u32 v3, v38, v3, s74
	s_mov_b64 s[72:73], exec
	v_lshrrev_b32_e32 v3, 20, v3
	s_or_saveexec_b64 s[74:75], vcc
                                        ; implicit-def: $sgpr76
	s_xor_b64 exec, exec, s[74:75]
	s_cbranch_execz .LBB14_6733
.LBB14_7458:
	s_mov_b32 s76, 0x46000000
	v_add_f32_e64 v3, |v38|, s76
	v_and_b32_e32 v3, 0xff, v3
	v_cmp_ne_u32_e32 vcc, 0, v3
	s_andn2_b64 s[72:73], s[72:73], exec
	s_and_b64 vcc, vcc, exec
	s_mov_b32 s76, 0
	s_or_b64 s[72:73], s[72:73], vcc
	s_or_b64 exec, exec, s[74:75]
	v_mov_b32_e32 v5, s76
	s_and_saveexec_b64 vcc, s[72:73]
	s_cbranch_execnz .LBB14_6734
	s_branch .LBB14_6735
.LBB14_7459:
	v_mov_b32_e32 v3, 25
	v_readlane_b32 s86, v43, 14
	v_cmp_gt_i16_sdwa vcc, v11, v3 src0_sel:BYTE_0 src1_sel:DWORD
	v_readlane_b32 s87, v43, 15
	s_and_saveexec_b64 s[74:75], vcc
	s_xor_b64 s[88:89], exec, s[74:75]
	s_cbranch_execz .LBB14_7495
; %bb.7460:
	v_mov_b32_e32 v3, 28
	v_readlane_b32 s90, v43, 14
	v_cmp_gt_i16_sdwa vcc, v11, v3 src0_sel:BYTE_0 src1_sel:DWORD
	v_readlane_b32 s91, v43, 15
	s_and_saveexec_b64 s[74:75], vcc
	s_xor_b64 s[86:87], exec, s[74:75]
	s_cbranch_execz .LBB14_7478
; %bb.7461:
	v_mov_b32_e32 v3, 43
	v_readlane_b32 vcc_lo, v43, 14
	v_cmp_gt_i16_sdwa s[74:75], v11, v3 src0_sel:BYTE_0 src1_sel:DWORD
	v_readlane_b32 vcc_hi, v43, 15
	s_and_saveexec_b64 s[76:77], s[74:75]
	s_xor_b64 s[90:91], exec, s[76:77]
	s_cbranch_execz .LBB14_7473
; %bb.7462:
	v_mov_b32_e32 v3, 45
	v_readlane_b32 s94, v43, 14
	v_cmp_gt_i16_sdwa s[4:5], v11, v3 src0_sel:BYTE_0 src1_sel:DWORD
	s_mov_b64 s[92:93], 0
	v_readlane_b32 s95, v43, 15
	s_and_saveexec_b64 vcc, s[4:5]
	s_xor_b64 s[4:5], exec, vcc
	s_cbranch_execz .LBB14_7466
; %bb.7463:
	v_mov_b32_e32 v3, 46
	v_cmp_eq_u16_sdwa s[74:75], v11, v3 src0_sel:BYTE_0 src1_sel:DWORD
	s_mov_b64 vcc, -1
	s_and_saveexec_b64 s[92:93], s[74:75]
	s_cbranch_execz .LBB14_7465
; %bb.7464:
	v_bfe_u32 v3, v26, 16, 1
	s_movk_i32 vcc_lo, 0x7fff
	v_add3_u32 v3, v26, v3, vcc_lo
	v_lshrrev_b32_e32 v3, 16, v3
	v_mov_b32_e32 v5, 0x7fc0
	v_cmp_o_f32_e32 vcc, v26, v26
	v_cndmask_b32_e32 v3, v5, v3, vcc
	s_mov_b64 s[80:81], exec
	flat_store_dword v[28:29], v3
	s_xor_b64 vcc, exec, -1
.LBB14_7465:
	s_or_b64 exec, exec, s[92:93]
	v_readlane_b32 s74, v43, 14
	v_readlane_b32 s75, v43, 15
	s_andn2_b64 s[74:75], s[74:75], exec
	s_and_b64 vcc, vcc, exec
	s_or_b64 s[94:95], s[74:75], vcc
	s_and_b64 s[92:93], s[80:81], exec
                                        ; implicit-def: $vgpr28_vgpr29
                                        ; implicit-def: $vgpr26
.LBB14_7466:
	s_andn2_saveexec_b64 s[96:97], s[4:5]
	s_cbranch_execz .LBB14_7472
; %bb.7467:
	v_mov_b32_e32 v3, 44
	v_cmp_eq_u16_sdwa s[74:75], v11, v3 src0_sel:BYTE_0 src1_sel:DWORD
	s_mov_b64 vcc, -1
	s_mov_b64 s[4:5], s[92:93]
	s_and_saveexec_b64 s[80:81], s[74:75]
	s_cbranch_execz .LBB14_7471
; %bb.7468:
	v_bfe_u32 v3, v26, 23, 8
	s_movk_i32 s4, 0xff
	v_cmp_ne_u32_e32 vcc, s4, v3
	v_mov_b32_e32 v5, 0xff
	s_and_saveexec_b64 s[74:75], vcc
; %bb.7469:
	s_mov_b32 s4, 0x3fffff
	v_and_b32_e32 v7, 0x400000, v26
	v_and_or_b32 v3, v26, s4, v3
	v_cmp_ne_u32_e32 vcc, 0, v7
	v_cmp_ne_u32_e64 s[4:5], 0, v3
	s_and_b64 s[4:5], vcc, s[4:5]
	v_lshrrev_b32_e32 v5, 23, v26
	v_cndmask_b32_e64 v3, 0, 1, s[4:5]
	v_add_u32_e32 v5, v5, v3
; %bb.7470:
	s_or_b64 exec, exec, s[74:75]
	s_xor_b64 vcc, exec, -1
	s_or_b64 s[4:5], s[92:93], exec
	flat_store_byte v[28:29], v5
.LBB14_7471:
	s_or_b64 exec, exec, s[80:81]
	s_andn2_b64 s[74:75], s[94:95], exec
	s_and_b64 vcc, vcc, exec
	s_or_b64 s[94:95], s[74:75], vcc
	s_andn2_b64 vcc, s[92:93], exec
	s_and_b64 s[4:5], s[4:5], exec
	s_or_b64 s[92:93], vcc, s[4:5]
.LBB14_7472:
	s_or_b64 exec, exec, s[96:97]
	v_readlane_b32 s4, v43, 14
	v_readlane_b32 s5, v43, 15
	s_andn2_b64 s[4:5], s[4:5], exec
	s_and_b64 vcc, s[94:95], exec
	s_or_b64 vcc, s[4:5], vcc
	s_and_b64 s[4:5], s[92:93], exec
                                        ; implicit-def: $vgpr26
                                        ; implicit-def: $vgpr28_vgpr29
.LBB14_7473:
	s_andn2_saveexec_b64 s[90:91], s[90:91]
	s_cbranch_execz .LBB14_7477
; %bb.7474:
	v_mov_b32_e32 v3, 29
	v_cmp_eq_u16_sdwa s[74:75], v11, v3 src0_sel:BYTE_0 src1_sel:DWORD
	s_mov_b64 s[94:95], -1
	s_mov_b64 s[92:93], s[4:5]
	s_and_saveexec_b64 s[80:81], s[74:75]
	s_cbranch_execz .LBB14_7476
; %bb.7475:
	v_trunc_f32_e32 v3, v26
	v_mul_f32_e32 v5, 0x2f800000, v3
	v_floor_f32_e32 v5, v5
	v_fmac_f32_e32 v3, 0xcf800000, v5
	v_cvt_u32_f32_e32 v27, v5
	v_cvt_u32_f32_e32 v26, v3
	s_xor_b64 s[94:95], exec, -1
	s_or_b64 s[92:93], s[4:5], exec
	flat_store_dwordx2 v[28:29], v[26:27]
.LBB14_7476:
	s_or_b64 exec, exec, s[80:81]
	s_andn2_b64 vcc, vcc, exec
	s_and_b64 s[74:75], s[94:95], exec
	s_or_b64 vcc, vcc, s[74:75]
	s_andn2_b64 s[4:5], s[4:5], exec
	s_and_b64 s[74:75], s[92:93], exec
	s_or_b64 s[4:5], s[4:5], s[74:75]
.LBB14_7477:
	s_or_b64 exec, exec, s[90:91]
	v_readlane_b32 s74, v43, 14
	v_readlane_b32 s75, v43, 15
	s_andn2_b64 s[74:75], s[74:75], exec
	s_and_b64 vcc, vcc, exec
	s_or_b64 s[90:91], s[74:75], vcc
	s_and_b64 s[4:5], s[4:5], exec
                                        ; implicit-def: $vgpr28_vgpr29
                                        ; implicit-def: $vgpr26
.LBB14_7478:
	s_andn2_saveexec_b64 s[86:87], s[86:87]
	s_cbranch_execz .LBB14_7494
; %bb.7479:
	v_mov_b32_e32 v3, 26
	v_cmp_gt_i16_sdwa vcc, v11, v3 src0_sel:BYTE_0 src1_sel:DWORD
	s_and_saveexec_b64 s[74:75], vcc
	s_xor_b64 vcc, exec, s[74:75]
	s_cbranch_execz .LBB14_7485
; %bb.7480:
	v_cvt_u32_f32_e32 v3, v26
	v_mov_b32_e32 v5, 27
	v_cmp_gt_i16_sdwa s[74:75], v11, v5 src0_sel:BYTE_0 src1_sel:DWORD
	s_and_saveexec_b64 s[76:77], s[74:75]
	s_xor_b64 s[76:77], exec, s[76:77]
	s_cbranch_execz .LBB14_7482
; %bb.7481:
	flat_store_dword v[28:29], v3
                                        ; implicit-def: $vgpr28_vgpr29
                                        ; implicit-def: $vgpr3
.LBB14_7482:
	s_andn2_saveexec_b64 s[76:77], s[76:77]
	s_cbranch_execz .LBB14_7484
; %bb.7483:
	flat_store_short v[28:29], v3
.LBB14_7484:
	s_or_b64 exec, exec, s[76:77]
                                        ; implicit-def: $vgpr28_vgpr29
                                        ; implicit-def: $vgpr26
.LBB14_7485:
	s_andn2_saveexec_b64 s[92:93], vcc
	s_cbranch_execz .LBB14_7493
; %bb.7486:
	v_and_b32_e32 v3, 0x7fffffff, v26
	s_mov_b32 vcc_lo, 0x43800000
	v_cmp_gt_u32_e32 vcc, vcc_lo, v3
	v_mov_b32_e32 v5, 0x80
	s_and_saveexec_b64 s[94:95], vcc
	s_cbranch_execz .LBB14_7492
; %bb.7487:
	s_mov_b32 vcc_lo, 0x3bffffff
	v_cmp_lt_u32_e32 vcc, vcc_lo, v3
	s_mov_b64 s[96:97], 0
                                        ; implicit-def: $vgpr3
	s_and_saveexec_b64 s[74:75], vcc
	s_xor_b64 vcc, exec, s[74:75]
	s_cbranch_execnz .LBB14_7847
; %bb.7488:
	s_or_saveexec_b64 s[80:81], vcc
                                        ; implicit-def: $sgpr76
	s_xor_b64 exec, exec, s[80:81]
	s_cbranch_execnz .LBB14_7848
.LBB14_7489:
	s_or_b64 exec, exec, s[80:81]
	v_mov_b32_e32 v5, s76
	s_and_saveexec_b64 vcc, s[96:97]
.LBB14_7490:
	v_lshrrev_b32_e32 v5, 24, v26
	s_movk_i32 s74, 0x80
	v_and_or_b32 v5, v5, s74, v3
.LBB14_7491:
	s_or_b64 exec, exec, vcc
.LBB14_7492:
	s_or_b64 exec, exec, s[94:95]
	flat_store_byte v[28:29], v5
.LBB14_7493:
	s_or_b64 exec, exec, s[92:93]
	s_or_b64 s[4:5], s[4:5], exec
.LBB14_7494:
	s_or_b64 exec, exec, s[86:87]
	v_readlane_b32 vcc_lo, v43, 14
	v_readlane_b32 vcc_hi, v43, 15
	s_andn2_b64 vcc, vcc, exec
	s_and_b64 s[74:75], s[90:91], exec
	s_or_b64 s[86:87], vcc, s[74:75]
	s_and_b64 s[4:5], s[4:5], exec
                                        ; implicit-def: $vgpr26
                                        ; implicit-def: $vgpr28_vgpr29
.LBB14_7495:
	s_andn2_saveexec_b64 s[88:89], s[88:89]
	s_cbranch_execz .LBB14_7539
; %bb.7496:
	v_mov_b32_e32 v3, 22
	v_cmp_gt_i16_sdwa vcc, v11, v3 src0_sel:BYTE_0 src1_sel:DWORD
	s_mov_b64 s[92:93], s[4:5]
	s_and_saveexec_b64 s[74:75], vcc
	s_xor_b64 s[90:91], exec, s[74:75]
	s_cbranch_execz .LBB14_7528
; %bb.7497:
	v_mov_b32_e32 v3, 23
	v_cmp_gt_i16_sdwa vcc, v11, v3 src0_sel:BYTE_0 src1_sel:DWORD
	s_and_saveexec_b64 s[74:75], vcc
	s_xor_b64 s[92:93], exec, s[74:75]
	s_cbranch_execz .LBB14_7517
; %bb.7498:
	v_mov_b32_e32 v3, 24
	v_cmp_gt_i16_sdwa vcc, v11, v3 src0_sel:BYTE_0 src1_sel:DWORD
	s_and_saveexec_b64 s[74:75], vcc
	s_xor_b64 s[94:95], exec, s[74:75]
	s_cbranch_execz .LBB14_7506
; %bb.7499:
	v_and_b32_e32 v3, 0x7fffffff, v26
	s_mov_b32 vcc_lo, 0x47800000
	v_cmp_gt_u32_e32 vcc, vcc_lo, v3
	v_mov_b32_e32 v5, 0x80
	s_and_saveexec_b64 s[96:97], vcc
	s_cbranch_execz .LBB14_7505
; %bb.7500:
	s_mov_b32 vcc_lo, 0x37ffffff
	v_cmp_lt_u32_e32 vcc, vcc_lo, v3
	s_mov_b64 s[78:79], 0
                                        ; implicit-def: $vgpr3
	s_and_saveexec_b64 s[74:75], vcc
	s_xor_b64 vcc, exec, s[74:75]
	s_cbranch_execnz .LBB14_7849
; %bb.7501:
	s_or_saveexec_b64 s[80:81], vcc
                                        ; implicit-def: $sgpr76
	s_xor_b64 exec, exec, s[80:81]
	s_cbranch_execnz .LBB14_7850
.LBB14_7502:
	s_or_b64 exec, exec, s[80:81]
	v_mov_b32_e32 v5, s76
	s_and_saveexec_b64 vcc, s[78:79]
.LBB14_7503:
	v_lshrrev_b32_e32 v5, 24, v26
	s_movk_i32 s74, 0x80
	v_and_or_b32 v5, v5, s74, v3
.LBB14_7504:
	s_or_b64 exec, exec, vcc
.LBB14_7505:
	s_or_b64 exec, exec, s[96:97]
	flat_store_byte v[28:29], v5
                                        ; implicit-def: $vgpr26
                                        ; implicit-def: $vgpr28_vgpr29
.LBB14_7506:
	s_andn2_saveexec_b64 s[94:95], s[94:95]
	s_cbranch_execz .LBB14_7516
; %bb.7507:
	v_and_b32_e32 v5, 0x7fffffff, v26
	s_mov_b32 vcc_lo, 0x43f00000
	v_cmp_gt_u32_e32 vcc, vcc_lo, v5
                                        ; implicit-def: $vgpr3
	s_and_saveexec_b64 s[74:75], vcc
	s_xor_b64 s[96:97], exec, s[74:75]
	s_cbranch_execz .LBB14_7513
; %bb.7508:
	s_mov_b32 vcc_lo, 0x3c7fffff
	v_cmp_lt_u32_e32 vcc, vcc_lo, v5
                                        ; implicit-def: $vgpr3
	s_and_saveexec_b64 s[74:75], vcc
	s_xor_b64 s[78:79], exec, s[74:75]
; %bb.7509:
	v_bfe_u32 v3, v26, 20, 1
	s_mov_b32 vcc_lo, 0x407ffff
	v_add3_u32 v3, v26, v3, vcc_lo
	v_lshrrev_b32_e32 v5, 20, v3
	v_and_b32_e32 v3, 0xff00000, v3
	s_mov_b32 vcc_lo, 0x7f00000
	v_mov_b32_e32 v7, 0x7e
	v_cmp_ne_u32_e32 vcc, vcc_lo, v3
	v_cndmask_b32_e32 v3, v7, v5, vcc
; %bb.7510:
	s_andn2_saveexec_b64 vcc, s[78:79]
; %bb.7511:
	s_mov_b32 s74, 0x46800000
	v_add_f32_e64 v3, |v26|, s74
; %bb.7512:
	s_or_b64 exec, exec, vcc
                                        ; implicit-def: $vgpr5
.LBB14_7513:
	s_andn2_saveexec_b64 s[80:81], s[96:97]
; %bb.7514:
	s_mov_b32 vcc_lo, 0x7f800000
	v_mov_b32_e32 v3, 0x7e
	v_mov_b32_e32 v7, 0x7f
	v_cmp_lt_u32_e32 vcc, vcc_lo, v5
	v_cndmask_b32_e32 v3, v3, v7, vcc
; %bb.7515:
	s_or_b64 exec, exec, s[80:81]
	v_lshrrev_b32_e32 v5, 24, v26
	s_movk_i32 vcc_lo, 0x80
	v_and_or_b32 v3, v5, vcc_lo, v3
	flat_store_byte v[28:29], v3
.LBB14_7516:
	s_or_b64 exec, exec, s[94:95]
                                        ; implicit-def: $vgpr26
                                        ; implicit-def: $vgpr28_vgpr29
.LBB14_7517:
	s_andn2_saveexec_b64 s[92:93], s[92:93]
	s_cbranch_execz .LBB14_7527
; %bb.7518:
	v_and_b32_e32 v5, 0x7fffffff, v26
	s_mov_b32 vcc_lo, 0x47800000
	v_cmp_gt_u32_e32 vcc, vcc_lo, v5
                                        ; implicit-def: $vgpr3
	s_and_saveexec_b64 s[74:75], vcc
	s_xor_b64 s[94:95], exec, s[74:75]
	s_cbranch_execz .LBB14_7524
; %bb.7519:
	s_mov_b32 vcc_lo, 0x387fffff
	v_cmp_lt_u32_e32 vcc, vcc_lo, v5
                                        ; implicit-def: $vgpr3
	s_and_saveexec_b64 s[74:75], vcc
	s_xor_b64 vcc, exec, s[74:75]
; %bb.7520:
	v_bfe_u32 v3, v26, 21, 1
	s_mov_b32 s74, 0x80fffff
	v_add3_u32 v3, v26, v3, s74
	v_lshrrev_b32_e32 v3, 21, v3
; %bb.7521:
	s_andn2_saveexec_b64 vcc, vcc
; %bb.7522:
	s_mov_b32 s74, 0x43000000
	v_add_f32_e64 v3, |v26|, s74
; %bb.7523:
	s_or_b64 exec, exec, vcc
                                        ; implicit-def: $vgpr5
.LBB14_7524:
	s_andn2_saveexec_b64 s[80:81], s[94:95]
; %bb.7525:
	s_mov_b32 vcc_lo, 0x7f800000
	v_mov_b32_e32 v3, 0x7c
	v_mov_b32_e32 v7, 0x7f
	v_cmp_lt_u32_e32 vcc, vcc_lo, v5
	v_cndmask_b32_e32 v3, v3, v7, vcc
; %bb.7526:
	s_or_b64 exec, exec, s[80:81]
	v_lshrrev_b32_e32 v5, 24, v26
	s_movk_i32 vcc_lo, 0x80
	v_and_or_b32 v3, v5, vcc_lo, v3
	flat_store_byte v[28:29], v3
.LBB14_7527:
	s_or_b64 exec, exec, s[92:93]
	s_or_b64 s[92:93], s[4:5], exec
                                        ; implicit-def: $vgpr28_vgpr29
                                        ; implicit-def: $vgpr26
.LBB14_7528:
	s_or_saveexec_b64 s[90:91], s[90:91]
	s_mov_b64 s[78:79], s[86:87]
	s_xor_b64 exec, exec, s[90:91]
	s_cbranch_execz .LBB14_7538
; %bb.7529:
	v_mov_b32_e32 v3, 14
	v_cmp_gt_i16_sdwa s[74:75], v11, v3 src0_sel:BYTE_0 src1_sel:DWORD
	s_mov_b64 vcc, s[92:93]
	s_mov_b64 s[94:95], s[86:87]
	s_and_saveexec_b64 s[76:77], s[74:75]
	s_xor_b64 s[96:97], exec, s[76:77]
	s_cbranch_execz .LBB14_7533
; %bb.7530:
	v_mov_b32_e32 v3, 15
	v_cmp_eq_u16_sdwa s[74:75], v11, v3 src0_sel:BYTE_0 src1_sel:DWORD
	s_mov_b64 s[94:95], -1
	s_mov_b64 vcc, s[92:93]
	s_and_saveexec_b64 s[80:81], s[74:75]
	s_cbranch_execz .LBB14_7532
; %bb.7531:
	v_bfe_u32 v3, v26, 16, 1
	s_movk_i32 vcc_lo, 0x7fff
	v_add3_u32 v3, v26, v3, vcc_lo
	v_lshrrev_b32_e32 v3, 16, v3
	v_mov_b32_e32 v5, 0x7fc0
	v_cmp_o_f32_e32 vcc, v26, v26
	v_cndmask_b32_e32 v3, v5, v3, vcc
	flat_store_short v[28:29], v3
	s_xor_b64 s[94:95], exec, -1
	s_or_b64 vcc, s[92:93], exec
.LBB14_7532:
	s_or_b64 exec, exec, s[80:81]
	s_andn2_b64 s[74:75], s[86:87], exec
	s_and_b64 s[76:77], s[94:95], exec
	s_or_b64 s[94:95], s[74:75], s[76:77]
	s_andn2_b64 s[74:75], s[92:93], exec
	s_and_b64 vcc, vcc, exec
	s_or_b64 vcc, s[74:75], vcc
                                        ; implicit-def: $vgpr28_vgpr29
.LBB14_7533:
	s_andn2_saveexec_b64 s[96:97], s[96:97]
	s_cbranch_execz .LBB14_7537
; %bb.7534:
	v_mov_b32_e32 v3, 11
	v_cmp_eq_u16_sdwa s[74:75], v11, v3 src0_sel:BYTE_0 src1_sel:DWORD
	s_mov_b64 s[78:79], -1
	s_mov_b64 s[80:81], vcc
	s_and_saveexec_b64 s[76:77], s[74:75]
	s_cbranch_execz .LBB14_7536
; %bb.7535:
	v_mov_b32_e32 v3, 1
	flat_store_byte v[28:29], v3
	s_xor_b64 s[78:79], exec, -1
	s_or_b64 s[80:81], vcc, exec
.LBB14_7536:
	s_or_b64 exec, exec, s[76:77]
	s_andn2_b64 s[74:75], s[94:95], exec
	s_and_b64 s[76:77], s[78:79], exec
	s_or_b64 s[94:95], s[74:75], s[76:77]
	s_andn2_b64 vcc, vcc, exec
	s_and_b64 s[74:75], s[80:81], exec
	s_or_b64 vcc, vcc, s[74:75]
.LBB14_7537:
	s_or_b64 exec, exec, s[96:97]
	s_andn2_b64 s[74:75], s[86:87], exec
	s_and_b64 s[76:77], s[94:95], exec
	s_or_b64 s[78:79], s[74:75], s[76:77]
	s_andn2_b64 s[74:75], s[92:93], exec
	s_and_b64 vcc, vcc, exec
	s_or_b64 s[92:93], s[74:75], vcc
.LBB14_7538:
	s_or_b64 exec, exec, s[90:91]
	s_andn2_b64 vcc, s[86:87], exec
	s_and_b64 s[74:75], s[78:79], exec
	s_or_b64 s[86:87], vcc, s[74:75]
	s_andn2_b64 s[4:5], s[4:5], exec
	s_and_b64 vcc, s[92:93], exec
	s_or_b64 s[4:5], s[4:5], vcc
.LBB14_7539:
	s_or_b64 exec, exec, s[88:89]
	v_readlane_b32 vcc_lo, v43, 14
	v_readlane_b32 vcc_hi, v43, 15
	s_andn2_b64 vcc, vcc, exec
	s_and_b64 s[74:75], s[86:87], exec
	s_or_b64 s[86:87], vcc, s[74:75]
	s_and_b64 s[4:5], s[4:5], exec
                                        ; implicit-def: $vgpr26
                                        ; implicit-def: $vgpr28_vgpr29
	s_andn2_saveexec_b64 s[82:83], s[82:83]
	s_cbranch_execz .LBB14_4000
.LBB14_7540:
	v_mov_b32_e32 v3, 4
	v_cmp_gt_i16_sdwa vcc, v11, v3 src0_sel:BYTE_0 src1_sel:DWORD
	s_and_saveexec_b64 s[74:75], vcc
	s_xor_b64 vcc, exec, s[74:75]
	s_cbranch_execz .LBB14_7562
; %bb.7541:
	v_mov_b32_e32 v3, 7
	v_cmp_gt_i16_sdwa s[74:75], v11, v3 src0_sel:BYTE_0 src1_sel:DWORD
	s_and_saveexec_b64 s[76:77], s[74:75]
	s_xor_b64 s[88:89], exec, s[76:77]
	s_cbranch_execz .LBB14_7551
; %bb.7542:
	v_mov_b32_e32 v3, 8
	v_cmp_gt_i16_sdwa s[74:75], v11, v3 src0_sel:BYTE_0 src1_sel:DWORD
	s_and_saveexec_b64 s[76:77], s[74:75]
	s_xor_b64 s[90:91], exec, s[76:77]
	;; [unrolled: 6-line block ×3, first 2 shown]
	s_cbranch_execz .LBB14_7545
; %bb.7544:
	v_mov_b32_e32 v32, 0
	v_cvt_f64_f32_e32 v[30:31], v26
	v_mov_b32_e32 v33, v32
	flat_store_dwordx4 v[28:29], v[30:33]
                                        ; implicit-def: $vgpr26
                                        ; implicit-def: $vgpr28_vgpr29
.LBB14_7545:
	s_andn2_saveexec_b64 s[76:77], s[78:79]
	s_cbranch_execz .LBB14_7547
; %bb.7546:
	v_mov_b32_e32 v27, 0
	flat_store_dwordx2 v[28:29], v[26:27]
.LBB14_7547:
	s_or_b64 exec, exec, s[76:77]
                                        ; implicit-def: $vgpr26
                                        ; implicit-def: $vgpr28_vgpr29
.LBB14_7548:
	s_andn2_saveexec_b64 s[76:77], s[90:91]
	s_cbranch_execz .LBB14_7550
; %bb.7549:
	v_cvt_f16_f32_e32 v3, v26
	flat_store_dword v[28:29], v3
.LBB14_7550:
	s_or_b64 exec, exec, s[76:77]
                                        ; implicit-def: $vgpr26
                                        ; implicit-def: $vgpr28_vgpr29
.LBB14_7551:
	s_andn2_saveexec_b64 s[88:89], s[88:89]
	s_cbranch_execz .LBB14_7561
; %bb.7552:
	v_mov_b32_e32 v3, 5
	v_cmp_gt_i16_sdwa s[74:75], v11, v3 src0_sel:BYTE_0 src1_sel:DWORD
	s_and_saveexec_b64 s[76:77], s[74:75]
	s_xor_b64 s[80:81], exec, s[76:77]
	s_cbranch_execz .LBB14_7558
; %bb.7553:
	v_mov_b32_e32 v3, 6
	v_cmp_gt_i16_sdwa s[74:75], v11, v3 src0_sel:BYTE_0 src1_sel:DWORD
	s_and_saveexec_b64 s[76:77], s[74:75]
	s_xor_b64 s[76:77], exec, s[76:77]
	s_cbranch_execz .LBB14_7555
; %bb.7554:
	v_cvt_f64_f32_e32 v[26:27], v26
	flat_store_dwordx2 v[28:29], v[26:27]
                                        ; implicit-def: $vgpr28_vgpr29
                                        ; implicit-def: $vgpr26
.LBB14_7555:
	s_andn2_saveexec_b64 s[76:77], s[76:77]
	s_cbranch_execz .LBB14_7557
; %bb.7556:
	flat_store_dword v[28:29], v26
.LBB14_7557:
	s_or_b64 exec, exec, s[76:77]
                                        ; implicit-def: $vgpr26
                                        ; implicit-def: $vgpr28_vgpr29
.LBB14_7558:
	s_andn2_saveexec_b64 s[76:77], s[80:81]
	s_cbranch_execz .LBB14_7560
; %bb.7559:
	v_cvt_f16_f32_e32 v3, v26
	flat_store_short v[28:29], v3
.LBB14_7560:
	s_or_b64 exec, exec, s[76:77]
.LBB14_7561:
	s_or_b64 exec, exec, s[88:89]
                                        ; implicit-def: $vgpr26
                                        ; implicit-def: $vgpr28_vgpr29
.LBB14_7562:
	s_andn2_saveexec_b64 s[88:89], vcc
	s_cbranch_execz .LBB14_7580
; %bb.7563:
	v_mov_b32_e32 v3, 1
	v_cmp_gt_i16_sdwa vcc, v11, v3 src0_sel:BYTE_0 src1_sel:DWORD
	s_and_saveexec_b64 s[74:75], vcc
	s_xor_b64 s[90:91], exec, s[74:75]
	s_cbranch_execz .LBB14_7573
; %bb.7564:
	v_mov_b32_e32 v3, 2
	v_cmp_gt_i16_sdwa vcc, v11, v3 src0_sel:BYTE_0 src1_sel:DWORD
	s_and_saveexec_b64 s[74:75], vcc
	s_xor_b64 s[92:93], exec, s[74:75]
	;; [unrolled: 6-line block ×3, first 2 shown]
	s_cbranch_execz .LBB14_7567
; %bb.7566:
	v_trunc_f32_e32 v3, v26
	s_mov_b32 s74, 0x2f800000
	v_mul_f32_e64 v5, |v3|, s74
	v_floor_f32_e32 v5, v5
	s_mov_b32 s74, 0xcf800000
	v_cvt_u32_f32_e32 v7, v5
	v_fma_f32 v5, v5, s74, |v3|
	v_cvt_u32_f32_e32 v5, v5
	v_ashrrev_i32_e32 v3, 31, v3
	v_xor_b32_e32 v7, v7, v3
	v_xor_b32_e32 v5, v5, v3
	v_sub_co_u32_e32 v26, vcc, v5, v3
	v_subb_co_u32_e32 v27, vcc, v7, v3, vcc
	flat_store_dwordx2 v[28:29], v[26:27]
                                        ; implicit-def: $vgpr26
                                        ; implicit-def: $vgpr28_vgpr29
.LBB14_7567:
	s_andn2_saveexec_b64 vcc, s[80:81]
	s_cbranch_execz .LBB14_7569
; %bb.7568:
	v_cvt_i32_f32_e32 v3, v26
	flat_store_dword v[28:29], v3
.LBB14_7569:
	s_or_b64 exec, exec, vcc
                                        ; implicit-def: $vgpr26
                                        ; implicit-def: $vgpr28_vgpr29
.LBB14_7570:
	s_andn2_saveexec_b64 vcc, s[92:93]
	s_cbranch_execz .LBB14_7572
; %bb.7571:
	v_cvt_i32_f32_e32 v3, v26
	flat_store_short v[28:29], v3
.LBB14_7572:
	s_or_b64 exec, exec, vcc
                                        ; implicit-def: $vgpr26
                                        ; implicit-def: $vgpr28_vgpr29
.LBB14_7573:
	s_andn2_saveexec_b64 vcc, s[90:91]
	s_cbranch_execz .LBB14_7579
; %bb.7574:
	v_mov_b32_e32 v3, 0
	v_cmp_gt_i16_sdwa s[74:75], v11, v3 src0_sel:BYTE_0 src1_sel:DWORD
	s_and_saveexec_b64 s[76:77], s[74:75]
	s_xor_b64 s[76:77], exec, s[76:77]
	s_cbranch_execz .LBB14_7576
; %bb.7575:
	v_cvt_i32_f32_e32 v3, v26
                                        ; implicit-def: $vgpr26
	flat_store_byte v[28:29], v3
                                        ; implicit-def: $vgpr28_vgpr29
.LBB14_7576:
	s_andn2_saveexec_b64 s[80:81], s[76:77]
	s_cbranch_execz .LBB14_7578
; %bb.7577:
	v_trunc_f32_e32 v3, v26
	s_mov_b32 s74, 0x2f800000
	v_mul_f32_e64 v5, |v3|, s74
	v_floor_f32_e32 v5, v5
	s_mov_b32 s74, 0xcf800000
	v_fma_f32 v5, v5, s74, |v3|
	v_cvt_u32_f32_e32 v5, v5
	v_ashrrev_i32_e32 v3, 31, v3
	v_xor_b32_e32 v5, v5, v3
	v_sub_u32_e32 v3, v5, v3
	flat_store_byte v[28:29], v3
.LBB14_7578:
	s_or_b64 exec, exec, s[80:81]
.LBB14_7579:
	s_or_b64 exec, exec, vcc
.LBB14_7580:
	s_or_b64 exec, exec, s[88:89]
	s_or_b64 s[4:5], s[4:5], exec
	s_or_b64 exec, exec, s[82:83]
	s_mov_b64 vcc, 0
	s_and_saveexec_b64 s[76:77], s[4:5]
	s_cbranch_execnz .LBB14_4001
	s_branch .LBB14_4002
.LBB14_7581:
	v_bfe_u32 v3, v38, 21, 1
	s_mov_b32 s76, 0x88fffff
	v_add3_u32 v3, v38, v3, s76
	s_mov_b64 s[74:75], exec
	v_lshrrev_b32_e32 v3, 21, v3
	s_or_saveexec_b64 s[76:77], vcc
                                        ; implicit-def: $sgpr78
	s_xor_b64 exec, exec, s[76:77]
	s_cbranch_execz .LBB14_6746
.LBB14_7582:
	s_mov_b32 s78, 0x42800000
	v_add_f32_e64 v3, |v38|, s78
	v_and_b32_e32 v3, 0xff, v3
	v_cmp_ne_u32_e32 vcc, 0, v3
	s_andn2_b64 s[74:75], s[74:75], exec
	s_and_b64 vcc, vcc, exec
	s_mov_b32 s78, 0
	s_or_b64 s[74:75], s[74:75], vcc
	s_or_b64 exec, exec, s[76:77]
	v_mov_b32_e32 v5, s78
	s_and_saveexec_b64 vcc, s[74:75]
	s_cbranch_execnz .LBB14_6747
	s_branch .LBB14_6748
.LBB14_7583:
	v_bfe_u32 v3, v36, 20, 1
	s_mov_b32 s78, 0x487ffff
	v_add3_u32 v3, v36, v3, s78
	s_mov_b64 s[76:77], exec
	v_lshrrev_b32_e32 v3, 20, v3
	s_or_saveexec_b64 s[78:79], vcc
                                        ; implicit-def: $sgpr80
	s_xor_b64 exec, exec, s[78:79]
	s_cbranch_execz .LBB14_6859
.LBB14_7584:
	s_mov_b32 s80, 0x46000000
	v_add_f32_e64 v3, |v36|, s80
	v_and_b32_e32 v3, 0xff, v3
	v_cmp_ne_u32_e32 vcc, 0, v3
	s_andn2_b64 s[76:77], s[76:77], exec
	s_and_b64 vcc, vcc, exec
	s_mov_b32 s80, 0
	s_or_b64 s[76:77], s[76:77], vcc
	s_or_b64 exec, exec, s[78:79]
	v_mov_b32_e32 v5, s80
	s_and_saveexec_b64 vcc, s[76:77]
	s_cbranch_execnz .LBB14_6860
	s_branch .LBB14_6861
.LBB14_7585:
	v_mov_b32_e32 v3, 25
	v_readlane_b32 s90, v43, 18
	v_cmp_gt_i16_sdwa vcc, v11, v3 src0_sel:BYTE_0 src1_sel:DWORD
	v_readlane_b32 s91, v43, 19
	s_and_saveexec_b64 s[74:75], vcc
	s_xor_b64 s[92:93], exec, s[74:75]
	s_cbranch_execz .LBB14_7621
; %bb.7586:
	v_mov_b32_e32 v3, 28
	v_readlane_b32 s94, v43, 18
	v_cmp_gt_i16_sdwa vcc, v11, v3 src0_sel:BYTE_0 src1_sel:DWORD
	v_readlane_b32 s95, v43, 19
	s_and_saveexec_b64 s[74:75], vcc
	s_xor_b64 s[90:91], exec, s[74:75]
	s_cbranch_execz .LBB14_7604
; %bb.7587:
	v_mov_b32_e32 v3, 43
	v_readlane_b32 vcc_lo, v43, 18
	v_cmp_gt_i16_sdwa s[74:75], v11, v3 src0_sel:BYTE_0 src1_sel:DWORD
	v_readlane_b32 vcc_hi, v43, 19
	s_and_saveexec_b64 s[76:77], s[74:75]
	s_xor_b64 s[76:77], exec, s[76:77]
	s_cbranch_execz .LBB14_7599
; %bb.7588:
	v_mov_b32_e32 v3, 45
	v_readlane_b32 s84, v43, 18
	v_cmp_gt_i16_sdwa s[4:5], v11, v3 src0_sel:BYTE_0 src1_sel:DWORD
	s_mov_b64 s[96:97], 0
	v_readlane_b32 s85, v43, 19
	s_and_saveexec_b64 vcc, s[4:5]
	s_xor_b64 s[4:5], exec, vcc
	s_cbranch_execz .LBB14_7592
; %bb.7589:
	v_mov_b32_e32 v3, 46
	v_cmp_eq_u16_sdwa s[74:75], v11, v3 src0_sel:BYTE_0 src1_sel:DWORD
	s_mov_b64 vcc, -1
	s_and_saveexec_b64 s[82:83], s[74:75]
	s_cbranch_execz .LBB14_7591
; %bb.7590:
	v_bfe_u32 v3, v24, 16, 1
	s_movk_i32 vcc_lo, 0x7fff
	v_add3_u32 v3, v24, v3, vcc_lo
	v_lshrrev_b32_e32 v3, 16, v3
	v_mov_b32_e32 v5, 0x7fc0
	v_cmp_o_f32_e32 vcc, v24, v24
	v_cndmask_b32_e32 v3, v5, v3, vcc
	s_mov_b64 s[80:81], exec
	flat_store_dword v[26:27], v3
	s_xor_b64 vcc, exec, -1
.LBB14_7591:
	s_or_b64 exec, exec, s[82:83]
	v_readlane_b32 s74, v43, 18
	v_readlane_b32 s75, v43, 19
	s_andn2_b64 s[74:75], s[74:75], exec
	s_and_b64 vcc, vcc, exec
	s_or_b64 s[84:85], s[74:75], vcc
	s_and_b64 s[96:97], s[80:81], exec
                                        ; implicit-def: $vgpr26_vgpr27
                                        ; implicit-def: $vgpr24
.LBB14_7592:
	s_andn2_saveexec_b64 s[94:95], s[4:5]
	s_cbranch_execz .LBB14_7598
; %bb.7593:
	v_mov_b32_e32 v3, 44
	v_cmp_eq_u16_sdwa s[74:75], v11, v3 src0_sel:BYTE_0 src1_sel:DWORD
	s_mov_b64 vcc, -1
	s_mov_b64 s[4:5], s[96:97]
	s_and_saveexec_b64 s[80:81], s[74:75]
	s_cbranch_execz .LBB14_7597
; %bb.7594:
	v_bfe_u32 v3, v24, 23, 8
	s_movk_i32 s4, 0xff
	v_cmp_ne_u32_e32 vcc, s4, v3
	v_mov_b32_e32 v5, 0xff
	s_and_saveexec_b64 s[82:83], vcc
; %bb.7595:
	s_mov_b32 s4, 0x3fffff
	v_and_b32_e32 v7, 0x400000, v24
	v_and_or_b32 v3, v24, s4, v3
	v_cmp_ne_u32_e32 vcc, 0, v7
	v_cmp_ne_u32_e64 s[4:5], 0, v3
	s_and_b64 s[4:5], vcc, s[4:5]
	v_lshrrev_b32_e32 v5, 23, v24
	v_cndmask_b32_e64 v3, 0, 1, s[4:5]
	v_add_u32_e32 v5, v5, v3
; %bb.7596:
	s_or_b64 exec, exec, s[82:83]
	s_xor_b64 vcc, exec, -1
	s_or_b64 s[4:5], s[96:97], exec
	flat_store_byte v[26:27], v5
.LBB14_7597:
	s_or_b64 exec, exec, s[80:81]
	s_andn2_b64 s[74:75], s[84:85], exec
	s_and_b64 vcc, vcc, exec
	s_or_b64 s[84:85], s[74:75], vcc
	s_andn2_b64 vcc, s[96:97], exec
	s_and_b64 s[4:5], s[4:5], exec
	s_or_b64 s[96:97], vcc, s[4:5]
.LBB14_7598:
	s_or_b64 exec, exec, s[94:95]
	v_readlane_b32 s4, v43, 18
	v_readlane_b32 s5, v43, 19
	s_andn2_b64 s[4:5], s[4:5], exec
	s_and_b64 vcc, s[84:85], exec
	s_or_b64 vcc, s[4:5], vcc
	s_and_b64 s[4:5], s[96:97], exec
                                        ; implicit-def: $vgpr24
                                        ; implicit-def: $vgpr26_vgpr27
.LBB14_7599:
	s_andn2_saveexec_b64 s[84:85], s[76:77]
	s_cbranch_execz .LBB14_7603
; %bb.7600:
	v_mov_b32_e32 v3, 29
	v_cmp_eq_u16_sdwa s[74:75], v11, v3 src0_sel:BYTE_0 src1_sel:DWORD
	s_mov_b64 s[94:95], -1
	s_mov_b64 s[82:83], s[4:5]
	s_and_saveexec_b64 s[80:81], s[74:75]
	s_cbranch_execz .LBB14_7602
; %bb.7601:
	v_trunc_f32_e32 v3, v24
	v_mul_f32_e32 v5, 0x2f800000, v3
	v_floor_f32_e32 v5, v5
	v_fmac_f32_e32 v3, 0xcf800000, v5
	v_cvt_u32_f32_e32 v25, v5
	v_cvt_u32_f32_e32 v24, v3
	s_xor_b64 s[94:95], exec, -1
	s_or_b64 s[82:83], s[4:5], exec
	flat_store_dwordx2 v[26:27], v[24:25]
.LBB14_7602:
	s_or_b64 exec, exec, s[80:81]
	s_andn2_b64 vcc, vcc, exec
	s_and_b64 s[74:75], s[94:95], exec
	s_or_b64 vcc, vcc, s[74:75]
	s_andn2_b64 s[4:5], s[4:5], exec
	s_and_b64 s[74:75], s[82:83], exec
	s_or_b64 s[4:5], s[4:5], s[74:75]
.LBB14_7603:
	s_or_b64 exec, exec, s[84:85]
	v_readlane_b32 s74, v43, 18
	v_readlane_b32 s75, v43, 19
	s_andn2_b64 s[74:75], s[74:75], exec
	s_and_b64 vcc, vcc, exec
	s_or_b64 s[94:95], s[74:75], vcc
	s_and_b64 s[4:5], s[4:5], exec
                                        ; implicit-def: $vgpr26_vgpr27
                                        ; implicit-def: $vgpr24
.LBB14_7604:
	s_andn2_saveexec_b64 s[90:91], s[90:91]
	s_cbranch_execz .LBB14_7620
; %bb.7605:
	v_mov_b32_e32 v3, 26
	v_cmp_gt_i16_sdwa vcc, v11, v3 src0_sel:BYTE_0 src1_sel:DWORD
	s_and_saveexec_b64 s[74:75], vcc
	s_xor_b64 vcc, exec, s[74:75]
	s_cbranch_execz .LBB14_7611
; %bb.7606:
	v_cvt_u32_f32_e32 v3, v24
	v_mov_b32_e32 v5, 27
	v_cmp_gt_i16_sdwa s[74:75], v11, v5 src0_sel:BYTE_0 src1_sel:DWORD
	s_and_saveexec_b64 s[76:77], s[74:75]
	s_xor_b64 s[76:77], exec, s[76:77]
	s_cbranch_execz .LBB14_7608
; %bb.7607:
	flat_store_dword v[26:27], v3
                                        ; implicit-def: $vgpr26_vgpr27
                                        ; implicit-def: $vgpr3
.LBB14_7608:
	s_andn2_saveexec_b64 s[76:77], s[76:77]
	s_cbranch_execz .LBB14_7610
; %bb.7609:
	flat_store_short v[26:27], v3
.LBB14_7610:
	s_or_b64 exec, exec, s[76:77]
                                        ; implicit-def: $vgpr26_vgpr27
                                        ; implicit-def: $vgpr24
.LBB14_7611:
	s_andn2_saveexec_b64 s[96:97], vcc
	s_cbranch_execz .LBB14_7619
; %bb.7612:
	v_and_b32_e32 v3, 0x7fffffff, v24
	s_mov_b32 vcc_lo, 0x43800000
	v_cmp_gt_u32_e32 vcc, vcc_lo, v3
	v_mov_b32_e32 v5, 0x80
	s_and_saveexec_b64 s[84:85], vcc
	s_cbranch_execz .LBB14_7618
; %bb.7613:
	s_mov_b32 vcc_lo, 0x3bffffff
	v_cmp_lt_u32_e32 vcc, vcc_lo, v3
	s_mov_b64 s[78:79], 0
                                        ; implicit-def: $vgpr3
	s_and_saveexec_b64 s[74:75], vcc
	s_xor_b64 vcc, exec, s[74:75]
	s_cbranch_execnz .LBB14_7851
; %bb.7614:
	s_or_saveexec_b64 s[80:81], vcc
                                        ; implicit-def: $sgpr76
	s_xor_b64 exec, exec, s[80:81]
	s_cbranch_execnz .LBB14_7852
.LBB14_7615:
	s_or_b64 exec, exec, s[80:81]
	v_mov_b32_e32 v5, s76
	s_and_saveexec_b64 vcc, s[78:79]
.LBB14_7616:
	v_lshrrev_b32_e32 v5, 24, v24
	s_movk_i32 s74, 0x80
	v_and_or_b32 v5, v5, s74, v3
.LBB14_7617:
	s_or_b64 exec, exec, vcc
.LBB14_7618:
	s_or_b64 exec, exec, s[84:85]
	flat_store_byte v[26:27], v5
.LBB14_7619:
	s_or_b64 exec, exec, s[96:97]
	s_or_b64 s[4:5], s[4:5], exec
.LBB14_7620:
	s_or_b64 exec, exec, s[90:91]
	v_readlane_b32 vcc_lo, v43, 18
	v_readlane_b32 vcc_hi, v43, 19
	s_andn2_b64 vcc, vcc, exec
	s_and_b64 s[74:75], s[94:95], exec
	s_or_b64 s[90:91], vcc, s[74:75]
	s_and_b64 s[4:5], s[4:5], exec
                                        ; implicit-def: $vgpr24
                                        ; implicit-def: $vgpr26_vgpr27
.LBB14_7621:
	s_andn2_saveexec_b64 s[92:93], s[92:93]
	s_cbranch_execz .LBB14_7665
; %bb.7622:
	v_mov_b32_e32 v3, 22
	v_cmp_gt_i16_sdwa vcc, v11, v3 src0_sel:BYTE_0 src1_sel:DWORD
	s_mov_b64 s[96:97], s[4:5]
	s_and_saveexec_b64 s[74:75], vcc
	s_xor_b64 s[94:95], exec, s[74:75]
	s_cbranch_execz .LBB14_7654
; %bb.7623:
	v_mov_b32_e32 v3, 23
	v_cmp_gt_i16_sdwa vcc, v11, v3 src0_sel:BYTE_0 src1_sel:DWORD
	s_and_saveexec_b64 s[74:75], vcc
	s_xor_b64 s[96:97], exec, s[74:75]
	s_cbranch_execz .LBB14_7643
; %bb.7624:
	v_mov_b32_e32 v3, 24
	v_cmp_gt_i16_sdwa vcc, v11, v3 src0_sel:BYTE_0 src1_sel:DWORD
	s_and_saveexec_b64 s[74:75], vcc
	s_xor_b64 s[84:85], exec, s[74:75]
	s_cbranch_execz .LBB14_7632
; %bb.7625:
	v_and_b32_e32 v3, 0x7fffffff, v24
	s_mov_b32 vcc_lo, 0x47800000
	v_cmp_gt_u32_e32 vcc, vcc_lo, v3
	v_mov_b32_e32 v5, 0x80
	s_and_saveexec_b64 s[78:79], vcc
	s_cbranch_execz .LBB14_7631
; %bb.7626:
	s_mov_b32 vcc_lo, 0x37ffffff
	v_cmp_lt_u32_e32 vcc, vcc_lo, v3
	s_mov_b64 s[82:83], 0
                                        ; implicit-def: $vgpr3
	s_and_saveexec_b64 s[74:75], vcc
	s_xor_b64 vcc, exec, s[74:75]
	s_cbranch_execnz .LBB14_7853
; %bb.7627:
	s_or_saveexec_b64 s[80:81], vcc
                                        ; implicit-def: $sgpr76
	s_xor_b64 exec, exec, s[80:81]
	s_cbranch_execnz .LBB14_7854
.LBB14_7628:
	s_or_b64 exec, exec, s[80:81]
	v_mov_b32_e32 v5, s76
	s_and_saveexec_b64 vcc, s[82:83]
.LBB14_7629:
	v_lshrrev_b32_e32 v5, 24, v24
	s_movk_i32 s74, 0x80
	v_and_or_b32 v5, v5, s74, v3
.LBB14_7630:
	s_or_b64 exec, exec, vcc
.LBB14_7631:
	s_or_b64 exec, exec, s[78:79]
	flat_store_byte v[26:27], v5
                                        ; implicit-def: $vgpr24
                                        ; implicit-def: $vgpr26_vgpr27
.LBB14_7632:
	s_andn2_saveexec_b64 s[84:85], s[84:85]
	s_cbranch_execz .LBB14_7642
; %bb.7633:
	v_and_b32_e32 v5, 0x7fffffff, v24
	s_mov_b32 vcc_lo, 0x43f00000
	v_cmp_gt_u32_e32 vcc, vcc_lo, v5
                                        ; implicit-def: $vgpr3
	s_and_saveexec_b64 s[74:75], vcc
	s_xor_b64 s[76:77], exec, s[74:75]
	s_cbranch_execz .LBB14_7639
; %bb.7634:
	s_mov_b32 vcc_lo, 0x3c7fffff
	v_cmp_lt_u32_e32 vcc, vcc_lo, v5
                                        ; implicit-def: $vgpr3
	s_and_saveexec_b64 s[74:75], vcc
	s_xor_b64 s[78:79], exec, s[74:75]
; %bb.7635:
	v_bfe_u32 v3, v24, 20, 1
	s_mov_b32 vcc_lo, 0x407ffff
	v_add3_u32 v3, v24, v3, vcc_lo
	v_lshrrev_b32_e32 v5, 20, v3
	v_and_b32_e32 v3, 0xff00000, v3
	s_mov_b32 vcc_lo, 0x7f00000
	v_mov_b32_e32 v7, 0x7e
	v_cmp_ne_u32_e32 vcc, vcc_lo, v3
	v_cndmask_b32_e32 v3, v7, v5, vcc
; %bb.7636:
	s_andn2_saveexec_b64 vcc, s[78:79]
; %bb.7637:
	s_mov_b32 s74, 0x46800000
	v_add_f32_e64 v3, |v24|, s74
; %bb.7638:
	s_or_b64 exec, exec, vcc
                                        ; implicit-def: $vgpr5
.LBB14_7639:
	s_andn2_saveexec_b64 s[80:81], s[76:77]
; %bb.7640:
	s_mov_b32 vcc_lo, 0x7f800000
	v_mov_b32_e32 v3, 0x7e
	v_mov_b32_e32 v7, 0x7f
	v_cmp_lt_u32_e32 vcc, vcc_lo, v5
	v_cndmask_b32_e32 v3, v3, v7, vcc
; %bb.7641:
	s_or_b64 exec, exec, s[80:81]
	v_lshrrev_b32_e32 v5, 24, v24
	s_movk_i32 vcc_lo, 0x80
	v_and_or_b32 v3, v5, vcc_lo, v3
	flat_store_byte v[26:27], v3
.LBB14_7642:
	s_or_b64 exec, exec, s[84:85]
                                        ; implicit-def: $vgpr24
                                        ; implicit-def: $vgpr26_vgpr27
.LBB14_7643:
	s_andn2_saveexec_b64 s[84:85], s[96:97]
	s_cbranch_execz .LBB14_7653
; %bb.7644:
	v_and_b32_e32 v5, 0x7fffffff, v24
	s_mov_b32 vcc_lo, 0x47800000
	v_cmp_gt_u32_e32 vcc, vcc_lo, v5
                                        ; implicit-def: $vgpr3
	s_and_saveexec_b64 s[74:75], vcc
	s_xor_b64 s[82:83], exec, s[74:75]
	s_cbranch_execz .LBB14_7650
; %bb.7645:
	s_mov_b32 vcc_lo, 0x387fffff
	v_cmp_lt_u32_e32 vcc, vcc_lo, v5
                                        ; implicit-def: $vgpr3
	s_and_saveexec_b64 s[74:75], vcc
	s_xor_b64 vcc, exec, s[74:75]
; %bb.7646:
	v_bfe_u32 v3, v24, 21, 1
	s_mov_b32 s74, 0x80fffff
	v_add3_u32 v3, v24, v3, s74
	v_lshrrev_b32_e32 v3, 21, v3
; %bb.7647:
	s_andn2_saveexec_b64 vcc, vcc
; %bb.7648:
	s_mov_b32 s74, 0x43000000
	v_add_f32_e64 v3, |v24|, s74
; %bb.7649:
	s_or_b64 exec, exec, vcc
                                        ; implicit-def: $vgpr5
.LBB14_7650:
	s_andn2_saveexec_b64 s[80:81], s[82:83]
; %bb.7651:
	s_mov_b32 vcc_lo, 0x7f800000
	v_mov_b32_e32 v3, 0x7c
	v_mov_b32_e32 v7, 0x7f
	v_cmp_lt_u32_e32 vcc, vcc_lo, v5
	v_cndmask_b32_e32 v3, v3, v7, vcc
; %bb.7652:
	s_or_b64 exec, exec, s[80:81]
	v_lshrrev_b32_e32 v5, 24, v24
	s_movk_i32 vcc_lo, 0x80
	v_and_or_b32 v3, v5, vcc_lo, v3
	flat_store_byte v[26:27], v3
.LBB14_7653:
	s_or_b64 exec, exec, s[84:85]
	s_or_b64 s[96:97], s[4:5], exec
                                        ; implicit-def: $vgpr26_vgpr27
                                        ; implicit-def: $vgpr24
.LBB14_7654:
	s_or_saveexec_b64 s[94:95], s[94:95]
	s_mov_b64 s[78:79], s[90:91]
	s_xor_b64 exec, exec, s[94:95]
	s_cbranch_execz .LBB14_7664
; %bb.7655:
	v_mov_b32_e32 v3, 14
	v_cmp_gt_i16_sdwa s[74:75], v11, v3 src0_sel:BYTE_0 src1_sel:DWORD
	s_mov_b64 vcc, s[96:97]
	s_mov_b64 s[84:85], s[90:91]
	s_and_saveexec_b64 s[76:77], s[74:75]
	s_xor_b64 s[82:83], exec, s[76:77]
	s_cbranch_execz .LBB14_7659
; %bb.7656:
	v_mov_b32_e32 v3, 15
	v_cmp_eq_u16_sdwa s[74:75], v11, v3 src0_sel:BYTE_0 src1_sel:DWORD
	s_mov_b64 s[78:79], -1
	s_mov_b64 vcc, s[96:97]
	s_and_saveexec_b64 s[80:81], s[74:75]
	s_cbranch_execz .LBB14_7658
; %bb.7657:
	v_bfe_u32 v3, v24, 16, 1
	s_movk_i32 vcc_lo, 0x7fff
	v_add3_u32 v3, v24, v3, vcc_lo
	v_lshrrev_b32_e32 v3, 16, v3
	v_mov_b32_e32 v5, 0x7fc0
	v_cmp_o_f32_e32 vcc, v24, v24
	v_cndmask_b32_e32 v3, v5, v3, vcc
	flat_store_short v[26:27], v3
	s_xor_b64 s[78:79], exec, -1
	s_or_b64 vcc, s[96:97], exec
.LBB14_7658:
	s_or_b64 exec, exec, s[80:81]
	s_andn2_b64 s[74:75], s[90:91], exec
	s_and_b64 s[76:77], s[78:79], exec
	s_or_b64 s[84:85], s[74:75], s[76:77]
	s_andn2_b64 s[74:75], s[96:97], exec
	s_and_b64 vcc, vcc, exec
	s_or_b64 vcc, s[74:75], vcc
                                        ; implicit-def: $vgpr26_vgpr27
.LBB14_7659:
	s_andn2_saveexec_b64 s[82:83], s[82:83]
	s_cbranch_execz .LBB14_7663
; %bb.7660:
	v_mov_b32_e32 v3, 11
	v_cmp_eq_u16_sdwa s[74:75], v11, v3 src0_sel:BYTE_0 src1_sel:DWORD
	s_mov_b64 s[78:79], -1
	s_mov_b64 s[80:81], vcc
	s_and_saveexec_b64 s[76:77], s[74:75]
	s_cbranch_execz .LBB14_7662
; %bb.7661:
	v_mov_b32_e32 v3, 1
	flat_store_byte v[26:27], v3
	s_xor_b64 s[78:79], exec, -1
	s_or_b64 s[80:81], vcc, exec
.LBB14_7662:
	s_or_b64 exec, exec, s[76:77]
	s_andn2_b64 s[74:75], s[84:85], exec
	s_and_b64 s[76:77], s[78:79], exec
	s_or_b64 s[84:85], s[74:75], s[76:77]
	s_andn2_b64 vcc, vcc, exec
	s_and_b64 s[74:75], s[80:81], exec
	s_or_b64 vcc, vcc, s[74:75]
.LBB14_7663:
	s_or_b64 exec, exec, s[82:83]
	s_andn2_b64 s[74:75], s[90:91], exec
	s_and_b64 s[76:77], s[84:85], exec
	s_or_b64 s[78:79], s[74:75], s[76:77]
	s_andn2_b64 s[74:75], s[96:97], exec
	s_and_b64 vcc, vcc, exec
	s_or_b64 s[96:97], s[74:75], vcc
.LBB14_7664:
	s_or_b64 exec, exec, s[94:95]
	s_andn2_b64 vcc, s[90:91], exec
	s_and_b64 s[74:75], s[78:79], exec
	s_or_b64 s[90:91], vcc, s[74:75]
	s_andn2_b64 s[4:5], s[4:5], exec
	s_and_b64 vcc, s[96:97], exec
	s_or_b64 s[4:5], s[4:5], vcc
.LBB14_7665:
	s_or_b64 exec, exec, s[92:93]
	v_readlane_b32 vcc_lo, v43, 18
	v_readlane_b32 vcc_hi, v43, 19
	s_andn2_b64 vcc, vcc, exec
	s_and_b64 s[74:75], s[90:91], exec
	s_or_b64 s[90:91], vcc, s[74:75]
	s_and_b64 s[4:5], s[4:5], exec
                                        ; implicit-def: $vgpr24
                                        ; implicit-def: $vgpr26_vgpr27
	s_andn2_saveexec_b64 s[86:87], s[86:87]
	s_cbranch_execz .LBB14_4007
.LBB14_7666:
	v_mov_b32_e32 v3, 4
	v_cmp_gt_i16_sdwa vcc, v11, v3 src0_sel:BYTE_0 src1_sel:DWORD
	s_and_saveexec_b64 s[74:75], vcc
	s_xor_b64 vcc, exec, s[74:75]
	s_cbranch_execz .LBB14_7688
; %bb.7667:
	v_mov_b32_e32 v3, 7
	v_cmp_gt_i16_sdwa s[74:75], v11, v3 src0_sel:BYTE_0 src1_sel:DWORD
	s_and_saveexec_b64 s[76:77], s[74:75]
	s_xor_b64 s[84:85], exec, s[76:77]
	s_cbranch_execz .LBB14_7677
; %bb.7668:
	v_mov_b32_e32 v3, 8
	v_cmp_gt_i16_sdwa s[74:75], v11, v3 src0_sel:BYTE_0 src1_sel:DWORD
	s_and_saveexec_b64 s[76:77], s[74:75]
	s_xor_b64 s[92:93], exec, s[76:77]
	;; [unrolled: 6-line block ×3, first 2 shown]
	s_cbranch_execz .LBB14_7671
; %bb.7670:
	v_mov_b32_e32 v30, 0
	v_cvt_f64_f32_e32 v[28:29], v24
	v_mov_b32_e32 v31, v30
	flat_store_dwordx4 v[26:27], v[28:31]
                                        ; implicit-def: $vgpr24
                                        ; implicit-def: $vgpr26_vgpr27
.LBB14_7671:
	s_andn2_saveexec_b64 s[76:77], s[78:79]
	s_cbranch_execz .LBB14_7673
; %bb.7672:
	v_mov_b32_e32 v25, 0
	flat_store_dwordx2 v[26:27], v[24:25]
.LBB14_7673:
	s_or_b64 exec, exec, s[76:77]
                                        ; implicit-def: $vgpr24
                                        ; implicit-def: $vgpr26_vgpr27
.LBB14_7674:
	s_andn2_saveexec_b64 s[76:77], s[92:93]
	s_cbranch_execz .LBB14_7676
; %bb.7675:
	v_cvt_f16_f32_e32 v3, v24
	flat_store_dword v[26:27], v3
.LBB14_7676:
	s_or_b64 exec, exec, s[76:77]
                                        ; implicit-def: $vgpr24
                                        ; implicit-def: $vgpr26_vgpr27
.LBB14_7677:
	s_andn2_saveexec_b64 s[84:85], s[84:85]
	s_cbranch_execz .LBB14_7687
; %bb.7678:
	v_mov_b32_e32 v3, 5
	v_cmp_gt_i16_sdwa s[74:75], v11, v3 src0_sel:BYTE_0 src1_sel:DWORD
	s_and_saveexec_b64 s[76:77], s[74:75]
	s_xor_b64 s[80:81], exec, s[76:77]
	s_cbranch_execz .LBB14_7684
; %bb.7679:
	v_mov_b32_e32 v3, 6
	v_cmp_gt_i16_sdwa s[74:75], v11, v3 src0_sel:BYTE_0 src1_sel:DWORD
	s_and_saveexec_b64 s[76:77], s[74:75]
	s_xor_b64 s[76:77], exec, s[76:77]
	s_cbranch_execz .LBB14_7681
; %bb.7680:
	v_cvt_f64_f32_e32 v[24:25], v24
	flat_store_dwordx2 v[26:27], v[24:25]
                                        ; implicit-def: $vgpr26_vgpr27
                                        ; implicit-def: $vgpr24
.LBB14_7681:
	s_andn2_saveexec_b64 s[76:77], s[76:77]
	s_cbranch_execz .LBB14_7683
; %bb.7682:
	flat_store_dword v[26:27], v24
.LBB14_7683:
	s_or_b64 exec, exec, s[76:77]
                                        ; implicit-def: $vgpr24
                                        ; implicit-def: $vgpr26_vgpr27
.LBB14_7684:
	s_andn2_saveexec_b64 s[76:77], s[80:81]
	s_cbranch_execz .LBB14_7686
; %bb.7685:
	v_cvt_f16_f32_e32 v3, v24
	flat_store_short v[26:27], v3
.LBB14_7686:
	s_or_b64 exec, exec, s[76:77]
.LBB14_7687:
	s_or_b64 exec, exec, s[84:85]
                                        ; implicit-def: $vgpr24
                                        ; implicit-def: $vgpr26_vgpr27
.LBB14_7688:
	s_andn2_saveexec_b64 s[92:93], vcc
	s_cbranch_execz .LBB14_7706
; %bb.7689:
	v_mov_b32_e32 v3, 1
	v_cmp_gt_i16_sdwa vcc, v11, v3 src0_sel:BYTE_0 src1_sel:DWORD
	s_and_saveexec_b64 s[74:75], vcc
	s_xor_b64 s[84:85], exec, s[74:75]
	s_cbranch_execz .LBB14_7699
; %bb.7690:
	v_mov_b32_e32 v3, 2
	v_cmp_gt_i16_sdwa vcc, v11, v3 src0_sel:BYTE_0 src1_sel:DWORD
	s_and_saveexec_b64 s[74:75], vcc
	s_xor_b64 s[94:95], exec, s[74:75]
	;; [unrolled: 6-line block ×3, first 2 shown]
	s_cbranch_execz .LBB14_7693
; %bb.7692:
	v_trunc_f32_e32 v3, v24
	s_mov_b32 s74, 0x2f800000
	v_mul_f32_e64 v5, |v3|, s74
	v_floor_f32_e32 v5, v5
	s_mov_b32 s74, 0xcf800000
	v_cvt_u32_f32_e32 v7, v5
	v_fma_f32 v5, v5, s74, |v3|
	v_cvt_u32_f32_e32 v5, v5
	v_ashrrev_i32_e32 v3, 31, v3
	v_xor_b32_e32 v7, v7, v3
	v_xor_b32_e32 v5, v5, v3
	v_sub_co_u32_e32 v24, vcc, v5, v3
	v_subb_co_u32_e32 v25, vcc, v7, v3, vcc
	flat_store_dwordx2 v[26:27], v[24:25]
                                        ; implicit-def: $vgpr24
                                        ; implicit-def: $vgpr26_vgpr27
.LBB14_7693:
	s_andn2_saveexec_b64 vcc, s[80:81]
	s_cbranch_execz .LBB14_7695
; %bb.7694:
	v_cvt_i32_f32_e32 v3, v24
	flat_store_dword v[26:27], v3
.LBB14_7695:
	s_or_b64 exec, exec, vcc
                                        ; implicit-def: $vgpr24
                                        ; implicit-def: $vgpr26_vgpr27
.LBB14_7696:
	s_andn2_saveexec_b64 vcc, s[94:95]
	s_cbranch_execz .LBB14_7698
; %bb.7697:
	v_cvt_i32_f32_e32 v3, v24
	flat_store_short v[26:27], v3
.LBB14_7698:
	s_or_b64 exec, exec, vcc
                                        ; implicit-def: $vgpr24
                                        ; implicit-def: $vgpr26_vgpr27
.LBB14_7699:
	s_andn2_saveexec_b64 vcc, s[84:85]
	s_cbranch_execz .LBB14_7705
; %bb.7700:
	v_mov_b32_e32 v3, 0
	v_cmp_gt_i16_sdwa s[74:75], v11, v3 src0_sel:BYTE_0 src1_sel:DWORD
	s_and_saveexec_b64 s[76:77], s[74:75]
	s_xor_b64 s[76:77], exec, s[76:77]
	s_cbranch_execz .LBB14_7702
; %bb.7701:
	v_cvt_i32_f32_e32 v3, v24
                                        ; implicit-def: $vgpr24
	flat_store_byte v[26:27], v3
                                        ; implicit-def: $vgpr26_vgpr27
.LBB14_7702:
	s_andn2_saveexec_b64 s[80:81], s[76:77]
	s_cbranch_execz .LBB14_7704
; %bb.7703:
	v_trunc_f32_e32 v3, v24
	s_mov_b32 s74, 0x2f800000
	v_mul_f32_e64 v5, |v3|, s74
	v_floor_f32_e32 v5, v5
	s_mov_b32 s74, 0xcf800000
	v_fma_f32 v5, v5, s74, |v3|
	v_cvt_u32_f32_e32 v5, v5
	v_ashrrev_i32_e32 v3, 31, v3
	v_xor_b32_e32 v5, v5, v3
	v_sub_u32_e32 v3, v5, v3
	flat_store_byte v[26:27], v3
.LBB14_7704:
	s_or_b64 exec, exec, s[80:81]
.LBB14_7705:
	s_or_b64 exec, exec, vcc
.LBB14_7706:
	s_or_b64 exec, exec, s[92:93]
	s_or_b64 s[4:5], s[4:5], exec
	s_or_b64 exec, exec, s[86:87]
	s_mov_b64 vcc, 0
	s_and_saveexec_b64 s[76:77], s[4:5]
	s_cbranch_execnz .LBB14_4008
	s_branch .LBB14_4009
.LBB14_7707:
	v_bfe_u32 v3, v36, 21, 1
	s_mov_b32 s80, 0x88fffff
	v_add3_u32 v3, v36, v3, s80
	s_mov_b64 s[78:79], exec
	v_lshrrev_b32_e32 v3, 21, v3
	s_or_saveexec_b64 s[80:81], vcc
                                        ; implicit-def: $sgpr82
	s_xor_b64 exec, exec, s[80:81]
	s_cbranch_execz .LBB14_6872
.LBB14_7708:
	s_mov_b32 s82, 0x42800000
	v_add_f32_e64 v3, |v36|, s82
	v_and_b32_e32 v3, 0xff, v3
	v_cmp_ne_u32_e32 vcc, 0, v3
	s_andn2_b64 s[78:79], s[78:79], exec
	s_and_b64 vcc, vcc, exec
	s_mov_b32 s82, 0
	s_or_b64 s[78:79], s[78:79], vcc
	s_or_b64 exec, exec, s[80:81]
	v_mov_b32_e32 v5, s82
	s_and_saveexec_b64 vcc, s[78:79]
	s_cbranch_execnz .LBB14_6873
	s_branch .LBB14_6874
.LBB14_7709:
	v_bfe_u32 v3, v34, 20, 1
	s_mov_b32 s82, 0x487ffff
	v_add3_u32 v3, v34, v3, s82
	s_mov_b64 s[80:81], exec
	v_lshrrev_b32_e32 v3, 20, v3
	s_or_saveexec_b64 s[82:83], vcc
                                        ; implicit-def: $sgpr84
	s_xor_b64 exec, exec, s[82:83]
	s_cbranch_execz .LBB14_6985
.LBB14_7710:
	s_mov_b32 s84, 0x46000000
	v_add_f32_e64 v3, |v34|, s84
	v_and_b32_e32 v3, 0xff, v3
	v_cmp_ne_u32_e32 vcc, 0, v3
	s_andn2_b64 s[80:81], s[80:81], exec
	s_and_b64 vcc, vcc, exec
	s_mov_b32 s84, 0
	s_or_b64 s[80:81], s[80:81], vcc
	s_or_b64 exec, exec, s[82:83]
	v_mov_b32_e32 v5, s84
	s_and_saveexec_b64 vcc, s[80:81]
	s_cbranch_execnz .LBB14_6986
	s_branch .LBB14_6987
.LBB14_7711:
	v_mov_b32_e32 v3, 25
	v_readlane_b32 s94, v43, 22
	v_cmp_gt_i16_sdwa s[4:5], v11, v3 src0_sel:BYTE_0 src1_sel:DWORD
	s_mov_b64 s[88:89], 0
	v_readlane_b32 s95, v43, 23
	s_and_saveexec_b64 vcc, s[4:5]
	s_xor_b64 s[96:97], exec, vcc
	s_cbranch_execz .LBB14_7747
; %bb.7712:
	v_mov_b32_e32 v3, 28
	v_readlane_b32 s94, v43, 22
	v_cmp_gt_i16_sdwa vcc, v11, v3 src0_sel:BYTE_0 src1_sel:DWORD
	s_mov_b64 s[4:5], 0
	v_readlane_b32 s95, v43, 23
	s_and_saveexec_b64 s[74:75], vcc
	s_xor_b64 s[88:89], exec, s[74:75]
	s_cbranch_execz .LBB14_7730
; %bb.7713:
	v_mov_b32_e32 v3, 43
	v_readlane_b32 vcc_lo, v43, 22
	v_cmp_gt_i16_sdwa s[74:75], v11, v3 src0_sel:BYTE_0 src1_sel:DWORD
	v_readlane_b32 vcc_hi, v43, 23
	s_and_saveexec_b64 s[76:77], s[74:75]
	s_xor_b64 s[76:77], exec, s[76:77]
	s_cbranch_execz .LBB14_7725
; %bb.7714:
	v_mov_b32_e32 v3, 45
	v_readlane_b32 s84, v43, 22
	v_cmp_gt_i16_sdwa s[4:5], v11, v3 src0_sel:BYTE_0 src1_sel:DWORD
	s_mov_b64 s[86:87], 0
	v_readlane_b32 s85, v43, 23
	s_and_saveexec_b64 vcc, s[4:5]
	s_xor_b64 s[4:5], exec, vcc
	s_cbranch_execz .LBB14_7718
; %bb.7715:
	v_mov_b32_e32 v3, 46
	v_cmp_eq_u16_sdwa s[74:75], v11, v3 src0_sel:BYTE_0 src1_sel:DWORD
	s_mov_b64 vcc, -1
	s_and_saveexec_b64 s[82:83], s[74:75]
	s_cbranch_execz .LBB14_7717
; %bb.7716:
	v_bfe_u32 v3, v22, 16, 1
	s_movk_i32 vcc_lo, 0x7fff
	v_add3_u32 v3, v22, v3, vcc_lo
	v_lshrrev_b32_e32 v3, 16, v3
	v_mov_b32_e32 v5, 0x7fc0
	v_cmp_o_f32_e32 vcc, v22, v22
	v_cndmask_b32_e32 v3, v5, v3, vcc
	s_mov_b64 s[80:81], exec
	flat_store_dword v[24:25], v3
	s_xor_b64 vcc, exec, -1
.LBB14_7717:
	s_or_b64 exec, exec, s[82:83]
	v_readlane_b32 s74, v43, 22
	v_readlane_b32 s75, v43, 23
	s_andn2_b64 s[74:75], s[74:75], exec
	s_and_b64 vcc, vcc, exec
	s_or_b64 s[84:85], s[74:75], vcc
	s_and_b64 s[86:87], s[80:81], exec
                                        ; implicit-def: $vgpr24_vgpr25
                                        ; implicit-def: $vgpr22
.LBB14_7718:
	s_andn2_saveexec_b64 s[94:95], s[4:5]
	s_cbranch_execz .LBB14_7724
; %bb.7719:
	v_mov_b32_e32 v3, 44
	v_cmp_eq_u16_sdwa s[74:75], v11, v3 src0_sel:BYTE_0 src1_sel:DWORD
	s_mov_b64 vcc, -1
	s_mov_b64 s[4:5], s[86:87]
	s_and_saveexec_b64 s[80:81], s[74:75]
	s_cbranch_execz .LBB14_7723
; %bb.7720:
	v_bfe_u32 v3, v22, 23, 8
	s_movk_i32 s4, 0xff
	v_cmp_ne_u32_e32 vcc, s4, v3
	v_mov_b32_e32 v5, 0xff
	s_and_saveexec_b64 s[82:83], vcc
; %bb.7721:
	s_mov_b32 s4, 0x3fffff
	v_and_b32_e32 v7, 0x400000, v22
	v_and_or_b32 v3, v22, s4, v3
	v_cmp_ne_u32_e32 vcc, 0, v7
	v_cmp_ne_u32_e64 s[4:5], 0, v3
	s_and_b64 s[4:5], vcc, s[4:5]
	v_lshrrev_b32_e32 v5, 23, v22
	v_cndmask_b32_e64 v3, 0, 1, s[4:5]
	v_add_u32_e32 v5, v5, v3
; %bb.7722:
	s_or_b64 exec, exec, s[82:83]
	s_xor_b64 vcc, exec, -1
	s_or_b64 s[4:5], s[86:87], exec
	flat_store_byte v[24:25], v5
.LBB14_7723:
	s_or_b64 exec, exec, s[80:81]
	s_andn2_b64 s[74:75], s[84:85], exec
	s_and_b64 vcc, vcc, exec
	s_or_b64 s[84:85], s[74:75], vcc
	s_andn2_b64 vcc, s[86:87], exec
	s_and_b64 s[4:5], s[4:5], exec
	s_or_b64 s[86:87], vcc, s[4:5]
.LBB14_7724:
	s_or_b64 exec, exec, s[94:95]
	v_readlane_b32 s4, v43, 22
	v_readlane_b32 s5, v43, 23
	s_andn2_b64 s[4:5], s[4:5], exec
	s_and_b64 vcc, s[84:85], exec
	s_or_b64 vcc, s[4:5], vcc
	s_and_b64 s[4:5], s[86:87], exec
                                        ; implicit-def: $vgpr22
                                        ; implicit-def: $vgpr24_vgpr25
.LBB14_7725:
	s_andn2_saveexec_b64 s[84:85], s[76:77]
	s_cbranch_execz .LBB14_7729
; %bb.7726:
	v_mov_b32_e32 v3, 29
	v_cmp_eq_u16_sdwa s[74:75], v11, v3 src0_sel:BYTE_0 src1_sel:DWORD
	s_mov_b64 s[86:87], -1
	s_mov_b64 s[82:83], s[4:5]
	s_and_saveexec_b64 s[80:81], s[74:75]
	s_cbranch_execz .LBB14_7728
; %bb.7727:
	v_trunc_f32_e32 v3, v22
	v_mul_f32_e32 v5, 0x2f800000, v3
	v_floor_f32_e32 v5, v5
	v_fmac_f32_e32 v3, 0xcf800000, v5
	v_cvt_u32_f32_e32 v23, v5
	v_cvt_u32_f32_e32 v22, v3
	s_xor_b64 s[86:87], exec, -1
	s_or_b64 s[82:83], s[4:5], exec
	flat_store_dwordx2 v[24:25], v[22:23]
.LBB14_7728:
	s_or_b64 exec, exec, s[80:81]
	s_andn2_b64 vcc, vcc, exec
	s_and_b64 s[74:75], s[86:87], exec
	s_or_b64 vcc, vcc, s[74:75]
	s_andn2_b64 s[4:5], s[4:5], exec
	s_and_b64 s[74:75], s[82:83], exec
	s_or_b64 s[4:5], s[4:5], s[74:75]
.LBB14_7729:
	s_or_b64 exec, exec, s[84:85]
	v_readlane_b32 s74, v43, 22
	v_readlane_b32 s75, v43, 23
	s_andn2_b64 s[74:75], s[74:75], exec
	s_and_b64 vcc, vcc, exec
	s_or_b64 s[94:95], s[74:75], vcc
	s_and_b64 s[4:5], s[4:5], exec
                                        ; implicit-def: $vgpr24_vgpr25
                                        ; implicit-def: $vgpr22
.LBB14_7730:
	s_andn2_saveexec_b64 s[88:89], s[88:89]
	s_cbranch_execz .LBB14_7746
; %bb.7731:
	v_mov_b32_e32 v3, 26
	v_cmp_gt_i16_sdwa vcc, v11, v3 src0_sel:BYTE_0 src1_sel:DWORD
	s_and_saveexec_b64 s[74:75], vcc
	s_xor_b64 vcc, exec, s[74:75]
	s_cbranch_execz .LBB14_7737
; %bb.7732:
	v_cvt_u32_f32_e32 v3, v22
	v_mov_b32_e32 v5, 27
	v_cmp_gt_i16_sdwa s[74:75], v11, v5 src0_sel:BYTE_0 src1_sel:DWORD
	s_and_saveexec_b64 s[76:77], s[74:75]
	s_xor_b64 s[76:77], exec, s[76:77]
	s_cbranch_execz .LBB14_7734
; %bb.7733:
	flat_store_dword v[24:25], v3
                                        ; implicit-def: $vgpr24_vgpr25
                                        ; implicit-def: $vgpr3
.LBB14_7734:
	s_andn2_saveexec_b64 s[76:77], s[76:77]
	s_cbranch_execz .LBB14_7736
; %bb.7735:
	flat_store_short v[24:25], v3
.LBB14_7736:
	s_or_b64 exec, exec, s[76:77]
                                        ; implicit-def: $vgpr24_vgpr25
                                        ; implicit-def: $vgpr22
.LBB14_7737:
	s_andn2_saveexec_b64 s[86:87], vcc
	s_cbranch_execz .LBB14_7745
; %bb.7738:
	v_and_b32_e32 v3, 0x7fffffff, v22
	s_mov_b32 vcc_lo, 0x43800000
	v_cmp_gt_u32_e32 vcc, vcc_lo, v3
	v_mov_b32_e32 v5, 0x80
	s_and_saveexec_b64 s[84:85], vcc
	s_cbranch_execz .LBB14_7744
; %bb.7739:
	s_mov_b32 vcc_lo, 0x3bffffff
	v_cmp_lt_u32_e32 vcc, vcc_lo, v3
	s_mov_b64 s[78:79], 0
                                        ; implicit-def: $vgpr3
	s_and_saveexec_b64 s[74:75], vcc
	s_xor_b64 vcc, exec, s[74:75]
	s_cbranch_execnz .LBB14_7855
; %bb.7740:
	s_or_saveexec_b64 s[80:81], vcc
                                        ; implicit-def: $sgpr76
	s_xor_b64 exec, exec, s[80:81]
	s_cbranch_execnz .LBB14_7856
.LBB14_7741:
	s_or_b64 exec, exec, s[80:81]
	v_mov_b32_e32 v5, s76
	s_and_saveexec_b64 vcc, s[78:79]
.LBB14_7742:
	v_lshrrev_b32_e32 v5, 24, v22
	s_movk_i32 s74, 0x80
	v_and_or_b32 v5, v5, s74, v3
.LBB14_7743:
	s_or_b64 exec, exec, vcc
.LBB14_7744:
	s_or_b64 exec, exec, s[84:85]
	flat_store_byte v[24:25], v5
.LBB14_7745:
	s_or_b64 exec, exec, s[86:87]
	s_or_b64 s[4:5], s[4:5], exec
.LBB14_7746:
	s_or_b64 exec, exec, s[88:89]
	v_readlane_b32 vcc_lo, v43, 22
	v_readlane_b32 vcc_hi, v43, 23
	s_andn2_b64 vcc, vcc, exec
	s_and_b64 s[74:75], s[94:95], exec
	s_or_b64 s[94:95], vcc, s[74:75]
	s_and_b64 s[88:89], s[4:5], exec
                                        ; implicit-def: $vgpr22
                                        ; implicit-def: $vgpr24_vgpr25
.LBB14_7747:
	s_andn2_saveexec_b64 s[96:97], s[96:97]
	s_cbranch_execz .LBB14_7791
; %bb.7748:
	v_mov_b32_e32 v3, 22
	v_cmp_gt_i16_sdwa vcc, v11, v3 src0_sel:BYTE_0 src1_sel:DWORD
	s_mov_b64 s[4:5], s[88:89]
	s_and_saveexec_b64 s[74:75], vcc
	s_xor_b64 s[74:75], exec, s[74:75]
	v_writelane_b32 v43, s74, 28
	v_writelane_b32 v43, s75, 29
	s_cbranch_execz .LBB14_7780
; %bb.7749:
	v_mov_b32_e32 v3, 23
	v_cmp_gt_i16_sdwa s[4:5], v11, v3 src0_sel:BYTE_0 src1_sel:DWORD
	s_and_saveexec_b64 vcc, s[4:5]
	s_xor_b64 s[82:83], exec, vcc
	s_cbranch_execz .LBB14_7769
; %bb.7750:
	v_mov_b32_e32 v3, 24
	v_cmp_gt_i16_sdwa s[4:5], v11, v3 src0_sel:BYTE_0 src1_sel:DWORD
	s_and_saveexec_b64 vcc, s[4:5]
	s_xor_b64 s[4:5], exec, vcc
	s_cbranch_execz .LBB14_7758
; %bb.7751:
	v_and_b32_e32 v3, 0x7fffffff, v22
	s_mov_b32 vcc_lo, 0x47800000
	v_cmp_gt_u32_e32 vcc, vcc_lo, v3
	v_mov_b32_e32 v5, 0x80
	s_and_saveexec_b64 s[84:85], vcc
	s_cbranch_execz .LBB14_7757
; %bb.7752:
	s_mov_b32 vcc_lo, 0x37ffffff
	v_cmp_lt_u32_e32 vcc, vcc_lo, v3
	s_mov_b64 s[86:87], 0
                                        ; implicit-def: $vgpr3
	s_and_saveexec_b64 s[74:75], vcc
	s_xor_b64 vcc, exec, s[74:75]
	s_cbranch_execnz .LBB14_7981
; %bb.7753:
	s_or_saveexec_b64 s[80:81], vcc
                                        ; implicit-def: $sgpr76
	s_xor_b64 exec, exec, s[80:81]
	s_cbranch_execnz .LBB14_7982
.LBB14_7754:
	s_or_b64 exec, exec, s[80:81]
	v_mov_b32_e32 v5, s76
	s_and_saveexec_b64 vcc, s[86:87]
.LBB14_7755:
	v_lshrrev_b32_e32 v5, 24, v22
	s_movk_i32 s74, 0x80
	v_and_or_b32 v5, v5, s74, v3
.LBB14_7756:
	s_or_b64 exec, exec, vcc
.LBB14_7757:
	s_or_b64 exec, exec, s[84:85]
	flat_store_byte v[24:25], v5
                                        ; implicit-def: $vgpr22
                                        ; implicit-def: $vgpr24_vgpr25
.LBB14_7758:
	s_andn2_saveexec_b64 s[4:5], s[4:5]
	s_cbranch_execz .LBB14_7768
; %bb.7759:
	v_and_b32_e32 v5, 0x7fffffff, v22
	s_mov_b32 vcc_lo, 0x43f00000
	v_cmp_gt_u32_e32 vcc, vcc_lo, v5
                                        ; implicit-def: $vgpr3
	s_and_saveexec_b64 s[74:75], vcc
	s_xor_b64 s[84:85], exec, s[74:75]
	s_cbranch_execz .LBB14_7765
; %bb.7760:
	s_mov_b32 vcc_lo, 0x3c7fffff
	v_cmp_lt_u32_e32 vcc, vcc_lo, v5
                                        ; implicit-def: $vgpr3
	s_and_saveexec_b64 s[74:75], vcc
	s_xor_b64 s[78:79], exec, s[74:75]
; %bb.7761:
	v_bfe_u32 v3, v22, 20, 1
	s_mov_b32 vcc_lo, 0x407ffff
	v_add3_u32 v3, v22, v3, vcc_lo
	v_lshrrev_b32_e32 v5, 20, v3
	v_and_b32_e32 v3, 0xff00000, v3
	s_mov_b32 vcc_lo, 0x7f00000
	v_mov_b32_e32 v7, 0x7e
	v_cmp_ne_u32_e32 vcc, vcc_lo, v3
	v_cndmask_b32_e32 v3, v7, v5, vcc
; %bb.7762:
	s_andn2_saveexec_b64 vcc, s[78:79]
; %bb.7763:
	s_mov_b32 s74, 0x46800000
	v_add_f32_e64 v3, |v22|, s74
; %bb.7764:
	s_or_b64 exec, exec, vcc
                                        ; implicit-def: $vgpr5
.LBB14_7765:
	s_andn2_saveexec_b64 s[80:81], s[84:85]
; %bb.7766:
	s_mov_b32 vcc_lo, 0x7f800000
	v_mov_b32_e32 v3, 0x7e
	v_mov_b32_e32 v7, 0x7f
	v_cmp_lt_u32_e32 vcc, vcc_lo, v5
	v_cndmask_b32_e32 v3, v3, v7, vcc
; %bb.7767:
	s_or_b64 exec, exec, s[80:81]
	v_lshrrev_b32_e32 v5, 24, v22
	s_movk_i32 vcc_lo, 0x80
	v_and_or_b32 v3, v5, vcc_lo, v3
	flat_store_byte v[24:25], v3
.LBB14_7768:
	s_or_b64 exec, exec, s[4:5]
                                        ; implicit-def: $vgpr22
                                        ; implicit-def: $vgpr24_vgpr25
.LBB14_7769:
	s_andn2_saveexec_b64 s[4:5], s[82:83]
	s_cbranch_execz .LBB14_7779
; %bb.7770:
	v_and_b32_e32 v5, 0x7fffffff, v22
	s_mov_b32 vcc_lo, 0x47800000
	v_cmp_gt_u32_e32 vcc, vcc_lo, v5
                                        ; implicit-def: $vgpr3
	s_and_saveexec_b64 s[74:75], vcc
	s_xor_b64 s[82:83], exec, s[74:75]
	s_cbranch_execz .LBB14_7776
; %bb.7771:
	s_mov_b32 vcc_lo, 0x387fffff
	v_cmp_lt_u32_e32 vcc, vcc_lo, v5
                                        ; implicit-def: $vgpr3
	s_and_saveexec_b64 s[74:75], vcc
	s_xor_b64 vcc, exec, s[74:75]
; %bb.7772:
	v_bfe_u32 v3, v22, 21, 1
	s_mov_b32 s74, 0x80fffff
	v_add3_u32 v3, v22, v3, s74
	v_lshrrev_b32_e32 v3, 21, v3
; %bb.7773:
	s_andn2_saveexec_b64 vcc, vcc
; %bb.7774:
	s_mov_b32 s74, 0x43000000
	v_add_f32_e64 v3, |v22|, s74
; %bb.7775:
	s_or_b64 exec, exec, vcc
                                        ; implicit-def: $vgpr5
.LBB14_7776:
	s_andn2_saveexec_b64 s[80:81], s[82:83]
; %bb.7777:
	s_mov_b32 vcc_lo, 0x7f800000
	v_mov_b32_e32 v3, 0x7c
	v_mov_b32_e32 v7, 0x7f
	v_cmp_lt_u32_e32 vcc, vcc_lo, v5
	v_cndmask_b32_e32 v3, v3, v7, vcc
; %bb.7778:
	s_or_b64 exec, exec, s[80:81]
	v_lshrrev_b32_e32 v5, 24, v22
	s_movk_i32 vcc_lo, 0x80
	v_and_or_b32 v3, v5, vcc_lo, v3
	flat_store_byte v[24:25], v3
.LBB14_7779:
	s_or_b64 exec, exec, s[4:5]
	s_or_b64 s[4:5], s[88:89], exec
                                        ; implicit-def: $vgpr24_vgpr25
                                        ; implicit-def: $vgpr22
.LBB14_7780:
	v_readlane_b32 vcc_lo, v43, 28
	v_readlane_b32 vcc_hi, v43, 29
	s_or_saveexec_b64 s[86:87], vcc
	s_mov_b64 s[78:79], s[94:95]
	s_xor_b64 exec, exec, s[86:87]
	s_cbranch_execz .LBB14_7790
; %bb.7781:
	v_mov_b32_e32 v3, 14
	v_cmp_gt_i16_sdwa s[74:75], v11, v3 src0_sel:BYTE_0 src1_sel:DWORD
	s_mov_b64 vcc, s[4:5]
	s_mov_b64 s[84:85], s[94:95]
	s_and_saveexec_b64 s[76:77], s[74:75]
	s_xor_b64 s[82:83], exec, s[76:77]
	s_cbranch_execz .LBB14_7785
; %bb.7782:
	v_mov_b32_e32 v3, 15
	v_cmp_eq_u16_sdwa s[74:75], v11, v3 src0_sel:BYTE_0 src1_sel:DWORD
	s_mov_b64 s[78:79], -1
	s_mov_b64 vcc, s[4:5]
	s_and_saveexec_b64 s[80:81], s[74:75]
	s_cbranch_execz .LBB14_7784
; %bb.7783:
	v_bfe_u32 v3, v22, 16, 1
	s_movk_i32 vcc_lo, 0x7fff
	v_add3_u32 v3, v22, v3, vcc_lo
	v_lshrrev_b32_e32 v3, 16, v3
	v_mov_b32_e32 v5, 0x7fc0
	v_cmp_o_f32_e32 vcc, v22, v22
	v_cndmask_b32_e32 v3, v5, v3, vcc
	flat_store_short v[24:25], v3
	s_xor_b64 s[78:79], exec, -1
	s_or_b64 vcc, s[4:5], exec
.LBB14_7784:
	s_or_b64 exec, exec, s[80:81]
	s_andn2_b64 s[74:75], s[94:95], exec
	s_and_b64 s[76:77], s[78:79], exec
	s_or_b64 s[84:85], s[74:75], s[76:77]
	s_andn2_b64 s[74:75], s[4:5], exec
	s_and_b64 vcc, vcc, exec
	s_or_b64 vcc, s[74:75], vcc
                                        ; implicit-def: $vgpr24_vgpr25
.LBB14_7785:
	s_andn2_saveexec_b64 s[82:83], s[82:83]
	s_cbranch_execz .LBB14_7789
; %bb.7786:
	v_mov_b32_e32 v3, 11
	v_cmp_eq_u16_sdwa s[74:75], v11, v3 src0_sel:BYTE_0 src1_sel:DWORD
	s_mov_b64 s[78:79], -1
	s_mov_b64 s[80:81], vcc
	s_and_saveexec_b64 s[76:77], s[74:75]
	s_cbranch_execz .LBB14_7788
; %bb.7787:
	v_mov_b32_e32 v3, 1
	flat_store_byte v[24:25], v3
	s_xor_b64 s[78:79], exec, -1
	s_or_b64 s[80:81], vcc, exec
.LBB14_7788:
	s_or_b64 exec, exec, s[76:77]
	s_andn2_b64 s[74:75], s[84:85], exec
	s_and_b64 s[76:77], s[78:79], exec
	s_or_b64 s[84:85], s[74:75], s[76:77]
	s_andn2_b64 vcc, vcc, exec
	s_and_b64 s[74:75], s[80:81], exec
	s_or_b64 vcc, vcc, s[74:75]
.LBB14_7789:
	s_or_b64 exec, exec, s[82:83]
	s_andn2_b64 s[74:75], s[94:95], exec
	s_and_b64 s[76:77], s[84:85], exec
	s_andn2_b64 s[4:5], s[4:5], exec
	s_and_b64 vcc, vcc, exec
	s_or_b64 s[78:79], s[74:75], s[76:77]
	s_or_b64 s[4:5], s[4:5], vcc
.LBB14_7790:
	s_or_b64 exec, exec, s[86:87]
	s_andn2_b64 vcc, s[94:95], exec
	s_and_b64 s[74:75], s[78:79], exec
	s_or_b64 s[94:95], vcc, s[74:75]
	s_andn2_b64 vcc, s[88:89], exec
	s_and_b64 s[4:5], s[4:5], exec
	s_or_b64 s[88:89], vcc, s[4:5]
.LBB14_7791:
	s_or_b64 exec, exec, s[96:97]
	v_readlane_b32 s4, v43, 22
	v_readlane_b32 s5, v43, 23
	s_andn2_b64 s[4:5], s[4:5], exec
	s_and_b64 vcc, s[94:95], exec
	s_or_b64 s[94:95], s[4:5], vcc
	s_and_b64 s[4:5], s[88:89], exec
                                        ; implicit-def: $vgpr22
                                        ; implicit-def: $vgpr24_vgpr25
	s_andn2_saveexec_b64 s[90:91], s[90:91]
	s_cbranch_execz .LBB14_4014
.LBB14_7792:
	v_mov_b32_e32 v3, 4
	v_cmp_gt_i16_sdwa vcc, v11, v3 src0_sel:BYTE_0 src1_sel:DWORD
	s_and_saveexec_b64 s[74:75], vcc
	s_xor_b64 vcc, exec, s[74:75]
	s_cbranch_execz .LBB14_7814
; %bb.7793:
	v_mov_b32_e32 v3, 7
	v_cmp_gt_i16_sdwa s[74:75], v11, v3 src0_sel:BYTE_0 src1_sel:DWORD
	s_and_saveexec_b64 s[76:77], s[74:75]
	s_xor_b64 s[84:85], exec, s[76:77]
	s_cbranch_execz .LBB14_7803
; %bb.7794:
	v_mov_b32_e32 v3, 8
	v_cmp_gt_i16_sdwa s[74:75], v11, v3 src0_sel:BYTE_0 src1_sel:DWORD
	s_and_saveexec_b64 s[76:77], s[74:75]
	s_xor_b64 s[86:87], exec, s[76:77]
	;; [unrolled: 6-line block ×3, first 2 shown]
	s_cbranch_execz .LBB14_7797
; %bb.7796:
	v_mov_b32_e32 v28, 0
	v_cvt_f64_f32_e32 v[26:27], v22
	v_mov_b32_e32 v29, v28
	flat_store_dwordx4 v[24:25], v[26:29]
                                        ; implicit-def: $vgpr22
                                        ; implicit-def: $vgpr24_vgpr25
.LBB14_7797:
	s_andn2_saveexec_b64 s[76:77], s[78:79]
	s_cbranch_execz .LBB14_7799
; %bb.7798:
	v_mov_b32_e32 v23, 0
	flat_store_dwordx2 v[24:25], v[22:23]
.LBB14_7799:
	s_or_b64 exec, exec, s[76:77]
                                        ; implicit-def: $vgpr22
                                        ; implicit-def: $vgpr24_vgpr25
.LBB14_7800:
	s_andn2_saveexec_b64 s[76:77], s[86:87]
	s_cbranch_execz .LBB14_7802
; %bb.7801:
	v_cvt_f16_f32_e32 v3, v22
	flat_store_dword v[24:25], v3
.LBB14_7802:
	s_or_b64 exec, exec, s[76:77]
                                        ; implicit-def: $vgpr22
                                        ; implicit-def: $vgpr24_vgpr25
.LBB14_7803:
	s_andn2_saveexec_b64 s[84:85], s[84:85]
	s_cbranch_execz .LBB14_7813
; %bb.7804:
	v_mov_b32_e32 v3, 5
	v_cmp_gt_i16_sdwa s[74:75], v11, v3 src0_sel:BYTE_0 src1_sel:DWORD
	s_and_saveexec_b64 s[76:77], s[74:75]
	s_xor_b64 s[80:81], exec, s[76:77]
	s_cbranch_execz .LBB14_7810
; %bb.7805:
	v_mov_b32_e32 v3, 6
	v_cmp_gt_i16_sdwa s[74:75], v11, v3 src0_sel:BYTE_0 src1_sel:DWORD
	s_and_saveexec_b64 s[76:77], s[74:75]
	s_xor_b64 s[76:77], exec, s[76:77]
	s_cbranch_execz .LBB14_7807
; %bb.7806:
	v_cvt_f64_f32_e32 v[22:23], v22
	flat_store_dwordx2 v[24:25], v[22:23]
                                        ; implicit-def: $vgpr24_vgpr25
                                        ; implicit-def: $vgpr22
.LBB14_7807:
	s_andn2_saveexec_b64 s[76:77], s[76:77]
	s_cbranch_execz .LBB14_7809
; %bb.7808:
	flat_store_dword v[24:25], v22
.LBB14_7809:
	s_or_b64 exec, exec, s[76:77]
                                        ; implicit-def: $vgpr22
                                        ; implicit-def: $vgpr24_vgpr25
.LBB14_7810:
	s_andn2_saveexec_b64 s[76:77], s[80:81]
	s_cbranch_execz .LBB14_7812
; %bb.7811:
	v_cvt_f16_f32_e32 v3, v22
	flat_store_short v[24:25], v3
.LBB14_7812:
	s_or_b64 exec, exec, s[76:77]
.LBB14_7813:
	s_or_b64 exec, exec, s[84:85]
                                        ; implicit-def: $vgpr22
                                        ; implicit-def: $vgpr24_vgpr25
.LBB14_7814:
	s_andn2_saveexec_b64 s[88:89], vcc
	s_cbranch_execz .LBB14_7832
; %bb.7815:
	v_mov_b32_e32 v3, 1
	v_cmp_gt_i16_sdwa vcc, v11, v3 src0_sel:BYTE_0 src1_sel:DWORD
	s_and_saveexec_b64 s[74:75], vcc
	s_xor_b64 s[84:85], exec, s[74:75]
	s_cbranch_execz .LBB14_7825
; %bb.7816:
	v_mov_b32_e32 v3, 2
	v_cmp_gt_i16_sdwa vcc, v11, v3 src0_sel:BYTE_0 src1_sel:DWORD
	s_and_saveexec_b64 s[74:75], vcc
	s_xor_b64 s[86:87], exec, s[74:75]
	;; [unrolled: 6-line block ×3, first 2 shown]
	s_cbranch_execz .LBB14_7819
; %bb.7818:
	v_trunc_f32_e32 v3, v22
	s_mov_b32 s74, 0x2f800000
	v_mul_f32_e64 v5, |v3|, s74
	v_floor_f32_e32 v5, v5
	s_mov_b32 s74, 0xcf800000
	v_cvt_u32_f32_e32 v7, v5
	v_fma_f32 v5, v5, s74, |v3|
	v_cvt_u32_f32_e32 v5, v5
	v_ashrrev_i32_e32 v3, 31, v3
	v_xor_b32_e32 v7, v7, v3
	v_xor_b32_e32 v5, v5, v3
	v_sub_co_u32_e32 v22, vcc, v5, v3
	v_subb_co_u32_e32 v23, vcc, v7, v3, vcc
	flat_store_dwordx2 v[24:25], v[22:23]
                                        ; implicit-def: $vgpr22
                                        ; implicit-def: $vgpr24_vgpr25
.LBB14_7819:
	s_andn2_saveexec_b64 vcc, s[80:81]
	s_cbranch_execz .LBB14_7821
; %bb.7820:
	v_cvt_i32_f32_e32 v3, v22
	flat_store_dword v[24:25], v3
.LBB14_7821:
	s_or_b64 exec, exec, vcc
                                        ; implicit-def: $vgpr22
                                        ; implicit-def: $vgpr24_vgpr25
.LBB14_7822:
	s_andn2_saveexec_b64 vcc, s[86:87]
	s_cbranch_execz .LBB14_7824
; %bb.7823:
	v_cvt_i32_f32_e32 v3, v22
	flat_store_short v[24:25], v3
.LBB14_7824:
	s_or_b64 exec, exec, vcc
                                        ; implicit-def: $vgpr22
                                        ; implicit-def: $vgpr24_vgpr25
.LBB14_7825:
	s_andn2_saveexec_b64 vcc, s[84:85]
	s_cbranch_execz .LBB14_7831
; %bb.7826:
	v_mov_b32_e32 v3, 0
	v_cmp_gt_i16_sdwa s[74:75], v11, v3 src0_sel:BYTE_0 src1_sel:DWORD
	s_and_saveexec_b64 s[76:77], s[74:75]
	s_xor_b64 s[76:77], exec, s[76:77]
	s_cbranch_execz .LBB14_7828
; %bb.7827:
	v_cvt_i32_f32_e32 v3, v22
                                        ; implicit-def: $vgpr22
	flat_store_byte v[24:25], v3
                                        ; implicit-def: $vgpr24_vgpr25
.LBB14_7828:
	s_andn2_saveexec_b64 s[80:81], s[76:77]
	s_cbranch_execz .LBB14_7830
; %bb.7829:
	v_trunc_f32_e32 v3, v22
	s_mov_b32 s74, 0x2f800000
	v_mul_f32_e64 v5, |v3|, s74
	v_floor_f32_e32 v5, v5
	s_mov_b32 s74, 0xcf800000
	v_fma_f32 v5, v5, s74, |v3|
	v_cvt_u32_f32_e32 v5, v5
	v_ashrrev_i32_e32 v3, 31, v3
	v_xor_b32_e32 v5, v5, v3
	v_sub_u32_e32 v3, v5, v3
	flat_store_byte v[24:25], v3
.LBB14_7830:
	s_or_b64 exec, exec, s[80:81]
.LBB14_7831:
	s_or_b64 exec, exec, vcc
.LBB14_7832:
	s_or_b64 exec, exec, s[88:89]
	s_or_b64 s[4:5], s[4:5], exec
	s_or_b64 exec, exec, s[90:91]
	s_mov_b64 vcc, 0
	s_and_saveexec_b64 s[76:77], s[4:5]
	s_cbranch_execnz .LBB14_4015
	s_branch .LBB14_4016
.LBB14_7833:
	v_bfe_u32 v3, v34, 21, 1
	s_mov_b32 s84, 0x88fffff
	v_add3_u32 v3, v34, v3, s84
	s_mov_b64 s[82:83], exec
	v_lshrrev_b32_e32 v3, 21, v3
	s_or_saveexec_b64 s[84:85], vcc
                                        ; implicit-def: $sgpr86
	s_xor_b64 exec, exec, s[84:85]
	s_cbranch_execz .LBB14_6998
.LBB14_7834:
	s_mov_b32 s86, 0x42800000
	v_add_f32_e64 v3, |v34|, s86
	v_and_b32_e32 v3, 0xff, v3
	v_cmp_ne_u32_e32 vcc, 0, v3
	s_andn2_b64 s[82:83], s[82:83], exec
	s_and_b64 vcc, vcc, exec
	s_mov_b32 s86, 0
	s_or_b64 s[82:83], s[82:83], vcc
	s_or_b64 exec, exec, s[84:85]
	v_mov_b32_e32 v5, s86
	s_and_saveexec_b64 vcc, s[82:83]
	s_cbranch_execnz .LBB14_6999
	s_branch .LBB14_7000
.LBB14_7835:
	v_bfe_u32 v3, v32, 20, 1
	s_mov_b32 s86, 0x487ffff
	v_add3_u32 v3, v32, v3, s86
	s_mov_b64 s[84:85], exec
	v_lshrrev_b32_e32 v3, 20, v3
	s_or_saveexec_b64 s[86:87], vcc
                                        ; implicit-def: $sgpr88
	s_xor_b64 exec, exec, s[86:87]
	s_cbranch_execz .LBB14_7111
.LBB14_7836:
	s_mov_b32 s88, 0x46000000
	v_add_f32_e64 v3, |v32|, s88
	v_and_b32_e32 v3, 0xff, v3
	v_cmp_ne_u32_e32 vcc, 0, v3
	s_andn2_b64 s[84:85], s[84:85], exec
	s_and_b64 vcc, vcc, exec
	s_mov_b32 s88, 0
	s_or_b64 s[84:85], s[84:85], vcc
	s_or_b64 exec, exec, s[86:87]
	v_mov_b32_e32 v5, s88
	s_and_saveexec_b64 vcc, s[84:85]
	s_cbranch_execnz .LBB14_7112
	s_branch .LBB14_7113
.LBB14_7837:
	v_bfe_u32 v3, v32, 21, 1
	s_mov_b32 s88, 0x88fffff
	v_add3_u32 v3, v32, v3, s88
	s_mov_b64 s[86:87], exec
	v_lshrrev_b32_e32 v3, 21, v3
	s_or_saveexec_b64 s[88:89], vcc
                                        ; implicit-def: $sgpr90
	s_xor_b64 exec, exec, s[88:89]
	s_cbranch_execz .LBB14_7124
.LBB14_7838:
	s_mov_b32 s90, 0x42800000
	v_add_f32_e64 v3, |v32|, s90
	v_and_b32_e32 v3, 0xff, v3
	v_cmp_ne_u32_e32 vcc, 0, v3
	s_andn2_b64 s[86:87], s[86:87], exec
	s_and_b64 vcc, vcc, exec
	s_mov_b32 s90, 0
	s_or_b64 s[86:87], s[86:87], vcc
	s_or_b64 exec, exec, s[88:89]
	v_mov_b32_e32 v5, s90
	s_and_saveexec_b64 vcc, s[86:87]
	s_cbranch_execnz .LBB14_7125
	s_branch .LBB14_7126
.LBB14_7839:
	v_bfe_u32 v3, v30, 20, 1
	s_mov_b32 s90, 0x487ffff
	v_add3_u32 v3, v30, v3, s90
	s_mov_b64 s[88:89], exec
	v_lshrrev_b32_e32 v3, 20, v3
	s_or_saveexec_b64 s[90:91], vcc
                                        ; implicit-def: $sgpr92
	s_xor_b64 exec, exec, s[90:91]
	s_cbranch_execz .LBB14_7237
.LBB14_7840:
	s_mov_b32 s92, 0x46000000
	v_add_f32_e64 v3, |v30|, s92
	v_and_b32_e32 v3, 0xff, v3
	v_cmp_ne_u32_e32 vcc, 0, v3
	s_andn2_b64 s[88:89], s[88:89], exec
	s_and_b64 vcc, vcc, exec
	s_mov_b32 s92, 0
	s_or_b64 s[88:89], s[88:89], vcc
	s_or_b64 exec, exec, s[90:91]
	v_mov_b32_e32 v5, s92
	s_and_saveexec_b64 vcc, s[88:89]
	s_cbranch_execnz .LBB14_7238
	s_branch .LBB14_7239
.LBB14_7841:
	v_bfe_u32 v3, v30, 21, 1
	s_mov_b32 s92, 0x88fffff
	v_add3_u32 v3, v30, v3, s92
	s_mov_b64 s[90:91], exec
	v_lshrrev_b32_e32 v3, 21, v3
	s_or_saveexec_b64 s[92:93], vcc
                                        ; implicit-def: $sgpr94
	s_xor_b64 exec, exec, s[92:93]
	s_cbranch_execz .LBB14_7250
.LBB14_7842:
	s_mov_b32 s94, 0x42800000
	v_add_f32_e64 v3, |v30|, s94
	v_and_b32_e32 v3, 0xff, v3
	v_cmp_ne_u32_e32 vcc, 0, v3
	s_andn2_b64 s[90:91], s[90:91], exec
	s_and_b64 vcc, vcc, exec
	s_mov_b32 s94, 0
	s_or_b64 s[90:91], s[90:91], vcc
	s_or_b64 exec, exec, s[92:93]
	v_mov_b32_e32 v5, s94
	s_and_saveexec_b64 vcc, s[90:91]
	s_cbranch_execnz .LBB14_7251
	s_branch .LBB14_7252
.LBB14_7843:
	v_bfe_u32 v3, v28, 20, 1
	s_mov_b32 s74, 0x487ffff
	v_add3_u32 v3, v28, v3, s74
	s_mov_b64 s[92:93], exec
	v_lshrrev_b32_e32 v3, 20, v3
	s_or_saveexec_b64 s[94:95], vcc
                                        ; implicit-def: $sgpr76
	s_xor_b64 exec, exec, s[94:95]
	s_cbranch_execz .LBB14_7363
.LBB14_7844:
	s_mov_b32 s74, 0x46000000
	v_add_f32_e64 v3, |v28|, s74
	v_and_b32_e32 v3, 0xff, v3
	v_cmp_ne_u32_e32 vcc, 0, v3
	s_andn2_b64 s[74:75], s[92:93], exec
	s_and_b64 vcc, vcc, exec
	s_mov_b32 s76, 0
	s_or_b64 s[92:93], s[74:75], vcc
	s_or_b64 exec, exec, s[94:95]
	v_mov_b32_e32 v5, s76
	s_and_saveexec_b64 vcc, s[92:93]
	s_cbranch_execnz .LBB14_7364
	s_branch .LBB14_7365
.LBB14_7845:
	v_bfe_u32 v3, v28, 21, 1
	s_mov_b32 s74, 0x88fffff
	v_add3_u32 v3, v28, v3, s74
	s_mov_b64 s[94:95], exec
	v_lshrrev_b32_e32 v3, 21, v3
	s_or_saveexec_b64 s[96:97], vcc
                                        ; implicit-def: $sgpr76
	s_xor_b64 exec, exec, s[96:97]
	s_cbranch_execz .LBB14_7376
.LBB14_7846:
	s_mov_b32 s74, 0x42800000
	v_add_f32_e64 v3, |v28|, s74
	v_and_b32_e32 v3, 0xff, v3
	v_cmp_ne_u32_e32 vcc, 0, v3
	s_andn2_b64 s[74:75], s[94:95], exec
	s_and_b64 vcc, vcc, exec
	s_mov_b32 s76, 0
	s_or_b64 s[94:95], s[74:75], vcc
	s_or_b64 exec, exec, s[96:97]
	v_mov_b32_e32 v5, s76
	s_and_saveexec_b64 vcc, s[94:95]
	s_cbranch_execnz .LBB14_7377
	s_branch .LBB14_7378
.LBB14_7847:
	v_bfe_u32 v3, v26, 20, 1
	s_mov_b32 s74, 0x487ffff
	v_add3_u32 v3, v26, v3, s74
	s_mov_b64 s[96:97], exec
	v_lshrrev_b32_e32 v3, 20, v3
	s_or_saveexec_b64 s[80:81], vcc
                                        ; implicit-def: $sgpr76
	s_xor_b64 exec, exec, s[80:81]
	s_cbranch_execz .LBB14_7489
.LBB14_7848:
	s_mov_b32 s74, 0x46000000
	v_add_f32_e64 v3, |v26|, s74
	v_and_b32_e32 v3, 0xff, v3
	v_cmp_ne_u32_e32 vcc, 0, v3
	s_andn2_b64 s[74:75], s[96:97], exec
	s_and_b64 vcc, vcc, exec
	s_mov_b32 s76, 0
	s_or_b64 s[96:97], s[74:75], vcc
	s_or_b64 exec, exec, s[80:81]
	v_mov_b32_e32 v5, s76
	s_and_saveexec_b64 vcc, s[96:97]
	s_cbranch_execnz .LBB14_7490
	s_branch .LBB14_7491
.LBB14_7849:
	v_bfe_u32 v3, v26, 21, 1
	s_mov_b32 s74, 0x88fffff
	v_add3_u32 v3, v26, v3, s74
	s_mov_b64 s[78:79], exec
	v_lshrrev_b32_e32 v3, 21, v3
	s_or_saveexec_b64 s[80:81], vcc
                                        ; implicit-def: $sgpr76
	s_xor_b64 exec, exec, s[80:81]
	s_cbranch_execz .LBB14_7502
.LBB14_7850:
	s_mov_b32 s74, 0x42800000
	v_add_f32_e64 v3, |v26|, s74
	v_and_b32_e32 v3, 0xff, v3
	v_cmp_ne_u32_e32 vcc, 0, v3
	s_andn2_b64 s[74:75], s[78:79], exec
	s_and_b64 vcc, vcc, exec
	s_mov_b32 s76, 0
	s_or_b64 s[78:79], s[74:75], vcc
	s_or_b64 exec, exec, s[80:81]
	v_mov_b32_e32 v5, s76
	s_and_saveexec_b64 vcc, s[78:79]
	s_cbranch_execnz .LBB14_7503
	s_branch .LBB14_7504
.LBB14_7851:
	v_bfe_u32 v3, v24, 20, 1
	s_mov_b32 s74, 0x487ffff
	v_add3_u32 v3, v24, v3, s74
	s_mov_b64 s[78:79], exec
	v_lshrrev_b32_e32 v3, 20, v3
	s_or_saveexec_b64 s[80:81], vcc
                                        ; implicit-def: $sgpr76
	s_xor_b64 exec, exec, s[80:81]
	s_cbranch_execz .LBB14_7615
.LBB14_7852:
	s_mov_b32 s74, 0x46000000
	v_add_f32_e64 v3, |v24|, s74
	v_and_b32_e32 v3, 0xff, v3
	v_cmp_ne_u32_e32 vcc, 0, v3
	s_andn2_b64 s[74:75], s[78:79], exec
	s_and_b64 vcc, vcc, exec
	s_mov_b32 s76, 0
	s_or_b64 s[78:79], s[74:75], vcc
	s_or_b64 exec, exec, s[80:81]
	v_mov_b32_e32 v5, s76
	s_and_saveexec_b64 vcc, s[78:79]
	s_cbranch_execnz .LBB14_7616
	s_branch .LBB14_7617
.LBB14_7853:
	v_bfe_u32 v3, v24, 21, 1
	s_mov_b32 s74, 0x88fffff
	v_add3_u32 v3, v24, v3, s74
	s_mov_b64 s[82:83], exec
	v_lshrrev_b32_e32 v3, 21, v3
	s_or_saveexec_b64 s[80:81], vcc
                                        ; implicit-def: $sgpr76
	s_xor_b64 exec, exec, s[80:81]
	s_cbranch_execz .LBB14_7628
.LBB14_7854:
	s_mov_b32 s74, 0x42800000
	v_add_f32_e64 v3, |v24|, s74
	v_and_b32_e32 v3, 0xff, v3
	v_cmp_ne_u32_e32 vcc, 0, v3
	s_andn2_b64 s[74:75], s[82:83], exec
	s_and_b64 vcc, vcc, exec
	s_mov_b32 s76, 0
	s_or_b64 s[82:83], s[74:75], vcc
	s_or_b64 exec, exec, s[80:81]
	v_mov_b32_e32 v5, s76
	s_and_saveexec_b64 vcc, s[82:83]
	s_cbranch_execnz .LBB14_7629
	s_branch .LBB14_7630
.LBB14_7855:
	v_bfe_u32 v3, v22, 20, 1
	s_mov_b32 s74, 0x487ffff
	v_add3_u32 v3, v22, v3, s74
	s_mov_b64 s[78:79], exec
	v_lshrrev_b32_e32 v3, 20, v3
	s_or_saveexec_b64 s[80:81], vcc
                                        ; implicit-def: $sgpr76
	s_xor_b64 exec, exec, s[80:81]
	s_cbranch_execz .LBB14_7741
.LBB14_7856:
	s_mov_b32 s74, 0x46000000
	v_add_f32_e64 v3, |v22|, s74
	v_and_b32_e32 v3, 0xff, v3
	v_cmp_ne_u32_e32 vcc, 0, v3
	s_andn2_b64 s[74:75], s[78:79], exec
	s_and_b64 vcc, vcc, exec
	s_mov_b32 s76, 0
	s_or_b64 s[78:79], s[74:75], vcc
	s_or_b64 exec, exec, s[80:81]
	v_mov_b32_e32 v5, s76
	s_and_saveexec_b64 vcc, s[78:79]
	s_cbranch_execnz .LBB14_7742
	s_branch .LBB14_7743
.LBB14_7857:
	v_bfe_u32 v3, v20, 20, 1
	s_mov_b32 s74, 0x487ffff
	v_add3_u32 v3, v20, v3, s74
	s_mov_b64 s[78:79], exec
	v_lshrrev_b32_e32 v3, 20, v3
	s_or_saveexec_b64 s[80:81], vcc
                                        ; implicit-def: $sgpr76
	s_xor_b64 exec, exec, s[80:81]
	s_cbranch_execz .LBB14_4050
.LBB14_7858:
	s_mov_b32 s74, 0x46000000
	v_add_f32_e64 v3, |v20|, s74
	v_and_b32_e32 v3, 0xff, v3
	v_cmp_ne_u32_e32 vcc, 0, v3
	s_andn2_b64 s[74:75], s[78:79], exec
	s_and_b64 vcc, vcc, exec
	s_mov_b32 s76, 0
	s_or_b64 s[78:79], s[74:75], vcc
	s_or_b64 exec, exec, s[80:81]
	v_mov_b32_e32 v5, s76
	s_and_saveexec_b64 vcc, s[78:79]
	s_cbranch_execnz .LBB14_4051
	s_branch .LBB14_4052
.LBB14_7859:
	v_mov_b32_e32 v3, 25
	v_readlane_b32 s92, v43, 62
	v_cmp_gt_i16_sdwa s[4:5], v11, v3 src0_sel:BYTE_0 src1_sel:DWORD
	s_mov_b64 s[88:89], 0
	v_readlane_b32 s93, v43, 63
	s_and_saveexec_b64 vcc, s[4:5]
	s_xor_b64 s[90:91], exec, vcc
	s_cbranch_execz .LBB14_7895
; %bb.7860:
	v_mov_b32_e32 v3, 28
	v_readlane_b32 s92, v43, 62
	v_cmp_gt_i16_sdwa vcc, v11, v3 src0_sel:BYTE_0 src1_sel:DWORD
	s_mov_b64 s[4:5], 0
	v_readlane_b32 s93, v43, 63
	s_and_saveexec_b64 s[74:75], vcc
	s_xor_b64 s[88:89], exec, s[74:75]
	s_cbranch_execz .LBB14_7878
; %bb.7861:
	v_mov_b32_e32 v3, 43
	v_readlane_b32 vcc_lo, v43, 62
	v_cmp_gt_i16_sdwa s[74:75], v11, v3 src0_sel:BYTE_0 src1_sel:DWORD
	v_readlane_b32 vcc_hi, v43, 63
	s_and_saveexec_b64 s[76:77], s[74:75]
	s_xor_b64 s[76:77], exec, s[76:77]
	s_cbranch_execz .LBB14_7873
; %bb.7862:
	v_mov_b32_e32 v3, 45
	v_readlane_b32 s84, v43, 62
	v_cmp_gt_i16_sdwa s[4:5], v11, v3 src0_sel:BYTE_0 src1_sel:DWORD
	s_mov_b64 s[86:87], 0
	v_readlane_b32 s85, v43, 63
	s_and_saveexec_b64 vcc, s[4:5]
	s_xor_b64 s[4:5], exec, vcc
	s_cbranch_execz .LBB14_7866
; %bb.7863:
	v_mov_b32_e32 v3, 46
	v_cmp_eq_u16_sdwa s[74:75], v11, v3 src0_sel:BYTE_0 src1_sel:DWORD
	s_mov_b64 vcc, -1
	s_and_saveexec_b64 s[82:83], s[74:75]
	s_cbranch_execz .LBB14_7865
; %bb.7864:
	v_bfe_u32 v3, v4, 16, 1
	s_movk_i32 vcc_lo, 0x7fff
	v_add3_u32 v3, v4, v3, vcc_lo
	v_lshrrev_b32_e32 v3, 16, v3
	v_mov_b32_e32 v5, 0x7fc0
	v_cmp_o_f32_e32 vcc, v4, v4
	v_cndmask_b32_e32 v3, v5, v3, vcc
	s_mov_b64 s[80:81], exec
	flat_store_dword v[8:9], v3
	s_xor_b64 vcc, exec, -1
.LBB14_7865:
	s_or_b64 exec, exec, s[82:83]
	v_readlane_b32 s74, v43, 62
	v_readlane_b32 s75, v43, 63
	s_andn2_b64 s[74:75], s[74:75], exec
	s_and_b64 vcc, vcc, exec
	s_or_b64 s[84:85], s[74:75], vcc
	s_and_b64 s[86:87], s[80:81], exec
                                        ; implicit-def: $vgpr8_vgpr9
                                        ; implicit-def: $vgpr4
.LBB14_7866:
	s_andn2_saveexec_b64 s[92:93], s[4:5]
	s_cbranch_execz .LBB14_7872
; %bb.7867:
	v_mov_b32_e32 v3, 44
	v_cmp_eq_u16_sdwa s[74:75], v11, v3 src0_sel:BYTE_0 src1_sel:DWORD
	s_mov_b64 vcc, -1
	s_mov_b64 s[4:5], s[86:87]
	s_and_saveexec_b64 s[80:81], s[74:75]
	s_cbranch_execz .LBB14_7871
; %bb.7868:
	v_bfe_u32 v3, v4, 23, 8
	s_movk_i32 s4, 0xff
	v_cmp_ne_u32_e32 vcc, s4, v3
	v_mov_b32_e32 v5, 0xff
	s_and_saveexec_b64 s[82:83], vcc
; %bb.7869:
	s_mov_b32 s4, 0x3fffff
	v_and_b32_e32 v7, 0x400000, v4
	v_and_or_b32 v3, v4, s4, v3
	v_cmp_ne_u32_e32 vcc, 0, v7
	v_cmp_ne_u32_e64 s[4:5], 0, v3
	s_and_b64 s[4:5], vcc, s[4:5]
	v_lshrrev_b32_e32 v5, 23, v4
	v_cndmask_b32_e64 v3, 0, 1, s[4:5]
	v_add_u32_e32 v5, v5, v3
; %bb.7870:
	s_or_b64 exec, exec, s[82:83]
	s_xor_b64 vcc, exec, -1
	s_or_b64 s[4:5], s[86:87], exec
	flat_store_byte v[8:9], v5
.LBB14_7871:
	s_or_b64 exec, exec, s[80:81]
	s_andn2_b64 s[74:75], s[84:85], exec
	s_and_b64 vcc, vcc, exec
	s_or_b64 s[84:85], s[74:75], vcc
	s_andn2_b64 vcc, s[86:87], exec
	s_and_b64 s[4:5], s[4:5], exec
	s_or_b64 s[86:87], vcc, s[4:5]
.LBB14_7872:
	s_or_b64 exec, exec, s[92:93]
	v_readlane_b32 s4, v43, 62
	v_readlane_b32 s5, v43, 63
	s_andn2_b64 s[4:5], s[4:5], exec
	s_and_b64 vcc, s[84:85], exec
	s_or_b64 vcc, s[4:5], vcc
	s_and_b64 s[4:5], s[86:87], exec
                                        ; implicit-def: $vgpr4
                                        ; implicit-def: $vgpr8_vgpr9
.LBB14_7873:
	s_andn2_saveexec_b64 s[84:85], s[76:77]
	s_cbranch_execz .LBB14_7877
; %bb.7874:
	v_mov_b32_e32 v3, 29
	v_cmp_eq_u16_sdwa s[74:75], v11, v3 src0_sel:BYTE_0 src1_sel:DWORD
	s_mov_b64 s[86:87], -1
	s_mov_b64 s[82:83], s[4:5]
	s_and_saveexec_b64 s[80:81], s[74:75]
	s_cbranch_execz .LBB14_7876
; %bb.7875:
	v_trunc_f32_e32 v3, v4
	v_mul_f32_e32 v4, 0x2f800000, v3
	v_floor_f32_e32 v4, v4
	v_fmac_f32_e32 v3, 0xcf800000, v4
	v_cvt_u32_f32_e32 v5, v4
	v_cvt_u32_f32_e32 v4, v3
	s_xor_b64 s[86:87], exec, -1
	s_or_b64 s[82:83], s[4:5], exec
	flat_store_dwordx2 v[8:9], v[4:5]
.LBB14_7876:
	s_or_b64 exec, exec, s[80:81]
	s_andn2_b64 vcc, vcc, exec
	s_and_b64 s[74:75], s[86:87], exec
	s_or_b64 vcc, vcc, s[74:75]
	s_andn2_b64 s[4:5], s[4:5], exec
	s_and_b64 s[74:75], s[82:83], exec
	s_or_b64 s[4:5], s[4:5], s[74:75]
.LBB14_7877:
	s_or_b64 exec, exec, s[84:85]
	v_readlane_b32 s74, v43, 62
	v_readlane_b32 s75, v43, 63
	s_andn2_b64 s[74:75], s[74:75], exec
	s_and_b64 vcc, vcc, exec
	s_or_b64 s[92:93], s[74:75], vcc
	s_and_b64 s[4:5], s[4:5], exec
                                        ; implicit-def: $vgpr8_vgpr9
                                        ; implicit-def: $vgpr4
.LBB14_7878:
	s_andn2_saveexec_b64 s[88:89], s[88:89]
	s_cbranch_execz .LBB14_7894
; %bb.7879:
	v_mov_b32_e32 v3, 26
	v_cmp_gt_i16_sdwa vcc, v11, v3 src0_sel:BYTE_0 src1_sel:DWORD
	s_and_saveexec_b64 s[74:75], vcc
	s_xor_b64 vcc, exec, s[74:75]
	s_cbranch_execz .LBB14_7885
; %bb.7880:
	v_cvt_u32_f32_e32 v3, v4
	v_mov_b32_e32 v4, 27
	v_cmp_gt_i16_sdwa s[74:75], v11, v4 src0_sel:BYTE_0 src1_sel:DWORD
	s_and_saveexec_b64 s[76:77], s[74:75]
	s_xor_b64 s[76:77], exec, s[76:77]
	s_cbranch_execz .LBB14_7882
; %bb.7881:
	flat_store_dword v[8:9], v3
                                        ; implicit-def: $vgpr8_vgpr9
                                        ; implicit-def: $vgpr3
.LBB14_7882:
	s_andn2_saveexec_b64 s[76:77], s[76:77]
	s_cbranch_execz .LBB14_7884
; %bb.7883:
	flat_store_short v[8:9], v3
.LBB14_7884:
	s_or_b64 exec, exec, s[76:77]
                                        ; implicit-def: $vgpr8_vgpr9
                                        ; implicit-def: $vgpr4
.LBB14_7885:
	s_andn2_saveexec_b64 s[86:87], vcc
	s_cbranch_execz .LBB14_7893
; %bb.7886:
	v_and_b32_e32 v3, 0x7fffffff, v4
	s_mov_b32 vcc_lo, 0x43800000
	v_cmp_gt_u32_e32 vcc, vcc_lo, v3
	v_mov_b32_e32 v5, 0x80
	s_and_saveexec_b64 s[84:85], vcc
	s_cbranch_execz .LBB14_7892
; %bb.7887:
	s_mov_b32 vcc_lo, 0x3bffffff
	v_cmp_lt_u32_e32 vcc, vcc_lo, v3
	s_mov_b64 s[78:79], 0
                                        ; implicit-def: $vgpr3
	s_and_saveexec_b64 s[74:75], vcc
	s_xor_b64 vcc, exec, s[74:75]
	s_cbranch_execnz .LBB14_8001
; %bb.7888:
	s_or_saveexec_b64 s[80:81], vcc
                                        ; implicit-def: $sgpr76
	s_xor_b64 exec, exec, s[80:81]
	s_cbranch_execnz .LBB14_8002
.LBB14_7889:
	s_or_b64 exec, exec, s[80:81]
	v_mov_b32_e32 v5, s76
	s_and_saveexec_b64 vcc, s[78:79]
.LBB14_7890:
	v_lshrrev_b32_e32 v4, 24, v4
	s_movk_i32 s74, 0x80
	v_and_or_b32 v5, v4, s74, v3
.LBB14_7891:
	s_or_b64 exec, exec, vcc
.LBB14_7892:
	s_or_b64 exec, exec, s[84:85]
	flat_store_byte v[8:9], v5
.LBB14_7893:
	s_or_b64 exec, exec, s[86:87]
	s_or_b64 s[4:5], s[4:5], exec
.LBB14_7894:
	s_or_b64 exec, exec, s[88:89]
	v_readlane_b32 vcc_lo, v43, 62
	v_readlane_b32 vcc_hi, v43, 63
	s_andn2_b64 vcc, vcc, exec
	s_and_b64 s[74:75], s[92:93], exec
	s_or_b64 s[92:93], vcc, s[74:75]
	s_and_b64 s[88:89], s[4:5], exec
                                        ; implicit-def: $vgpr4
                                        ; implicit-def: $vgpr8_vgpr9
.LBB14_7895:
	s_andn2_saveexec_b64 s[90:91], s[90:91]
	s_cbranch_execz .LBB14_7939
; %bb.7896:
	v_mov_b32_e32 v3, 22
	v_cmp_gt_i16_sdwa vcc, v11, v3 src0_sel:BYTE_0 src1_sel:DWORD
	s_mov_b64 s[4:5], s[88:89]
	s_and_saveexec_b64 s[74:75], vcc
	s_xor_b64 s[74:75], exec, s[74:75]
	v_writelane_b32 v42, s74, 8
	v_writelane_b32 v42, s75, 9
	s_cbranch_execz .LBB14_7928
; %bb.7897:
	v_mov_b32_e32 v3, 23
	v_cmp_gt_i16_sdwa s[4:5], v11, v3 src0_sel:BYTE_0 src1_sel:DWORD
	s_and_saveexec_b64 vcc, s[4:5]
	s_xor_b64 s[82:83], exec, vcc
	s_cbranch_execz .LBB14_7917
; %bb.7898:
	v_mov_b32_e32 v3, 24
	v_cmp_gt_i16_sdwa s[4:5], v11, v3 src0_sel:BYTE_0 src1_sel:DWORD
	s_and_saveexec_b64 vcc, s[4:5]
	s_xor_b64 s[4:5], exec, vcc
	s_cbranch_execz .LBB14_7906
; %bb.7899:
	v_and_b32_e32 v3, 0x7fffffff, v4
	s_mov_b32 vcc_lo, 0x47800000
	v_cmp_gt_u32_e32 vcc, vcc_lo, v3
	v_mov_b32_e32 v5, 0x80
	s_and_saveexec_b64 s[84:85], vcc
	s_cbranch_execz .LBB14_7905
; %bb.7900:
	s_mov_b32 vcc_lo, 0x37ffffff
	v_cmp_lt_u32_e32 vcc, vcc_lo, v3
	s_mov_b64 s[86:87], 0
                                        ; implicit-def: $vgpr3
	s_and_saveexec_b64 s[74:75], vcc
	s_xor_b64 vcc, exec, s[74:75]
	s_cbranch_execnz .LBB14_8005
; %bb.7901:
	s_or_saveexec_b64 s[80:81], vcc
                                        ; implicit-def: $sgpr76
	s_xor_b64 exec, exec, s[80:81]
	s_cbranch_execnz .LBB14_8006
.LBB14_7902:
	s_or_b64 exec, exec, s[80:81]
	v_mov_b32_e32 v5, s76
	s_and_saveexec_b64 vcc, s[86:87]
.LBB14_7903:
	v_lshrrev_b32_e32 v4, 24, v4
	s_movk_i32 s74, 0x80
	v_and_or_b32 v5, v4, s74, v3
.LBB14_7904:
	s_or_b64 exec, exec, vcc
.LBB14_7905:
	s_or_b64 exec, exec, s[84:85]
	flat_store_byte v[8:9], v5
                                        ; implicit-def: $vgpr4
                                        ; implicit-def: $vgpr8_vgpr9
.LBB14_7906:
	s_andn2_saveexec_b64 s[4:5], s[4:5]
	s_cbranch_execz .LBB14_7916
; %bb.7907:
	v_and_b32_e32 v5, 0x7fffffff, v4
	s_mov_b32 vcc_lo, 0x43f00000
	v_cmp_gt_u32_e32 vcc, vcc_lo, v5
                                        ; implicit-def: $vgpr3
	s_and_saveexec_b64 s[74:75], vcc
	s_xor_b64 s[84:85], exec, s[74:75]
	s_cbranch_execz .LBB14_7913
; %bb.7908:
	s_mov_b32 vcc_lo, 0x3c7fffff
	v_cmp_lt_u32_e32 vcc, vcc_lo, v5
                                        ; implicit-def: $vgpr3
	s_and_saveexec_b64 s[74:75], vcc
	s_xor_b64 s[78:79], exec, s[74:75]
; %bb.7909:
	v_bfe_u32 v3, v4, 20, 1
	s_mov_b32 vcc_lo, 0x407ffff
	v_add3_u32 v3, v4, v3, vcc_lo
	v_lshrrev_b32_e32 v5, 20, v3
	v_and_b32_e32 v3, 0xff00000, v3
	s_mov_b32 vcc_lo, 0x7f00000
	v_mov_b32_e32 v7, 0x7e
	v_cmp_ne_u32_e32 vcc, vcc_lo, v3
	v_cndmask_b32_e32 v3, v7, v5, vcc
; %bb.7910:
	s_andn2_saveexec_b64 vcc, s[78:79]
; %bb.7911:
	s_mov_b32 s74, 0x46800000
	v_add_f32_e64 v3, |v4|, s74
; %bb.7912:
	s_or_b64 exec, exec, vcc
                                        ; implicit-def: $vgpr5
.LBB14_7913:
	s_andn2_saveexec_b64 s[80:81], s[84:85]
; %bb.7914:
	s_mov_b32 vcc_lo, 0x7f800000
	v_mov_b32_e32 v3, 0x7e
	v_mov_b32_e32 v7, 0x7f
	v_cmp_lt_u32_e32 vcc, vcc_lo, v5
	v_cndmask_b32_e32 v3, v3, v7, vcc
; %bb.7915:
	s_or_b64 exec, exec, s[80:81]
	v_lshrrev_b32_e32 v4, 24, v4
	s_movk_i32 vcc_lo, 0x80
	v_and_or_b32 v3, v4, vcc_lo, v3
	flat_store_byte v[8:9], v3
.LBB14_7916:
	s_or_b64 exec, exec, s[4:5]
                                        ; implicit-def: $vgpr4
                                        ; implicit-def: $vgpr8_vgpr9
.LBB14_7917:
	s_andn2_saveexec_b64 s[4:5], s[82:83]
	s_cbranch_execz .LBB14_7927
; %bb.7918:
	v_and_b32_e32 v5, 0x7fffffff, v4
	s_mov_b32 vcc_lo, 0x47800000
	v_cmp_gt_u32_e32 vcc, vcc_lo, v5
                                        ; implicit-def: $vgpr3
	s_and_saveexec_b64 s[74:75], vcc
	s_xor_b64 s[82:83], exec, s[74:75]
	s_cbranch_execz .LBB14_7924
; %bb.7919:
	s_mov_b32 vcc_lo, 0x387fffff
	v_cmp_lt_u32_e32 vcc, vcc_lo, v5
                                        ; implicit-def: $vgpr3
	s_and_saveexec_b64 s[74:75], vcc
	s_xor_b64 vcc, exec, s[74:75]
; %bb.7920:
	v_bfe_u32 v3, v4, 21, 1
	s_mov_b32 s74, 0x80fffff
	v_add3_u32 v3, v4, v3, s74
	v_lshrrev_b32_e32 v3, 21, v3
; %bb.7921:
	s_andn2_saveexec_b64 vcc, vcc
; %bb.7922:
	s_mov_b32 s74, 0x43000000
	v_add_f32_e64 v3, |v4|, s74
; %bb.7923:
	s_or_b64 exec, exec, vcc
                                        ; implicit-def: $vgpr5
.LBB14_7924:
	s_andn2_saveexec_b64 s[80:81], s[82:83]
; %bb.7925:
	s_mov_b32 vcc_lo, 0x7f800000
	v_mov_b32_e32 v3, 0x7c
	v_mov_b32_e32 v7, 0x7f
	v_cmp_lt_u32_e32 vcc, vcc_lo, v5
	v_cndmask_b32_e32 v3, v3, v7, vcc
; %bb.7926:
	s_or_b64 exec, exec, s[80:81]
	v_lshrrev_b32_e32 v4, 24, v4
	s_movk_i32 vcc_lo, 0x80
	v_and_or_b32 v3, v4, vcc_lo, v3
	flat_store_byte v[8:9], v3
.LBB14_7927:
	s_or_b64 exec, exec, s[4:5]
	s_or_b64 s[4:5], s[88:89], exec
                                        ; implicit-def: $vgpr8_vgpr9
                                        ; implicit-def: $vgpr4
.LBB14_7928:
	v_readlane_b32 vcc_lo, v42, 8
	v_readlane_b32 vcc_hi, v42, 9
	s_or_saveexec_b64 s[86:87], vcc
	s_mov_b64 s[78:79], s[92:93]
	s_xor_b64 exec, exec, s[86:87]
	s_cbranch_execz .LBB14_7938
; %bb.7929:
	v_mov_b32_e32 v3, 14
	v_cmp_gt_i16_sdwa s[74:75], v11, v3 src0_sel:BYTE_0 src1_sel:DWORD
	s_mov_b64 vcc, s[4:5]
	s_mov_b64 s[84:85], s[92:93]
	s_and_saveexec_b64 s[76:77], s[74:75]
	s_xor_b64 s[82:83], exec, s[76:77]
	s_cbranch_execz .LBB14_7933
; %bb.7930:
	v_mov_b32_e32 v3, 15
	v_cmp_eq_u16_sdwa s[74:75], v11, v3 src0_sel:BYTE_0 src1_sel:DWORD
	s_mov_b64 s[78:79], -1
	s_mov_b64 vcc, s[4:5]
	s_and_saveexec_b64 s[80:81], s[74:75]
	s_cbranch_execz .LBB14_7932
; %bb.7931:
	v_bfe_u32 v3, v4, 16, 1
	s_movk_i32 vcc_lo, 0x7fff
	v_add3_u32 v3, v4, v3, vcc_lo
	v_lshrrev_b32_e32 v3, 16, v3
	v_mov_b32_e32 v5, 0x7fc0
	v_cmp_o_f32_e32 vcc, v4, v4
	v_cndmask_b32_e32 v3, v5, v3, vcc
	flat_store_short v[8:9], v3
	s_xor_b64 s[78:79], exec, -1
	s_or_b64 vcc, s[4:5], exec
.LBB14_7932:
	s_or_b64 exec, exec, s[80:81]
	s_andn2_b64 s[74:75], s[92:93], exec
	s_and_b64 s[76:77], s[78:79], exec
	s_or_b64 s[84:85], s[74:75], s[76:77]
	s_andn2_b64 s[74:75], s[4:5], exec
	s_and_b64 vcc, vcc, exec
	s_or_b64 vcc, s[74:75], vcc
                                        ; implicit-def: $vgpr8_vgpr9
.LBB14_7933:
	s_andn2_saveexec_b64 s[82:83], s[82:83]
	s_cbranch_execz .LBB14_7937
; %bb.7934:
	v_mov_b32_e32 v3, 11
	v_cmp_eq_u16_sdwa s[74:75], v11, v3 src0_sel:BYTE_0 src1_sel:DWORD
	s_mov_b64 s[78:79], -1
	s_mov_b64 s[80:81], vcc
	s_and_saveexec_b64 s[76:77], s[74:75]
	s_cbranch_execz .LBB14_7936
; %bb.7935:
	v_mov_b32_e32 v3, 1
	flat_store_byte v[8:9], v3
	s_xor_b64 s[78:79], exec, -1
	s_or_b64 s[80:81], vcc, exec
.LBB14_7936:
	s_or_b64 exec, exec, s[76:77]
	s_andn2_b64 s[74:75], s[84:85], exec
	s_and_b64 s[76:77], s[78:79], exec
	s_or_b64 s[84:85], s[74:75], s[76:77]
	s_andn2_b64 vcc, vcc, exec
	s_and_b64 s[74:75], s[80:81], exec
	s_or_b64 vcc, vcc, s[74:75]
.LBB14_7937:
	s_or_b64 exec, exec, s[82:83]
	s_andn2_b64 s[74:75], s[92:93], exec
	s_and_b64 s[76:77], s[84:85], exec
	s_andn2_b64 s[4:5], s[4:5], exec
	s_and_b64 vcc, vcc, exec
	s_or_b64 s[78:79], s[74:75], s[76:77]
	s_or_b64 s[4:5], s[4:5], vcc
.LBB14_7938:
	s_or_b64 exec, exec, s[86:87]
	s_andn2_b64 vcc, s[92:93], exec
	s_and_b64 s[74:75], s[78:79], exec
	s_or_b64 s[92:93], vcc, s[74:75]
	s_andn2_b64 vcc, s[88:89], exec
	s_and_b64 s[4:5], s[4:5], exec
	s_or_b64 s[88:89], vcc, s[4:5]
.LBB14_7939:
	s_or_b64 exec, exec, s[90:91]
	v_readlane_b32 s4, v43, 62
	v_readlane_b32 s5, v43, 63
	s_andn2_b64 s[4:5], s[4:5], exec
	s_and_b64 vcc, s[92:93], exec
	s_or_b64 s[90:91], s[4:5], vcc
	s_and_b64 s[4:5], s[88:89], exec
                                        ; implicit-def: $vgpr4
                                        ; implicit-def: $vgpr8_vgpr9
	s_andn2_saveexec_b64 s[92:93], s[96:97]
	s_cbranch_execz .LBB14_4666
.LBB14_7940:
	v_mov_b32_e32 v3, 4
	v_cmp_gt_i16_sdwa vcc, v11, v3 src0_sel:BYTE_0 src1_sel:DWORD
	s_and_saveexec_b64 s[74:75], vcc
	s_xor_b64 vcc, exec, s[74:75]
	s_cbranch_execz .LBB14_7962
; %bb.7941:
	v_mov_b32_e32 v3, 7
	v_cmp_gt_i16_sdwa s[74:75], v11, v3 src0_sel:BYTE_0 src1_sel:DWORD
	s_and_saveexec_b64 s[76:77], s[74:75]
	s_xor_b64 s[84:85], exec, s[76:77]
	s_cbranch_execz .LBB14_7951
; %bb.7942:
	v_mov_b32_e32 v3, 8
	v_cmp_gt_i16_sdwa s[74:75], v11, v3 src0_sel:BYTE_0 src1_sel:DWORD
	s_and_saveexec_b64 s[76:77], s[74:75]
	s_xor_b64 s[86:87], exec, s[76:77]
	s_cbranch_execz .LBB14_7948
; %bb.7943:
	v_mov_b32_e32 v3, 9
	v_cmp_gt_i16_sdwa s[74:75], v11, v3 src0_sel:BYTE_0 src1_sel:DWORD
	s_and_saveexec_b64 s[76:77], s[74:75]
	s_xor_b64 s[78:79], exec, s[76:77]
	s_cbranch_execz .LBB14_7945
; %bb.7944:
	v_mov_b32_e32 v16, 0
	v_cvt_f64_f32_e32 v[14:15], v4
	v_mov_b32_e32 v17, v16
	flat_store_dwordx4 v[8:9], v[14:17]
                                        ; implicit-def: $vgpr4
                                        ; implicit-def: $vgpr8_vgpr9
.LBB14_7945:
	s_andn2_saveexec_b64 s[76:77], s[78:79]
	s_cbranch_execz .LBB14_7947
; %bb.7946:
	v_mov_b32_e32 v5, 0
	flat_store_dwordx2 v[8:9], v[4:5]
.LBB14_7947:
	s_or_b64 exec, exec, s[76:77]
                                        ; implicit-def: $vgpr4
                                        ; implicit-def: $vgpr8_vgpr9
.LBB14_7948:
	s_andn2_saveexec_b64 s[76:77], s[86:87]
	s_cbranch_execz .LBB14_7950
; %bb.7949:
	v_cvt_f16_f32_e32 v3, v4
	flat_store_dword v[8:9], v3
.LBB14_7950:
	s_or_b64 exec, exec, s[76:77]
                                        ; implicit-def: $vgpr4
                                        ; implicit-def: $vgpr8_vgpr9
.LBB14_7951:
	s_andn2_saveexec_b64 s[84:85], s[84:85]
	s_cbranch_execz .LBB14_7961
; %bb.7952:
	v_mov_b32_e32 v3, 5
	v_cmp_gt_i16_sdwa s[74:75], v11, v3 src0_sel:BYTE_0 src1_sel:DWORD
	s_and_saveexec_b64 s[76:77], s[74:75]
	s_xor_b64 s[80:81], exec, s[76:77]
	s_cbranch_execz .LBB14_7958
; %bb.7953:
	v_mov_b32_e32 v3, 6
	v_cmp_gt_i16_sdwa s[74:75], v11, v3 src0_sel:BYTE_0 src1_sel:DWORD
	s_and_saveexec_b64 s[76:77], s[74:75]
	s_xor_b64 s[76:77], exec, s[76:77]
	s_cbranch_execz .LBB14_7955
; %bb.7954:
	v_cvt_f64_f32_e32 v[4:5], v4
	flat_store_dwordx2 v[8:9], v[4:5]
                                        ; implicit-def: $vgpr8_vgpr9
                                        ; implicit-def: $vgpr4
.LBB14_7955:
	s_andn2_saveexec_b64 s[76:77], s[76:77]
	s_cbranch_execz .LBB14_7957
; %bb.7956:
	flat_store_dword v[8:9], v4
.LBB14_7957:
	s_or_b64 exec, exec, s[76:77]
                                        ; implicit-def: $vgpr4
                                        ; implicit-def: $vgpr8_vgpr9
.LBB14_7958:
	s_andn2_saveexec_b64 s[76:77], s[80:81]
	s_cbranch_execz .LBB14_7960
; %bb.7959:
	v_cvt_f16_f32_e32 v3, v4
	flat_store_short v[8:9], v3
.LBB14_7960:
	s_or_b64 exec, exec, s[76:77]
.LBB14_7961:
	s_or_b64 exec, exec, s[84:85]
                                        ; implicit-def: $vgpr4
                                        ; implicit-def: $vgpr8_vgpr9
.LBB14_7962:
	s_andn2_saveexec_b64 s[88:89], vcc
	s_cbranch_execz .LBB14_7980
; %bb.7963:
	v_mov_b32_e32 v3, 1
	v_cmp_gt_i16_sdwa vcc, v11, v3 src0_sel:BYTE_0 src1_sel:DWORD
	s_and_saveexec_b64 s[74:75], vcc
	s_xor_b64 s[84:85], exec, s[74:75]
	s_cbranch_execz .LBB14_7973
; %bb.7964:
	v_mov_b32_e32 v3, 2
	v_cmp_gt_i16_sdwa vcc, v11, v3 src0_sel:BYTE_0 src1_sel:DWORD
	s_and_saveexec_b64 s[74:75], vcc
	s_xor_b64 s[86:87], exec, s[74:75]
	;; [unrolled: 6-line block ×3, first 2 shown]
	s_cbranch_execz .LBB14_7967
; %bb.7966:
	v_trunc_f32_e32 v3, v4
	s_mov_b32 s74, 0x2f800000
	v_mul_f32_e64 v4, |v3|, s74
	v_floor_f32_e32 v4, v4
	s_mov_b32 s74, 0xcf800000
	v_cvt_u32_f32_e32 v5, v4
	v_fma_f32 v4, v4, s74, |v3|
	v_cvt_u32_f32_e32 v4, v4
	v_ashrrev_i32_e32 v3, 31, v3
	v_xor_b32_e32 v5, v5, v3
	v_xor_b32_e32 v4, v4, v3
	v_sub_co_u32_e32 v4, vcc, v4, v3
	v_subb_co_u32_e32 v5, vcc, v5, v3, vcc
	flat_store_dwordx2 v[8:9], v[4:5]
                                        ; implicit-def: $vgpr4
                                        ; implicit-def: $vgpr8_vgpr9
.LBB14_7967:
	s_andn2_saveexec_b64 vcc, s[80:81]
	s_cbranch_execz .LBB14_7969
; %bb.7968:
	v_cvt_i32_f32_e32 v3, v4
	flat_store_dword v[8:9], v3
.LBB14_7969:
	s_or_b64 exec, exec, vcc
                                        ; implicit-def: $vgpr4
                                        ; implicit-def: $vgpr8_vgpr9
.LBB14_7970:
	s_andn2_saveexec_b64 vcc, s[86:87]
	s_cbranch_execz .LBB14_7972
; %bb.7971:
	v_cvt_i32_f32_e32 v3, v4
	flat_store_short v[8:9], v3
.LBB14_7972:
	s_or_b64 exec, exec, vcc
                                        ; implicit-def: $vgpr4
                                        ; implicit-def: $vgpr8_vgpr9
.LBB14_7973:
	s_andn2_saveexec_b64 vcc, s[84:85]
	s_cbranch_execz .LBB14_7979
; %bb.7974:
	v_mov_b32_e32 v3, 0
	v_cmp_gt_i16_sdwa s[74:75], v11, v3 src0_sel:BYTE_0 src1_sel:DWORD
	s_and_saveexec_b64 s[76:77], s[74:75]
	s_xor_b64 s[76:77], exec, s[76:77]
	s_cbranch_execz .LBB14_7976
; %bb.7975:
	v_cvt_i32_f32_e32 v3, v4
                                        ; implicit-def: $vgpr4
	flat_store_byte v[8:9], v3
                                        ; implicit-def: $vgpr8_vgpr9
.LBB14_7976:
	s_andn2_saveexec_b64 s[80:81], s[76:77]
	s_cbranch_execz .LBB14_7978
; %bb.7977:
	v_trunc_f32_e32 v3, v4
	s_mov_b32 s74, 0x2f800000
	v_mul_f32_e64 v4, |v3|, s74
	v_floor_f32_e32 v4, v4
	s_mov_b32 s74, 0xcf800000
	v_fma_f32 v4, v4, s74, |v3|
	v_cvt_u32_f32_e32 v4, v4
	v_ashrrev_i32_e32 v3, 31, v3
	v_xor_b32_e32 v4, v4, v3
	v_sub_u32_e32 v3, v4, v3
	flat_store_byte v[8:9], v3
.LBB14_7978:
	s_or_b64 exec, exec, s[80:81]
.LBB14_7979:
	s_or_b64 exec, exec, vcc
.LBB14_7980:
	s_or_b64 exec, exec, s[88:89]
	s_or_b64 s[4:5], s[4:5], exec
	s_or_b64 exec, exec, s[92:93]
	s_mov_b64 vcc, 0
	s_and_saveexec_b64 s[76:77], s[4:5]
	s_cbranch_execnz .LBB14_4667
	s_branch .LBB14_4668
.LBB14_7981:
	v_bfe_u32 v3, v22, 21, 1
	s_mov_b32 s74, 0x88fffff
	v_add3_u32 v3, v22, v3, s74
	s_mov_b64 s[86:87], exec
	v_lshrrev_b32_e32 v3, 21, v3
	s_or_saveexec_b64 s[80:81], vcc
                                        ; implicit-def: $sgpr76
	s_xor_b64 exec, exec, s[80:81]
	s_cbranch_execz .LBB14_7754
.LBB14_7982:
	s_mov_b32 s74, 0x42800000
	v_add_f32_e64 v3, |v22|, s74
	v_and_b32_e32 v3, 0xff, v3
	v_cmp_ne_u32_e32 vcc, 0, v3
	s_andn2_b64 s[74:75], s[86:87], exec
	s_and_b64 vcc, vcc, exec
	s_mov_b32 s76, 0
	s_or_b64 s[86:87], s[74:75], vcc
	s_or_b64 exec, exec, s[80:81]
	v_mov_b32_e32 v5, s76
	s_and_saveexec_b64 vcc, s[86:87]
	s_cbranch_execnz .LBB14_7755
	s_branch .LBB14_7756
.LBB14_7983:
	v_bfe_u32 v3, v20, 21, 1
	s_mov_b32 s74, 0x88fffff
	v_add3_u32 v3, v20, v3, s74
	s_mov_b64 s[86:87], exec
	v_lshrrev_b32_e32 v3, 21, v3
	s_or_saveexec_b64 s[80:81], vcc
                                        ; implicit-def: $sgpr76
	s_xor_b64 exec, exec, s[80:81]
	s_cbranch_execz .LBB14_4063
.LBB14_7984:
	s_mov_b32 s74, 0x42800000
	v_add_f32_e64 v3, |v20|, s74
	v_and_b32_e32 v3, 0xff, v3
	v_cmp_ne_u32_e32 vcc, 0, v3
	s_andn2_b64 s[74:75], s[86:87], exec
	s_and_b64 vcc, vcc, exec
	s_mov_b32 s76, 0
	s_or_b64 s[86:87], s[74:75], vcc
	s_or_b64 exec, exec, s[80:81]
	v_mov_b32_e32 v5, s76
	s_and_saveexec_b64 vcc, s[86:87]
	s_cbranch_execnz .LBB14_4064
	s_branch .LBB14_4065
.LBB14_7985:
	v_bfe_u32 v3, v18, 20, 1
	s_mov_b32 s74, 0x487ffff
	v_add3_u32 v3, v18, v3, s74
	s_mov_b64 s[78:79], exec
	v_lshrrev_b32_e32 v3, 20, v3
	s_or_saveexec_b64 s[80:81], vcc
                                        ; implicit-def: $sgpr76
	s_xor_b64 exec, exec, s[80:81]
	s_cbranch_execz .LBB14_4179
.LBB14_7986:
	s_mov_b32 s74, 0x46000000
	v_add_f32_e64 v3, |v18|, s74
	v_and_b32_e32 v3, 0xff, v3
	v_cmp_ne_u32_e32 vcc, 0, v3
	s_andn2_b64 s[74:75], s[78:79], exec
	s_and_b64 vcc, vcc, exec
	s_mov_b32 s76, 0
	s_or_b64 s[78:79], s[74:75], vcc
	s_or_b64 exec, exec, s[80:81]
	v_mov_b32_e32 v5, s76
	s_and_saveexec_b64 vcc, s[78:79]
	s_cbranch_execnz .LBB14_4180
	s_branch .LBB14_4181
.LBB14_7987:
	v_bfe_u32 v3, v18, 21, 1
	s_mov_b32 s74, 0x88fffff
	v_add3_u32 v3, v18, v3, s74
	s_mov_b64 s[86:87], exec
	v_lshrrev_b32_e32 v3, 21, v3
	s_or_saveexec_b64 s[80:81], vcc
                                        ; implicit-def: $sgpr76
	s_xor_b64 exec, exec, s[80:81]
	s_cbranch_execz .LBB14_4192
.LBB14_7988:
	s_mov_b32 s74, 0x42800000
	v_add_f32_e64 v3, |v18|, s74
	v_and_b32_e32 v3, 0xff, v3
	v_cmp_ne_u32_e32 vcc, 0, v3
	s_andn2_b64 s[74:75], s[86:87], exec
	s_and_b64 vcc, vcc, exec
	s_mov_b32 s76, 0
	s_or_b64 s[86:87], s[74:75], vcc
	s_or_b64 exec, exec, s[80:81]
	v_mov_b32_e32 v5, s76
	s_and_saveexec_b64 vcc, s[86:87]
	s_cbranch_execnz .LBB14_4193
	s_branch .LBB14_4194
.LBB14_7989:
	v_bfe_u32 v3, v16, 20, 1
	s_mov_b32 s74, 0x487ffff
	v_add3_u32 v3, v16, v3, s74
	s_mov_b64 s[78:79], exec
	v_lshrrev_b32_e32 v3, 20, v3
	s_or_saveexec_b64 s[80:81], vcc
                                        ; implicit-def: $sgpr76
	s_xor_b64 exec, exec, s[80:81]
	s_cbranch_execz .LBB14_4308
.LBB14_7990:
	s_mov_b32 s74, 0x46000000
	v_add_f32_e64 v3, |v16|, s74
	v_and_b32_e32 v3, 0xff, v3
	v_cmp_ne_u32_e32 vcc, 0, v3
	s_andn2_b64 s[74:75], s[78:79], exec
	s_and_b64 vcc, vcc, exec
	s_mov_b32 s76, 0
	s_or_b64 s[78:79], s[74:75], vcc
	s_or_b64 exec, exec, s[80:81]
	v_mov_b32_e32 v5, s76
	s_and_saveexec_b64 vcc, s[78:79]
	s_cbranch_execnz .LBB14_4309
	s_branch .LBB14_4310
.LBB14_7991:
	v_bfe_u32 v3, v16, 21, 1
	s_mov_b32 s74, 0x88fffff
	v_add3_u32 v3, v16, v3, s74
	s_mov_b64 s[86:87], exec
	v_lshrrev_b32_e32 v3, 21, v3
	s_or_saveexec_b64 s[80:81], vcc
                                        ; implicit-def: $sgpr76
	s_xor_b64 exec, exec, s[80:81]
	s_cbranch_execz .LBB14_4321
.LBB14_7992:
	s_mov_b32 s74, 0x42800000
	v_add_f32_e64 v3, |v16|, s74
	v_and_b32_e32 v3, 0xff, v3
	v_cmp_ne_u32_e32 vcc, 0, v3
	s_andn2_b64 s[74:75], s[86:87], exec
	s_and_b64 vcc, vcc, exec
	s_mov_b32 s76, 0
	s_or_b64 s[86:87], s[74:75], vcc
	s_or_b64 exec, exec, s[80:81]
	v_mov_b32_e32 v5, s76
	s_and_saveexec_b64 vcc, s[86:87]
	s_cbranch_execnz .LBB14_4322
	s_branch .LBB14_4323
.LBB14_7993:
	v_bfe_u32 v3, v14, 20, 1
	s_mov_b32 s74, 0x487ffff
	v_add3_u32 v3, v14, v3, s74
	s_mov_b64 s[78:79], exec
	v_lshrrev_b32_e32 v3, 20, v3
	s_or_saveexec_b64 s[80:81], vcc
                                        ; implicit-def: $sgpr76
	s_xor_b64 exec, exec, s[80:81]
	s_cbranch_execz .LBB14_4437
.LBB14_7994:
	s_mov_b32 s74, 0x46000000
	v_add_f32_e64 v3, |v14|, s74
	v_and_b32_e32 v3, 0xff, v3
	v_cmp_ne_u32_e32 vcc, 0, v3
	s_andn2_b64 s[74:75], s[78:79], exec
	s_and_b64 vcc, vcc, exec
	s_mov_b32 s76, 0
	s_or_b64 s[78:79], s[74:75], vcc
	s_or_b64 exec, exec, s[80:81]
	v_mov_b32_e32 v5, s76
	s_and_saveexec_b64 vcc, s[78:79]
	s_cbranch_execnz .LBB14_4438
	s_branch .LBB14_4439
.LBB14_7995:
	v_bfe_u32 v3, v14, 21, 1
	s_mov_b32 s74, 0x88fffff
	v_add3_u32 v3, v14, v3, s74
	s_mov_b64 s[86:87], exec
	v_lshrrev_b32_e32 v3, 21, v3
	s_or_saveexec_b64 s[80:81], vcc
                                        ; implicit-def: $sgpr76
	s_xor_b64 exec, exec, s[80:81]
	s_cbranch_execz .LBB14_4450
.LBB14_7996:
	s_mov_b32 s74, 0x42800000
	v_add_f32_e64 v3, |v14|, s74
	v_and_b32_e32 v3, 0xff, v3
	v_cmp_ne_u32_e32 vcc, 0, v3
	s_andn2_b64 s[74:75], s[86:87], exec
	s_and_b64 vcc, vcc, exec
	s_mov_b32 s76, 0
	s_or_b64 s[86:87], s[74:75], vcc
	s_or_b64 exec, exec, s[80:81]
	v_mov_b32_e32 v5, s76
	s_and_saveexec_b64 vcc, s[86:87]
	s_cbranch_execnz .LBB14_4451
	s_branch .LBB14_4452
.LBB14_7997:
	v_bfe_u32 v3, v8, 20, 1
	s_mov_b32 s74, 0x487ffff
	v_add3_u32 v3, v8, v3, s74
	s_mov_b64 s[78:79], exec
	v_lshrrev_b32_e32 v3, 20, v3
	s_or_saveexec_b64 s[80:81], vcc
                                        ; implicit-def: $sgpr76
	s_xor_b64 exec, exec, s[80:81]
	s_cbranch_execz .LBB14_4566
.LBB14_7998:
	s_mov_b32 s74, 0x46000000
	v_add_f32_e64 v3, |v8|, s74
	v_and_b32_e32 v3, 0xff, v3
	v_cmp_ne_u32_e32 vcc, 0, v3
	s_andn2_b64 s[74:75], s[78:79], exec
	s_and_b64 vcc, vcc, exec
	s_mov_b32 s76, 0
	s_or_b64 s[78:79], s[74:75], vcc
	s_or_b64 exec, exec, s[80:81]
	v_mov_b32_e32 v5, s76
	s_and_saveexec_b64 vcc, s[78:79]
	s_cbranch_execnz .LBB14_4567
	s_branch .LBB14_4568
.LBB14_7999:
	v_bfe_u32 v3, v8, 21, 1
	s_mov_b32 s74, 0x88fffff
	v_add3_u32 v3, v8, v3, s74
	s_mov_b64 s[86:87], exec
	v_lshrrev_b32_e32 v3, 21, v3
	s_or_saveexec_b64 s[80:81], vcc
                                        ; implicit-def: $sgpr76
	s_xor_b64 exec, exec, s[80:81]
	s_cbranch_execz .LBB14_4579
.LBB14_8000:
	s_mov_b32 s74, 0x42800000
	v_add_f32_e64 v3, |v8|, s74
	v_and_b32_e32 v3, 0xff, v3
	v_cmp_ne_u32_e32 vcc, 0, v3
	s_andn2_b64 s[74:75], s[86:87], exec
	s_and_b64 vcc, vcc, exec
	s_mov_b32 s76, 0
	s_or_b64 s[86:87], s[74:75], vcc
	s_or_b64 exec, exec, s[80:81]
	v_mov_b32_e32 v5, s76
	s_and_saveexec_b64 vcc, s[86:87]
	s_cbranch_execnz .LBB14_4580
	s_branch .LBB14_4581
.LBB14_8001:
	v_bfe_u32 v3, v4, 20, 1
	s_mov_b32 s74, 0x487ffff
	v_add3_u32 v3, v4, v3, s74
	s_mov_b64 s[78:79], exec
	v_lshrrev_b32_e32 v3, 20, v3
	s_or_saveexec_b64 s[80:81], vcc
                                        ; implicit-def: $sgpr76
	s_xor_b64 exec, exec, s[80:81]
	s_cbranch_execz .LBB14_7889
.LBB14_8002:
	s_mov_b32 s74, 0x46000000
	v_add_f32_e64 v3, |v4|, s74
	v_and_b32_e32 v3, 0xff, v3
	v_cmp_ne_u32_e32 vcc, 0, v3
	s_andn2_b64 s[74:75], s[78:79], exec
	s_and_b64 vcc, vcc, exec
	s_mov_b32 s76, 0
	s_or_b64 s[78:79], s[74:75], vcc
	s_or_b64 exec, exec, s[80:81]
	v_mov_b32_e32 v5, s76
	s_and_saveexec_b64 vcc, s[78:79]
	s_cbranch_execnz .LBB14_7890
	s_branch .LBB14_7891
.LBB14_8003:
	v_bfe_u32 v0, v2, 20, 1
	s_mov_b32 s74, 0x487ffff
	v_add3_u32 v0, v2, v0, s74
	s_mov_b64 s[82:83], exec
	v_lshrrev_b32_e32 v0, 20, v0
	s_or_saveexec_b64 s[80:81], vcc
                                        ; implicit-def: $sgpr76
	s_xor_b64 exec, exec, s[80:81]
	s_cbranch_execz .LBB14_4702
.LBB14_8004:
	s_mov_b32 s74, 0x46000000
	v_add_f32_e64 v0, |v2|, s74
	v_and_b32_e32 v0, 0xff, v0
	v_cmp_ne_u32_e32 vcc, 0, v0
	s_andn2_b64 s[74:75], s[82:83], exec
	s_and_b64 vcc, vcc, exec
	s_mov_b32 s76, 0
	s_or_b64 s[82:83], s[74:75], vcc
	s_or_b64 exec, exec, s[80:81]
	v_mov_b32_e32 v1, s76
	s_and_saveexec_b64 vcc, s[82:83]
	s_cbranch_execnz .LBB14_4703
	s_branch .LBB14_4704
.LBB14_8005:
	v_bfe_u32 v3, v4, 21, 1
	s_mov_b32 s74, 0x88fffff
	v_add3_u32 v3, v4, v3, s74
	s_mov_b64 s[86:87], exec
	v_lshrrev_b32_e32 v3, 21, v3
	s_or_saveexec_b64 s[80:81], vcc
                                        ; implicit-def: $sgpr76
	s_xor_b64 exec, exec, s[80:81]
	s_cbranch_execz .LBB14_7902
.LBB14_8006:
	s_mov_b32 s74, 0x42800000
	v_add_f32_e64 v3, |v4|, s74
	v_and_b32_e32 v3, 0xff, v3
	v_cmp_ne_u32_e32 vcc, 0, v3
	s_andn2_b64 s[74:75], s[86:87], exec
	s_and_b64 vcc, vcc, exec
	s_mov_b32 s76, 0
	s_or_b64 s[86:87], s[74:75], vcc
	s_or_b64 exec, exec, s[80:81]
	v_mov_b32_e32 v5, s76
	s_and_saveexec_b64 vcc, s[86:87]
	s_cbranch_execnz .LBB14_7903
	s_branch .LBB14_7904
.LBB14_8007:
	v_bfe_u32 v0, v2, 21, 1
	s_mov_b32 s74, 0x88fffff
	v_add3_u32 v0, v2, v0, s74
	s_mov_b64 s[78:79], exec
	v_lshrrev_b32_e32 v0, 21, v0
	s_or_saveexec_b64 s[80:81], vcc
                                        ; implicit-def: $sgpr76
	s_xor_b64 exec, exec, s[80:81]
	s_cbranch_execz .LBB14_4715
.LBB14_8008:
	s_mov_b32 s74, 0x42800000
	v_add_f32_e64 v0, |v2|, s74
	v_and_b32_e32 v0, 0xff, v0
	v_cmp_ne_u32_e32 vcc, 0, v0
	s_andn2_b64 s[74:75], s[78:79], exec
	s_and_b64 vcc, vcc, exec
	s_mov_b32 s76, 0
	s_or_b64 s[78:79], s[74:75], vcc
	s_or_b64 exec, exec, s[80:81]
	v_mov_b32_e32 v1, s76
	s_and_saveexec_b64 vcc, s[78:79]
	s_cbranch_execnz .LBB14_4716
	s_branch .LBB14_4717
.Lfunc_end14:
	.size	_ZN2at6native25elementwise_kernel_helperILb1EZZZNS0_23launch_dirichlet_kernelERNS_18TensorIteratorBaseEENKUlvE_clEvENKUlvE0_clEvEUlffE_NS0_6memory8policies11unroll_baseILi512ESt5arrayIPcLm3EE23TrivialOffsetCalculatorILi2EjESD_ILi1EjENS7_12LoadWithCastILi2EEENS7_13StoreWithCastILi1EEELi32ELi1EEEEEvT0_T1_, .Lfunc_end14-_ZN2at6native25elementwise_kernel_helperILb1EZZZNS0_23launch_dirichlet_kernelERNS_18TensorIteratorBaseEENKUlvE_clEvENKUlvE0_clEvEUlffE_NS0_6memory8policies11unroll_baseILi512ESt5arrayIPcLm3EE23TrivialOffsetCalculatorILi2EjESD_ILi1EjENS7_12LoadWithCastILi2EEENS7_13StoreWithCastILi1EEELi32ELi1EEEEEvT0_T1_
                                        ; -- End function
	.section	.AMDGPU.csdata,"",@progbits
; Function info:
; codeLenInByte = 173512
; NumSgprs: 102
; NumVgprs: 118
; NumAgprs: 0
; TotalNumVgprs: 118
; ScratchSize: 288
; MemoryBound: 1
	.section	.text._ZN2at6native39vectorized_templated_elementwise_kernelILi8EZZZNS0_23launch_dirichlet_kernelERNS_18TensorIteratorBaseEENKUlvE_clEvENKUlvE0_clEvEUlffE_St5arrayIPcLm3EE23TrivialOffsetCalculatorILi2EjESA_ILi1EjENS0_6memory12LoadWithCastILi2EEENSD_13StoreWithCastILi1EEEfJfN3c108BFloat16EEEEviT0_T1_T2_T3_T4_T5_,"axG",@progbits,_ZN2at6native39vectorized_templated_elementwise_kernelILi8EZZZNS0_23launch_dirichlet_kernelERNS_18TensorIteratorBaseEENKUlvE_clEvENKUlvE0_clEvEUlffE_St5arrayIPcLm3EE23TrivialOffsetCalculatorILi2EjESA_ILi1EjENS0_6memory12LoadWithCastILi2EEENSD_13StoreWithCastILi1EEEfJfN3c108BFloat16EEEEviT0_T1_T2_T3_T4_T5_,comdat
	.globl	_ZN2at6native39vectorized_templated_elementwise_kernelILi8EZZZNS0_23launch_dirichlet_kernelERNS_18TensorIteratorBaseEENKUlvE_clEvENKUlvE0_clEvEUlffE_St5arrayIPcLm3EE23TrivialOffsetCalculatorILi2EjESA_ILi1EjENS0_6memory12LoadWithCastILi2EEENSD_13StoreWithCastILi1EEEfJfN3c108BFloat16EEEEviT0_T1_T2_T3_T4_T5_ ; -- Begin function _ZN2at6native39vectorized_templated_elementwise_kernelILi8EZZZNS0_23launch_dirichlet_kernelERNS_18TensorIteratorBaseEENKUlvE_clEvENKUlvE0_clEvEUlffE_St5arrayIPcLm3EE23TrivialOffsetCalculatorILi2EjESA_ILi1EjENS0_6memory12LoadWithCastILi2EEENSD_13StoreWithCastILi1EEEfJfN3c108BFloat16EEEEviT0_T1_T2_T3_T4_T5_
	.p2align	8
	.type	_ZN2at6native39vectorized_templated_elementwise_kernelILi8EZZZNS0_23launch_dirichlet_kernelERNS_18TensorIteratorBaseEENKUlvE_clEvENKUlvE0_clEvEUlffE_St5arrayIPcLm3EE23TrivialOffsetCalculatorILi2EjESA_ILi1EjENS0_6memory12LoadWithCastILi2EEENSD_13StoreWithCastILi1EEEfJfN3c108BFloat16EEEEviT0_T1_T2_T3_T4_T5_,@function
_ZN2at6native39vectorized_templated_elementwise_kernelILi8EZZZNS0_23launch_dirichlet_kernelERNS_18TensorIteratorBaseEENKUlvE_clEvENKUlvE0_clEvEUlffE_St5arrayIPcLm3EE23TrivialOffsetCalculatorILi2EjESA_ILi1EjENS0_6memory12LoadWithCastILi2EEENSD_13StoreWithCastILi1EEEfJfN3c108BFloat16EEEEviT0_T1_T2_T3_T4_T5_: ; @_ZN2at6native39vectorized_templated_elementwise_kernelILi8EZZZNS0_23launch_dirichlet_kernelERNS_18TensorIteratorBaseEENKUlvE_clEvENKUlvE0_clEvEUlffE_St5arrayIPcLm3EE23TrivialOffsetCalculatorILi2EjESA_ILi1EjENS0_6memory12LoadWithCastILi2EEENSD_13StoreWithCastILi1EEEfJfN3c108BFloat16EEEEviT0_T1_T2_T3_T4_T5_
; %bb.0:
	s_add_u32 flat_scratch_lo, s6, s9
	s_addc_u32 flat_scratch_hi, s7, 0
	s_add_u32 s0, s0, s9
	s_load_dword s6, s[4:5], 0x38
	s_load_dwordx2 s[22:23], s[4:5], 0x18
	s_load_dword s7, s[4:5], 0x0
	s_load_dwordx4 s[24:27], s[4:5], 0x8
	s_addc_u32 s1, s1, 0
	s_mov_b32 s12, s8
	s_not_b32 s8, s8
	s_waitcnt lgkmcnt(0)
	s_add_i32 s6, s6, s8
	s_lshl_b32 s6, s6, 14
	s_sub_i32 s13, s7, s6
	s_cmpk_gt_i32 s13, 0x3fff
	s_mov_b64 s[8:9], -1
	s_mov_b32 s32, 0
	s_cbranch_scc1 .LBB15_3
; %bb.1:
	s_andn2_b64 vcc, exec, s[8:9]
	s_cbranch_vccz .LBB15_4
.LBB15_2:
	s_endpgm
.LBB15_3:
	s_ashr_i32 s7, s6, 31
	s_lshl_b64 s[30:31], s[6:7], 2
	s_add_u32 s28, s26, s30
	s_addc_u32 s29, s27, s31
	s_lshl_b64 s[6:7], s[6:7], 1
	s_add_u32 s8, s22, s6
	s_addc_u32 s9, s23, s7
	v_lshlrev_b32_e32 v19, 4, v0
	global_load_dwordx4 v[14:17], v19, s[8:9]
	v_lshlrev_b32_e32 v1, 5, v0
	global_load_dwordx4 v[2:5], v1, s[28:29]
	global_load_dwordx4 v[6:9], v1, s[28:29] offset:16
	v_or_b32_e32 v20, 0x400, v0
	v_lshlrev_b32_e32 v10, 4, v20
	v_mov_b32_e32 v11, s29
	v_add_co_u32_e32 v26, vcc, s28, v1
	v_addc_co_u32_e32 v27, vcc, 0, v11, vcc
	v_mov_b32_e32 v21, s9
	global_load_dwordx4 v[10:13], v10, s[8:9]
	v_add_co_u32_e64 v31, s[8:9], s8, v19
	v_addc_co_u32_e64 v44, s[8:9], 0, v21, s[8:9]
	v_add_co_u32_e32 v18, vcc, 0x4000, v26
	s_mov_b64 s[6:7], vcc
	v_add_co_u32_e32 v22, vcc, 0xc000, v26
	s_movk_i32 s33, 0x4000
	s_waitcnt vmcnt(3)
	v_and_b32_e32 v24, 0xffff0000, v14
	v_lshlrev_b32_e32 v21, 16, v14
	v_and_b32_e32 v40, 0xffff0000, v15
	s_waitcnt vmcnt(2)
	v_div_scale_f32 v14, s[8:9], v24, v24, v3
	v_lshlrev_b32_e32 v25, 16, v15
	v_div_scale_f32 v19, s[10:11], v21, v21, v2
	v_div_scale_f32 v28, s[14:15], v40, v40, v5
	v_rcp_f32_e32 v36, v14
	v_div_scale_f32 v30, s[16:17], v25, v25, v4
	v_rcp_f32_e32 v37, v19
	v_rcp_f32_e32 v38, v28
	v_lshlrev_b32_e32 v45, 16, v16
	v_and_b32_e32 v16, 0xffff0000, v16
	v_rcp_f32_e32 v39, v30
	s_waitcnt vmcnt(1)
	v_div_scale_f32 v33, s[18:19], v16, v16, v7
	v_rcp_f32_e32 v41, v33
	v_fma_f32 v42, -v14, v36, 1.0
	v_div_scale_f32 v15, s[8:9], v3, v24, v3
	v_fma_f32 v43, -v19, v37, 1.0
	v_fma_f32 v46, -v28, v38, 1.0
	v_fmac_f32_e32 v36, v42, v36
	v_div_scale_f32 v23, s[10:11], v2, v21, v2
	v_div_scale_f32 v29, s[14:15], v5, v40, v5
	v_fma_f32 v47, -v30, v39, 1.0
	v_fmac_f32_e32 v37, v43, v37
	v_fmac_f32_e32 v38, v46, v38
	v_mul_f32_e32 v42, v15, v36
	v_div_scale_f32 v32, s[16:17], v4, v25, v4
	v_fmac_f32_e32 v39, v47, v39
	v_mul_f32_e32 v43, v23, v37
	v_mul_f32_e32 v46, v29, v38
	v_fma_f32 v49, -v14, v42, v15
	v_div_scale_f32 v35, s[20:21], v45, v45, v6
	v_fma_f32 v48, -v33, v41, 1.0
	v_mul_f32_e32 v47, v32, v39
	v_fma_f32 v50, -v19, v43, v23
	v_fma_f32 v51, -v28, v46, v29
	v_fmac_f32_e32 v42, v49, v36
	v_div_scale_f32 v34, s[18:19], v7, v16, v7
	v_fmac_f32_e32 v41, v48, v41
	v_fma_f32 v52, -v30, v47, v32
	v_fmac_f32_e32 v43, v50, v37
	v_fmac_f32_e32 v46, v51, v38
	v_fma_f32 v14, -v14, v42, v15
	s_mov_b64 s[20:21], vcc
	s_mov_b64 vcc, s[8:9]
	v_mul_f32_e32 v48, v34, v41
	v_fmac_f32_e32 v47, v52, v39
	v_fma_f32 v15, -v19, v43, v23
	v_fma_f32 v19, -v28, v46, v29
	v_div_fmas_f32 v29, v14, v36, v42
	s_mov_b64 vcc, s[10:11]
	v_rcp_f32_e32 v14, v35
	v_fma_f32 v53, -v33, v48, v34
	v_fma_f32 v23, -v30, v47, v32
	v_div_fmas_f32 v30, v15, v37, v43
	s_mov_b64 vcc, s[14:15]
	v_fmac_f32_e32 v48, v53, v41
	v_div_fmas_f32 v42, v19, v38, v46
	s_mov_b64 vcc, s[16:17]
	v_div_fmas_f32 v43, v23, v39, v47
	v_fma_f32 v15, -v33, v48, v34
	s_mov_b64 vcc, s[18:19]
	v_div_fmas_f32 v46, v15, v41, v48
	v_fma_f32 v15, -v35, v14, 1.0
	v_fmac_f32_e32 v14, v15, v14
	v_div_scale_f32 v15, vcc, v6, v45, v6
	v_mul_f32_e32 v19, v15, v14
	v_fma_f32 v23, -v35, v19, v15
	v_and_b32_e32 v47, 0xffff0000, v17
	v_fmac_f32_e32 v19, v23, v14
	v_div_scale_f32 v23, s[8:9], v47, v47, v9
	v_rcp_f32_e32 v28, v23
	v_fma_f32 v15, -v35, v19, v15
	v_div_fmas_f32 v48, v15, v14, v19
	v_lshlrev_b32_e32 v17, 16, v17
	v_fma_f32 v14, -v23, v28, 1.0
	v_fmac_f32_e32 v28, v14, v28
	v_div_scale_f32 v14, vcc, v9, v47, v9
	v_mul_f32_e32 v15, v14, v28
	v_fma_f32 v19, -v23, v15, v14
	v_fmac_f32_e32 v15, v19, v28
	v_div_scale_f32 v19, s[8:9], v17, v17, v8
	v_rcp_f32_e32 v32, v19
	v_fma_f32 v14, -v23, v15, v14
	v_div_fmas_f32 v49, v14, v28, v15
	s_movk_i32 s8, 0x2000
	v_fma_f32 v14, -v19, v32, 1.0
	v_fmac_f32_e32 v32, v14, v32
	v_div_scale_f32 v14, vcc, v8, v17, v8
	v_mul_f32_e32 v15, v14, v32
	v_fma_f32 v23, -v19, v15, v14
	v_fmac_f32_e32 v15, v23, v32
	v_fma_f32 v14, -v19, v15, v14
	v_div_fmas_f32 v50, v14, v32, v15
	v_add_co_u32_e32 v14, vcc, s8, v31
	v_addc_co_u32_e32 v15, vcc, 0, v44, vcc
	global_load_dwordx4 v[32:35], v[14:15], off
	v_add_co_u32_e32 v14, vcc, s33, v26
	v_addc_co_u32_e32 v15, vcc, 0, v27, vcc
	global_load_dwordx4 v[36:39], v[14:15], off
	v_addc_co_u32_e64 v19, vcc, 0, v27, s[6:7]
	v_div_fixup_f32 v5, v42, v40, v5
	v_div_fixup_f32 v4, v43, v25, v4
	global_load_dwordx4 v[40:43], v[18:19], off offset:16
	v_addc_co_u32_e64 v23, vcc, 0, v27, s[20:21]
	v_div_fixup_f32 v2, v30, v21, v2
	s_mov_b32 s8, 0x800000
	v_div_fixup_f32 v3, v29, v24, v3
	v_mov_b32_e32 v29, 0x800000
	v_cmp_ngt_f32_e32 vcc, s8, v2
	v_cndmask_b32_e32 v2, v29, v2, vcc
	v_cmp_ngt_f32_e32 vcc, s8, v3
	v_cndmask_b32_e32 v3, v29, v3, vcc
	s_mov_b32 s9, 0x3f7ffffe
	v_mov_b32_e32 v30, 0x3f7ffffe
	v_cmp_nlt_f32_e32 vcc, s9, v3
	v_cndmask_b32_e32 v3, v30, v3, vcc
	v_cmp_nlt_f32_e32 vcc, s9, v2
	v_cndmask_b32_e32 v2, v30, v2, vcc
	v_cmp_ngt_f32_e32 vcc, s8, v4
	v_cndmask_b32_e32 v4, v29, v4, vcc
	v_cmp_ngt_f32_e32 vcc, s8, v5
	v_cndmask_b32_e32 v5, v29, v5, vcc
	v_cmp_nlt_f32_e32 vcc, s9, v5
	v_cndmask_b32_e32 v5, v30, v5, vcc
	v_cmp_nlt_f32_e32 vcc, s9, v4
	v_div_fixup_f32 v6, v48, v45, v6
	v_cndmask_b32_e32 v4, v30, v4, vcc
	v_div_fixup_f32 v7, v46, v16, v7
	v_cmp_ngt_f32_e32 vcc, s8, v6
	v_cndmask_b32_e32 v6, v29, v6, vcc
	v_cmp_ngt_f32_e32 vcc, s8, v7
	v_cndmask_b32_e32 v7, v29, v7, vcc
	v_cmp_nlt_f32_e32 vcc, s9, v7
	v_cndmask_b32_e32 v7, v30, v7, vcc
	v_cmp_nlt_f32_e32 vcc, s9, v6
	v_div_fixup_f32 v8, v50, v17, v8
	v_cndmask_b32_e32 v6, v30, v6, vcc
	v_div_fixup_f32 v9, v49, v47, v9
	v_cmp_ngt_f32_e32 vcc, s8, v8
	v_cndmask_b32_e32 v8, v29, v8, vcc
	v_cmp_ngt_f32_e32 vcc, s8, v9
	v_cndmask_b32_e32 v9, v29, v9, vcc
	v_cmp_nlt_f32_e32 vcc, s9, v9
	v_cndmask_b32_e32 v9, v30, v9, vcc
	v_lshlrev_b32_e32 v28, 5, v20
	s_waitcnt vmcnt(3)
	v_and_b32_e32 v49, 0xffff0000, v10
	v_lshlrev_b32_e32 v50, 16, v10
	v_and_b32_e32 v52, 0xffff0000, v11
	v_lshlrev_b32_e32 v54, 16, v11
	;; [unrolled: 2-line block ×4, first 2 shown]
	s_movk_i32 s11, 0x6000
	s_mov_b32 s10, 0xc000
	s_add_u32 s6, s24, s30
	s_addc_u32 s7, s25, s31
	s_waitcnt vmcnt(2)
	v_and_b32_e32 v14, 0xffff0000, v32
	v_lshlrev_b32_e32 v17, 16, v32
	s_waitcnt vmcnt(1)
	v_div_scale_f32 v15, s[14:15], v14, v14, v37
	v_rcp_f32_e32 v16, v15
	v_fma_f32 v18, -v15, v16, 1.0
	v_fmac_f32_e32 v16, v18, v16
	v_div_scale_f32 v18, vcc, v37, v14, v37
	v_mul_f32_e32 v19, v18, v16
	v_fma_f32 v20, -v15, v19, v18
	v_fmac_f32_e32 v19, v20, v16
	v_fma_f32 v15, -v15, v19, v18
	v_div_scale_f32 v18, s[14:15], v17, v17, v36
	v_rcp_f32_e32 v20, v18
	v_div_fmas_f32 v15, v15, v16, v19
	v_div_fixup_f32 v45, v15, v14, v37
	v_fma_f32 v14, -v18, v20, 1.0
	v_fmac_f32_e32 v20, v14, v20
	v_div_scale_f32 v14, vcc, v36, v17, v36
	v_mul_f32_e32 v15, v14, v20
	v_fma_f32 v16, -v18, v15, v14
	v_fmac_f32_e32 v15, v16, v20
	v_fma_f32 v14, -v18, v15, v14
	v_and_b32_e32 v18, 0xffff0000, v33
	v_div_scale_f32 v19, s[14:15], v18, v18, v39
	v_rcp_f32_e32 v21, v19
	v_div_fmas_f32 v14, v14, v20, v15
	v_div_fixup_f32 v46, v14, v17, v36
	v_div_scale_f32 v24, vcc, v39, v18, v39
	v_fma_f32 v14, -v19, v21, 1.0
	v_fmac_f32_e32 v21, v14, v21
	v_mul_f32_e32 v25, v24, v21
	v_fma_f32 v32, -v19, v25, v24
	v_lshlrev_b32_e32 v20, 16, v33
	v_fmac_f32_e32 v25, v32, v21
	v_fma_f32 v19, -v19, v25, v24
	v_div_scale_f32 v24, s[14:15], v20, v20, v38
	v_rcp_f32_e32 v32, v24
	global_load_dwordx4 v[14:17], v28, s[28:29]
	v_div_fmas_f32 v19, v19, v21, v25
	v_div_fixup_f32 v47, v19, v18, v39
	v_fma_f32 v18, -v24, v32, 1.0
	v_fmac_f32_e32 v32, v18, v32
	v_div_scale_f32 v18, vcc, v38, v20, v38
	v_mul_f32_e32 v19, v18, v32
	v_fma_f32 v21, -v24, v19, v18
	v_fmac_f32_e32 v19, v21, v32
	v_and_b32_e32 v21, 0xffff0000, v34
	v_fma_f32 v18, -v24, v19, v18
	s_waitcnt vmcnt(1)
	v_div_scale_f32 v24, s[14:15], v21, v21, v41
	v_rcp_f32_e32 v25, v24
	v_div_fmas_f32 v18, v18, v32, v19
	v_div_fixup_f32 v48, v18, v20, v38
	v_lshlrev_b32_e32 v18, 16, v34
	v_fma_f32 v19, -v24, v25, 1.0
	v_fmac_f32_e32 v25, v19, v25
	v_div_scale_f32 v19, vcc, v41, v21, v41
	v_mul_f32_e32 v20, v19, v25
	v_fma_f32 v32, -v24, v20, v19
	v_fmac_f32_e32 v20, v32, v25
	v_fma_f32 v19, -v24, v20, v19
	v_div_scale_f32 v24, s[14:15], v18, v18, v40
	v_rcp_f32_e32 v32, v24
	v_div_fmas_f32 v19, v19, v25, v20
	v_div_fixup_f32 v41, v19, v21, v41
	v_fma_f32 v19, -v24, v32, 1.0
	v_fmac_f32_e32 v32, v19, v32
	v_div_scale_f32 v19, vcc, v40, v18, v40
	v_mul_f32_e32 v20, v19, v32
	v_fma_f32 v21, -v24, v20, v19
	v_fmac_f32_e32 v20, v21, v32
	v_fma_f32 v19, -v24, v20, v19
	v_and_b32_e32 v24, 0xffff0000, v35
	v_div_scale_f32 v25, s[14:15], v24, v24, v43
	v_rcp_f32_e32 v33, v25
	v_div_fmas_f32 v19, v19, v32, v20
	v_div_fixup_f32 v40, v19, v18, v40
	v_div_scale_f32 v34, vcc, v43, v24, v43
	v_fma_f32 v18, -v25, v33, 1.0
	v_fmac_f32_e32 v33, v18, v33
	global_load_dwordx4 v[18:21], v28, s[28:29] offset:16
	v_lshlrev_b32_e32 v32, 16, v35
	v_mul_f32_e32 v35, v34, v33
	v_fma_f32 v36, -v25, v35, v34
	v_fmac_f32_e32 v35, v36, v33
	v_fma_f32 v25, -v25, v35, v34
	v_div_scale_f32 v34, s[14:15], v32, v32, v42
	v_rcp_f32_e32 v36, v34
	v_div_fmas_f32 v25, v25, v33, v35
	v_div_fixup_f32 v43, v25, v24, v43
	v_fma_f32 v24, -v34, v36, 1.0
	v_fmac_f32_e32 v36, v24, v36
	v_div_scale_f32 v24, vcc, v42, v32, v42
	v_mul_f32_e32 v25, v24, v36
	v_fma_f32 v33, -v34, v25, v24
	v_fmac_f32_e32 v25, v33, v36
	v_fma_f32 v24, -v34, v25, v24
	v_div_fmas_f32 v24, v24, v36, v25
	v_div_fixup_f32 v42, v24, v32, v42
	s_waitcnt vmcnt(1)
	v_div_scale_f32 v33, s[14:15], v49, v49, v15
	v_rcp_f32_e32 v34, v33
	v_fma_f32 v10, -v33, v34, 1.0
	v_fmac_f32_e32 v34, v10, v34
	v_div_scale_f32 v10, vcc, v15, v49, v15
	v_mul_f32_e32 v24, v10, v34
	v_fma_f32 v25, -v33, v24, v10
	v_fmac_f32_e32 v24, v25, v34
	v_div_scale_f32 v25, s[14:15], v50, v50, v14
	v_rcp_f32_e32 v32, v25
	v_fma_f32 v10, -v33, v24, v10
	v_div_fmas_f32 v51, v10, v34, v24
	v_div_fixup_f32 v15, v51, v49, v15
	v_fma_f32 v10, -v25, v32, 1.0
	v_fmac_f32_e32 v32, v10, v32
	v_div_scale_f32 v10, vcc, v14, v50, v14
	v_mul_f32_e32 v24, v10, v32
	v_fma_f32 v33, -v25, v24, v10
	v_fmac_f32_e32 v24, v33, v32
	v_fma_f32 v10, -v25, v24, v10
	v_div_scale_f32 v25, s[14:15], v52, v52, v17
	v_rcp_f32_e32 v33, v25
	v_div_fmas_f32 v53, v10, v32, v24
	v_div_fixup_f32 v14, v53, v50, v14
	v_fma_f32 v10, -v25, v33, 1.0
	v_fmac_f32_e32 v33, v10, v33
	v_div_scale_f32 v10, vcc, v17, v52, v17
	v_mul_f32_e32 v11, v10, v33
	v_fma_f32 v24, -v25, v11, v10
	v_fmac_f32_e32 v11, v24, v33
	v_div_scale_f32 v24, s[14:15], v54, v54, v16
	v_rcp_f32_e32 v32, v24
	v_fma_f32 v10, -v25, v11, v10
	v_div_fmas_f32 v55, v10, v33, v11
	v_div_fixup_f32 v17, v55, v52, v17
	v_fma_f32 v10, -v24, v32, 1.0
	v_fmac_f32_e32 v32, v10, v32
	v_div_scale_f32 v10, vcc, v16, v54, v16
	s_waitcnt vmcnt(0)
	v_div_scale_f32 v33, s[14:15], v56, v56, v19
	v_mul_f32_e32 v11, v10, v32
	v_rcp_f32_e32 v34, v33
	v_fma_f32 v25, -v24, v11, v10
	v_fmac_f32_e32 v11, v25, v32
	v_fma_f32 v10, -v24, v11, v10
	v_div_fmas_f32 v57, v10, v32, v11
	v_fma_f32 v10, -v33, v34, 1.0
	v_fmac_f32_e32 v34, v10, v34
	v_div_scale_f32 v10, vcc, v19, v56, v19
	v_mul_f32_e32 v11, v10, v34
	v_fma_f32 v12, -v33, v11, v10
	v_fmac_f32_e32 v11, v12, v34
	v_div_scale_f32 v12, s[14:15], v58, v58, v18
	v_rcp_f32_e32 v32, v12
	v_fma_f32 v10, -v33, v11, v10
	v_div_fmas_f32 v59, v10, v34, v11
	global_load_dwordx4 v[22:25], v[22:23], off offset:16
	v_fma_f32 v10, -v12, v32, 1.0
	v_fmac_f32_e32 v32, v10, v32
	v_div_scale_f32 v10, vcc, v18, v58, v18
	v_mul_f32_e32 v11, v10, v32
	v_fma_f32 v33, -v12, v11, v10
	v_fmac_f32_e32 v11, v33, v32
	v_fma_f32 v10, -v12, v11, v10
	v_div_scale_f32 v12, s[14:15], v60, v60, v21
	v_rcp_f32_e32 v33, v12
	v_div_fmas_f32 v61, v10, v32, v11
	v_div_fixup_f32 v16, v57, v54, v16
	v_div_fixup_f32 v18, v61, v58, v18
	v_fma_f32 v10, -v12, v33, 1.0
	v_fmac_f32_e32 v33, v10, v33
	v_div_scale_f32 v10, vcc, v21, v60, v21
	v_mul_f32_e32 v11, v10, v33
	v_fma_f32 v13, -v12, v11, v10
	v_fmac_f32_e32 v11, v13, v33
	v_div_scale_f32 v13, s[14:15], v62, v62, v20
	v_rcp_f32_e32 v32, v13
	v_fma_f32 v10, -v12, v11, v10
	v_div_fmas_f32 v63, v10, v33, v11
	v_div_fixup_f32 v19, v59, v56, v19
	v_fma_f32 v10, -v13, v32, 1.0
	v_fmac_f32_e32 v32, v10, v32
	v_div_scale_f32 v10, vcc, v20, v62, v20
	v_mul_f32_e32 v11, v10, v32
	v_fma_f32 v12, -v13, v11, v10
	v_fmac_f32_e32 v11, v12, v32
	v_fma_f32 v10, -v13, v11, v10
	v_div_fmas_f32 v64, v10, v32, v11
	v_add_co_u32_e32 v10, vcc, s11, v31
	v_addc_co_u32_e32 v11, vcc, 0, v44, vcc
	global_load_dwordx4 v[32:35], v[10:11], off
	v_add_co_u32_e32 v10, vcc, s10, v26
	v_addc_co_u32_e32 v11, vcc, 0, v27, vcc
	global_load_dwordx4 v[36:39], v[10:11], off
	v_cmp_nlt_f32_e32 vcc, s9, v8
	v_cndmask_b32_e32 v8, v30, v8, vcc
	v_cmp_ngt_f32_e32 vcc, s8, v46
	v_cndmask_b32_e32 v10, v29, v46, vcc
	v_cmp_ngt_f32_e32 vcc, s8, v45
	v_cndmask_b32_e32 v11, v29, v45, vcc
	v_cmp_nlt_f32_e32 vcc, s9, v11
	v_cndmask_b32_e32 v11, v30, v11, vcc
	v_cmp_nlt_f32_e32 vcc, s9, v10
	v_cndmask_b32_e32 v10, v30, v10, vcc
	v_cmp_ngt_f32_e32 vcc, s8, v48
	v_cndmask_b32_e32 v12, v29, v48, vcc
	v_cmp_ngt_f32_e32 vcc, s8, v47
	v_cndmask_b32_e32 v13, v29, v47, vcc
	v_cmp_nlt_f32_e32 vcc, s9, v13
	v_cndmask_b32_e32 v13, v30, v13, vcc
	;; [unrolled: 8-line block ×3, first 2 shown]
	v_cmp_nlt_f32_e32 vcc, s9, v26
	v_cndmask_b32_e32 v40, v30, v26, vcc
	v_cmp_ngt_f32_e32 vcc, s8, v43
	v_cndmask_b32_e32 v27, v29, v43, vcc
	v_cmp_nlt_f32_e32 vcc, s9, v27
	v_mov_b32_e32 v26, s7
	v_cndmask_b32_e32 v43, v30, v27, vcc
	v_add_co_u32_e32 v27, vcc, s6, v1
	v_addc_co_u32_e32 v26, vcc, 0, v26, vcc
	v_cmp_ngt_f32_e32 vcc, s8, v42
	v_cndmask_b32_e32 v31, v29, v42, vcc
	v_cmp_nlt_f32_e32 vcc, s9, v31
	v_cndmask_b32_e32 v42, v30, v31, vcc
	v_cmp_ngt_f32_e32 vcc, s8, v14
	v_cndmask_b32_e32 v14, v29, v14, vcc
	v_cmp_ngt_f32_e32 vcc, s8, v15
	v_cndmask_b32_e32 v15, v29, v15, vcc
	v_cmp_nlt_f32_e32 vcc, s9, v15
	v_cndmask_b32_e32 v15, v30, v15, vcc
	v_cmp_nlt_f32_e32 vcc, s9, v14
	v_cndmask_b32_e32 v14, v30, v14, vcc
	v_cmp_ngt_f32_e32 vcc, s8, v16
	v_cndmask_b32_e32 v16, v29, v16, vcc
	v_cmp_ngt_f32_e32 vcc, s8, v17
	v_cndmask_b32_e32 v17, v29, v17, vcc
	v_cmp_nlt_f32_e32 vcc, s9, v17
	;; [unrolled: 8-line block ×3, first 2 shown]
	v_cndmask_b32_e32 v19, v30, v19, vcc
	v_cmp_nlt_f32_e32 vcc, s9, v18
	v_div_fixup_f32 v20, v64, v62, v20
	v_cndmask_b32_e32 v18, v30, v18, vcc
	v_div_fixup_f32 v21, v63, v60, v21
	v_cmp_ngt_f32_e32 vcc, s8, v20
	v_cndmask_b32_e32 v20, v29, v20, vcc
	v_cmp_ngt_f32_e32 vcc, s8, v21
	v_cndmask_b32_e32 v21, v29, v21, vcc
	v_cmp_nlt_f32_e32 vcc, s9, v21
	v_cndmask_b32_e32 v21, v30, v21, vcc
	v_cmp_nlt_f32_e32 vcc, s9, v20
	v_cndmask_b32_e32 v20, v30, v20, vcc
	global_store_dwordx4 v1, v[2:5], s[6:7]
	global_store_dwordx4 v1, v[6:9], s[6:7] offset:16
	s_waitcnt vmcnt(3)
	v_and_b32_e32 v31, 0xffff0000, v32
	v_lshlrev_b32_e32 v32, 16, v32
	s_waitcnt vmcnt(2)
	v_div_scale_f32 v44, s[10:11], v31, v31, v37
	v_rcp_f32_e32 v45, v44
	v_fma_f32 v46, -v44, v45, 1.0
	v_fmac_f32_e32 v45, v46, v45
	v_div_scale_f32 v46, vcc, v37, v31, v37
	v_mul_f32_e32 v47, v46, v45
	v_fma_f32 v48, -v44, v47, v46
	v_fmac_f32_e32 v47, v48, v45
	v_fma_f32 v44, -v44, v47, v46
	v_div_scale_f32 v46, s[10:11], v32, v32, v36
	v_rcp_f32_e32 v48, v46
	v_div_fmas_f32 v44, v44, v45, v47
	v_div_fixup_f32 v31, v44, v31, v37
	v_fma_f32 v37, -v46, v48, 1.0
	v_fmac_f32_e32 v48, v37, v48
	v_div_scale_f32 v37, vcc, v36, v32, v36
	v_mul_f32_e32 v44, v37, v48
	v_fma_f32 v45, -v46, v44, v37
	v_fmac_f32_e32 v44, v45, v48
	v_fma_f32 v37, -v46, v44, v37
	v_div_fmas_f32 v37, v37, v48, v44
	v_div_fixup_f32 v32, v37, v32, v36
	v_cmp_ngt_f32_e32 vcc, s8, v32
	v_cndmask_b32_e32 v32, v29, v32, vcc
	v_cmp_ngt_f32_e32 vcc, s8, v31
	v_cndmask_b32_e32 v31, v29, v31, vcc
	v_cmp_nlt_f32_e32 vcc, s9, v31
	v_cndmask_b32_e32 v37, v30, v31, vcc
	v_and_b32_e32 v31, 0xffff0000, v33
	v_div_scale_f32 v44, s[10:11], v31, v31, v39
	v_rcp_f32_e32 v45, v44
	v_cmp_nlt_f32_e32 vcc, s9, v32
	v_cndmask_b32_e32 v36, v30, v32, vcc
	v_lshlrev_b32_e32 v32, 16, v33
	v_fma_f32 v33, -v44, v45, 1.0
	v_fmac_f32_e32 v45, v33, v45
	v_div_scale_f32 v33, vcc, v39, v31, v39
	v_mul_f32_e32 v46, v33, v45
	v_fma_f32 v47, -v44, v46, v33
	v_fmac_f32_e32 v46, v47, v45
	v_fma_f32 v33, -v44, v46, v33
	v_div_scale_f32 v44, s[10:11], v32, v32, v38
	v_rcp_f32_e32 v47, v44
	v_div_fmas_f32 v33, v33, v45, v46
	v_div_fixup_f32 v31, v33, v31, v39
	v_fma_f32 v33, -v44, v47, 1.0
	v_fmac_f32_e32 v47, v33, v47
	v_div_scale_f32 v33, vcc, v38, v32, v38
	v_mul_f32_e32 v39, v33, v47
	v_fma_f32 v45, -v44, v39, v33
	v_fmac_f32_e32 v39, v45, v47
	v_fma_f32 v33, -v44, v39, v33
	v_div_fmas_f32 v33, v33, v47, v39
	v_div_fixup_f32 v32, v33, v32, v38
	v_cmp_ngt_f32_e32 vcc, s8, v32
	v_cndmask_b32_e32 v32, v29, v32, vcc
	v_cmp_ngt_f32_e32 vcc, s8, v31
	v_cndmask_b32_e32 v31, v29, v31, vcc
	v_cmp_nlt_f32_e32 vcc, s9, v31
	v_cndmask_b32_e32 v39, v30, v31, vcc
	v_and_b32_e32 v31, 0xffff0000, v34
	v_div_scale_f32 v33, s[10:11], v31, v31, v23
	v_rcp_f32_e32 v44, v33
	v_cmp_nlt_f32_e32 vcc, s9, v32
	v_cndmask_b32_e32 v38, v30, v32, vcc
	v_lshlrev_b32_e32 v32, 16, v34
	v_fma_f32 v34, -v33, v44, 1.0
	v_fmac_f32_e32 v44, v34, v44
	v_div_scale_f32 v34, vcc, v23, v31, v23
	v_mul_f32_e32 v45, v34, v44
	v_fma_f32 v46, -v33, v45, v34
	v_fmac_f32_e32 v45, v46, v44
	v_fma_f32 v33, -v33, v45, v34
	v_div_scale_f32 v34, s[10:11], v32, v32, v22
	v_rcp_f32_e32 v46, v34
	v_div_fmas_f32 v33, v33, v44, v45
	v_div_fixup_f32 v23, v33, v31, v23
	v_fma_f32 v31, -v34, v46, 1.0
	v_fmac_f32_e32 v46, v31, v46
	v_div_scale_f32 v31, vcc, v22, v32, v22
	v_mul_f32_e32 v33, v31, v46
	v_fma_f32 v44, -v34, v33, v31
	v_fmac_f32_e32 v33, v44, v46
	v_fma_f32 v31, -v34, v33, v31
	v_div_fmas_f32 v31, v31, v46, v33
	v_div_fixup_f32 v22, v31, v32, v22
	v_and_b32_e32 v31, 0xffff0000, v35
	v_div_scale_f32 v32, s[10:11], v31, v31, v25
	v_cmp_ngt_f32_e32 vcc, s8, v22
	v_rcp_f32_e32 v33, v32
	v_cndmask_b32_e32 v22, v29, v22, vcc
	v_cmp_ngt_f32_e32 vcc, s8, v23
	v_cndmask_b32_e32 v23, v29, v23, vcc
	v_cmp_nlt_f32_e32 vcc, s9, v23
	v_cndmask_b32_e32 v23, v30, v23, vcc
	v_cmp_nlt_f32_e32 vcc, s9, v22
	v_lshlrev_b32_e32 v34, 16, v35
	v_fma_f32 v35, -v32, v33, 1.0
	v_cndmask_b32_e32 v22, v30, v22, vcc
	v_fmac_f32_e32 v33, v35, v33
	v_div_scale_f32 v35, vcc, v25, v31, v25
	v_mul_f32_e32 v44, v35, v33
	v_fma_f32 v45, -v32, v44, v35
	v_fmac_f32_e32 v44, v45, v33
	v_fma_f32 v32, -v32, v44, v35
	v_div_scale_f32 v35, s[10:11], v34, v34, v24
	v_rcp_f32_e32 v45, v35
	v_div_fmas_f32 v32, v32, v33, v44
	v_div_fixup_f32 v25, v32, v31, v25
	v_fma_f32 v31, -v35, v45, 1.0
	v_fmac_f32_e32 v45, v31, v45
	v_div_scale_f32 v31, vcc, v24, v34, v24
	v_mul_f32_e32 v32, v31, v45
	v_fma_f32 v33, -v35, v32, v31
	v_fmac_f32_e32 v32, v33, v45
	v_fma_f32 v31, -v35, v32, v31
	v_div_fmas_f32 v31, v31, v45, v32
	v_div_fixup_f32 v24, v31, v34, v24
	v_cmp_ngt_f32_e32 vcc, s8, v24
	v_cndmask_b32_e32 v24, v29, v24, vcc
	v_cmp_ngt_f32_e32 vcc, s8, v25
	v_cndmask_b32_e32 v25, v29, v25, vcc
	v_cmp_nlt_f32_e32 vcc, s9, v25
	v_cndmask_b32_e32 v25, v30, v25, vcc
	v_cmp_nlt_f32_e32 vcc, s9, v24
	v_cndmask_b32_e32 v24, v30, v24, vcc
	v_add_co_u32_e32 v2, vcc, s33, v27
	v_addc_co_u32_e32 v3, vcc, 0, v26, vcc
	global_store_dwordx4 v[2:3], v[10:13], off
	global_store_dwordx4 v[2:3], v[40:43], off offset:16
	global_store_dwordx4 v28, v[14:17], s[6:7]
	global_store_dwordx4 v28, v[18:21], s[6:7] offset:16
	v_add_co_u32_e32 v2, vcc, 0xc000, v27
	v_addc_co_u32_e32 v3, vcc, 0, v26, vcc
	global_store_dwordx4 v[2:3], v[36:39], off
	global_store_dwordx4 v[2:3], v[22:25], off offset:16
	s_cbranch_execnz .LBB15_2
.LBB15_4:
	s_load_dword s6, s[4:5], 0x24
	s_load_dwordx4 s[16:19], s[4:5], 0x28
	s_add_u32 s8, s4, 56
	s_addc_u32 s9, s5, 0
	v_mov_b32_e32 v31, v0
	s_waitcnt lgkmcnt(0)
	v_lshrrev_b16_e64 v8, 8, s6
	v_mov_b32_e32 v0, s24
	v_mov_b32_e32 v1, s25
	;; [unrolled: 1-line block ×12, first 2 shown]
	s_getpc_b64 s[4:5]
	s_add_u32 s4, s4, _ZN2at6native25elementwise_kernel_helperILb1EZZZNS0_23launch_dirichlet_kernelERNS_18TensorIteratorBaseEENKUlvE_clEvENKUlvE0_clEvEUlffE_NS0_6memory8policies11unroll_baseILi512ESt5arrayIPcLm3EE23TrivialOffsetCalculatorILi2EjESD_ILi1EjENS7_12LoadWithCastILi2EEENS7_13StoreWithCastILi1EEELi32ELi1EEEEEvT0_T1_@rel32@lo+4
	s_addc_u32 s5, s5, _ZN2at6native25elementwise_kernel_helperILb1EZZZNS0_23launch_dirichlet_kernelERNS_18TensorIteratorBaseEENKUlvE_clEvENKUlvE0_clEvEUlffE_NS0_6memory8policies11unroll_baseILi512ESt5arrayIPcLm3EE23TrivialOffsetCalculatorILi2EjESD_ILi1EjENS7_12LoadWithCastILi2EEENS7_13StoreWithCastILi1EEELi32ELi1EEEEEvT0_T1_@rel32@hi+12
	s_swappc_b64 s[30:31], s[4:5]
	s_endpgm
	.section	.rodata,"a",@progbits
	.p2align	6, 0x0
	.amdhsa_kernel _ZN2at6native39vectorized_templated_elementwise_kernelILi8EZZZNS0_23launch_dirichlet_kernelERNS_18TensorIteratorBaseEENKUlvE_clEvENKUlvE0_clEvEUlffE_St5arrayIPcLm3EE23TrivialOffsetCalculatorILi2EjESA_ILi1EjENS0_6memory12LoadWithCastILi2EEENSD_13StoreWithCastILi1EEEfJfN3c108BFloat16EEEEviT0_T1_T2_T3_T4_T5_
		.amdhsa_group_segment_fixed_size 0
		.amdhsa_private_segment_fixed_size 288
		.amdhsa_kernarg_size 312
		.amdhsa_user_sgpr_count 8
		.amdhsa_user_sgpr_private_segment_buffer 1
		.amdhsa_user_sgpr_dispatch_ptr 0
		.amdhsa_user_sgpr_queue_ptr 0
		.amdhsa_user_sgpr_kernarg_segment_ptr 1
		.amdhsa_user_sgpr_dispatch_id 0
		.amdhsa_user_sgpr_flat_scratch_init 1
		.amdhsa_user_sgpr_kernarg_preload_length 0
		.amdhsa_user_sgpr_kernarg_preload_offset 0
		.amdhsa_user_sgpr_private_segment_size 0
		.amdhsa_uses_dynamic_stack 0
		.amdhsa_system_sgpr_private_segment_wavefront_offset 1
		.amdhsa_system_sgpr_workgroup_id_x 1
		.amdhsa_system_sgpr_workgroup_id_y 0
		.amdhsa_system_sgpr_workgroup_id_z 0
		.amdhsa_system_sgpr_workgroup_info 0
		.amdhsa_system_vgpr_workitem_id 0
		.amdhsa_next_free_vgpr 118
		.amdhsa_next_free_sgpr 98
		.amdhsa_accum_offset 120
		.amdhsa_reserve_vcc 1
		.amdhsa_reserve_flat_scratch 1
		.amdhsa_float_round_mode_32 0
		.amdhsa_float_round_mode_16_64 0
		.amdhsa_float_denorm_mode_32 3
		.amdhsa_float_denorm_mode_16_64 3
		.amdhsa_dx10_clamp 1
		.amdhsa_ieee_mode 1
		.amdhsa_fp16_overflow 0
		.amdhsa_tg_split 0
		.amdhsa_exception_fp_ieee_invalid_op 0
		.amdhsa_exception_fp_denorm_src 0
		.amdhsa_exception_fp_ieee_div_zero 0
		.amdhsa_exception_fp_ieee_overflow 0
		.amdhsa_exception_fp_ieee_underflow 0
		.amdhsa_exception_fp_ieee_inexact 0
		.amdhsa_exception_int_div_zero 0
	.end_amdhsa_kernel
	.section	.text._ZN2at6native39vectorized_templated_elementwise_kernelILi8EZZZNS0_23launch_dirichlet_kernelERNS_18TensorIteratorBaseEENKUlvE_clEvENKUlvE0_clEvEUlffE_St5arrayIPcLm3EE23TrivialOffsetCalculatorILi2EjESA_ILi1EjENS0_6memory12LoadWithCastILi2EEENSD_13StoreWithCastILi1EEEfJfN3c108BFloat16EEEEviT0_T1_T2_T3_T4_T5_,"axG",@progbits,_ZN2at6native39vectorized_templated_elementwise_kernelILi8EZZZNS0_23launch_dirichlet_kernelERNS_18TensorIteratorBaseEENKUlvE_clEvENKUlvE0_clEvEUlffE_St5arrayIPcLm3EE23TrivialOffsetCalculatorILi2EjESA_ILi1EjENS0_6memory12LoadWithCastILi2EEENSD_13StoreWithCastILi1EEEfJfN3c108BFloat16EEEEviT0_T1_T2_T3_T4_T5_,comdat
.Lfunc_end15:
	.size	_ZN2at6native39vectorized_templated_elementwise_kernelILi8EZZZNS0_23launch_dirichlet_kernelERNS_18TensorIteratorBaseEENKUlvE_clEvENKUlvE0_clEvEUlffE_St5arrayIPcLm3EE23TrivialOffsetCalculatorILi2EjESA_ILi1EjENS0_6memory12LoadWithCastILi2EEENSD_13StoreWithCastILi1EEEfJfN3c108BFloat16EEEEviT0_T1_T2_T3_T4_T5_, .Lfunc_end15-_ZN2at6native39vectorized_templated_elementwise_kernelILi8EZZZNS0_23launch_dirichlet_kernelERNS_18TensorIteratorBaseEENKUlvE_clEvENKUlvE0_clEvEUlffE_St5arrayIPcLm3EE23TrivialOffsetCalculatorILi2EjESA_ILi1EjENS0_6memory12LoadWithCastILi2EEENSD_13StoreWithCastILi1EEEfJfN3c108BFloat16EEEEviT0_T1_T2_T3_T4_T5_
                                        ; -- End function
	.section	.AMDGPU.csdata,"",@progbits
; Kernel info:
; codeLenInByte = 3700
; NumSgprs: 104
; NumVgprs: 118
; NumAgprs: 0
; TotalNumVgprs: 118
; ScratchSize: 288
; MemoryBound: 0
; FloatMode: 240
; IeeeMode: 1
; LDSByteSize: 0 bytes/workgroup (compile time only)
; SGPRBlocks: 12
; VGPRBlocks: 14
; NumSGPRsForWavesPerEU: 104
; NumVGPRsForWavesPerEU: 118
; AccumOffset: 120
; Occupancy: 4
; WaveLimiterHint : 0
; COMPUTE_PGM_RSRC2:SCRATCH_EN: 1
; COMPUTE_PGM_RSRC2:USER_SGPR: 8
; COMPUTE_PGM_RSRC2:TRAP_HANDLER: 0
; COMPUTE_PGM_RSRC2:TGID_X_EN: 1
; COMPUTE_PGM_RSRC2:TGID_Y_EN: 0
; COMPUTE_PGM_RSRC2:TGID_Z_EN: 0
; COMPUTE_PGM_RSRC2:TIDIG_COMP_CNT: 0
; COMPUTE_PGM_RSRC3_GFX90A:ACCUM_OFFSET: 29
; COMPUTE_PGM_RSRC3_GFX90A:TG_SPLIT: 0
	.section	.text._ZN2at6native39vectorized_templated_elementwise_kernelILi4EZZZNS0_23launch_dirichlet_kernelERNS_18TensorIteratorBaseEENKUlvE_clEvENKUlvE0_clEvEUlffE_St5arrayIPcLm3EE23TrivialOffsetCalculatorILi2EjESA_ILi1EjENS0_6memory12LoadWithCastILi2EEENSD_13StoreWithCastILi1EEEfJfN3c108BFloat16EEEEviT0_T1_T2_T3_T4_T5_,"axG",@progbits,_ZN2at6native39vectorized_templated_elementwise_kernelILi4EZZZNS0_23launch_dirichlet_kernelERNS_18TensorIteratorBaseEENKUlvE_clEvENKUlvE0_clEvEUlffE_St5arrayIPcLm3EE23TrivialOffsetCalculatorILi2EjESA_ILi1EjENS0_6memory12LoadWithCastILi2EEENSD_13StoreWithCastILi1EEEfJfN3c108BFloat16EEEEviT0_T1_T2_T3_T4_T5_,comdat
	.globl	_ZN2at6native39vectorized_templated_elementwise_kernelILi4EZZZNS0_23launch_dirichlet_kernelERNS_18TensorIteratorBaseEENKUlvE_clEvENKUlvE0_clEvEUlffE_St5arrayIPcLm3EE23TrivialOffsetCalculatorILi2EjESA_ILi1EjENS0_6memory12LoadWithCastILi2EEENSD_13StoreWithCastILi1EEEfJfN3c108BFloat16EEEEviT0_T1_T2_T3_T4_T5_ ; -- Begin function _ZN2at6native39vectorized_templated_elementwise_kernelILi4EZZZNS0_23launch_dirichlet_kernelERNS_18TensorIteratorBaseEENKUlvE_clEvENKUlvE0_clEvEUlffE_St5arrayIPcLm3EE23TrivialOffsetCalculatorILi2EjESA_ILi1EjENS0_6memory12LoadWithCastILi2EEENSD_13StoreWithCastILi1EEEfJfN3c108BFloat16EEEEviT0_T1_T2_T3_T4_T5_
	.p2align	8
	.type	_ZN2at6native39vectorized_templated_elementwise_kernelILi4EZZZNS0_23launch_dirichlet_kernelERNS_18TensorIteratorBaseEENKUlvE_clEvENKUlvE0_clEvEUlffE_St5arrayIPcLm3EE23TrivialOffsetCalculatorILi2EjESA_ILi1EjENS0_6memory12LoadWithCastILi2EEENSD_13StoreWithCastILi1EEEfJfN3c108BFloat16EEEEviT0_T1_T2_T3_T4_T5_,@function
_ZN2at6native39vectorized_templated_elementwise_kernelILi4EZZZNS0_23launch_dirichlet_kernelERNS_18TensorIteratorBaseEENKUlvE_clEvENKUlvE0_clEvEUlffE_St5arrayIPcLm3EE23TrivialOffsetCalculatorILi2EjESA_ILi1EjENS0_6memory12LoadWithCastILi2EEENSD_13StoreWithCastILi1EEEfJfN3c108BFloat16EEEEviT0_T1_T2_T3_T4_T5_: ; @_ZN2at6native39vectorized_templated_elementwise_kernelILi4EZZZNS0_23launch_dirichlet_kernelERNS_18TensorIteratorBaseEENKUlvE_clEvENKUlvE0_clEvEUlffE_St5arrayIPcLm3EE23TrivialOffsetCalculatorILi2EjESA_ILi1EjENS0_6memory12LoadWithCastILi2EEENSD_13StoreWithCastILi1EEEfJfN3c108BFloat16EEEEviT0_T1_T2_T3_T4_T5_
; %bb.0:
	s_add_u32 flat_scratch_lo, s6, s9
	s_addc_u32 flat_scratch_hi, s7, 0
	s_add_u32 s0, s0, s9
	s_load_dword s6, s[4:5], 0x38
	s_load_dwordx2 s[14:15], s[4:5], 0x18
	s_load_dword s7, s[4:5], 0x0
	s_load_dwordx4 s[16:19], s[4:5], 0x8
	s_addc_u32 s1, s1, 0
	s_mov_b32 s12, s8
	s_not_b32 s8, s8
	s_waitcnt lgkmcnt(0)
	s_add_i32 s6, s6, s8
	s_lshl_b32 s6, s6, 14
	s_sub_i32 s13, s7, s6
	s_cmpk_gt_i32 s13, 0x3fff
	s_mov_b64 s[8:9], -1
	s_mov_b32 s32, 0
	s_cbranch_scc1 .LBB16_3
; %bb.1:
	s_andn2_b64 vcc, exec, s[8:9]
	s_cbranch_vccz .LBB16_4
.LBB16_2:
	s_endpgm
.LBB16_3:
	s_ashr_i32 s7, s6, 31
	s_lshl_b64 s[20:21], s[6:7], 2
	s_add_u32 s22, s18, s20
	s_addc_u32 s23, s19, s21
	s_lshl_b64 s[6:7], s[6:7], 1
	s_add_u32 s24, s14, s6
	s_addc_u32 s25, s15, s7
	v_lshlrev_b32_e32 v8, 3, v0
	global_load_dwordx2 v[6:7], v8, s[24:25]
	v_lshlrev_b32_e32 v1, 4, v0
	global_load_dwordx4 v[2:5], v1, s[22:23]
	v_or_b32_e32 v9, 0x400, v0
	v_lshlrev_b32_e32 v26, 4, v9
	v_lshlrev_b32_e32 v18, 3, v9
	v_mov_b32_e32 v9, s23
	v_add_co_u32_e32 v28, vcc, s22, v1
	v_addc_co_u32_e32 v27, vcc, 0, v9, vcc
	v_mov_b32_e32 v9, s25
	v_add_co_u32_e32 v36, vcc, s24, v8
	s_movk_i32 s6, 0x1000
	v_addc_co_u32_e32 v37, vcc, 0, v9, vcc
	v_add_co_u32_e32 v8, vcc, s6, v36
	s_movk_i32 s7, 0x3000
	v_addc_co_u32_e32 v9, vcc, 0, v37, vcc
	v_add_co_u32_e32 v10, vcc, s7, v36
	s_movk_i32 s8, 0x5000
	v_addc_co_u32_e32 v11, vcc, 0, v37, vcc
	v_or_b32_e32 v29, 0x800, v0
	v_add_co_u32_e32 v12, vcc, s8, v36
	v_lshlrev_b32_e32 v19, 3, v29
	global_load_dwordx4 v[14:17], v26, s[22:23]
	v_addc_co_u32_e32 v13, vcc, 0, v37, vcc
	global_load_dwordx2 v[22:23], v[8:9], off
	global_load_dwordx2 v[24:25], v18, s[24:25]
	global_load_dwordx2 v[30:31], v[10:11], off
	global_load_dwordx2 v[32:33], v19, s[24:25]
	global_load_dwordx2 v[34:35], v[12:13], off
	s_movk_i32 s26, 0x2000
	v_lshlrev_b32_e32 v29, 4, v29
	s_waitcnt vmcnt(7)
	v_and_b32_e32 v9, 0xffff0000, v6
	v_lshlrev_b32_e32 v8, 16, v6
	s_waitcnt vmcnt(6)
	v_div_scale_f32 v6, s[6:7], v9, v9, v3
	v_and_b32_e32 v39, 0xffff0000, v7
	v_div_scale_f32 v10, s[6:7], v8, v8, v2
	v_rcp_f32_e32 v20, v6
	v_lshlrev_b32_e32 v38, 16, v7
	v_div_scale_f32 v12, s[8:9], v39, v39, v5
	v_rcp_f32_e32 v21, v10
	v_div_scale_f32 v18, s[10:11], v38, v38, v4
	v_rcp_f32_e32 v40, v12
	v_rcp_f32_e32 v41, v18
	v_fma_f32 v42, -v6, v20, 1.0
	v_div_scale_f32 v7, vcc, v3, v9, v3
	v_fma_f32 v43, -v10, v21, 1.0
	v_fmac_f32_e32 v20, v42, v20
	v_div_scale_f32 v11, s[6:7], v2, v8, v2
	v_fma_f32 v44, -v12, v40, 1.0
	v_fmac_f32_e32 v21, v43, v21
	v_mul_f32_e32 v42, v7, v20
	v_div_scale_f32 v13, s[8:9], v5, v39, v5
	v_fma_f32 v45, -v18, v41, 1.0
	v_fmac_f32_e32 v40, v44, v40
	v_mul_f32_e32 v43, v11, v21
	v_fma_f32 v46, -v6, v42, v7
	v_div_scale_f32 v19, s[10:11], v4, v38, v4
	v_fmac_f32_e32 v41, v45, v41
	v_mul_f32_e32 v44, v13, v40
	v_fma_f32 v47, -v10, v43, v11
	v_fmac_f32_e32 v42, v46, v20
	v_mul_f32_e32 v45, v19, v41
	v_fma_f32 v48, -v12, v44, v13
	v_fmac_f32_e32 v43, v47, v21
	v_fma_f32 v6, -v6, v42, v7
	v_fma_f32 v49, -v18, v45, v19
	v_fmac_f32_e32 v44, v48, v40
	v_fma_f32 v7, -v10, v43, v11
	v_div_fmas_f32 v42, v6, v20, v42
	s_mov_b64 vcc, s[6:7]
	v_fmac_f32_e32 v45, v49, v41
	v_fma_f32 v10, -v12, v44, v13
	v_div_fmas_f32 v47, v7, v21, v43
	s_mov_b64 vcc, s[8:9]
	v_fma_f32 v11, -v18, v45, v19
	v_div_fmas_f32 v40, v10, v40, v44
	s_mov_b64 vcc, s[10:11]
	v_div_fmas_f32 v41, v11, v41, v45
	v_add_co_u32_e32 v6, vcc, s26, v28
	v_addc_co_u32_e32 v7, vcc, 0, v27, vcc
	global_load_dwordx4 v[18:21], v[6:7], off
	s_movk_i32 s6, 0x7000
	v_or_b32_e32 v48, 0xc00, v0
	v_add_co_u32_e32 v6, vcc, s6, v36
	s_waitcnt vmcnt(5)
	v_lshlrev_b32_e32 v36, 16, v22
	v_and_b32_e32 v22, 0xffff0000, v22
	v_lshlrev_b32_e32 v43, 3, v48
	v_addc_co_u32_e32 v7, vcc, 0, v37, vcc
	v_lshlrev_b32_e32 v49, 16, v23
	v_and_b32_e32 v23, 0xffff0000, v23
	v_div_fixup_f32 v47, v47, v8, v2
	global_load_dwordx2 v[10:11], v43, s[24:25]
	global_load_dwordx2 v[12:13], v[6:7], off
	s_waitcnt vmcnt(4)
	v_lshlrev_b32_e32 v45, 16, v32
	v_and_b32_e32 v46, 0xffff0000, v32
	v_lshlrev_b32_e32 v43, 16, v33
	v_and_b32_e32 v44, 0xffff0000, v33
	s_waitcnt vmcnt(3)
	v_lshlrev_b32_e32 v32, 16, v34
	v_and_b32_e32 v33, 0xffff0000, v34
	v_lshlrev_b32_e32 v52, 16, v30
	v_and_b32_e32 v53, 0xffff0000, v30
	;; [unrolled: 2-line block ×4, first 2 shown]
	v_div_fixup_f32 v56, v42, v9, v3
	v_div_fixup_f32 v5, v40, v39, v5
	v_lshlrev_b32_e32 v50, 16, v24
	v_and_b32_e32 v24, 0xffff0000, v24
	v_div_scale_f32 v6, s[6:7], v24, v24, v15
	v_lshlrev_b32_e32 v51, 16, v25
	v_and_b32_e32 v25, 0xffff0000, v25
	v_div_fixup_f32 v4, v41, v38, v4
	s_waitcnt vmcnt(2)
	v_div_scale_f32 v2, s[6:7], v22, v22, v19
	v_div_scale_f32 v7, s[6:7], v36, v36, v18
	;; [unrolled: 1-line block ×3, first 2 shown]
	v_rcp_f32_e32 v34, v2
	v_div_scale_f32 v9, s[6:7], v49, v49, v20
	v_rcp_f32_e32 v35, v7
	v_rcp_f32_e32 v37, v8
	v_rcp_f32_e32 v39, v9
	v_fma_f32 v40, -v2, v34, 1.0
	v_div_scale_f32 v3, vcc, v19, v22, v19
	v_fma_f32 v42, -v7, v35, 1.0
	v_fmac_f32_e32 v34, v40, v34
	v_fma_f32 v40, -v8, v37, 1.0
	v_fmac_f32_e32 v35, v42, v35
	;; [unrolled: 2-line block ×3, first 2 shown]
	v_mul_f32_e32 v40, v3, v34
	v_fmac_f32_e32 v39, v42, v39
	v_fma_f32 v42, -v2, v40, v3
	v_fmac_f32_e32 v40, v42, v34
	v_div_scale_f32 v42, s[6:7], v18, v36, v18
	v_fma_f32 v2, -v2, v40, v3
	v_div_fmas_f32 v57, v2, v34, v40
	v_mul_f32_e32 v2, v42, v35
	v_fma_f32 v34, -v7, v2, v42
	v_div_scale_f32 v3, s[8:9], v21, v23, v21
	v_fmac_f32_e32 v2, v34, v35
	v_div_scale_f32 v34, s[10:11], v20, v49, v20
	v_fma_f32 v7, -v7, v2, v42
	v_mul_f32_e32 v40, v3, v37
	s_mov_b64 vcc, s[6:7]
	v_div_fmas_f32 v58, v7, v35, v2
	v_mul_f32_e32 v2, v34, v39
	v_fma_f32 v7, -v8, v40, v3
	v_fmac_f32_e32 v40, v7, v37
	v_fma_f32 v7, -v9, v2, v34
	v_fmac_f32_e32 v2, v7, v39
	v_rcp_f32_e32 v7, v6
	v_fma_f32 v3, -v8, v40, v3
	s_mov_b64 vcc, s[8:9]
	v_fma_f32 v9, -v9, v2, v34
	v_fma_f32 v8, -v6, v7, 1.0
	v_div_fmas_f32 v59, v3, v37, v40
	s_mov_b64 vcc, s[10:11]
	v_div_fmas_f32 v60, v9, v39, v2
	v_fmac_f32_e32 v7, v8, v7
	v_div_scale_f32 v2, vcc, v15, v24, v15
	v_mul_f32_e32 v3, v2, v7
	v_fma_f32 v8, -v6, v3, v2
	v_fmac_f32_e32 v3, v8, v7
	v_div_scale_f32 v8, s[6:7], v50, v50, v14
	v_rcp_f32_e32 v9, v8
	v_fma_f32 v2, -v6, v3, v2
	v_div_fmas_f32 v61, v2, v7, v3
	s_movk_i32 s8, 0x6000
	v_fma_f32 v2, -v8, v9, 1.0
	v_fmac_f32_e32 v9, v2, v9
	v_div_scale_f32 v2, vcc, v14, v50, v14
	v_mul_f32_e32 v3, v2, v9
	v_fma_f32 v6, -v8, v3, v2
	v_fmac_f32_e32 v3, v6, v9
	v_div_scale_f32 v6, s[6:7], v25, v25, v17
	v_rcp_f32_e32 v7, v6
	v_fma_f32 v2, -v8, v3, v2
	v_div_fmas_f32 v62, v2, v9, v3
	s_waitcnt vmcnt(1)
	v_lshlrev_b32_e32 v41, 16, v10
	v_fma_f32 v2, -v6, v7, 1.0
	v_fmac_f32_e32 v7, v2, v7
	v_div_scale_f32 v2, vcc, v17, v25, v17
	v_mul_f32_e32 v3, v2, v7
	v_fma_f32 v8, -v6, v3, v2
	v_fmac_f32_e32 v3, v8, v7
	v_div_scale_f32 v8, s[6:7], v51, v51, v16
	v_rcp_f32_e32 v9, v8
	v_fma_f32 v2, -v6, v3, v2
	v_div_fmas_f32 v63, v2, v7, v3
	v_and_b32_e32 v42, 0xffff0000, v10
	v_fma_f32 v2, -v8, v9, 1.0
	v_fmac_f32_e32 v9, v2, v9
	v_div_scale_f32 v2, vcc, v16, v51, v16
	v_mul_f32_e32 v3, v2, v9
	v_fma_f32 v6, -v8, v3, v2
	v_fmac_f32_e32 v3, v6, v9
	v_fma_f32 v2, -v8, v3, v2
	v_div_fmas_f32 v64, v2, v9, v3
	v_add_co_u32_e32 v2, vcc, s8, v28
	v_addc_co_u32_e32 v3, vcc, 0, v27, vcc
	global_load_dwordx4 v[6:9], v[2:3], off
	v_lshlrev_b32_e32 v39, 16, v11
	v_and_b32_e32 v40, 0xffff0000, v11
	s_waitcnt vmcnt(1)
	v_lshlrev_b32_e32 v37, 16, v12
	v_and_b32_e32 v38, 0xffff0000, v12
	v_lshlrev_b32_e32 v34, 16, v13
	v_and_b32_e32 v35, 0xffff0000, v13
	global_load_dwordx4 v[10:13], v29, s[22:23]
	v_div_fixup_f32 v21, v59, v23, v21
	v_div_fixup_f32 v19, v57, v22, v19
	;; [unrolled: 1-line block ×3, first 2 shown]
	v_lshlrev_b32_e32 v36, 4, v48
	v_div_fixup_f32 v15, v61, v24, v15
	v_div_fixup_f32 v14, v62, v50, v14
	;; [unrolled: 1-line block ×5, first 2 shown]
	s_mov_b32 s9, 0x800000
	v_mov_b32_e32 v61, 0x800000
	s_waitcnt vmcnt(1)
	v_div_scale_f32 v2, s[6:7], v53, v53, v7
	v_rcp_f32_e32 v23, v2
	v_div_scale_f32 v22, s[6:7], v52, v52, v6
	v_rcp_f32_e32 v24, v22
	v_fma_f32 v48, -v2, v23, 1.0
	v_div_scale_f32 v3, vcc, v7, v53, v7
	v_fmac_f32_e32 v23, v48, v23
	v_mul_f32_e32 v48, v3, v23
	v_fma_f32 v50, -v2, v48, v3
	v_fma_f32 v49, -v22, v24, 1.0
	v_fmac_f32_e32 v48, v50, v23
	v_div_scale_f32 v25, s[6:7], v6, v52, v6
	v_fmac_f32_e32 v24, v49, v24
	v_fma_f32 v2, -v2, v48, v3
	v_mul_f32_e32 v49, v25, v24
	v_div_fmas_f32 v2, v2, v23, v48
	v_div_scale_f32 v3, s[10:11], v55, v55, v9
	v_fma_f32 v51, -v22, v49, v25
	v_div_fixup_f32 v53, v2, v53, v7
	v_rcp_f32_e32 v7, v3
	v_fmac_f32_e32 v49, v51, v24
	v_fma_f32 v2, -v22, v49, v25
	s_mov_b64 vcc, s[6:7]
	v_div_fmas_f32 v2, v2, v24, v49
	v_div_fixup_f32 v52, v2, v52, v6
	v_fma_f32 v2, -v3, v7, 1.0
	v_fmac_f32_e32 v7, v2, v7
	v_div_scale_f32 v2, vcc, v9, v55, v9
	v_mul_f32_e32 v6, v2, v7
	v_fma_f32 v22, -v3, v6, v2
	v_fmac_f32_e32 v6, v22, v7
	global_load_dwordx4 v[22:25], v36, s[22:23]
	v_fma_f32 v2, -v3, v6, v2
	v_div_scale_f32 v3, s[6:7], v54, v54, v8
	v_rcp_f32_e32 v48, v3
	v_div_fmas_f32 v2, v2, v7, v6
	v_div_fixup_f32 v55, v2, v55, v9
	s_mov_b32 s10, 0x3f7ffffe
	v_fma_f32 v2, -v3, v48, 1.0
	v_fmac_f32_e32 v48, v2, v48
	v_div_scale_f32 v2, vcc, v8, v54, v8
	v_mul_f32_e32 v6, v2, v48
	v_fma_f32 v7, -v3, v6, v2
	v_fmac_f32_e32 v6, v7, v48
	s_waitcnt vmcnt(1)
	v_div_scale_f32 v7, s[6:7], v46, v46, v11
	v_rcp_f32_e32 v9, v7
	v_fma_f32 v2, -v3, v6, v2
	v_div_fmas_f32 v6, v2, v48, v6
	v_div_fixup_f32 v54, v6, v54, v8
	v_fma_f32 v2, -v7, v9, 1.0
	v_fmac_f32_e32 v9, v2, v9
	v_div_scale_f32 v2, vcc, v11, v46, v11
	v_mul_f32_e32 v3, v2, v9
	v_fma_f32 v48, -v7, v3, v2
	v_fmac_f32_e32 v3, v48, v9
	v_div_scale_f32 v48, s[6:7], v45, v45, v10
	v_rcp_f32_e32 v49, v48
	v_fma_f32 v2, -v7, v3, v2
	v_div_fmas_f32 v57, v2, v9, v3
	v_div_fixup_f32 v11, v57, v46, v11
	v_fma_f32 v2, -v48, v49, 1.0
	v_fmac_f32_e32 v49, v2, v49
	v_div_scale_f32 v2, vcc, v10, v45, v10
	v_mul_f32_e32 v3, v2, v49
	v_fma_f32 v7, -v48, v3, v2
	v_fmac_f32_e32 v3, v7, v49
	;; [unrolled: 11-line block ×3, first 2 shown]
	v_div_scale_f32 v48, s[6:7], v43, v43, v12
	v_rcp_f32_e32 v49, v48
	v_fma_f32 v2, -v7, v3, v2
	v_div_fmas_f32 v59, v2, v9, v3
	s_mov_b32 s6, 0xa000
	v_fma_f32 v2, -v48, v49, 1.0
	v_fmac_f32_e32 v49, v2, v49
	v_div_scale_f32 v2, vcc, v12, v43, v12
	v_mul_f32_e32 v3, v2, v49
	v_fma_f32 v7, -v48, v3, v2
	v_fmac_f32_e32 v3, v7, v49
	v_fma_f32 v2, -v48, v3, v2
	v_div_fmas_f32 v60, v2, v49, v3
	v_add_co_u32_e32 v2, vcc, s6, v28
	v_addc_co_u32_e32 v3, vcc, 0, v27, vcc
	global_load_dwordx4 v[48:51], v[2:3], off
	v_cmp_ngt_f32_e32 vcc, s9, v47
	v_cndmask_b32_e32 v2, v61, v47, vcc
	v_cmp_ngt_f32_e32 vcc, s9, v56
	v_cndmask_b32_e32 v3, v61, v56, vcc
	v_mov_b32_e32 v56, 0x3f7ffffe
	v_cmp_nlt_f32_e32 vcc, s10, v3
	v_cndmask_b32_e32 v3, v56, v3, vcc
	v_cmp_nlt_f32_e32 vcc, s10, v2
	v_cndmask_b32_e32 v2, v56, v2, vcc
	v_cmp_ngt_f32_e32 vcc, s9, v4
	v_cndmask_b32_e32 v4, v61, v4, vcc
	v_cmp_ngt_f32_e32 vcc, s9, v5
	v_cndmask_b32_e32 v5, v61, v5, vcc
	v_cmp_nlt_f32_e32 vcc, s10, v5
	v_cndmask_b32_e32 v5, v56, v5, vcc
	v_cmp_nlt_f32_e32 vcc, s10, v4
	v_cndmask_b32_e32 v4, v56, v4, vcc
	v_cmp_ngt_f32_e32 vcc, s9, v18
	v_cndmask_b32_e32 v6, v61, v18, vcc
	v_cmp_ngt_f32_e32 vcc, s9, v19
	v_cndmask_b32_e32 v7, v61, v19, vcc
	;; [unrolled: 8-line block ×7, first 2 shown]
	v_cmp_nlt_f32_e32 vcc, s10, v21
	v_cndmask_b32_e32 v21, v56, v21, vcc
	v_cmp_nlt_f32_e32 vcc, s10, v20
	v_cndmask_b32_e32 v20, v56, v20, vcc
	v_cmp_ngt_f32_e32 vcc, s9, v10
	v_cndmask_b32_e32 v10, v61, v10, vcc
	v_cmp_ngt_f32_e32 vcc, s9, v11
	v_div_fixup_f32 v12, v60, v43, v12
	v_cndmask_b32_e32 v11, v61, v11, vcc
	v_div_fixup_f32 v13, v59, v44, v13
	s_waitcnt vmcnt(0)
	v_div_scale_f32 v45, s[6:7], v33, v33, v49
	v_rcp_f32_e32 v46, v45
	v_fma_f32 v43, -v45, v46, 1.0
	v_fmac_f32_e32 v46, v43, v46
	v_div_scale_f32 v43, vcc, v49, v33, v49
	v_mul_f32_e32 v44, v43, v46
	v_fma_f32 v47, -v45, v44, v43
	v_fmac_f32_e32 v44, v47, v46
	v_div_scale_f32 v47, s[6:7], v32, v32, v48
	v_rcp_f32_e32 v52, v47
	v_fma_f32 v43, -v45, v44, v43
	v_div_fmas_f32 v43, v43, v46, v44
	v_fma_f32 v44, -v47, v52, 1.0
	v_fmac_f32_e32 v52, v44, v52
	v_div_scale_f32 v44, vcc, v48, v32, v48
	v_mul_f32_e32 v45, v44, v52
	v_fma_f32 v46, -v47, v45, v44
	v_fmac_f32_e32 v45, v46, v52
	v_div_scale_f32 v46, s[6:7], v31, v31, v51
	v_rcp_f32_e32 v53, v46
	v_fma_f32 v44, -v47, v45, v44
	v_div_fmas_f32 v52, v44, v52, v45
	;; [unrolled: 10-line block ×4, first 2 shown]
	v_div_fixup_f32 v30, v54, v30, v50
	v_fma_f32 v44, -v46, v55, 1.0
	v_fmac_f32_e32 v55, v44, v55
	v_div_scale_f32 v44, vcc, v23, v42, v23
	v_mul_f32_e32 v45, v44, v55
	v_fma_f32 v47, -v46, v45, v44
	v_fmac_f32_e32 v45, v47, v55
	v_div_scale_f32 v47, s[6:7], v41, v41, v22
	v_rcp_f32_e32 v57, v47
	v_fma_f32 v44, -v46, v45, v44
	v_div_fmas_f32 v55, v44, v55, v45
	v_div_fixup_f32 v23, v55, v42, v23
	v_fma_f32 v44, -v47, v57, 1.0
	v_fmac_f32_e32 v57, v44, v57
	v_div_scale_f32 v44, vcc, v22, v41, v22
	v_mul_f32_e32 v45, v44, v57
	v_fma_f32 v46, -v47, v45, v44
	v_fmac_f32_e32 v45, v46, v57
	v_fma_f32 v44, -v47, v45, v44
	v_div_fmas_f32 v57, v44, v57, v45
	v_div_scale_f32 v44, s[6:7], v40, v40, v25
	v_rcp_f32_e32 v45, v44
	v_cmp_nlt_f32_e32 vcc, s10, v11
	v_cndmask_b32_e32 v11, v56, v11, vcc
	v_cmp_nlt_f32_e32 vcc, s10, v10
	v_fma_f32 v46, -v44, v45, 1.0
	v_cndmask_b32_e32 v10, v56, v10, vcc
	v_fmac_f32_e32 v45, v46, v45
	v_div_scale_f32 v46, vcc, v25, v40, v25
	v_mul_f32_e32 v47, v46, v45
	v_fma_f32 v58, -v44, v47, v46
	v_fmac_f32_e32 v47, v58, v45
	v_fma_f32 v44, -v44, v47, v46
	v_div_fmas_f32 v58, v44, v45, v47
	v_div_scale_f32 v44, s[6:7], v39, v39, v24
	v_rcp_f32_e32 v45, v44
	v_cmp_ngt_f32_e32 vcc, s9, v13
	v_cndmask_b32_e32 v13, v61, v13, vcc
	v_cmp_nlt_f32_e32 vcc, s10, v13
	v_fma_f32 v46, -v44, v45, 1.0
	v_cndmask_b32_e32 v13, v56, v13, vcc
	v_fmac_f32_e32 v45, v46, v45
	v_div_scale_f32 v46, vcc, v24, v39, v24
	v_mul_f32_e32 v47, v46, v45
	v_fma_f32 v59, -v44, v47, v46
	v_fmac_f32_e32 v47, v59, v45
	v_fma_f32 v44, -v44, v47, v46
	s_mov_b32 s6, 0xe000
	v_div_fmas_f32 v59, v44, v45, v47
	v_add_co_u32_e32 v44, vcc, s6, v28
	v_addc_co_u32_e32 v45, vcc, 0, v27, vcc
	global_load_dwordx4 v[44:47], v[44:45], off
	v_cmp_ngt_f32_e32 vcc, s9, v12
	v_cndmask_b32_e32 v12, v61, v12, vcc
	v_cmp_nlt_f32_e32 vcc, s10, v12
	v_div_fixup_f32 v28, v52, v32, v48
	v_cndmask_b32_e32 v12, v56, v12, vcc
	v_div_fixup_f32 v27, v43, v33, v49
	v_cmp_ngt_f32_e32 vcc, s9, v28
	v_cndmask_b32_e32 v28, v61, v28, vcc
	v_cmp_ngt_f32_e32 vcc, s9, v27
	v_cndmask_b32_e32 v27, v61, v27, vcc
	s_add_u32 s6, s16, s20
	v_cmp_nlt_f32_e32 vcc, s10, v27
	s_addc_u32 s7, s17, s21
	v_cndmask_b32_e32 v49, v56, v27, vcc
	v_cmp_nlt_f32_e32 vcc, s10, v28
	v_cndmask_b32_e32 v48, v56, v28, vcc
	v_mov_b32_e32 v27, s7
	v_add_co_u32_e32 v43, vcc, s6, v1
	v_addc_co_u32_e32 v27, vcc, 0, v27, vcc
	v_div_fixup_f32 v28, v53, v31, v51
	v_cmp_ngt_f32_e32 vcc, s9, v30
	v_cndmask_b32_e32 v30, v61, v30, vcc
	v_cmp_ngt_f32_e32 vcc, s9, v28
	v_cndmask_b32_e32 v28, v61, v28, vcc
	v_cmp_nlt_f32_e32 vcc, s10, v28
	v_cndmask_b32_e32 v51, v56, v28, vcc
	v_cmp_nlt_f32_e32 vcc, s10, v30
	v_div_fixup_f32 v22, v57, v41, v22
	v_cndmask_b32_e32 v50, v56, v30, vcc
	v_cmp_ngt_f32_e32 vcc, s9, v22
	v_cndmask_b32_e32 v22, v61, v22, vcc
	v_cmp_ngt_f32_e32 vcc, s9, v23
	v_cndmask_b32_e32 v23, v61, v23, vcc
	v_cmp_nlt_f32_e32 vcc, s10, v23
	v_cndmask_b32_e32 v23, v56, v23, vcc
	v_cmp_nlt_f32_e32 vcc, s10, v22
	v_div_fixup_f32 v24, v59, v39, v24
	v_cndmask_b32_e32 v22, v56, v22, vcc
	v_div_fixup_f32 v25, v58, v40, v25
	v_cmp_ngt_f32_e32 vcc, s9, v24
	v_cndmask_b32_e32 v24, v61, v24, vcc
	v_cmp_ngt_f32_e32 vcc, s9, v25
	v_cndmask_b32_e32 v25, v61, v25, vcc
	v_cmp_nlt_f32_e32 vcc, s10, v25
	v_cndmask_b32_e32 v25, v56, v25, vcc
	v_cmp_nlt_f32_e32 vcc, s10, v24
	v_cndmask_b32_e32 v24, v56, v24, vcc
	global_store_dwordx4 v1, v[2:5], s[6:7]
	s_waitcnt vmcnt(1)
	v_div_scale_f32 v28, s[20:21], v38, v38, v45
	v_rcp_f32_e32 v30, v28
	v_fma_f32 v31, -v28, v30, 1.0
	v_fmac_f32_e32 v30, v31, v30
	v_div_scale_f32 v31, vcc, v45, v38, v45
	v_mul_f32_e32 v32, v31, v30
	v_fma_f32 v33, -v28, v32, v31
	v_fmac_f32_e32 v32, v33, v30
	v_fma_f32 v28, -v28, v32, v31
	v_div_scale_f32 v31, s[20:21], v37, v37, v44
	v_rcp_f32_e32 v33, v31
	v_div_fmas_f32 v28, v28, v30, v32
	v_div_fixup_f32 v28, v28, v38, v45
	v_fma_f32 v30, -v31, v33, 1.0
	v_fmac_f32_e32 v33, v30, v33
	v_div_scale_f32 v30, vcc, v44, v37, v44
	v_mul_f32_e32 v32, v30, v33
	v_fma_f32 v38, -v31, v32, v30
	v_fmac_f32_e32 v32, v38, v33
	v_fma_f32 v30, -v31, v32, v30
	v_div_fmas_f32 v30, v30, v33, v32
	v_div_fixup_f32 v30, v30, v37, v44
	v_div_scale_f32 v32, s[20:21], v35, v35, v47
	v_cmp_ngt_f32_e32 vcc, s9, v30
	v_rcp_f32_e32 v33, v32
	v_cndmask_b32_e32 v30, v61, v30, vcc
	v_cmp_ngt_f32_e32 vcc, s9, v28
	v_cndmask_b32_e32 v28, v61, v28, vcc
	v_cmp_nlt_f32_e32 vcc, s10, v28
	v_cndmask_b32_e32 v31, v56, v28, vcc
	v_cmp_nlt_f32_e32 vcc, s10, v30
	v_fma_f32 v28, -v32, v33, 1.0
	v_cndmask_b32_e32 v30, v56, v30, vcc
	v_fmac_f32_e32 v33, v28, v33
	v_div_scale_f32 v28, vcc, v47, v35, v47
	v_mul_f32_e32 v37, v28, v33
	v_fma_f32 v38, -v32, v37, v28
	v_fmac_f32_e32 v37, v38, v33
	v_fma_f32 v28, -v32, v37, v28
	v_div_scale_f32 v32, s[20:21], v34, v34, v46
	v_rcp_f32_e32 v38, v32
	v_div_fmas_f32 v28, v28, v33, v37
	v_div_fixup_f32 v28, v28, v35, v47
	v_fma_f32 v33, -v32, v38, 1.0
	v_fmac_f32_e32 v38, v33, v38
	v_div_scale_f32 v33, vcc, v46, v34, v46
	v_mul_f32_e32 v35, v33, v38
	v_fma_f32 v37, -v32, v35, v33
	v_fmac_f32_e32 v35, v37, v38
	v_fma_f32 v32, -v32, v35, v33
	v_div_fmas_f32 v32, v32, v38, v35
	v_div_fixup_f32 v32, v32, v34, v46
	v_cmp_ngt_f32_e32 vcc, s9, v32
	v_cndmask_b32_e32 v32, v61, v32, vcc
	v_cmp_ngt_f32_e32 vcc, s9, v28
	v_cndmask_b32_e32 v28, v61, v28, vcc
	v_cmp_nlt_f32_e32 vcc, s10, v28
	v_cndmask_b32_e32 v33, v56, v28, vcc
	v_cmp_nlt_f32_e32 vcc, s10, v32
	v_cndmask_b32_e32 v32, v56, v32, vcc
	v_add_co_u32_e32 v2, vcc, s26, v43
	v_addc_co_u32_e32 v3, vcc, 0, v27, vcc
	global_store_dwordx4 v[2:3], v[6:9], off
	global_store_dwordx4 v26, v[14:17], s[6:7]
	v_add_co_u32_e32 v2, vcc, s8, v43
	v_addc_co_u32_e32 v3, vcc, 0, v27, vcc
	global_store_dwordx4 v[2:3], v[18:21], off
	global_store_dwordx4 v29, v[10:13], s[6:7]
	;; [unrolled: 4-line block ×3, first 2 shown]
	v_add_co_u32_e32 v2, vcc, 0xe000, v43
	v_addc_co_u32_e32 v3, vcc, 0, v27, vcc
	global_store_dwordx4 v[2:3], v[30:33], off
	s_cbranch_execnz .LBB16_2
.LBB16_4:
	s_load_dword s6, s[4:5], 0x24
	s_load_dwordx4 s[20:23], s[4:5], 0x28
	s_add_u32 s8, s4, 56
	s_addc_u32 s9, s5, 0
	v_mov_b32_e32 v31, v0
	s_waitcnt lgkmcnt(0)
	v_lshrrev_b16_e64 v8, 8, s6
	v_mov_b32_e32 v0, s16
	v_mov_b32_e32 v1, s17
	;; [unrolled: 1-line block ×12, first 2 shown]
	s_getpc_b64 s[4:5]
	s_add_u32 s4, s4, _ZN2at6native25elementwise_kernel_helperILb1EZZZNS0_23launch_dirichlet_kernelERNS_18TensorIteratorBaseEENKUlvE_clEvENKUlvE0_clEvEUlffE_NS0_6memory8policies11unroll_baseILi512ESt5arrayIPcLm3EE23TrivialOffsetCalculatorILi2EjESD_ILi1EjENS7_12LoadWithCastILi2EEENS7_13StoreWithCastILi1EEELi32ELi1EEEEEvT0_T1_@rel32@lo+4
	s_addc_u32 s5, s5, _ZN2at6native25elementwise_kernel_helperILb1EZZZNS0_23launch_dirichlet_kernelERNS_18TensorIteratorBaseEENKUlvE_clEvENKUlvE0_clEvEUlffE_NS0_6memory8policies11unroll_baseILi512ESt5arrayIPcLm3EE23TrivialOffsetCalculatorILi2EjESD_ILi1EjENS7_12LoadWithCastILi2EEENS7_13StoreWithCastILi1EEELi32ELi1EEEEEvT0_T1_@rel32@hi+12
	s_swappc_b64 s[30:31], s[4:5]
	s_endpgm
	.section	.rodata,"a",@progbits
	.p2align	6, 0x0
	.amdhsa_kernel _ZN2at6native39vectorized_templated_elementwise_kernelILi4EZZZNS0_23launch_dirichlet_kernelERNS_18TensorIteratorBaseEENKUlvE_clEvENKUlvE0_clEvEUlffE_St5arrayIPcLm3EE23TrivialOffsetCalculatorILi2EjESA_ILi1EjENS0_6memory12LoadWithCastILi2EEENSD_13StoreWithCastILi1EEEfJfN3c108BFloat16EEEEviT0_T1_T2_T3_T4_T5_
		.amdhsa_group_segment_fixed_size 0
		.amdhsa_private_segment_fixed_size 288
		.amdhsa_kernarg_size 312
		.amdhsa_user_sgpr_count 8
		.amdhsa_user_sgpr_private_segment_buffer 1
		.amdhsa_user_sgpr_dispatch_ptr 0
		.amdhsa_user_sgpr_queue_ptr 0
		.amdhsa_user_sgpr_kernarg_segment_ptr 1
		.amdhsa_user_sgpr_dispatch_id 0
		.amdhsa_user_sgpr_flat_scratch_init 1
		.amdhsa_user_sgpr_kernarg_preload_length 0
		.amdhsa_user_sgpr_kernarg_preload_offset 0
		.amdhsa_user_sgpr_private_segment_size 0
		.amdhsa_uses_dynamic_stack 0
		.amdhsa_system_sgpr_private_segment_wavefront_offset 1
		.amdhsa_system_sgpr_workgroup_id_x 1
		.amdhsa_system_sgpr_workgroup_id_y 0
		.amdhsa_system_sgpr_workgroup_id_z 0
		.amdhsa_system_sgpr_workgroup_info 0
		.amdhsa_system_vgpr_workitem_id 0
		.amdhsa_next_free_vgpr 118
		.amdhsa_next_free_sgpr 98
		.amdhsa_accum_offset 120
		.amdhsa_reserve_vcc 1
		.amdhsa_reserve_flat_scratch 1
		.amdhsa_float_round_mode_32 0
		.amdhsa_float_round_mode_16_64 0
		.amdhsa_float_denorm_mode_32 3
		.amdhsa_float_denorm_mode_16_64 3
		.amdhsa_dx10_clamp 1
		.amdhsa_ieee_mode 1
		.amdhsa_fp16_overflow 0
		.amdhsa_tg_split 0
		.amdhsa_exception_fp_ieee_invalid_op 0
		.amdhsa_exception_fp_denorm_src 0
		.amdhsa_exception_fp_ieee_div_zero 0
		.amdhsa_exception_fp_ieee_overflow 0
		.amdhsa_exception_fp_ieee_underflow 0
		.amdhsa_exception_fp_ieee_inexact 0
		.amdhsa_exception_int_div_zero 0
	.end_amdhsa_kernel
	.section	.text._ZN2at6native39vectorized_templated_elementwise_kernelILi4EZZZNS0_23launch_dirichlet_kernelERNS_18TensorIteratorBaseEENKUlvE_clEvENKUlvE0_clEvEUlffE_St5arrayIPcLm3EE23TrivialOffsetCalculatorILi2EjESA_ILi1EjENS0_6memory12LoadWithCastILi2EEENSD_13StoreWithCastILi1EEEfJfN3c108BFloat16EEEEviT0_T1_T2_T3_T4_T5_,"axG",@progbits,_ZN2at6native39vectorized_templated_elementwise_kernelILi4EZZZNS0_23launch_dirichlet_kernelERNS_18TensorIteratorBaseEENKUlvE_clEvENKUlvE0_clEvEUlffE_St5arrayIPcLm3EE23TrivialOffsetCalculatorILi2EjESA_ILi1EjENS0_6memory12LoadWithCastILi2EEENSD_13StoreWithCastILi1EEEfJfN3c108BFloat16EEEEviT0_T1_T2_T3_T4_T5_,comdat
.Lfunc_end16:
	.size	_ZN2at6native39vectorized_templated_elementwise_kernelILi4EZZZNS0_23launch_dirichlet_kernelERNS_18TensorIteratorBaseEENKUlvE_clEvENKUlvE0_clEvEUlffE_St5arrayIPcLm3EE23TrivialOffsetCalculatorILi2EjESA_ILi1EjENS0_6memory12LoadWithCastILi2EEENSD_13StoreWithCastILi1EEEfJfN3c108BFloat16EEEEviT0_T1_T2_T3_T4_T5_, .Lfunc_end16-_ZN2at6native39vectorized_templated_elementwise_kernelILi4EZZZNS0_23launch_dirichlet_kernelERNS_18TensorIteratorBaseEENKUlvE_clEvENKUlvE0_clEvEUlffE_St5arrayIPcLm3EE23TrivialOffsetCalculatorILi2EjESA_ILi1EjENS0_6memory12LoadWithCastILi2EEENSD_13StoreWithCastILi1EEEfJfN3c108BFloat16EEEEviT0_T1_T2_T3_T4_T5_
                                        ; -- End function
	.section	.AMDGPU.csdata,"",@progbits
; Kernel info:
; codeLenInByte = 3800
; NumSgprs: 104
; NumVgprs: 118
; NumAgprs: 0
; TotalNumVgprs: 118
; ScratchSize: 288
; MemoryBound: 0
; FloatMode: 240
; IeeeMode: 1
; LDSByteSize: 0 bytes/workgroup (compile time only)
; SGPRBlocks: 12
; VGPRBlocks: 14
; NumSGPRsForWavesPerEU: 104
; NumVGPRsForWavesPerEU: 118
; AccumOffset: 120
; Occupancy: 4
; WaveLimiterHint : 0
; COMPUTE_PGM_RSRC2:SCRATCH_EN: 1
; COMPUTE_PGM_RSRC2:USER_SGPR: 8
; COMPUTE_PGM_RSRC2:TRAP_HANDLER: 0
; COMPUTE_PGM_RSRC2:TGID_X_EN: 1
; COMPUTE_PGM_RSRC2:TGID_Y_EN: 0
; COMPUTE_PGM_RSRC2:TGID_Z_EN: 0
; COMPUTE_PGM_RSRC2:TIDIG_COMP_CNT: 0
; COMPUTE_PGM_RSRC3_GFX90A:ACCUM_OFFSET: 29
; COMPUTE_PGM_RSRC3_GFX90A:TG_SPLIT: 0
	.section	.text._ZN2at6native39vectorized_templated_elementwise_kernelILi2EZZZNS0_23launch_dirichlet_kernelERNS_18TensorIteratorBaseEENKUlvE_clEvENKUlvE0_clEvEUlffE_St5arrayIPcLm3EE23TrivialOffsetCalculatorILi2EjESA_ILi1EjENS0_6memory12LoadWithCastILi2EEENSD_13StoreWithCastILi1EEEfJfN3c108BFloat16EEEEviT0_T1_T2_T3_T4_T5_,"axG",@progbits,_ZN2at6native39vectorized_templated_elementwise_kernelILi2EZZZNS0_23launch_dirichlet_kernelERNS_18TensorIteratorBaseEENKUlvE_clEvENKUlvE0_clEvEUlffE_St5arrayIPcLm3EE23TrivialOffsetCalculatorILi2EjESA_ILi1EjENS0_6memory12LoadWithCastILi2EEENSD_13StoreWithCastILi1EEEfJfN3c108BFloat16EEEEviT0_T1_T2_T3_T4_T5_,comdat
	.globl	_ZN2at6native39vectorized_templated_elementwise_kernelILi2EZZZNS0_23launch_dirichlet_kernelERNS_18TensorIteratorBaseEENKUlvE_clEvENKUlvE0_clEvEUlffE_St5arrayIPcLm3EE23TrivialOffsetCalculatorILi2EjESA_ILi1EjENS0_6memory12LoadWithCastILi2EEENSD_13StoreWithCastILi1EEEfJfN3c108BFloat16EEEEviT0_T1_T2_T3_T4_T5_ ; -- Begin function _ZN2at6native39vectorized_templated_elementwise_kernelILi2EZZZNS0_23launch_dirichlet_kernelERNS_18TensorIteratorBaseEENKUlvE_clEvENKUlvE0_clEvEUlffE_St5arrayIPcLm3EE23TrivialOffsetCalculatorILi2EjESA_ILi1EjENS0_6memory12LoadWithCastILi2EEENSD_13StoreWithCastILi1EEEfJfN3c108BFloat16EEEEviT0_T1_T2_T3_T4_T5_
	.p2align	8
	.type	_ZN2at6native39vectorized_templated_elementwise_kernelILi2EZZZNS0_23launch_dirichlet_kernelERNS_18TensorIteratorBaseEENKUlvE_clEvENKUlvE0_clEvEUlffE_St5arrayIPcLm3EE23TrivialOffsetCalculatorILi2EjESA_ILi1EjENS0_6memory12LoadWithCastILi2EEENSD_13StoreWithCastILi1EEEfJfN3c108BFloat16EEEEviT0_T1_T2_T3_T4_T5_,@function
_ZN2at6native39vectorized_templated_elementwise_kernelILi2EZZZNS0_23launch_dirichlet_kernelERNS_18TensorIteratorBaseEENKUlvE_clEvENKUlvE0_clEvEUlffE_St5arrayIPcLm3EE23TrivialOffsetCalculatorILi2EjESA_ILi1EjENS0_6memory12LoadWithCastILi2EEENSD_13StoreWithCastILi1EEEfJfN3c108BFloat16EEEEviT0_T1_T2_T3_T4_T5_: ; @_ZN2at6native39vectorized_templated_elementwise_kernelILi2EZZZNS0_23launch_dirichlet_kernelERNS_18TensorIteratorBaseEENKUlvE_clEvENKUlvE0_clEvEUlffE_St5arrayIPcLm3EE23TrivialOffsetCalculatorILi2EjESA_ILi1EjENS0_6memory12LoadWithCastILi2EEENSD_13StoreWithCastILi1EEEfJfN3c108BFloat16EEEEviT0_T1_T2_T3_T4_T5_
; %bb.0:
	s_add_u32 flat_scratch_lo, s6, s9
	s_addc_u32 flat_scratch_hi, s7, 0
	s_add_u32 s0, s0, s9
	s_load_dword s6, s[4:5], 0x38
	s_load_dwordx2 s[14:15], s[4:5], 0x18
	s_load_dword s7, s[4:5], 0x0
	s_load_dwordx4 s[16:19], s[4:5], 0x8
	s_addc_u32 s1, s1, 0
	s_mov_b32 s12, s8
	s_not_b32 s8, s8
	s_waitcnt lgkmcnt(0)
	s_add_i32 s6, s6, s8
	s_lshl_b32 s6, s6, 14
	s_sub_i32 s13, s7, s6
	s_cmpk_gt_i32 s13, 0x3fff
	s_mov_b64 s[8:9], -1
	s_mov_b32 s32, 0
	s_cbranch_scc1 .LBB17_3
; %bb.1:
	s_andn2_b64 vcc, exec, s[8:9]
	s_cbranch_vccz .LBB17_4
.LBB17_2:
	s_endpgm
.LBB17_3:
	s_ashr_i32 s7, s6, 31
	s_lshl_b64 s[20:21], s[6:7], 2
	s_add_u32 s22, s18, s20
	s_addc_u32 s23, s19, s21
	s_lshl_b64 s[6:7], s[6:7], 1
	s_add_u32 s24, s14, s6
	s_addc_u32 s25, s15, s7
	v_lshlrev_b32_e32 v16, 2, v0
	global_load_dword v17, v16, s[24:25]
	v_lshlrev_b32_e32 v1, 3, v0
	global_load_dwordx2 v[6:7], v1, s[22:23]
	v_mov_b32_e32 v10, s23
	v_add_co_u32_e32 v24, vcc, s22, v1
	v_addc_co_u32_e32 v23, vcc, 0, v10, vcc
	v_mov_b32_e32 v10, s25
	v_add_co_u32_e32 v26, vcc, s24, v16
	s_movk_i32 s27, 0x1000
	v_addc_co_u32_e32 v27, vcc, 0, v10, vcc
	v_add_co_u32_e32 v10, vcc, s27, v26
	s_movk_i32 s6, 0x2000
	v_addc_co_u32_e32 v11, vcc, 0, v27, vcc
	v_add_co_u32_e32 v12, vcc, s6, v26
	v_or_b32_e32 v2, 0x400, v0
	s_movk_i32 s26, 0x3000
	v_addc_co_u32_e32 v13, vcc, 0, v27, vcc
	v_or_b32_e32 v3, 0x800, v0
	v_or_b32_e32 v4, 0xc00, v0
	v_lshlrev_b32_e32 v22, 3, v2
	v_add_co_u32_e32 v14, vcc, s26, v26
	v_lshlrev_b32_e32 v21, 3, v3
	v_lshlrev_b32_e32 v20, 3, v4
	;; [unrolled: 1-line block ×5, first 2 shown]
	global_load_dwordx2 v[8:9], v22, s[22:23]
	global_load_dwordx2 v[2:3], v21, s[22:23]
	;; [unrolled: 1-line block ×3, first 2 shown]
	v_addc_co_u32_e32 v15, vcc, 0, v27, vcc
	global_load_dword v28, v16, s[24:25] offset:2048
	global_load_dword v29, v18, s[24:25]
	global_load_dword v30, v[10:11], off offset:2048
	global_load_dword v31, v19, s[24:25]
	global_load_dword v32, v[12:13], off offset:2048
	global_load_dword v33, v25, s[24:25]
	global_load_dword v36, v[14:15], off offset:2048
	s_movk_i32 s29, 0x5000
	v_or_b32_e32 v63, 0x1800, v0
	s_movk_i32 s28, 0x7000
	s_waitcnt vmcnt(11)
	v_and_b32_e32 v34, 0xffff0000, v17
	v_lshlrev_b32_e32 v35, 16, v17
	s_waitcnt vmcnt(10)
	v_div_scale_f32 v10, s[6:7], v34, v34, v7
	v_div_scale_f32 v12, s[6:7], v35, v35, v6
	v_rcp_f32_e32 v13, v10
	v_rcp_f32_e32 v14, v12
	v_div_scale_f32 v11, vcc, v7, v34, v7
	v_fma_f32 v16, -v10, v13, 1.0
	v_fma_f32 v17, -v12, v14, 1.0
	v_fmac_f32_e32 v13, v16, v13
	v_div_scale_f32 v15, s[6:7], v6, v35, v6
	v_fmac_f32_e32 v14, v17, v14
	v_mul_f32_e32 v16, v11, v13
	v_mul_f32_e32 v17, v15, v14
	v_fma_f32 v18, -v10, v16, v11
	v_fma_f32 v19, -v12, v17, v15
	v_fmac_f32_e32 v16, v18, v13
	v_fmac_f32_e32 v17, v19, v14
	v_fma_f32 v10, -v10, v16, v11
	v_fma_f32 v11, -v12, v17, v15
	v_div_fmas_f32 v37, v10, v13, v16
	s_mov_b64 vcc, s[6:7]
	v_div_fmas_f32 v38, v11, v14, v17
	v_add_co_u32_e32 v10, vcc, 0x1000, v24
	v_addc_co_u32_e32 v11, vcc, 0, v23, vcc
	global_load_dwordx2 v[18:19], v[10:11], off
	s_waitcnt vmcnt(7)
	v_and_b32_e32 v39, 0xffff0000, v28
	s_waitcnt vmcnt(6)
	v_and_b32_e32 v42, 0xffff0000, v29
	v_lshlrev_b32_e32 v43, 16, v29
	v_div_scale_f32 v10, s[6:7], v42, v42, v9
	v_div_scale_f32 v12, s[8:9], v43, v43, v8
	v_rcp_f32_e32 v13, v10
	v_rcp_f32_e32 v14, v12
	v_div_scale_f32 v11, s[6:7], v9, v42, v9
	v_fma_f32 v16, -v10, v13, 1.0
	v_fma_f32 v17, -v12, v14, 1.0
	v_div_scale_f32 v15, s[8:9], v8, v43, v8
	v_fmac_f32_e32 v13, v16, v13
	v_fmac_f32_e32 v14, v17, v14
	v_mul_f32_e32 v16, v11, v13
	v_mul_f32_e32 v17, v15, v14
	v_fma_f32 v25, -v10, v16, v11
	v_fma_f32 v29, -v12, v17, v15
	v_fmac_f32_e32 v16, v25, v13
	v_fmac_f32_e32 v17, v29, v14
	v_lshlrev_b32_e32 v28, 16, v28
	v_fma_f32 v10, -v10, v16, v11
	v_fma_f32 v11, -v12, v17, v15
	s_waitcnt vmcnt(4)
	v_and_b32_e32 v48, 0xffff0000, v31
	v_lshlrev_b32_e32 v49, 16, v31
	s_waitcnt vmcnt(2)
	v_and_b32_e32 v56, 0xffff0000, v33
	v_lshlrev_b32_e32 v57, 16, v33
	s_waitcnt vmcnt(0)
	v_div_scale_f32 v12, s[10:11], v39, v39, v19
	v_div_scale_f32 v25, s[10:11], v28, v28, v18
	v_rcp_f32_e32 v29, v12
	v_rcp_f32_e32 v40, v25
	v_div_scale_f32 v15, vcc, v19, v39, v19
	v_fma_f32 v44, -v12, v29, 1.0
	v_fma_f32 v45, -v25, v40, 1.0
	v_fmac_f32_e32 v29, v44, v29
	v_div_scale_f32 v41, s[10:11], v18, v28, v18
	v_fmac_f32_e32 v40, v45, v40
	v_mul_f32_e32 v44, v15, v29
	v_mul_f32_e32 v45, v41, v40
	v_fma_f32 v46, -v12, v44, v15
	v_fma_f32 v47, -v25, v45, v41
	v_fmac_f32_e32 v44, v46, v29
	v_fmac_f32_e32 v45, v47, v40
	v_fma_f32 v12, -v12, v44, v15
	v_fma_f32 v15, -v25, v45, v41
	v_div_fmas_f32 v41, v12, v29, v44
	s_mov_b64 vcc, s[10:11]
	v_div_fmas_f32 v40, v15, v40, v45
	s_mov_b64 vcc, s[6:7]
	;; [unrolled: 2-line block ×3, first 2 shown]
	v_div_fmas_f32 v45, v11, v14, v17
	v_add_co_u32_e32 v10, vcc, 0x3000, v24
	v_addc_co_u32_e32 v11, vcc, 0, v23, vcc
	global_load_dwordx2 v[12:13], v[10:11], off
	v_div_scale_f32 v10, s[6:7], v48, v48, v3
	v_div_scale_f32 v14, s[8:9], v49, v49, v2
	v_rcp_f32_e32 v15, v10
	v_rcp_f32_e32 v16, v14
	v_div_scale_f32 v11, s[6:7], v3, v48, v3
	v_fma_f32 v25, -v10, v15, 1.0
	v_fma_f32 v29, -v14, v16, 1.0
	v_div_scale_f32 v17, s[8:9], v2, v49, v2
	v_fmac_f32_e32 v15, v25, v15
	v_fmac_f32_e32 v16, v29, v16
	v_mul_f32_e32 v25, v11, v15
	v_mul_f32_e32 v29, v17, v16
	v_and_b32_e32 v46, 0xffff0000, v30
	v_lshlrev_b32_e32 v47, 16, v30
	v_fma_f32 v30, -v10, v25, v11
	v_fma_f32 v31, -v14, v29, v17
	v_fmac_f32_e32 v25, v30, v15
	v_fmac_f32_e32 v29, v31, v16
	v_fma_f32 v10, -v10, v25, v11
	v_fma_f32 v11, -v14, v29, v17
	s_waitcnt vmcnt(0)
	v_div_scale_f32 v14, s[10:11], v46, v46, v13
	v_div_scale_f32 v30, s[10:11], v47, v47, v12
	v_rcp_f32_e32 v31, v14
	v_rcp_f32_e32 v50, v30
	v_div_scale_f32 v17, vcc, v13, v46, v13
	v_fma_f32 v52, -v14, v31, 1.0
	v_fma_f32 v53, -v30, v50, 1.0
	v_fmac_f32_e32 v31, v52, v31
	v_div_scale_f32 v51, s[10:11], v12, v47, v12
	v_fmac_f32_e32 v50, v53, v50
	v_mul_f32_e32 v52, v17, v31
	v_mul_f32_e32 v53, v51, v50
	v_fma_f32 v54, -v14, v52, v17
	v_fma_f32 v55, -v30, v53, v51
	v_fmac_f32_e32 v52, v54, v31
	v_fmac_f32_e32 v53, v55, v50
	v_fma_f32 v14, -v14, v52, v17
	v_fma_f32 v17, -v30, v53, v51
	v_div_fmas_f32 v51, v14, v31, v52
	s_mov_b64 vcc, s[10:11]
	v_div_fmas_f32 v50, v17, v50, v53
	s_mov_b64 vcc, s[6:7]
	;; [unrolled: 2-line block ×3, first 2 shown]
	v_div_fmas_f32 v53, v11, v16, v29
	v_add_co_u32_e32 v10, vcc, 0x5000, v24
	v_addc_co_u32_e32 v11, vcc, 0, v23, vcc
	global_load_dwordx2 v[10:11], v[10:11], off
	v_div_scale_f32 v14, s[6:7], v56, v56, v5
	v_div_scale_f32 v16, s[8:9], v57, v57, v4
	v_rcp_f32_e32 v17, v14
	v_rcp_f32_e32 v25, v16
	v_div_scale_f32 v15, s[6:7], v5, v56, v5
	v_fma_f32 v30, -v14, v17, 1.0
	v_fma_f32 v31, -v16, v25, 1.0
	v_div_scale_f32 v29, s[8:9], v4, v57, v4
	v_fmac_f32_e32 v17, v30, v17
	v_fmac_f32_e32 v25, v31, v25
	v_mul_f32_e32 v30, v15, v17
	v_mul_f32_e32 v31, v29, v25
	v_and_b32_e32 v54, 0xffff0000, v32
	v_lshlrev_b32_e32 v55, 16, v32
	v_fma_f32 v32, -v14, v30, v15
	v_fma_f32 v33, -v16, v31, v29
	v_fmac_f32_e32 v30, v32, v17
	v_fmac_f32_e32 v31, v33, v25
	v_fma_f32 v14, -v14, v30, v15
	v_fma_f32 v15, -v16, v31, v29
	s_waitcnt vmcnt(0)
	v_div_scale_f32 v16, s[10:11], v54, v54, v11
	v_div_scale_f32 v29, s[10:11], v55, v55, v10
	v_rcp_f32_e32 v32, v16
	v_rcp_f32_e32 v33, v29
	v_div_scale_f32 v58, vcc, v11, v54, v11
	v_fma_f32 v59, -v16, v32, 1.0
	v_fmac_f32_e32 v32, v59, v32
	v_fma_f32 v59, -v29, v33, 1.0
	v_fmac_f32_e32 v33, v59, v33
	v_mul_f32_e32 v59, v58, v32
	v_fma_f32 v60, -v16, v59, v58
	v_fmac_f32_e32 v59, v60, v32
	v_div_scale_f32 v60, s[10:11], v10, v55, v10
	v_mul_f32_e32 v61, v60, v33
	v_fma_f32 v62, -v29, v61, v60
	v_fmac_f32_e32 v61, v62, v33
	v_fma_f32 v16, -v16, v59, v58
	v_fma_f32 v29, -v29, v61, v60
	v_div_fmas_f32 v58, v16, v32, v59
	s_mov_b64 vcc, s[10:11]
	v_div_fmas_f32 v59, v29, v33, v61
	s_mov_b64 vcc, s[6:7]
	;; [unrolled: 2-line block ×3, first 2 shown]
	v_div_fmas_f32 v61, v15, v25, v31
	v_add_co_u32_e32 v14, vcc, 0x7000, v24
	v_addc_co_u32_e32 v15, vcc, 0, v23, vcc
	global_load_dwordx2 v[14:15], v[14:15], off
	v_or_b32_e32 v16, 0x1000, v0
	s_movk_i32 s6, 0x4000
	v_lshlrev_b32_e32 v17, 2, v16
	v_div_fixup_f32 v32, v38, v35, v6
	v_add_co_u32_e32 v6, vcc, s6, v26
	global_load_dword v62, v17, s[24:25]
	v_lshlrev_b32_e32 v25, 3, v16
	v_div_fixup_f32 v29, v37, v34, v7
	v_addc_co_u32_e32 v7, vcc, 0, v27, vcc
	v_div_fixup_f32 v30, v41, v39, v19
	global_load_dword v39, v[6:7], off offset:2048
	global_load_dwordx2 v[16:17], v25, s[22:23]
	v_add_co_u32_e32 v34, vcc, s29, v26
	s_movk_i32 s7, 0x6000
	v_addc_co_u32_e32 v35, vcc, 0, v27, vcc
	v_or_b32_e32 v33, 0x1400, v0
	v_div_fixup_f32 v31, v40, v28, v18
	v_add_co_u32_e32 v18, vcc, s7, v26
	v_addc_co_u32_e32 v19, vcc, 0, v27, vcc
	v_lshlrev_b32_e32 v6, 2, v33
	v_or_b32_e32 v37, 0x1c00, v0
	v_add_co_u32_e32 v40, vcc, s28, v26
	global_load_dword v64, v6, s[24:25]
	global_load_dword v65, v[34:35], off offset:2048
	v_lshlrev_b32_e32 v6, 2, v63
	v_addc_co_u32_e32 v41, vcc, 0, v27, vcc
	v_lshlrev_b32_e32 v27, 3, v63
	v_lshlrev_b32_e32 v26, 3, v37
	;; [unrolled: 1-line block ×3, first 2 shown]
	global_load_dword v63, v6, s[24:25]
	global_load_dword v38, v[18:19], off offset:2048
	global_load_dword v37, v7, s[24:25]
	global_load_dword v35, v[40:41], off offset:2048
	v_div_fixup_f32 v40, v51, v46, v13
	v_and_b32_e32 v13, 0xffff0000, v36
	v_lshlrev_b32_e32 v28, 3, v33
	v_div_fixup_f32 v33, v45, v43, v8
	v_div_fixup_f32 v43, v53, v49, v2
	v_lshlrev_b32_e32 v36, 16, v36
	v_div_fixup_f32 v41, v50, v47, v12
	v_div_fixup_f32 v34, v44, v42, v9
	;; [unrolled: 1-line block ×3, first 2 shown]
	global_load_dwordx2 v[18:19], v28, s[22:23]
	global_load_dwordx2 v[8:9], v27, s[22:23]
	;; [unrolled: 1-line block ×3, first 2 shown]
	v_div_fixup_f32 v53, v61, v57, v4
	v_div_fixup_f32 v51, v59, v55, v10
	v_div_fixup_f32 v52, v60, v56, v5
	s_add_u32 s10, s16, s20
	s_addc_u32 s11, s17, s21
	s_mov_b32 s23, 0x800000
	s_mov_b32 s22, 0x3f7ffffe
	;; [unrolled: 1-line block ×4, first 2 shown]
	s_waitcnt vmcnt(12)
	v_div_scale_f32 v2, s[6:7], v13, v13, v15
	v_rcp_f32_e32 v12, v2
	v_div_scale_f32 v3, s[6:7], v36, v36, v14
	v_rcp_f32_e32 v44, v3
	v_fma_f32 v46, -v2, v12, 1.0
	v_div_scale_f32 v45, vcc, v15, v13, v15
	v_fmac_f32_e32 v12, v46, v12
	v_fma_f32 v47, -v3, v44, 1.0
	v_mul_f32_e32 v46, v45, v12
	v_fmac_f32_e32 v44, v47, v44
	v_fma_f32 v47, -v2, v46, v45
	v_fmac_f32_e32 v46, v47, v12
	v_fma_f32 v2, -v2, v46, v45
	v_div_scale_f32 v45, s[6:7], v14, v36, v14
	v_div_fmas_f32 v12, v2, v12, v46
	v_mul_f32_e32 v2, v45, v44
	s_waitcnt vmcnt(11)
	v_and_b32_e32 v47, 0xffff0000, v62
	v_fma_f32 v46, -v3, v2, v45
	v_fmac_f32_e32 v2, v46, v44
	s_waitcnt vmcnt(9)
	v_div_scale_f32 v46, s[8:9], v47, v47, v17
	v_fma_f32 v3, -v3, v2, v45
	v_rcp_f32_e32 v45, v46
	s_mov_b64 vcc, s[6:7]
	v_div_fmas_f32 v44, v3, v44, v2
	v_div_scale_f32 v2, vcc, v17, v47, v17
	v_fma_f32 v3, -v46, v45, 1.0
	v_fmac_f32_e32 v45, v3, v45
	v_mul_f32_e32 v3, v2, v45
	v_fma_f32 v48, -v46, v3, v2
	v_fmac_f32_e32 v3, v48, v45
	v_lshlrev_b32_e32 v48, 16, v62
	v_fma_f32 v2, -v46, v3, v2
	v_div_scale_f32 v46, s[6:7], v48, v48, v16
	v_div_fmas_f32 v45, v2, v45, v3
	v_rcp_f32_e32 v2, v46
	v_div_fixup_f32 v60, v12, v13, v15
	s_waitcnt vmcnt(7)
	v_and_b32_e32 v12, 0xffff0000, v65
	v_lshlrev_b32_e32 v13, 16, v65
	v_fma_f32 v3, -v46, v2, 1.0
	v_fmac_f32_e32 v2, v3, v2
	v_div_scale_f32 v3, vcc, v16, v48, v16
	v_mul_f32_e32 v49, v3, v2
	v_fma_f32 v50, -v46, v49, v3
	v_fmac_f32_e32 v49, v50, v2
	v_fma_f32 v3, -v46, v49, v3
	v_div_fmas_f32 v46, v3, v2, v49
	v_add_co_u32_e32 v2, vcc, 0x9000, v24
	v_addc_co_u32_e32 v3, vcc, 0, v23, vcc
	global_load_dwordx2 v[2:3], v[2:3], off
	v_and_b32_e32 v50, 0xffff0000, v39
	v_lshlrev_b32_e32 v39, 16, v39
	v_div_fixup_f32 v49, v58, v54, v11
	v_lshlrev_b32_e32 v58, 16, v64
	v_div_fixup_f32 v44, v44, v36, v14
	v_div_fixup_f32 v45, v45, v47, v17
	;; [unrolled: 1-line block ×3, first 2 shown]
	s_waitcnt vmcnt(4)
	v_and_b32_e32 v71, 0xffff0000, v35
	v_lshlrev_b32_e32 v72, 16, v35
	s_waitcnt vmcnt(0)
	v_div_scale_f32 v4, s[6:7], v50, v50, v3
	v_rcp_f32_e32 v10, v4
	v_div_scale_f32 v5, s[6:7], v39, v39, v2
	v_rcp_f32_e32 v11, v5
	v_fma_f32 v55, -v4, v10, 1.0
	v_div_scale_f32 v54, vcc, v3, v50, v3
	v_fmac_f32_e32 v10, v55, v10
	v_fma_f32 v56, -v5, v11, 1.0
	v_mul_f32_e32 v55, v54, v10
	v_fmac_f32_e32 v11, v56, v11
	v_fma_f32 v56, -v4, v55, v54
	v_fmac_f32_e32 v55, v56, v10
	v_fma_f32 v4, -v4, v55, v54
	v_div_scale_f32 v54, s[6:7], v2, v39, v2
	v_div_fmas_f32 v55, v4, v10, v55
	v_mul_f32_e32 v4, v54, v11
	v_and_b32_e32 v56, 0xffff0000, v64
	v_fma_f32 v10, -v5, v4, v54
	v_fmac_f32_e32 v4, v10, v11
	v_div_scale_f32 v10, s[8:9], v56, v56, v19
	v_fma_f32 v5, -v5, v4, v54
	v_rcp_f32_e32 v54, v10
	s_mov_b64 vcc, s[6:7]
	v_div_fmas_f32 v57, v5, v11, v4
	v_div_scale_f32 v4, vcc, v19, v56, v19
	v_fma_f32 v5, -v10, v54, 1.0
	v_fmac_f32_e32 v54, v5, v54
	v_mul_f32_e32 v5, v4, v54
	v_fma_f32 v11, -v10, v5, v4
	v_fmac_f32_e32 v5, v11, v54
	v_fma_f32 v4, -v10, v5, v4
	v_div_scale_f32 v10, s[6:7], v58, v58, v18
	v_div_fmas_f32 v54, v4, v54, v5
	v_rcp_f32_e32 v4, v10
	v_div_fixup_f32 v54, v54, v56, v19
	v_lshlrev_b32_e32 v19, 16, v38
	v_fma_f32 v5, -v10, v4, 1.0
	v_fmac_f32_e32 v4, v5, v4
	v_div_scale_f32 v5, vcc, v18, v58, v18
	v_mul_f32_e32 v11, v5, v4
	v_fma_f32 v59, -v10, v11, v5
	v_fmac_f32_e32 v11, v59, v4
	v_fma_f32 v5, -v10, v11, v5
	v_div_fmas_f32 v59, v5, v4, v11
	v_add_co_u32_e32 v4, vcc, 0xb000, v24
	v_addc_co_u32_e32 v5, vcc, 0, v23, vcc
	global_load_dwordx2 v[4:5], v[4:5], off
	v_div_fixup_f32 v56, v59, v58, v18
	v_and_b32_e32 v18, 0xffff0000, v38
	v_and_b32_e32 v58, 0xffff0000, v37
	v_lshlrev_b32_e32 v59, 16, v37
	s_waitcnt vmcnt(0)
	v_div_scale_f32 v10, s[6:7], v12, v12, v5
	v_rcp_f32_e32 v14, v10
	v_div_scale_f32 v11, s[6:7], v13, v13, v4
	v_rcp_f32_e32 v15, v11
	v_fma_f32 v17, -v10, v14, 1.0
	v_div_scale_f32 v16, vcc, v5, v12, v5
	v_fmac_f32_e32 v14, v17, v14
	v_fma_f32 v36, -v11, v15, 1.0
	v_mul_f32_e32 v17, v16, v14
	v_fmac_f32_e32 v15, v36, v15
	v_fma_f32 v36, -v10, v17, v16
	v_fmac_f32_e32 v17, v36, v14
	v_fma_f32 v10, -v10, v17, v16
	v_div_scale_f32 v16, s[6:7], v4, v13, v4
	v_div_fmas_f32 v14, v10, v14, v17
	v_mul_f32_e32 v10, v16, v15
	v_and_b32_e32 v36, 0xffff0000, v63
	v_fma_f32 v17, -v11, v10, v16
	v_fmac_f32_e32 v10, v17, v15
	v_div_scale_f32 v17, s[8:9], v36, v36, v9
	v_fma_f32 v11, -v11, v10, v16
	v_rcp_f32_e32 v16, v17
	s_mov_b64 vcc, s[6:7]
	v_div_fmas_f32 v15, v11, v15, v10
	v_div_scale_f32 v10, vcc, v9, v36, v9
	v_fma_f32 v11, -v17, v16, 1.0
	v_fmac_f32_e32 v16, v11, v16
	v_mul_f32_e32 v11, v10, v16
	v_fma_f32 v47, -v17, v11, v10
	v_fmac_f32_e32 v11, v47, v16
	v_lshlrev_b32_e32 v47, 16, v63
	v_fma_f32 v10, -v17, v11, v10
	v_div_scale_f32 v17, s[6:7], v47, v47, v8
	v_div_fmas_f32 v16, v10, v16, v11
	v_rcp_f32_e32 v10, v17
	v_div_fixup_f32 v64, v15, v13, v4
	v_div_fixup_f32 v63, v14, v12, v5
	;; [unrolled: 1-line block ×3, first 2 shown]
	v_fma_f32 v11, -v17, v10, 1.0
	v_fmac_f32_e32 v10, v11, v10
	v_div_scale_f32 v11, vcc, v8, v47, v8
	v_mul_f32_e32 v48, v11, v10
	v_fma_f32 v61, -v17, v48, v11
	v_fmac_f32_e32 v48, v61, v10
	v_fma_f32 v11, -v17, v48, v11
	v_div_fmas_f32 v17, v11, v10, v48
	v_add_co_u32_e32 v10, vcc, 0xd000, v24
	v_addc_co_u32_e32 v11, vcc, 0, v23, vcc
	global_load_dwordx2 v[10:11], v[10:11], off
	v_div_fixup_f32 v66, v17, v47, v8
	v_div_fixup_f32 v48, v55, v50, v3
	;; [unrolled: 1-line block ×3, first 2 shown]
	v_mov_b32_e32 v2, s11
	v_add_co_u32_e32 v61, vcc, s10, v1
	v_addc_co_u32_e32 v62, vcc, 0, v2, vcc
	v_add_co_u32_e32 v2, vcc, s27, v61
	v_addc_co_u32_e32 v3, vcc, 0, v62, vcc
	v_div_scale_f32 v12, s[6:7], v58, v58, v7
	v_mov_b32_e32 v55, 0x800000
	v_mov_b32_e32 v57, 0x3f7ffffe
	s_waitcnt vmcnt(0)
	v_div_scale_f32 v4, s[6:7], v18, v18, v11
	v_rcp_f32_e32 v8, v4
	v_div_scale_f32 v5, s[6:7], v19, v19, v10
	v_rcp_f32_e32 v9, v5
	v_fma_f32 v14, -v4, v8, 1.0
	v_div_scale_f32 v13, vcc, v11, v18, v11
	v_fmac_f32_e32 v8, v14, v8
	v_fma_f32 v15, -v5, v9, 1.0
	v_mul_f32_e32 v14, v13, v8
	v_fmac_f32_e32 v9, v15, v9
	v_fma_f32 v15, -v4, v14, v13
	v_fmac_f32_e32 v14, v15, v8
	v_div_scale_f32 v15, s[6:7], v59, v59, v6
	v_fma_f32 v4, -v4, v14, v13
	v_div_scale_f32 v13, s[6:7], v10, v19, v10
	v_div_fmas_f32 v4, v4, v8, v14
	v_mul_f32_e32 v8, v13, v9
	v_fma_f32 v14, -v5, v8, v13
	v_fmac_f32_e32 v8, v14, v9
	v_rcp_f32_e32 v14, v12
	v_fma_f32 v5, -v5, v8, v13
	v_rcp_f32_e32 v13, v15
	s_mov_b64 vcc, s[6:7]
	v_div_fmas_f32 v5, v5, v9, v8
	v_fma_f32 v9, -v12, v14, 1.0
	v_div_scale_f32 v8, vcc, v7, v58, v7
	v_fmac_f32_e32 v14, v9, v14
	v_div_fixup_f32 v67, v4, v18, v11
	v_mul_f32_e32 v11, v8, v14
	v_fma_f32 v9, -v15, v13, 1.0
	v_fma_f32 v4, -v12, v11, v8
	v_fmac_f32_e32 v13, v9, v13
	v_div_scale_f32 v9, s[6:7], v6, v59, v6
	v_fmac_f32_e32 v11, v4, v14
	v_div_fixup_f32 v68, v5, v19, v10
	v_mul_f32_e32 v16, v9, v13
	v_fma_f32 v10, -v12, v11, v8
	v_fma_f32 v5, -v15, v16, v9
	v_div_fmas_f32 v69, v10, v14, v11
	v_add_co_u32_e32 v10, vcc, s28, v61
	v_fmac_f32_e32 v16, v5, v13
	v_addc_co_u32_e32 v11, vcc, 0, v62, vcc
	v_fma_f32 v12, -v15, v16, v9
	s_mov_b64 vcc, s[6:7]
	v_add_co_u32_e64 v4, s[8:9], s26, v61
	s_nop 0
	v_div_fmas_f32 v70, v12, v13, v16
	v_cmp_ngt_f32_e32 vcc, s23, v29
	v_cndmask_b32_e32 v12, v55, v29, vcc
	v_cmp_ngt_f32_e32 vcc, s23, v32
	v_cndmask_b32_e32 v14, v55, v32, vcc
	v_cmp_nlt_f32_e32 vcc, s22, v12
	v_cndmask_b32_e32 v13, v57, v12, vcc
	v_cmp_nlt_f32_e32 vcc, s22, v14
	v_cndmask_b32_e32 v12, v57, v14, vcc
	v_cmp_ngt_f32_e32 vcc, s23, v30
	v_cndmask_b32_e32 v14, v55, v30, vcc
	v_cmp_ngt_f32_e32 vcc, s23, v31
	v_cndmask_b32_e32 v16, v55, v31, vcc
	v_cmp_nlt_f32_e32 vcc, s22, v14
	v_cndmask_b32_e32 v15, v57, v14, vcc
	v_cmp_nlt_f32_e32 vcc, s22, v16
	v_cndmask_b32_e32 v14, v57, v16, vcc
	;; [unrolled: 8-line block ×7, first 2 shown]
	v_add_co_u32_e32 v36, vcc, 0xf000, v24
	v_addc_co_u32_e32 v37, vcc, 0, v23, vcc
	global_load_dwordx2 v[36:37], v[36:37], off
	v_cmp_ngt_f32_e32 vcc, s23, v60
	v_cndmask_b32_e32 v23, v55, v60, vcc
	v_cmp_ngt_f32_e32 vcc, s23, v44
	v_cndmask_b32_e32 v24, v55, v44, vcc
	v_cmp_nlt_f32_e32 vcc, s22, v23
	v_cndmask_b32_e32 v39, v57, v23, vcc
	v_cmp_nlt_f32_e32 vcc, s22, v24
	v_cndmask_b32_e32 v38, v57, v24, vcc
	v_cmp_ngt_f32_e32 vcc, s23, v45
	v_cndmask_b32_e32 v23, v55, v45, vcc
	v_cmp_ngt_f32_e32 vcc, s23, v46
	v_cndmask_b32_e32 v24, v55, v46, vcc
	v_cmp_nlt_f32_e32 vcc, s22, v23
	v_cndmask_b32_e32 v41, v57, v23, vcc
	v_cmp_nlt_f32_e32 vcc, s22, v24
	v_cndmask_b32_e32 v40, v57, v24, vcc
	;; [unrolled: 8-line block ×6, first 2 shown]
	v_cmp_ngt_f32_e32 vcc, s23, v67
	v_cndmask_b32_e32 v23, v55, v67, vcc
	v_cmp_ngt_f32_e32 vcc, s23, v68
	v_addc_co_u32_e64 v5, s[8:9], 0, v62, s[8:9]
	v_cndmask_b32_e32 v24, v55, v68, vcc
	v_cmp_nlt_f32_e32 vcc, s22, v23
	v_add_co_u32_e64 v8, s[8:9], s29, v61
	v_cndmask_b32_e32 v51, v57, v23, vcc
	v_div_fixup_f32 v7, v69, v58, v7
	v_cmp_nlt_f32_e32 vcc, s22, v24
	v_addc_co_u32_e64 v9, s[8:9], 0, v62, s[8:9]
	v_cndmask_b32_e32 v50, v57, v24, vcc
	v_div_fixup_f32 v6, v70, v59, v6
	v_cmp_ngt_f32_e32 vcc, s23, v7
	global_store_dwordx2 v1, v[12:13], s[10:11]
	global_store_dwordx2 v[2:3], v[14:15], off
	global_store_dwordx2 v22, v[16:17], s[10:11]
	global_store_dwordx2 v[4:5], v[18:19], off
	;; [unrolled: 2-line block ×4, first 2 shown]
	global_store_dwordx2 v25, v[40:41], s[10:11]
	global_store_dwordx2 v28, v[44:45], s[10:11]
	;; [unrolled: 1-line block ×3, first 2 shown]
	v_cndmask_b32_e32 v7, v55, v7, vcc
	v_cmp_ngt_f32_e32 vcc, s23, v6
	v_cndmask_b32_e32 v6, v55, v6, vcc
	v_cmp_nlt_f32_e32 vcc, s22, v7
	v_cndmask_b32_e32 v7, v57, v7, vcc
	v_cmp_nlt_f32_e32 vcc, s22, v6
	v_cndmask_b32_e32 v6, v57, v6, vcc
	global_store_dwordx2 v26, v[6:7], s[10:11]
	s_waitcnt vmcnt(12)
	v_div_scale_f32 v1, s[6:7], v71, v71, v37
	v_div_scale_f32 v3, s[6:7], v72, v72, v36
	v_rcp_f32_e32 v4, v1
	v_rcp_f32_e32 v5, v3
	v_div_scale_f32 v2, vcc, v37, v71, v37
	v_fma_f32 v7, -v1, v4, 1.0
	v_fma_f32 v8, -v3, v5, 1.0
	v_fmac_f32_e32 v4, v7, v4
	v_div_scale_f32 v6, s[6:7], v36, v72, v36
	v_fmac_f32_e32 v5, v8, v5
	v_mul_f32_e32 v7, v2, v4
	v_mul_f32_e32 v8, v6, v5
	v_fma_f32 v9, -v1, v7, v2
	v_fma_f32 v10, -v3, v8, v6
	v_fmac_f32_e32 v7, v9, v4
	v_fmac_f32_e32 v8, v10, v5
	v_fma_f32 v1, -v1, v7, v2
	v_fma_f32 v2, -v3, v8, v6
	v_div_fmas_f32 v1, v1, v4, v7
	s_mov_b64 vcc, s[6:7]
	v_div_fixup_f32 v1, v1, v71, v37
	v_div_fmas_f32 v3, v2, v5, v8
	v_add_co_u32_e32 v2, vcc, s25, v61
	v_div_fixup_f32 v5, v3, v72, v36
	v_cmp_ngt_f32_e64 s[6:7], s23, v1
	v_addc_co_u32_e32 v3, vcc, 0, v62, vcc
	v_cndmask_b32_e64 v1, v55, v1, s[6:7]
	v_add_co_u32_e32 v4, vcc, s24, v61
	v_cmp_ngt_f32_e64 s[6:7], s23, v5
	v_cndmask_b32_e64 v6, v55, v5, s[6:7]
	v_addc_co_u32_e32 v5, vcc, 0, v62, vcc
	global_store_dwordx2 v[2:3], v[42:43], off
	v_add_co_u32_e32 v2, vcc, 0xd000, v61
	v_cmp_nlt_f32_e64 s[6:7], s22, v1
	v_addc_co_u32_e32 v3, vcc, 0, v62, vcc
	v_cndmask_b32_e64 v7, v57, v1, s[6:7]
	v_cmp_nlt_f32_e64 s[6:7], s22, v6
	global_store_dwordx2 v[4:5], v[46:47], off
	v_add_co_u32_e32 v4, vcc, 0xf000, v61
	v_cndmask_b32_e64 v6, v57, v6, s[6:7]
	v_addc_co_u32_e32 v5, vcc, 0, v62, vcc
	global_store_dwordx2 v[2:3], v[50:51], off
	global_store_dwordx2 v[4:5], v[6:7], off
	s_cbranch_execnz .LBB17_2
.LBB17_4:
	s_load_dword s6, s[4:5], 0x24
	s_load_dwordx4 s[20:23], s[4:5], 0x28
	s_add_u32 s8, s4, 56
	s_addc_u32 s9, s5, 0
	v_mov_b32_e32 v31, v0
	s_waitcnt lgkmcnt(0)
	v_lshrrev_b16_e64 v8, 8, s6
	v_mov_b32_e32 v0, s16
	v_mov_b32_e32 v1, s17
	v_mov_b32_e32 v2, s18
	v_mov_b32_e32 v3, s19
	v_mov_b32_e32 v4, s14
	v_mov_b32_e32 v5, s15
	v_mov_b32_e32 v6, s13
	v_mov_b32_e32 v7, s6
	v_mov_b32_e32 v9, s20
	v_mov_b32_e32 v10, s21
	v_mov_b32_e32 v11, s22
	v_mov_b32_e32 v12, s23
	s_getpc_b64 s[4:5]
	s_add_u32 s4, s4, _ZN2at6native25elementwise_kernel_helperILb1EZZZNS0_23launch_dirichlet_kernelERNS_18TensorIteratorBaseEENKUlvE_clEvENKUlvE0_clEvEUlffE_NS0_6memory8policies11unroll_baseILi512ESt5arrayIPcLm3EE23TrivialOffsetCalculatorILi2EjESD_ILi1EjENS7_12LoadWithCastILi2EEENS7_13StoreWithCastILi1EEELi32ELi1EEEEEvT0_T1_@rel32@lo+4
	s_addc_u32 s5, s5, _ZN2at6native25elementwise_kernel_helperILb1EZZZNS0_23launch_dirichlet_kernelERNS_18TensorIteratorBaseEENKUlvE_clEvENKUlvE0_clEvEUlffE_NS0_6memory8policies11unroll_baseILi512ESt5arrayIPcLm3EE23TrivialOffsetCalculatorILi2EjESD_ILi1EjENS7_12LoadWithCastILi2EEENS7_13StoreWithCastILi1EEELi32ELi1EEEEEvT0_T1_@rel32@hi+12
	s_swappc_b64 s[30:31], s[4:5]
	s_endpgm
	.section	.rodata,"a",@progbits
	.p2align	6, 0x0
	.amdhsa_kernel _ZN2at6native39vectorized_templated_elementwise_kernelILi2EZZZNS0_23launch_dirichlet_kernelERNS_18TensorIteratorBaseEENKUlvE_clEvENKUlvE0_clEvEUlffE_St5arrayIPcLm3EE23TrivialOffsetCalculatorILi2EjESA_ILi1EjENS0_6memory12LoadWithCastILi2EEENSD_13StoreWithCastILi1EEEfJfN3c108BFloat16EEEEviT0_T1_T2_T3_T4_T5_
		.amdhsa_group_segment_fixed_size 0
		.amdhsa_private_segment_fixed_size 288
		.amdhsa_kernarg_size 312
		.amdhsa_user_sgpr_count 8
		.amdhsa_user_sgpr_private_segment_buffer 1
		.amdhsa_user_sgpr_dispatch_ptr 0
		.amdhsa_user_sgpr_queue_ptr 0
		.amdhsa_user_sgpr_kernarg_segment_ptr 1
		.amdhsa_user_sgpr_dispatch_id 0
		.amdhsa_user_sgpr_flat_scratch_init 1
		.amdhsa_user_sgpr_kernarg_preload_length 0
		.amdhsa_user_sgpr_kernarg_preload_offset 0
		.amdhsa_user_sgpr_private_segment_size 0
		.amdhsa_uses_dynamic_stack 0
		.amdhsa_system_sgpr_private_segment_wavefront_offset 1
		.amdhsa_system_sgpr_workgroup_id_x 1
		.amdhsa_system_sgpr_workgroup_id_y 0
		.amdhsa_system_sgpr_workgroup_id_z 0
		.amdhsa_system_sgpr_workgroup_info 0
		.amdhsa_system_vgpr_workitem_id 0
		.amdhsa_next_free_vgpr 118
		.amdhsa_next_free_sgpr 98
		.amdhsa_accum_offset 120
		.amdhsa_reserve_vcc 1
		.amdhsa_reserve_flat_scratch 1
		.amdhsa_float_round_mode_32 0
		.amdhsa_float_round_mode_16_64 0
		.amdhsa_float_denorm_mode_32 3
		.amdhsa_float_denorm_mode_16_64 3
		.amdhsa_dx10_clamp 1
		.amdhsa_ieee_mode 1
		.amdhsa_fp16_overflow 0
		.amdhsa_tg_split 0
		.amdhsa_exception_fp_ieee_invalid_op 0
		.amdhsa_exception_fp_denorm_src 0
		.amdhsa_exception_fp_ieee_div_zero 0
		.amdhsa_exception_fp_ieee_overflow 0
		.amdhsa_exception_fp_ieee_underflow 0
		.amdhsa_exception_fp_ieee_inexact 0
		.amdhsa_exception_int_div_zero 0
	.end_amdhsa_kernel
	.section	.text._ZN2at6native39vectorized_templated_elementwise_kernelILi2EZZZNS0_23launch_dirichlet_kernelERNS_18TensorIteratorBaseEENKUlvE_clEvENKUlvE0_clEvEUlffE_St5arrayIPcLm3EE23TrivialOffsetCalculatorILi2EjESA_ILi1EjENS0_6memory12LoadWithCastILi2EEENSD_13StoreWithCastILi1EEEfJfN3c108BFloat16EEEEviT0_T1_T2_T3_T4_T5_,"axG",@progbits,_ZN2at6native39vectorized_templated_elementwise_kernelILi2EZZZNS0_23launch_dirichlet_kernelERNS_18TensorIteratorBaseEENKUlvE_clEvENKUlvE0_clEvEUlffE_St5arrayIPcLm3EE23TrivialOffsetCalculatorILi2EjESA_ILi1EjENS0_6memory12LoadWithCastILi2EEENSD_13StoreWithCastILi1EEEfJfN3c108BFloat16EEEEviT0_T1_T2_T3_T4_T5_,comdat
.Lfunc_end17:
	.size	_ZN2at6native39vectorized_templated_elementwise_kernelILi2EZZZNS0_23launch_dirichlet_kernelERNS_18TensorIteratorBaseEENKUlvE_clEvENKUlvE0_clEvEUlffE_St5arrayIPcLm3EE23TrivialOffsetCalculatorILi2EjESA_ILi1EjENS0_6memory12LoadWithCastILi2EEENSD_13StoreWithCastILi1EEEfJfN3c108BFloat16EEEEviT0_T1_T2_T3_T4_T5_, .Lfunc_end17-_ZN2at6native39vectorized_templated_elementwise_kernelILi2EZZZNS0_23launch_dirichlet_kernelERNS_18TensorIteratorBaseEENKUlvE_clEvENKUlvE0_clEvEUlffE_St5arrayIPcLm3EE23TrivialOffsetCalculatorILi2EjESA_ILi1EjENS0_6memory12LoadWithCastILi2EEENSD_13StoreWithCastILi1EEEfJfN3c108BFloat16EEEEviT0_T1_T2_T3_T4_T5_
                                        ; -- End function
	.section	.AMDGPU.csdata,"",@progbits
; Kernel info:
; codeLenInByte = 4292
; NumSgprs: 104
; NumVgprs: 118
; NumAgprs: 0
; TotalNumVgprs: 118
; ScratchSize: 288
; MemoryBound: 0
; FloatMode: 240
; IeeeMode: 1
; LDSByteSize: 0 bytes/workgroup (compile time only)
; SGPRBlocks: 12
; VGPRBlocks: 14
; NumSGPRsForWavesPerEU: 104
; NumVGPRsForWavesPerEU: 118
; AccumOffset: 120
; Occupancy: 4
; WaveLimiterHint : 0
; COMPUTE_PGM_RSRC2:SCRATCH_EN: 1
; COMPUTE_PGM_RSRC2:USER_SGPR: 8
; COMPUTE_PGM_RSRC2:TRAP_HANDLER: 0
; COMPUTE_PGM_RSRC2:TGID_X_EN: 1
; COMPUTE_PGM_RSRC2:TGID_Y_EN: 0
; COMPUTE_PGM_RSRC2:TGID_Z_EN: 0
; COMPUTE_PGM_RSRC2:TIDIG_COMP_CNT: 0
; COMPUTE_PGM_RSRC3_GFX90A:ACCUM_OFFSET: 29
; COMPUTE_PGM_RSRC3_GFX90A:TG_SPLIT: 0
	.section	.text._ZN2at6native39vectorized_templated_elementwise_kernelILi8EZZZNS0_23launch_dirichlet_kernelERNS_18TensorIteratorBaseEENKUlvE_clEvENKUlvE0_clEvEUlffE_St5arrayIPcLm3EE23TrivialOffsetCalculatorILi2EjESA_ILi1EjENS0_6memory12LoadWithCastILi2EEENSD_13StoreWithCastILi1EEEfJN3c108BFloat16EfEEEviT0_T1_T2_T3_T4_T5_,"axG",@progbits,_ZN2at6native39vectorized_templated_elementwise_kernelILi8EZZZNS0_23launch_dirichlet_kernelERNS_18TensorIteratorBaseEENKUlvE_clEvENKUlvE0_clEvEUlffE_St5arrayIPcLm3EE23TrivialOffsetCalculatorILi2EjESA_ILi1EjENS0_6memory12LoadWithCastILi2EEENSD_13StoreWithCastILi1EEEfJN3c108BFloat16EfEEEviT0_T1_T2_T3_T4_T5_,comdat
	.globl	_ZN2at6native39vectorized_templated_elementwise_kernelILi8EZZZNS0_23launch_dirichlet_kernelERNS_18TensorIteratorBaseEENKUlvE_clEvENKUlvE0_clEvEUlffE_St5arrayIPcLm3EE23TrivialOffsetCalculatorILi2EjESA_ILi1EjENS0_6memory12LoadWithCastILi2EEENSD_13StoreWithCastILi1EEEfJN3c108BFloat16EfEEEviT0_T1_T2_T3_T4_T5_ ; -- Begin function _ZN2at6native39vectorized_templated_elementwise_kernelILi8EZZZNS0_23launch_dirichlet_kernelERNS_18TensorIteratorBaseEENKUlvE_clEvENKUlvE0_clEvEUlffE_St5arrayIPcLm3EE23TrivialOffsetCalculatorILi2EjESA_ILi1EjENS0_6memory12LoadWithCastILi2EEENSD_13StoreWithCastILi1EEEfJN3c108BFloat16EfEEEviT0_T1_T2_T3_T4_T5_
	.p2align	8
	.type	_ZN2at6native39vectorized_templated_elementwise_kernelILi8EZZZNS0_23launch_dirichlet_kernelERNS_18TensorIteratorBaseEENKUlvE_clEvENKUlvE0_clEvEUlffE_St5arrayIPcLm3EE23TrivialOffsetCalculatorILi2EjESA_ILi1EjENS0_6memory12LoadWithCastILi2EEENSD_13StoreWithCastILi1EEEfJN3c108BFloat16EfEEEviT0_T1_T2_T3_T4_T5_,@function
_ZN2at6native39vectorized_templated_elementwise_kernelILi8EZZZNS0_23launch_dirichlet_kernelERNS_18TensorIteratorBaseEENKUlvE_clEvENKUlvE0_clEvEUlffE_St5arrayIPcLm3EE23TrivialOffsetCalculatorILi2EjESA_ILi1EjENS0_6memory12LoadWithCastILi2EEENSD_13StoreWithCastILi1EEEfJN3c108BFloat16EfEEEviT0_T1_T2_T3_T4_T5_: ; @_ZN2at6native39vectorized_templated_elementwise_kernelILi8EZZZNS0_23launch_dirichlet_kernelERNS_18TensorIteratorBaseEENKUlvE_clEvENKUlvE0_clEvEUlffE_St5arrayIPcLm3EE23TrivialOffsetCalculatorILi2EjESA_ILi1EjENS0_6memory12LoadWithCastILi2EEENSD_13StoreWithCastILi1EEEfJN3c108BFloat16EfEEEviT0_T1_T2_T3_T4_T5_
; %bb.0:
	s_add_u32 flat_scratch_lo, s6, s9
	s_addc_u32 flat_scratch_hi, s7, 0
	s_add_u32 s0, s0, s9
	s_load_dword s6, s[4:5], 0x38
	s_load_dwordx2 s[10:11], s[4:5], 0x18
	s_load_dword s7, s[4:5], 0x0
	s_load_dwordx4 s[16:19], s[4:5], 0x8
	s_addc_u32 s1, s1, 0
	s_mov_b32 s12, s8
	s_not_b32 s8, s8
	s_waitcnt lgkmcnt(0)
	s_add_i32 s6, s6, s8
	s_lshl_b32 s8, s6, 14
	s_sub_i32 s13, s7, s8
	s_cmpk_gt_i32 s13, 0x3fff
	s_mov_b64 s[6:7], -1
	s_mov_b32 s32, 0
	s_cbranch_scc1 .LBB18_3
; %bb.1:
	s_andn2_b64 vcc, exec, s[6:7]
	s_cbranch_vccz .LBB18_4
.LBB18_2:
	s_endpgm
.LBB18_3:
	s_ashr_i32 s9, s8, 31
	s_lshl_b64 s[6:7], s[8:9], 1
	s_add_u32 s6, s18, s6
	s_addc_u32 s7, s19, s7
	v_lshlrev_b32_e32 v18, 4, v0
	s_lshl_b64 s[8:9], s[8:9], 2
	global_load_dwordx4 v[14:17], v18, s[6:7]
	s_add_u32 s20, s10, s8
	s_addc_u32 s21, s11, s9
	v_lshlrev_b32_e32 v1, 5, v0
	global_load_dwordx4 v[2:5], v1, s[20:21]
	global_load_dwordx4 v[6:9], v1, s[20:21] offset:16
	v_mov_b32_e32 v19, s7
	v_add_co_u32_e32 v18, vcc, s6, v18
	v_addc_co_u32_e32 v19, vcc, 0, v19, vcc
	v_mov_b32_e32 v20, s21
	v_add_co_u32_e32 v21, vcc, s20, v1
	s_movk_i32 s22, 0x4000
	v_addc_co_u32_e32 v20, vcc, 0, v20, vcc
	v_add_co_u32_e32 v32, vcc, s22, v21
	s_mov_b32 s25, 0xc000
	v_addc_co_u32_e32 v33, vcc, 0, v20, vcc
	s_add_u32 s14, s16, s8
	v_add_co_u32_e32 v30, vcc, s25, v21
	s_addc_u32 s15, s17, s9
	v_addc_co_u32_e32 v31, vcc, 0, v20, vcc
	v_or_b32_e32 v10, 0x400, v0
	v_mov_b32_e32 v20, s15
	v_add_co_u32_e32 v38, vcc, s14, v1
	v_lshlrev_b32_e32 v11, 4, v10
	v_addc_co_u32_e32 v37, vcc, 0, v20, vcc
	v_lshlrev_b32_e32 v34, 5, v10
	global_load_dwordx4 v[10:13], v11, s[6:7]
	s_mov_b32 s23, 0x800000
	v_mov_b32_e32 v35, 0x800000
	s_mov_b32 s24, 0x3f7ffffe
	v_mov_b32_e32 v36, 0x3f7ffffe
	s_waitcnt vmcnt(3)
	v_lshlrev_b32_e32 v20, 16, v14
	v_and_b32_e32 v14, 0xffff0000, v14
	v_lshlrev_b32_e32 v21, 16, v15
	s_waitcnt vmcnt(2)
	v_div_scale_f32 v22, s[6:7], v3, v3, v14
	v_div_scale_f32 v24, s[6:7], v2, v2, v20
	v_rcp_f32_e32 v29, v22
	v_rcp_f32_e32 v39, v24
	v_and_b32_e32 v15, 0xffff0000, v15
	v_div_scale_f32 v23, vcc, v14, v3, v14
	v_fma_f32 v42, -v22, v29, 1.0
	v_fma_f32 v43, -v24, v39, 1.0
	v_fmac_f32_e32 v29, v42, v29
	v_div_scale_f32 v25, s[6:7], v20, v2, v20
	v_div_scale_f32 v26, s[8:9], v5, v5, v15
	v_fmac_f32_e32 v39, v43, v39
	v_mul_f32_e32 v42, v23, v29
	v_rcp_f32_e32 v40, v26
	v_mul_f32_e32 v43, v25, v39
	v_fma_f32 v45, -v22, v42, v23
	v_fma_f32 v46, -v24, v43, v25
	v_fmac_f32_e32 v42, v45, v29
	v_fmac_f32_e32 v43, v46, v39
	v_fma_f32 v22, -v22, v42, v23
	v_fma_f32 v23, -v24, v43, v25
	v_div_fmas_f32 v22, v22, v29, v42
	s_mov_b64 vcc, s[6:7]
	v_fma_f32 v44, -v26, v40, 1.0
	v_div_fixup_f32 v3, v22, v3, v14
	v_div_fmas_f32 v14, v23, v39, v43
	v_div_scale_f32 v27, s[8:9], v15, v5, v15
	v_fmac_f32_e32 v40, v44, v40
	v_div_fixup_f32 v2, v14, v2, v20
	v_cmp_ngt_f32_e32 vcc, s23, v3
	v_div_scale_f32 v28, s[26:27], v4, v4, v21
	v_mul_f32_e32 v44, v27, v40
	v_cndmask_b32_e32 v3, v35, v3, vcc
	v_cmp_ngt_f32_e32 vcc, s23, v2
	v_rcp_f32_e32 v41, v28
	v_fma_f32 v47, -v26, v44, v27
	v_cndmask_b32_e32 v2, v35, v2, vcc
	v_cmp_nlt_f32_e32 vcc, s24, v3
	v_fmac_f32_e32 v44, v47, v40
	v_cndmask_b32_e32 v3, v36, v3, vcc
	v_cmp_nlt_f32_e32 vcc, s24, v2
	v_fma_f32 v24, -v26, v44, v27
	v_cndmask_b32_e32 v2, v36, v2, vcc
	s_mov_b64 vcc, s[8:9]
	s_nop 0
	v_div_fmas_f32 v14, v24, v40, v44
	v_div_fixup_f32 v5, v14, v5, v15
	v_fma_f32 v14, -v28, v41, 1.0
	v_fmac_f32_e32 v41, v14, v41
	v_div_scale_f32 v14, vcc, v21, v4, v21
	v_mul_f32_e32 v15, v14, v41
	v_fma_f32 v20, -v28, v15, v14
	v_fmac_f32_e32 v15, v20, v41
	v_fma_f32 v14, -v28, v15, v14
	v_div_fmas_f32 v14, v14, v41, v15
	v_div_fixup_f32 v4, v14, v4, v21
	v_cmp_ngt_f32_e32 vcc, s23, v4
	v_cndmask_b32_e32 v4, v35, v4, vcc
	v_cmp_ngt_f32_e32 vcc, s23, v5
	v_and_b32_e32 v20, 0xffff0000, v16
	v_cndmask_b32_e32 v5, v35, v5, vcc
	s_waitcnt vmcnt(1)
	v_div_scale_f32 v21, s[6:7], v7, v7, v20
	v_cmp_nlt_f32_e32 vcc, s24, v5
	s_movk_i32 s6, 0x2000
	v_cndmask_b32_e32 v5, v36, v5, vcc
	v_add_co_u32_e32 v14, vcc, s6, v18
	v_addc_co_u32_e32 v15, vcc, 0, v19, vcc
	global_load_dwordx4 v[22:25], v[14:15], off
	global_load_dwordx4 v[26:29], v[32:33], off
	v_rcp_f32_e32 v39, v21
	v_cmp_nlt_f32_e32 vcc, s24, v4
	v_cndmask_b32_e32 v4, v36, v4, vcc
	v_lshlrev_b32_e32 v14, 16, v16
	v_fma_f32 v15, -v21, v39, 1.0
	v_fmac_f32_e32 v39, v15, v39
	v_div_scale_f32 v15, vcc, v20, v7, v20
	v_mul_f32_e32 v16, v15, v39
	v_fma_f32 v40, -v21, v16, v15
	v_fmac_f32_e32 v16, v40, v39
	v_fma_f32 v15, -v21, v16, v15
	v_div_scale_f32 v21, s[6:7], v6, v6, v14
	v_rcp_f32_e32 v40, v21
	v_div_fmas_f32 v15, v15, v39, v16
	v_div_fixup_f32 v7, v15, v7, v20
	v_fma_f32 v15, -v21, v40, 1.0
	v_fmac_f32_e32 v40, v15, v40
	v_div_scale_f32 v15, vcc, v14, v6, v14
	v_mul_f32_e32 v16, v15, v40
	v_fma_f32 v20, -v21, v16, v15
	v_fmac_f32_e32 v16, v20, v40
	v_fma_f32 v15, -v21, v16, v15
	v_div_fmas_f32 v15, v15, v40, v16
	global_load_dwordx4 v[40:43], v[32:33], off offset:16
	v_div_fixup_f32 v6, v15, v6, v14
	v_and_b32_e32 v14, 0xffff0000, v17
	v_div_scale_f32 v15, s[6:7], v9, v9, v14
	v_cmp_ngt_f32_e32 vcc, s23, v6
	v_rcp_f32_e32 v16, v15
	v_cndmask_b32_e32 v6, v35, v6, vcc
	v_cmp_ngt_f32_e32 vcc, s23, v7
	v_cndmask_b32_e32 v7, v35, v7, vcc
	v_cmp_nlt_f32_e32 vcc, s24, v7
	v_cndmask_b32_e32 v7, v36, v7, vcc
	v_cmp_nlt_f32_e32 vcc, s24, v6
	v_fma_f32 v20, -v15, v16, 1.0
	v_cndmask_b32_e32 v6, v36, v6, vcc
	v_fmac_f32_e32 v16, v20, v16
	v_div_scale_f32 v20, vcc, v14, v9, v14
	v_mul_f32_e32 v21, v20, v16
	v_fma_f32 v39, -v15, v21, v20
	v_lshlrev_b32_e32 v17, 16, v17
	v_fmac_f32_e32 v21, v39, v16
	v_fma_f32 v15, -v15, v21, v20
	v_div_scale_f32 v20, s[6:7], v8, v8, v17
	v_rcp_f32_e32 v39, v20
	v_div_fmas_f32 v15, v15, v16, v21
	v_div_fixup_f32 v9, v15, v9, v14
	s_movk_i32 s6, 0x6000
	v_fma_f32 v14, -v20, v39, 1.0
	v_fmac_f32_e32 v39, v14, v39
	v_div_scale_f32 v14, vcc, v17, v8, v17
	v_mul_f32_e32 v15, v14, v39
	v_fma_f32 v16, -v20, v15, v14
	v_fmac_f32_e32 v15, v16, v39
	v_fma_f32 v14, -v20, v15, v14
	v_div_fmas_f32 v14, v14, v39, v15
	v_div_fixup_f32 v8, v14, v8, v17
	v_cmp_ngt_f32_e32 vcc, s23, v8
	v_cndmask_b32_e32 v8, v35, v8, vcc
	v_cmp_ngt_f32_e32 vcc, s23, v9
	v_cndmask_b32_e32 v9, v35, v9, vcc
	v_cmp_nlt_f32_e32 vcc, s24, v9
	v_cndmask_b32_e32 v9, v36, v9, vcc
	v_add_co_u32_e32 v14, vcc, s6, v18
	v_addc_co_u32_e32 v15, vcc, 0, v19, vcc
	global_load_dwordx4 v[18:21], v[14:15], off
	v_cmp_nlt_f32_e32 vcc, s24, v8
	s_waitcnt vmcnt(3)
	v_and_b32_e32 v14, 0xffff0000, v22
	s_waitcnt vmcnt(2)
	v_div_scale_f32 v15, s[6:7], v27, v27, v14
	v_rcp_f32_e32 v16, v15
	v_lshlrev_b32_e32 v17, 16, v22
	v_cndmask_b32_e32 v8, v36, v8, vcc
	v_fma_f32 v22, -v15, v16, 1.0
	v_fmac_f32_e32 v16, v22, v16
	v_div_scale_f32 v22, vcc, v14, v27, v14
	v_mul_f32_e32 v32, v22, v16
	v_fma_f32 v33, -v15, v32, v22
	v_fmac_f32_e32 v32, v33, v16
	v_fma_f32 v15, -v15, v32, v22
	v_div_scale_f32 v22, s[6:7], v26, v26, v17
	v_rcp_f32_e32 v33, v22
	v_div_fmas_f32 v15, v15, v16, v32
	v_div_fixup_f32 v14, v15, v27, v14
	v_fma_f32 v15, -v22, v33, 1.0
	v_fmac_f32_e32 v33, v15, v33
	v_div_scale_f32 v15, vcc, v17, v26, v17
	v_mul_f32_e32 v16, v15, v33
	v_fma_f32 v27, -v22, v16, v15
	v_fmac_f32_e32 v16, v27, v33
	v_fma_f32 v15, -v22, v16, v15
	v_div_fmas_f32 v15, v15, v33, v16
	v_div_fixup_f32 v15, v15, v26, v17
	v_and_b32_e32 v17, 0xffff0000, v23
	v_cmp_ngt_f32_e32 vcc, s23, v15
	v_div_scale_f32 v22, s[6:7], v29, v29, v17
	v_cndmask_b32_e32 v16, v35, v15, vcc
	v_cmp_ngt_f32_e32 vcc, s23, v14
	v_rcp_f32_e32 v26, v22
	v_cndmask_b32_e32 v14, v35, v14, vcc
	v_cmp_nlt_f32_e32 vcc, s24, v14
	v_cndmask_b32_e32 v15, v36, v14, vcc
	v_cmp_nlt_f32_e32 vcc, s24, v16
	v_cndmask_b32_e32 v14, v36, v16, vcc
	v_lshlrev_b32_e32 v16, 16, v23
	v_fma_f32 v23, -v22, v26, 1.0
	v_fmac_f32_e32 v26, v23, v26
	v_div_scale_f32 v23, vcc, v17, v29, v17
	v_mul_f32_e32 v27, v23, v26
	v_fma_f32 v32, -v22, v27, v23
	v_fmac_f32_e32 v27, v32, v26
	v_fma_f32 v22, -v22, v27, v23
	v_div_scale_f32 v23, s[6:7], v28, v28, v16
	v_rcp_f32_e32 v32, v23
	v_div_fmas_f32 v22, v22, v26, v27
	v_div_fixup_f32 v17, v22, v29, v17
	v_fma_f32 v22, -v23, v32, 1.0
	v_fmac_f32_e32 v32, v22, v32
	v_div_scale_f32 v22, vcc, v16, v28, v16
	v_mul_f32_e32 v26, v22, v32
	v_fma_f32 v27, -v23, v26, v22
	v_fmac_f32_e32 v26, v27, v32
	v_fma_f32 v22, -v23, v26, v22
	v_div_fmas_f32 v22, v22, v32, v26
	v_div_fixup_f32 v16, v22, v28, v16
	global_load_dwordx4 v[44:47], v34, s[20:21] offset:16
	global_load_dwordx4 v[26:29], v34, s[20:21]
	v_and_b32_e32 v22, 0xffff0000, v24
	s_waitcnt vmcnt(3)
	v_div_scale_f32 v23, s[6:7], v41, v41, v22
	v_cmp_ngt_f32_e32 vcc, s23, v16
	v_rcp_f32_e32 v32, v23
	v_cndmask_b32_e32 v16, v35, v16, vcc
	v_cmp_ngt_f32_e32 vcc, s23, v17
	v_cndmask_b32_e32 v17, v35, v17, vcc
	v_cmp_nlt_f32_e32 vcc, s24, v17
	v_cndmask_b32_e32 v17, v36, v17, vcc
	v_cmp_nlt_f32_e32 vcc, s24, v16
	v_fma_f32 v33, -v23, v32, 1.0
	v_cndmask_b32_e32 v16, v36, v16, vcc
	v_fmac_f32_e32 v32, v33, v32
	v_div_scale_f32 v33, vcc, v22, v41, v22
	v_mul_f32_e32 v39, v33, v32
	v_fma_f32 v48, -v23, v39, v33
	v_lshlrev_b32_e32 v24, 16, v24
	v_fmac_f32_e32 v39, v48, v32
	v_fma_f32 v23, -v23, v39, v33
	v_div_scale_f32 v33, s[6:7], v40, v40, v24
	v_rcp_f32_e32 v48, v33
	v_div_fmas_f32 v23, v23, v32, v39
	v_div_fixup_f32 v22, v23, v41, v22
	v_fma_f32 v23, -v33, v48, 1.0
	v_fmac_f32_e32 v48, v23, v48
	v_div_scale_f32 v23, vcc, v24, v40, v24
	v_mul_f32_e32 v32, v23, v48
	v_fma_f32 v39, -v33, v32, v23
	v_fmac_f32_e32 v32, v39, v48
	v_fma_f32 v23, -v33, v32, v23
	v_div_fmas_f32 v23, v23, v48, v32
	v_div_fixup_f32 v23, v23, v40, v24
	v_and_b32_e32 v32, 0xffff0000, v25
	v_cmp_ngt_f32_e32 vcc, s23, v23
	v_div_scale_f32 v33, s[6:7], v43, v43, v32
	v_cndmask_b32_e32 v24, v35, v23, vcc
	v_cmp_ngt_f32_e32 vcc, s23, v22
	v_rcp_f32_e32 v39, v33
	v_cndmask_b32_e32 v22, v35, v22, vcc
	v_cmp_nlt_f32_e32 vcc, s24, v22
	v_cndmask_b32_e32 v23, v36, v22, vcc
	v_cmp_nlt_f32_e32 vcc, s24, v24
	v_cndmask_b32_e32 v22, v36, v24, vcc
	v_lshlrev_b32_e32 v24, 16, v25
	v_fma_f32 v25, -v33, v39, 1.0
	v_fmac_f32_e32 v39, v25, v39
	v_div_scale_f32 v25, vcc, v32, v43, v32
	v_mul_f32_e32 v40, v25, v39
	v_fma_f32 v41, -v33, v40, v25
	v_fmac_f32_e32 v40, v41, v39
	v_fma_f32 v25, -v33, v40, v25
	v_div_scale_f32 v33, s[6:7], v42, v42, v24
	v_rcp_f32_e32 v41, v33
	v_div_fmas_f32 v25, v25, v39, v40
	v_div_fixup_f32 v25, v25, v43, v32
	v_fma_f32 v32, -v33, v41, 1.0
	v_fmac_f32_e32 v41, v32, v41
	v_div_scale_f32 v32, vcc, v24, v42, v24
	v_mul_f32_e32 v39, v32, v41
	v_fma_f32 v40, -v33, v39, v32
	v_fmac_f32_e32 v39, v40, v41
	v_fma_f32 v32, -v33, v39, v32
	v_div_fmas_f32 v32, v32, v41, v39
	v_div_fixup_f32 v24, v32, v42, v24
	v_and_b32_e32 v32, 0xffff0000, v10
	v_cmp_ngt_f32_e32 vcc, s23, v24
	v_cndmask_b32_e32 v24, v35, v24, vcc
	v_cmp_ngt_f32_e32 vcc, s23, v25
	v_cndmask_b32_e32 v25, v35, v25, vcc
	s_waitcnt vmcnt(0)
	v_div_scale_f32 v33, s[6:7], v27, v27, v32
	v_rcp_f32_e32 v39, v33
	v_cmp_nlt_f32_e32 vcc, s24, v25
	v_cndmask_b32_e32 v25, v36, v25, vcc
	v_cmp_nlt_f32_e32 vcc, s24, v24
	v_fma_f32 v40, -v33, v39, 1.0
	v_cndmask_b32_e32 v24, v36, v24, vcc
	v_fmac_f32_e32 v39, v40, v39
	v_div_scale_f32 v40, vcc, v32, v27, v32
	v_mul_f32_e32 v41, v40, v39
	v_fma_f32 v42, -v33, v41, v40
	v_lshlrev_b32_e32 v10, 16, v10
	v_fmac_f32_e32 v41, v42, v39
	v_fma_f32 v33, -v33, v41, v40
	v_div_scale_f32 v40, s[6:7], v26, v26, v10
	v_rcp_f32_e32 v42, v40
	v_div_fmas_f32 v33, v33, v39, v41
	v_div_fixup_f32 v27, v33, v27, v32
	v_fma_f32 v32, -v40, v42, 1.0
	v_fmac_f32_e32 v42, v32, v42
	v_div_scale_f32 v32, vcc, v10, v26, v10
	v_mul_f32_e32 v33, v32, v42
	v_fma_f32 v39, -v40, v33, v32
	v_fmac_f32_e32 v33, v39, v42
	v_fma_f32 v32, -v40, v33, v32
	v_div_fmas_f32 v32, v32, v42, v33
	v_div_fixup_f32 v10, v32, v26, v10
	v_and_b32_e32 v32, 0xffff0000, v11
	v_cmp_ngt_f32_e32 vcc, s23, v10
	v_div_scale_f32 v33, s[6:7], v29, v29, v32
	v_cndmask_b32_e32 v10, v35, v10, vcc
	v_cmp_ngt_f32_e32 vcc, s23, v27
	v_rcp_f32_e32 v39, v33
	v_cndmask_b32_e32 v26, v35, v27, vcc
	v_cmp_nlt_f32_e32 vcc, s24, v26
	v_cndmask_b32_e32 v27, v36, v26, vcc
	v_cmp_nlt_f32_e32 vcc, s24, v10
	v_cndmask_b32_e32 v26, v36, v10, vcc
	v_lshlrev_b32_e32 v10, 16, v11
	v_fma_f32 v11, -v33, v39, 1.0
	v_fmac_f32_e32 v39, v11, v39
	v_div_scale_f32 v11, vcc, v32, v29, v32
	v_mul_f32_e32 v40, v11, v39
	v_fma_f32 v41, -v33, v40, v11
	v_fmac_f32_e32 v40, v41, v39
	v_fma_f32 v11, -v33, v40, v11
	v_div_scale_f32 v33, s[6:7], v28, v28, v10
	v_rcp_f32_e32 v41, v33
	v_div_fmas_f32 v11, v11, v39, v40
	v_div_fixup_f32 v11, v11, v29, v32
	v_fma_f32 v29, -v33, v41, 1.0
	v_fmac_f32_e32 v41, v29, v41
	v_div_scale_f32 v29, vcc, v10, v28, v10
	v_mul_f32_e32 v32, v29, v41
	v_fma_f32 v39, -v33, v32, v29
	v_fmac_f32_e32 v32, v39, v41
	v_fma_f32 v29, -v33, v32, v29
	v_div_fmas_f32 v29, v29, v41, v32
	global_load_dwordx4 v[40:43], v[30:31], off
	v_div_fixup_f32 v10, v29, v28, v10
	v_cmp_ngt_f32_e32 vcc, s23, v10
	v_cndmask_b32_e32 v10, v35, v10, vcc
	v_cmp_ngt_f32_e32 vcc, s23, v11
	v_cndmask_b32_e32 v11, v35, v11, vcc
	v_cmp_nlt_f32_e32 vcc, s24, v11
	v_cndmask_b32_e32 v29, v36, v11, vcc
	v_and_b32_e32 v11, 0xffff0000, v12
	v_div_scale_f32 v32, s[6:7], v45, v45, v11
	v_rcp_f32_e32 v33, v32
	v_cmp_nlt_f32_e32 vcc, s24, v10
	v_cndmask_b32_e32 v28, v36, v10, vcc
	v_lshlrev_b32_e32 v10, 16, v12
	v_fma_f32 v12, -v32, v33, 1.0
	v_fmac_f32_e32 v33, v12, v33
	v_div_scale_f32 v12, vcc, v11, v45, v11
	v_mul_f32_e32 v39, v12, v33
	v_fma_f32 v48, -v32, v39, v12
	v_fmac_f32_e32 v39, v48, v33
	v_fma_f32 v12, -v32, v39, v12
	v_div_scale_f32 v32, s[6:7], v44, v44, v10
	v_rcp_f32_e32 v48, v32
	v_div_fmas_f32 v12, v12, v33, v39
	v_div_fixup_f32 v11, v12, v45, v11
	v_fma_f32 v12, -v32, v48, 1.0
	v_fmac_f32_e32 v48, v12, v48
	v_div_scale_f32 v12, vcc, v10, v44, v10
	v_mul_f32_e32 v33, v12, v48
	v_fma_f32 v39, -v32, v33, v12
	v_fmac_f32_e32 v33, v39, v48
	v_fma_f32 v12, -v32, v33, v12
	v_div_fmas_f32 v12, v12, v48, v33
	v_div_fixup_f32 v10, v12, v44, v10
	v_and_b32_e32 v12, 0xffff0000, v13
	v_div_scale_f32 v32, s[6:7], v47, v47, v12
	v_cmp_ngt_f32_e32 vcc, s23, v10
	v_rcp_f32_e32 v33, v32
	v_cndmask_b32_e32 v10, v35, v10, vcc
	v_cmp_ngt_f32_e32 vcc, s23, v11
	v_cndmask_b32_e32 v11, v35, v11, vcc
	v_cmp_nlt_f32_e32 vcc, s24, v11
	v_cndmask_b32_e32 v11, v36, v11, vcc
	v_cmp_nlt_f32_e32 vcc, s24, v10
	v_fma_f32 v39, -v32, v33, 1.0
	v_cndmask_b32_e32 v10, v36, v10, vcc
	v_fmac_f32_e32 v33, v39, v33
	v_div_scale_f32 v39, vcc, v12, v47, v12
	v_mul_f32_e32 v44, v39, v33
	v_fma_f32 v45, -v32, v44, v39
	v_lshlrev_b32_e32 v13, 16, v13
	v_fmac_f32_e32 v44, v45, v33
	v_fma_f32 v32, -v32, v44, v39
	v_div_scale_f32 v39, s[6:7], v46, v46, v13
	v_rcp_f32_e32 v45, v39
	v_div_fmas_f32 v32, v32, v33, v44
	v_div_fixup_f32 v12, v32, v47, v12
	v_fma_f32 v32, -v39, v45, 1.0
	v_fmac_f32_e32 v45, v32, v45
	v_div_scale_f32 v32, vcc, v13, v46, v13
	v_mul_f32_e32 v33, v32, v45
	v_fma_f32 v44, -v39, v33, v32
	v_fmac_f32_e32 v33, v44, v45
	v_fma_f32 v32, -v39, v33, v32
	v_div_fmas_f32 v32, v32, v45, v33
	v_div_fixup_f32 v13, v32, v46, v13
	global_load_dwordx4 v[30:33], v[30:31], off offset:16
	v_and_b32_e32 v44, 0xffff0000, v18
	v_cmp_ngt_f32_e32 vcc, s23, v13
	v_cndmask_b32_e32 v39, v35, v13, vcc
	s_waitcnt vmcnt(1)
	v_div_scale_f32 v45, s[6:7], v41, v41, v44
	v_cmp_ngt_f32_e32 vcc, s23, v12
	v_rcp_f32_e32 v46, v45
	v_cndmask_b32_e32 v12, v35, v12, vcc
	v_cmp_nlt_f32_e32 vcc, s24, v12
	v_cndmask_b32_e32 v13, v36, v12, vcc
	v_cmp_nlt_f32_e32 vcc, s24, v39
	v_cndmask_b32_e32 v12, v36, v39, vcc
	v_fma_f32 v39, -v45, v46, 1.0
	v_fmac_f32_e32 v46, v39, v46
	v_div_scale_f32 v39, vcc, v44, v41, v44
	v_mul_f32_e32 v47, v39, v46
	v_fma_f32 v48, -v45, v47, v39
	v_lshlrev_b32_e32 v18, 16, v18
	v_fmac_f32_e32 v47, v48, v46
	v_fma_f32 v39, -v45, v47, v39
	v_div_scale_f32 v45, s[6:7], v40, v40, v18
	v_rcp_f32_e32 v48, v45
	v_div_fmas_f32 v39, v39, v46, v47
	v_div_fixup_f32 v39, v39, v41, v44
	global_store_dwordx4 v1, v[2:5], s[14:15]
	global_store_dwordx4 v1, v[6:9], s[14:15] offset:16
	v_fma_f32 v41, -v45, v48, 1.0
	v_fmac_f32_e32 v48, v41, v48
	v_div_scale_f32 v41, vcc, v18, v40, v18
	v_mul_f32_e32 v44, v41, v48
	v_fma_f32 v46, -v45, v44, v41
	v_fmac_f32_e32 v44, v46, v48
	v_fma_f32 v41, -v45, v44, v41
	v_div_fmas_f32 v41, v41, v48, v44
	v_div_fixup_f32 v18, v41, v40, v18
	v_cmp_ngt_f32_e32 vcc, s23, v18
	v_cndmask_b32_e32 v18, v35, v18, vcc
	v_cmp_ngt_f32_e32 vcc, s23, v39
	v_cndmask_b32_e32 v39, v35, v39, vcc
	v_cmp_nlt_f32_e32 vcc, s24, v39
	v_cndmask_b32_e32 v41, v36, v39, vcc
	v_and_b32_e32 v39, 0xffff0000, v19
	v_div_scale_f32 v44, s[6:7], v43, v43, v39
	v_rcp_f32_e32 v45, v44
	v_cmp_nlt_f32_e32 vcc, s24, v18
	v_cndmask_b32_e32 v40, v36, v18, vcc
	v_lshlrev_b32_e32 v18, 16, v19
	v_fma_f32 v19, -v44, v45, 1.0
	v_fmac_f32_e32 v45, v19, v45
	v_div_scale_f32 v19, vcc, v39, v43, v39
	v_mul_f32_e32 v46, v19, v45
	v_fma_f32 v47, -v44, v46, v19
	v_fmac_f32_e32 v46, v47, v45
	v_fma_f32 v19, -v44, v46, v19
	v_div_scale_f32 v44, s[6:7], v42, v42, v18
	v_rcp_f32_e32 v47, v44
	v_div_fmas_f32 v19, v19, v45, v46
	v_div_fixup_f32 v19, v19, v43, v39
	v_fma_f32 v39, -v44, v47, 1.0
	v_fmac_f32_e32 v47, v39, v47
	v_div_scale_f32 v39, vcc, v18, v42, v18
	v_mul_f32_e32 v43, v39, v47
	v_fma_f32 v45, -v44, v43, v39
	v_fmac_f32_e32 v43, v45, v47
	v_fma_f32 v39, -v44, v43, v39
	v_div_fmas_f32 v39, v39, v47, v43
	v_div_fixup_f32 v18, v39, v42, v18
	v_cmp_ngt_f32_e32 vcc, s23, v18
	v_cndmask_b32_e32 v18, v35, v18, vcc
	v_cmp_ngt_f32_e32 vcc, s23, v19
	v_cndmask_b32_e32 v19, v35, v19, vcc
	v_cmp_nlt_f32_e32 vcc, s24, v19
	v_cndmask_b32_e32 v43, v36, v19, vcc
	v_and_b32_e32 v19, 0xffff0000, v20
	s_waitcnt vmcnt(2)
	v_div_scale_f32 v39, s[6:7], v31, v31, v19
	v_rcp_f32_e32 v44, v39
	v_cmp_nlt_f32_e32 vcc, s24, v18
	v_cndmask_b32_e32 v42, v36, v18, vcc
	v_lshlrev_b32_e32 v18, 16, v20
	v_fma_f32 v20, -v39, v44, 1.0
	v_fmac_f32_e32 v44, v20, v44
	v_div_scale_f32 v20, vcc, v19, v31, v19
	v_mul_f32_e32 v45, v20, v44
	v_fma_f32 v46, -v39, v45, v20
	v_fmac_f32_e32 v45, v46, v44
	v_fma_f32 v20, -v39, v45, v20
	v_div_scale_f32 v39, s[6:7], v30, v30, v18
	v_rcp_f32_e32 v46, v39
	v_div_fmas_f32 v20, v20, v44, v45
	v_div_fixup_f32 v19, v20, v31, v19
	v_fma_f32 v20, -v39, v46, 1.0
	v_fmac_f32_e32 v46, v20, v46
	v_div_scale_f32 v20, vcc, v18, v30, v18
	v_mul_f32_e32 v31, v20, v46
	v_fma_f32 v44, -v39, v31, v20
	v_fmac_f32_e32 v31, v44, v46
	v_fma_f32 v20, -v39, v31, v20
	v_div_fmas_f32 v20, v20, v46, v31
	v_div_fixup_f32 v18, v20, v30, v18
	v_and_b32_e32 v20, 0xffff0000, v21
	v_div_scale_f32 v30, s[6:7], v33, v33, v20
	v_cmp_ngt_f32_e32 vcc, s23, v18
	v_rcp_f32_e32 v31, v30
	v_cndmask_b32_e32 v18, v35, v18, vcc
	v_cmp_ngt_f32_e32 vcc, s23, v19
	v_cndmask_b32_e32 v19, v35, v19, vcc
	v_cmp_nlt_f32_e32 vcc, s24, v19
	v_cndmask_b32_e32 v19, v36, v19, vcc
	v_cmp_nlt_f32_e32 vcc, s24, v18
	v_fma_f32 v39, -v30, v31, 1.0
	v_cndmask_b32_e32 v18, v36, v18, vcc
	v_fmac_f32_e32 v31, v39, v31
	v_div_scale_f32 v39, vcc, v20, v33, v20
	v_mul_f32_e32 v44, v39, v31
	v_fma_f32 v45, -v30, v44, v39
	v_lshlrev_b32_e32 v21, 16, v21
	v_fmac_f32_e32 v44, v45, v31
	v_fma_f32 v30, -v30, v44, v39
	v_div_scale_f32 v39, s[6:7], v32, v32, v21
	v_rcp_f32_e32 v45, v39
	v_div_fmas_f32 v30, v30, v31, v44
	v_div_fixup_f32 v20, v30, v33, v20
	v_fma_f32 v30, -v39, v45, 1.0
	v_fmac_f32_e32 v45, v30, v45
	v_div_scale_f32 v30, vcc, v21, v32, v21
	v_mul_f32_e32 v31, v30, v45
	v_fma_f32 v33, -v39, v31, v30
	v_fmac_f32_e32 v31, v33, v45
	v_fma_f32 v30, -v39, v31, v30
	v_div_fmas_f32 v30, v30, v45, v31
	v_div_fixup_f32 v21, v30, v32, v21
	v_cmp_ngt_f32_e32 vcc, s23, v21
	v_cndmask_b32_e32 v30, v35, v21, vcc
	v_cmp_ngt_f32_e32 vcc, s23, v20
	v_cndmask_b32_e32 v20, v35, v20, vcc
	v_cmp_nlt_f32_e32 vcc, s24, v20
	v_cndmask_b32_e32 v21, v36, v20, vcc
	v_cmp_nlt_f32_e32 vcc, s24, v30
	v_cndmask_b32_e32 v20, v36, v30, vcc
	v_add_co_u32_e32 v2, vcc, s22, v38
	v_addc_co_u32_e32 v3, vcc, 0, v37, vcc
	global_store_dwordx4 v[2:3], v[14:17], off
	global_store_dwordx4 v[2:3], v[22:25], off offset:16
	global_store_dwordx4 v34, v[26:29], s[14:15]
	global_store_dwordx4 v34, v[10:13], s[14:15] offset:16
	v_add_co_u32_e32 v2, vcc, 0xc000, v38
	v_addc_co_u32_e32 v3, vcc, 0, v37, vcc
	global_store_dwordx4 v[2:3], v[40:43], off
	global_store_dwordx4 v[2:3], v[18:21], off offset:16
	s_cbranch_execnz .LBB18_2
.LBB18_4:
	s_load_dword s6, s[4:5], 0x24
	s_load_dwordx4 s[20:23], s[4:5], 0x28
	s_add_u32 s8, s4, 56
	s_addc_u32 s9, s5, 0
	v_mov_b32_e32 v31, v0
	s_waitcnt lgkmcnt(0)
	v_lshrrev_b16_e64 v8, 8, s6
	v_mov_b32_e32 v0, s16
	v_mov_b32_e32 v1, s17
	;; [unrolled: 1-line block ×12, first 2 shown]
	s_getpc_b64 s[4:5]
	s_add_u32 s4, s4, _ZN2at6native25elementwise_kernel_helperILb1EZZZNS0_23launch_dirichlet_kernelERNS_18TensorIteratorBaseEENKUlvE_clEvENKUlvE0_clEvEUlffE_NS0_6memory8policies11unroll_baseILi512ESt5arrayIPcLm3EE23TrivialOffsetCalculatorILi2EjESD_ILi1EjENS7_12LoadWithCastILi2EEENS7_13StoreWithCastILi1EEELi32ELi1EEEEEvT0_T1_@rel32@lo+4
	s_addc_u32 s5, s5, _ZN2at6native25elementwise_kernel_helperILb1EZZZNS0_23launch_dirichlet_kernelERNS_18TensorIteratorBaseEENKUlvE_clEvENKUlvE0_clEvEUlffE_NS0_6memory8policies11unroll_baseILi512ESt5arrayIPcLm3EE23TrivialOffsetCalculatorILi2EjESD_ILi1EjENS7_12LoadWithCastILi2EEENS7_13StoreWithCastILi1EEELi32ELi1EEEEEvT0_T1_@rel32@hi+12
	s_swappc_b64 s[30:31], s[4:5]
	s_endpgm
	.section	.rodata,"a",@progbits
	.p2align	6, 0x0
	.amdhsa_kernel _ZN2at6native39vectorized_templated_elementwise_kernelILi8EZZZNS0_23launch_dirichlet_kernelERNS_18TensorIteratorBaseEENKUlvE_clEvENKUlvE0_clEvEUlffE_St5arrayIPcLm3EE23TrivialOffsetCalculatorILi2EjESA_ILi1EjENS0_6memory12LoadWithCastILi2EEENSD_13StoreWithCastILi1EEEfJN3c108BFloat16EfEEEviT0_T1_T2_T3_T4_T5_
		.amdhsa_group_segment_fixed_size 0
		.amdhsa_private_segment_fixed_size 288
		.amdhsa_kernarg_size 312
		.amdhsa_user_sgpr_count 8
		.amdhsa_user_sgpr_private_segment_buffer 1
		.amdhsa_user_sgpr_dispatch_ptr 0
		.amdhsa_user_sgpr_queue_ptr 0
		.amdhsa_user_sgpr_kernarg_segment_ptr 1
		.amdhsa_user_sgpr_dispatch_id 0
		.amdhsa_user_sgpr_flat_scratch_init 1
		.amdhsa_user_sgpr_kernarg_preload_length 0
		.amdhsa_user_sgpr_kernarg_preload_offset 0
		.amdhsa_user_sgpr_private_segment_size 0
		.amdhsa_uses_dynamic_stack 0
		.amdhsa_system_sgpr_private_segment_wavefront_offset 1
		.amdhsa_system_sgpr_workgroup_id_x 1
		.amdhsa_system_sgpr_workgroup_id_y 0
		.amdhsa_system_sgpr_workgroup_id_z 0
		.amdhsa_system_sgpr_workgroup_info 0
		.amdhsa_system_vgpr_workitem_id 0
		.amdhsa_next_free_vgpr 118
		.amdhsa_next_free_sgpr 98
		.amdhsa_accum_offset 120
		.amdhsa_reserve_vcc 1
		.amdhsa_reserve_flat_scratch 1
		.amdhsa_float_round_mode_32 0
		.amdhsa_float_round_mode_16_64 0
		.amdhsa_float_denorm_mode_32 3
		.amdhsa_float_denorm_mode_16_64 3
		.amdhsa_dx10_clamp 1
		.amdhsa_ieee_mode 1
		.amdhsa_fp16_overflow 0
		.amdhsa_tg_split 0
		.amdhsa_exception_fp_ieee_invalid_op 0
		.amdhsa_exception_fp_denorm_src 0
		.amdhsa_exception_fp_ieee_div_zero 0
		.amdhsa_exception_fp_ieee_overflow 0
		.amdhsa_exception_fp_ieee_underflow 0
		.amdhsa_exception_fp_ieee_inexact 0
		.amdhsa_exception_int_div_zero 0
	.end_amdhsa_kernel
	.section	.text._ZN2at6native39vectorized_templated_elementwise_kernelILi8EZZZNS0_23launch_dirichlet_kernelERNS_18TensorIteratorBaseEENKUlvE_clEvENKUlvE0_clEvEUlffE_St5arrayIPcLm3EE23TrivialOffsetCalculatorILi2EjESA_ILi1EjENS0_6memory12LoadWithCastILi2EEENSD_13StoreWithCastILi1EEEfJN3c108BFloat16EfEEEviT0_T1_T2_T3_T4_T5_,"axG",@progbits,_ZN2at6native39vectorized_templated_elementwise_kernelILi8EZZZNS0_23launch_dirichlet_kernelERNS_18TensorIteratorBaseEENKUlvE_clEvENKUlvE0_clEvEUlffE_St5arrayIPcLm3EE23TrivialOffsetCalculatorILi2EjESA_ILi1EjENS0_6memory12LoadWithCastILi2EEENSD_13StoreWithCastILi1EEEfJN3c108BFloat16EfEEEviT0_T1_T2_T3_T4_T5_,comdat
.Lfunc_end18:
	.size	_ZN2at6native39vectorized_templated_elementwise_kernelILi8EZZZNS0_23launch_dirichlet_kernelERNS_18TensorIteratorBaseEENKUlvE_clEvENKUlvE0_clEvEUlffE_St5arrayIPcLm3EE23TrivialOffsetCalculatorILi2EjESA_ILi1EjENS0_6memory12LoadWithCastILi2EEENSD_13StoreWithCastILi1EEEfJN3c108BFloat16EfEEEviT0_T1_T2_T3_T4_T5_, .Lfunc_end18-_ZN2at6native39vectorized_templated_elementwise_kernelILi8EZZZNS0_23launch_dirichlet_kernelERNS_18TensorIteratorBaseEENKUlvE_clEvENKUlvE0_clEvEUlffE_St5arrayIPcLm3EE23TrivialOffsetCalculatorILi2EjESA_ILi1EjENS0_6memory12LoadWithCastILi2EEENSD_13StoreWithCastILi1EEEfJN3c108BFloat16EfEEEviT0_T1_T2_T3_T4_T5_
                                        ; -- End function
	.section	.AMDGPU.csdata,"",@progbits
; Kernel info:
; codeLenInByte = 3636
; NumSgprs: 104
; NumVgprs: 118
; NumAgprs: 0
; TotalNumVgprs: 118
; ScratchSize: 288
; MemoryBound: 0
; FloatMode: 240
; IeeeMode: 1
; LDSByteSize: 0 bytes/workgroup (compile time only)
; SGPRBlocks: 12
; VGPRBlocks: 14
; NumSGPRsForWavesPerEU: 104
; NumVGPRsForWavesPerEU: 118
; AccumOffset: 120
; Occupancy: 4
; WaveLimiterHint : 0
; COMPUTE_PGM_RSRC2:SCRATCH_EN: 1
; COMPUTE_PGM_RSRC2:USER_SGPR: 8
; COMPUTE_PGM_RSRC2:TRAP_HANDLER: 0
; COMPUTE_PGM_RSRC2:TGID_X_EN: 1
; COMPUTE_PGM_RSRC2:TGID_Y_EN: 0
; COMPUTE_PGM_RSRC2:TGID_Z_EN: 0
; COMPUTE_PGM_RSRC2:TIDIG_COMP_CNT: 0
; COMPUTE_PGM_RSRC3_GFX90A:ACCUM_OFFSET: 29
; COMPUTE_PGM_RSRC3_GFX90A:TG_SPLIT: 0
	.section	.text._ZN2at6native39vectorized_templated_elementwise_kernelILi4EZZZNS0_23launch_dirichlet_kernelERNS_18TensorIteratorBaseEENKUlvE_clEvENKUlvE0_clEvEUlffE_St5arrayIPcLm3EE23TrivialOffsetCalculatorILi2EjESA_ILi1EjENS0_6memory12LoadWithCastILi2EEENSD_13StoreWithCastILi1EEEfJN3c108BFloat16EfEEEviT0_T1_T2_T3_T4_T5_,"axG",@progbits,_ZN2at6native39vectorized_templated_elementwise_kernelILi4EZZZNS0_23launch_dirichlet_kernelERNS_18TensorIteratorBaseEENKUlvE_clEvENKUlvE0_clEvEUlffE_St5arrayIPcLm3EE23TrivialOffsetCalculatorILi2EjESA_ILi1EjENS0_6memory12LoadWithCastILi2EEENSD_13StoreWithCastILi1EEEfJN3c108BFloat16EfEEEviT0_T1_T2_T3_T4_T5_,comdat
	.globl	_ZN2at6native39vectorized_templated_elementwise_kernelILi4EZZZNS0_23launch_dirichlet_kernelERNS_18TensorIteratorBaseEENKUlvE_clEvENKUlvE0_clEvEUlffE_St5arrayIPcLm3EE23TrivialOffsetCalculatorILi2EjESA_ILi1EjENS0_6memory12LoadWithCastILi2EEENSD_13StoreWithCastILi1EEEfJN3c108BFloat16EfEEEviT0_T1_T2_T3_T4_T5_ ; -- Begin function _ZN2at6native39vectorized_templated_elementwise_kernelILi4EZZZNS0_23launch_dirichlet_kernelERNS_18TensorIteratorBaseEENKUlvE_clEvENKUlvE0_clEvEUlffE_St5arrayIPcLm3EE23TrivialOffsetCalculatorILi2EjESA_ILi1EjENS0_6memory12LoadWithCastILi2EEENSD_13StoreWithCastILi1EEEfJN3c108BFloat16EfEEEviT0_T1_T2_T3_T4_T5_
	.p2align	8
	.type	_ZN2at6native39vectorized_templated_elementwise_kernelILi4EZZZNS0_23launch_dirichlet_kernelERNS_18TensorIteratorBaseEENKUlvE_clEvENKUlvE0_clEvEUlffE_St5arrayIPcLm3EE23TrivialOffsetCalculatorILi2EjESA_ILi1EjENS0_6memory12LoadWithCastILi2EEENSD_13StoreWithCastILi1EEEfJN3c108BFloat16EfEEEviT0_T1_T2_T3_T4_T5_,@function
_ZN2at6native39vectorized_templated_elementwise_kernelILi4EZZZNS0_23launch_dirichlet_kernelERNS_18TensorIteratorBaseEENKUlvE_clEvENKUlvE0_clEvEUlffE_St5arrayIPcLm3EE23TrivialOffsetCalculatorILi2EjESA_ILi1EjENS0_6memory12LoadWithCastILi2EEENSD_13StoreWithCastILi1EEEfJN3c108BFloat16EfEEEviT0_T1_T2_T3_T4_T5_: ; @_ZN2at6native39vectorized_templated_elementwise_kernelILi4EZZZNS0_23launch_dirichlet_kernelERNS_18TensorIteratorBaseEENKUlvE_clEvENKUlvE0_clEvEUlffE_St5arrayIPcLm3EE23TrivialOffsetCalculatorILi2EjESA_ILi1EjENS0_6memory12LoadWithCastILi2EEENSD_13StoreWithCastILi1EEEfJN3c108BFloat16EfEEEviT0_T1_T2_T3_T4_T5_
; %bb.0:
	s_add_u32 flat_scratch_lo, s6, s9
	s_addc_u32 flat_scratch_hi, s7, 0
	s_add_u32 s0, s0, s9
	s_load_dword s6, s[4:5], 0x38
	s_load_dwordx2 s[14:15], s[4:5], 0x18
	s_load_dword s7, s[4:5], 0x0
	s_load_dwordx4 s[16:19], s[4:5], 0x8
	s_addc_u32 s1, s1, 0
	s_mov_b32 s12, s8
	s_not_b32 s8, s8
	s_waitcnt lgkmcnt(0)
	s_add_i32 s6, s6, s8
	s_lshl_b32 s6, s6, 14
	s_sub_i32 s13, s7, s6
	s_cmpk_gt_i32 s13, 0x3fff
	s_mov_b64 s[8:9], -1
	s_mov_b32 s32, 0
	s_cbranch_scc1 .LBB19_3
; %bb.1:
	s_andn2_b64 vcc, exec, s[8:9]
	s_cbranch_vccz .LBB19_4
.LBB19_2:
	s_endpgm
.LBB19_3:
	s_ashr_i32 s7, s6, 31
	s_lshl_b64 s[8:9], s[6:7], 1
	s_add_u32 s24, s18, s8
	s_addc_u32 s25, s19, s9
	s_lshl_b64 s[20:21], s[6:7], 2
	v_lshlrev_b32_e32 v8, 3, v0
	s_add_u32 s22, s14, s20
	global_load_dwordx2 v[6:7], v8, s[24:25]
	s_addc_u32 s23, s15, s21
	v_lshlrev_b32_e32 v1, 4, v0
	global_load_dwordx4 v[2:5], v1, s[22:23]
	v_or_b32_e32 v9, 0x400, v0
	v_lshlrev_b32_e32 v18, 3, v9
	v_lshlrev_b32_e32 v26, 4, v9
	v_mov_b32_e32 v9, s25
	v_add_co_u32_e32 v29, vcc, s24, v8
	s_movk_i32 s6, 0x1000
	v_addc_co_u32_e32 v37, vcc, 0, v9, vcc
	v_add_co_u32_e32 v8, vcc, s6, v29
	s_movk_i32 s7, 0x3000
	v_addc_co_u32_e32 v9, vcc, 0, v37, vcc
	;; [unrolled: 3-line block ×3, first 2 shown]
	v_or_b32_e32 v36, 0x800, v0
	v_add_co_u32_e32 v12, vcc, s8, v29
	v_lshlrev_b32_e32 v19, 3, v36
	v_addc_co_u32_e32 v13, vcc, 0, v37, vcc
	global_load_dwordx4 v[14:17], v26, s[22:23]
	global_load_dwordx2 v[22:23], v[8:9], off
	global_load_dwordx2 v[24:25], v18, s[24:25]
	global_load_dwordx2 v[30:31], v[10:11], off
	global_load_dwordx2 v[32:33], v19, s[24:25]
	global_load_dwordx2 v[34:35], v[12:13], off
	v_mov_b32_e32 v20, s23
	v_add_co_u32_e32 v28, vcc, s22, v1
	v_addc_co_u32_e32 v27, vcc, 0, v20, vcc
	s_movk_i32 s26, 0x2000
	s_waitcnt vmcnt(7)
	v_and_b32_e32 v9, 0xffff0000, v6
	v_lshlrev_b32_e32 v8, 16, v6
	v_and_b32_e32 v39, 0xffff0000, v7
	s_waitcnt vmcnt(6)
	v_div_scale_f32 v6, s[6:7], v3, v3, v9
	v_div_scale_f32 v10, s[6:7], v2, v2, v8
	v_rcp_f32_e32 v20, v6
	v_lshlrev_b32_e32 v38, 16, v7
	v_div_scale_f32 v12, s[8:9], v5, v5, v39
	v_rcp_f32_e32 v21, v10
	v_div_scale_f32 v18, s[10:11], v4, v4, v38
	v_rcp_f32_e32 v40, v12
	v_rcp_f32_e32 v41, v18
	v_fma_f32 v42, -v6, v20, 1.0
	v_div_scale_f32 v7, vcc, v9, v3, v9
	v_fma_f32 v43, -v10, v21, 1.0
	v_fmac_f32_e32 v20, v42, v20
	v_div_scale_f32 v11, s[6:7], v8, v2, v8
	v_fma_f32 v44, -v12, v40, 1.0
	v_fmac_f32_e32 v21, v43, v21
	v_mul_f32_e32 v42, v7, v20
	v_div_scale_f32 v13, s[8:9], v39, v5, v39
	v_fma_f32 v45, -v18, v41, 1.0
	v_fmac_f32_e32 v40, v44, v40
	v_mul_f32_e32 v43, v11, v21
	v_fma_f32 v46, -v6, v42, v7
	v_div_scale_f32 v19, s[10:11], v38, v4, v38
	v_fmac_f32_e32 v41, v45, v41
	v_mul_f32_e32 v44, v13, v40
	v_fma_f32 v47, -v10, v43, v11
	v_fmac_f32_e32 v42, v46, v20
	v_mul_f32_e32 v45, v19, v41
	v_fma_f32 v48, -v12, v44, v13
	v_fmac_f32_e32 v43, v47, v21
	v_fma_f32 v6, -v6, v42, v7
	v_fma_f32 v49, -v18, v45, v19
	v_fmac_f32_e32 v44, v48, v40
	v_fma_f32 v7, -v10, v43, v11
	v_div_fmas_f32 v42, v6, v20, v42
	s_mov_b64 vcc, s[6:7]
	v_fmac_f32_e32 v45, v49, v41
	v_fma_f32 v10, -v12, v44, v13
	v_div_fmas_f32 v47, v7, v21, v43
	s_mov_b64 vcc, s[8:9]
	v_div_fmas_f32 v40, v10, v40, v44
	v_fma_f32 v6, -v18, v45, v19
	s_mov_b64 vcc, s[10:11]
	v_div_fmas_f32 v41, v6, v41, v45
	v_add_co_u32_e32 v6, vcc, s26, v28
	v_addc_co_u32_e32 v7, vcc, 0, v27, vcc
	global_load_dwordx4 v[18:21], v[6:7], off
	v_or_b32_e32 v48, 0xc00, v0
	s_movk_i32 s6, 0x7000
	s_waitcnt vmcnt(5)
	v_lshlrev_b32_e32 v49, 16, v22
	v_and_b32_e32 v22, 0xffff0000, v22
	v_lshlrev_b32_e32 v43, 3, v48
	v_add_co_u32_e32 v6, vcc, s6, v29
	v_lshlrev_b32_e32 v50, 16, v23
	v_and_b32_e32 v23, 0xffff0000, v23
	v_div_fixup_f32 v47, v47, v2, v8
	v_addc_co_u32_e32 v7, vcc, 0, v37, vcc
	global_load_dwordx2 v[10:11], v43, s[24:25]
	global_load_dwordx2 v[12:13], v[6:7], off
	s_waitcnt vmcnt(5)
	v_lshlrev_b32_e32 v53, 16, v30
	v_and_b32_e32 v54, 0xffff0000, v30
	s_waitcnt vmcnt(4)
	v_lshlrev_b32_e32 v45, 16, v32
	v_and_b32_e32 v46, 0xffff0000, v32
	v_lshlrev_b32_e32 v43, 16, v33
	v_and_b32_e32 v44, 0xffff0000, v33
	;; [unrolled: 2-line block ×3, first 2 shown]
	s_waitcnt vmcnt(3)
	v_lshlrev_b32_e32 v32, 16, v34
	v_and_b32_e32 v33, 0xffff0000, v34
	v_lshlrev_b32_e32 v29, 16, v35
	v_and_b32_e32 v31, 0xffff0000, v35
	v_div_fixup_f32 v57, v42, v3, v9
	v_div_fixup_f32 v5, v40, v5, v39
	v_lshlrev_b32_e32 v51, 16, v24
	v_and_b32_e32 v24, 0xffff0000, v24
	v_lshlrev_b32_e32 v52, 16, v25
	v_and_b32_e32 v25, 0xffff0000, v25
	v_div_fixup_f32 v4, v41, v4, v38
	s_waitcnt vmcnt(2)
	v_div_scale_f32 v2, s[6:7], v19, v19, v22
	v_div_scale_f32 v6, s[6:7], v18, v18, v49
	;; [unrolled: 1-line block ×3, first 2 shown]
	v_rcp_f32_e32 v30, v2
	v_div_scale_f32 v9, s[8:9], v20, v20, v50
	v_rcp_f32_e32 v34, v6
	v_rcp_f32_e32 v35, v8
	;; [unrolled: 1-line block ×3, first 2 shown]
	v_fma_f32 v39, -v2, v30, 1.0
	v_div_scale_f32 v3, vcc, v22, v19, v22
	v_fma_f32 v40, -v6, v34, 1.0
	v_fmac_f32_e32 v30, v39, v30
	v_fma_f32 v39, -v8, v35, 1.0
	v_fmac_f32_e32 v34, v40, v34
	;; [unrolled: 2-line block ×3, first 2 shown]
	v_mul_f32_e32 v39, v3, v30
	v_fmac_f32_e32 v37, v40, v37
	v_fma_f32 v40, -v2, v39, v3
	v_div_scale_f32 v7, s[6:7], v49, v18, v49
	v_fmac_f32_e32 v39, v40, v30
	v_div_scale_f32 v40, s[8:9], v23, v21, v23
	v_fma_f32 v2, -v2, v39, v3
	v_mul_f32_e32 v3, v7, v34
	v_div_fmas_f32 v58, v2, v30, v39
	v_mul_f32_e32 v2, v40, v35
	v_fma_f32 v30, -v6, v3, v7
	v_fmac_f32_e32 v3, v30, v34
	v_fma_f32 v30, -v8, v2, v40
	v_fmac_f32_e32 v2, v30, v35
	v_div_scale_f32 v30, s[10:11], v50, v20, v50
	v_mul_f32_e32 v39, v30, v37
	v_fma_f32 v42, -v9, v39, v30
	v_fmac_f32_e32 v39, v42, v37
	v_fma_f32 v6, -v6, v3, v7
	v_fma_f32 v7, -v8, v2, v40
	v_div_scale_f32 v8, s[24:25], v15, v15, v24
	v_fma_f32 v9, -v9, v39, v30
	v_rcp_f32_e32 v30, v8
	s_mov_b64 vcc, s[6:7]
	v_div_fmas_f32 v59, v6, v34, v3
	s_mov_b64 vcc, s[8:9]
	v_div_fmas_f32 v60, v7, v35, v2
	s_mov_b64 vcc, s[10:11]
	v_fma_f32 v2, -v8, v30, 1.0
	v_div_fmas_f32 v61, v9, v37, v39
	v_fmac_f32_e32 v30, v2, v30
	v_div_scale_f32 v2, vcc, v24, v15, v24
	v_mul_f32_e32 v3, v2, v30
	v_fma_f32 v6, -v8, v3, v2
	v_fmac_f32_e32 v3, v6, v30
	v_div_scale_f32 v6, s[6:7], v14, v14, v51
	v_rcp_f32_e32 v7, v6
	v_fma_f32 v2, -v8, v3, v2
	v_div_fmas_f32 v62, v2, v30, v3
	s_movk_i32 s8, 0x6000
	v_fma_f32 v2, -v6, v7, 1.0
	v_fmac_f32_e32 v7, v2, v7
	v_div_scale_f32 v2, vcc, v51, v14, v51
	v_mul_f32_e32 v3, v2, v7
	v_fma_f32 v8, -v6, v3, v2
	v_fmac_f32_e32 v3, v8, v7
	v_div_scale_f32 v8, s[6:7], v17, v17, v25
	v_rcp_f32_e32 v9, v8
	v_fma_f32 v2, -v6, v3, v2
	v_div_fmas_f32 v63, v2, v7, v3
	v_lshlrev_b32_e32 v30, 4, v36
	v_fma_f32 v2, -v8, v9, 1.0
	v_fmac_f32_e32 v9, v2, v9
	v_div_scale_f32 v2, vcc, v25, v17, v25
	v_mul_f32_e32 v3, v2, v9
	v_fma_f32 v6, -v8, v3, v2
	v_fmac_f32_e32 v3, v6, v9
	v_div_scale_f32 v6, s[6:7], v16, v16, v52
	v_rcp_f32_e32 v7, v6
	v_fma_f32 v2, -v8, v3, v2
	v_div_fmas_f32 v64, v2, v9, v3
	s_waitcnt vmcnt(1)
	v_lshlrev_b32_e32 v41, 16, v10
	v_fma_f32 v2, -v6, v7, 1.0
	v_fmac_f32_e32 v7, v2, v7
	v_div_scale_f32 v2, vcc, v52, v16, v52
	v_mul_f32_e32 v3, v2, v7
	v_fma_f32 v8, -v6, v3, v2
	v_fmac_f32_e32 v3, v8, v7
	v_fma_f32 v2, -v6, v3, v2
	v_div_fmas_f32 v65, v2, v7, v3
	v_add_co_u32_e32 v2, vcc, s8, v28
	v_addc_co_u32_e32 v3, vcc, 0, v27, vcc
	global_load_dwordx4 v[6:9], v[2:3], off
	v_and_b32_e32 v42, 0xffff0000, v10
	v_lshlrev_b32_e32 v39, 16, v11
	v_and_b32_e32 v40, 0xffff0000, v11
	s_waitcnt vmcnt(1)
	v_lshlrev_b32_e32 v37, 16, v12
	v_and_b32_e32 v38, 0xffff0000, v12
	v_lshlrev_b32_e32 v34, 16, v13
	v_and_b32_e32 v35, 0xffff0000, v13
	global_load_dwordx4 v[10:13], v30, s[22:23]
	v_div_fixup_f32 v21, v60, v21, v23
	v_div_fixup_f32 v19, v58, v19, v22
	v_lshlrev_b32_e32 v36, 4, v48
	v_div_fixup_f32 v15, v62, v15, v24
	v_div_fixup_f32 v20, v61, v20, v50
	;; [unrolled: 1-line block ×6, first 2 shown]
	s_mov_b32 s9, 0x800000
	v_mov_b32_e32 v61, 0x800000
	s_waitcnt vmcnt(1)
	v_div_scale_f32 v2, s[6:7], v7, v7, v54
	v_rcp_f32_e32 v23, v2
	v_div_scale_f32 v22, s[6:7], v6, v6, v53
	v_rcp_f32_e32 v24, v22
	v_fma_f32 v48, -v2, v23, 1.0
	v_div_scale_f32 v3, vcc, v54, v7, v54
	v_fmac_f32_e32 v23, v48, v23
	v_mul_f32_e32 v48, v3, v23
	v_fma_f32 v50, -v2, v48, v3
	v_fma_f32 v49, -v22, v24, 1.0
	v_fmac_f32_e32 v48, v50, v23
	v_div_scale_f32 v25, s[6:7], v53, v6, v53
	v_fmac_f32_e32 v24, v49, v24
	v_fma_f32 v2, -v2, v48, v3
	v_mul_f32_e32 v49, v25, v24
	v_div_fmas_f32 v2, v2, v23, v48
	v_div_scale_f32 v3, s[10:11], v9, v9, v56
	v_div_fixup_f32 v52, v2, v7, v54
	v_fma_f32 v2, -v22, v49, v25
	v_rcp_f32_e32 v7, v3
	v_fmac_f32_e32 v49, v2, v24
	v_fma_f32 v2, -v22, v49, v25
	s_mov_b64 vcc, s[6:7]
	v_div_fmas_f32 v2, v2, v24, v49
	v_div_fixup_f32 v53, v2, v6, v53
	v_fma_f32 v2, -v3, v7, 1.0
	v_fmac_f32_e32 v7, v2, v7
	v_div_scale_f32 v2, vcc, v56, v9, v56
	v_mul_f32_e32 v6, v2, v7
	v_fma_f32 v22, -v3, v6, v2
	v_fmac_f32_e32 v6, v22, v7
	global_load_dwordx4 v[22:25], v36, s[22:23]
	v_fma_f32 v2, -v3, v6, v2
	v_div_scale_f32 v3, s[6:7], v8, v8, v55
	v_rcp_f32_e32 v48, v3
	v_div_fmas_f32 v2, v2, v7, v6
	v_div_fixup_f32 v54, v2, v9, v56
	s_mov_b32 s10, 0x3f7ffffe
	v_fma_f32 v2, -v3, v48, 1.0
	v_fmac_f32_e32 v48, v2, v48
	v_div_scale_f32 v2, vcc, v55, v8, v55
	v_mul_f32_e32 v6, v2, v48
	v_fma_f32 v7, -v3, v6, v2
	v_fmac_f32_e32 v6, v7, v48
	s_waitcnt vmcnt(1)
	v_div_scale_f32 v7, s[6:7], v11, v11, v46
	v_rcp_f32_e32 v9, v7
	v_fma_f32 v2, -v3, v6, v2
	v_div_fmas_f32 v6, v2, v48, v6
	v_div_fixup_f32 v55, v6, v8, v55
	v_fma_f32 v2, -v7, v9, 1.0
	v_fmac_f32_e32 v9, v2, v9
	v_div_scale_f32 v2, vcc, v46, v11, v46
	v_mul_f32_e32 v3, v2, v9
	v_fma_f32 v48, -v7, v3, v2
	v_fmac_f32_e32 v3, v48, v9
	v_div_scale_f32 v48, s[6:7], v10, v10, v45
	v_rcp_f32_e32 v49, v48
	v_fma_f32 v2, -v7, v3, v2
	v_div_fmas_f32 v56, v2, v9, v3
	v_div_fixup_f32 v11, v56, v11, v46
	v_fma_f32 v2, -v48, v49, 1.0
	v_fmac_f32_e32 v49, v2, v49
	v_div_scale_f32 v2, vcc, v45, v10, v45
	v_mul_f32_e32 v3, v2, v49
	v_fma_f32 v7, -v48, v3, v2
	v_fmac_f32_e32 v3, v7, v49
	;; [unrolled: 11-line block ×3, first 2 shown]
	v_div_scale_f32 v48, s[6:7], v12, v12, v43
	v_rcp_f32_e32 v49, v48
	v_fma_f32 v2, -v7, v3, v2
	v_div_fmas_f32 v59, v2, v9, v3
	s_mov_b32 s6, 0xa000
	v_fma_f32 v2, -v48, v49, 1.0
	v_fmac_f32_e32 v49, v2, v49
	v_div_scale_f32 v2, vcc, v43, v12, v43
	v_mul_f32_e32 v3, v2, v49
	v_fma_f32 v7, -v48, v3, v2
	v_fmac_f32_e32 v3, v7, v49
	v_fma_f32 v2, -v48, v3, v2
	v_div_fmas_f32 v60, v2, v49, v3
	v_add_co_u32_e32 v2, vcc, s6, v28
	v_addc_co_u32_e32 v3, vcc, 0, v27, vcc
	global_load_dwordx4 v[48:51], v[2:3], off
	v_cmp_ngt_f32_e32 vcc, s9, v47
	v_cndmask_b32_e32 v2, v61, v47, vcc
	v_cmp_ngt_f32_e32 vcc, s9, v57
	v_cndmask_b32_e32 v3, v61, v57, vcc
	v_mov_b32_e32 v57, 0x3f7ffffe
	v_cmp_nlt_f32_e32 vcc, s10, v3
	v_cndmask_b32_e32 v3, v57, v3, vcc
	v_cmp_nlt_f32_e32 vcc, s10, v2
	v_cndmask_b32_e32 v2, v57, v2, vcc
	v_cmp_ngt_f32_e32 vcc, s9, v4
	v_cndmask_b32_e32 v4, v61, v4, vcc
	v_cmp_ngt_f32_e32 vcc, s9, v5
	v_cndmask_b32_e32 v5, v61, v5, vcc
	v_cmp_nlt_f32_e32 vcc, s10, v5
	v_cndmask_b32_e32 v5, v57, v5, vcc
	v_cmp_nlt_f32_e32 vcc, s10, v4
	v_cndmask_b32_e32 v4, v57, v4, vcc
	v_cmp_ngt_f32_e32 vcc, s9, v18
	v_cndmask_b32_e32 v6, v61, v18, vcc
	v_cmp_ngt_f32_e32 vcc, s9, v19
	v_cndmask_b32_e32 v7, v61, v19, vcc
	;; [unrolled: 8-line block ×7, first 2 shown]
	v_cmp_nlt_f32_e32 vcc, s10, v21
	v_cndmask_b32_e32 v21, v57, v21, vcc
	v_cmp_nlt_f32_e32 vcc, s10, v20
	v_cndmask_b32_e32 v20, v57, v20, vcc
	v_cmp_ngt_f32_e32 vcc, s9, v10
	v_cndmask_b32_e32 v10, v61, v10, vcc
	v_cmp_ngt_f32_e32 vcc, s9, v11
	v_div_fixup_f32 v12, v60, v12, v43
	v_cndmask_b32_e32 v11, v61, v11, vcc
	v_div_fixup_f32 v13, v59, v13, v44
	s_waitcnt vmcnt(0)
	v_div_scale_f32 v45, s[6:7], v49, v49, v33
	v_rcp_f32_e32 v46, v45
	v_fma_f32 v43, -v45, v46, 1.0
	v_fmac_f32_e32 v46, v43, v46
	v_div_scale_f32 v43, vcc, v33, v49, v33
	v_mul_f32_e32 v44, v43, v46
	v_fma_f32 v47, -v45, v44, v43
	v_fmac_f32_e32 v44, v47, v46
	v_div_scale_f32 v47, s[6:7], v48, v48, v32
	v_rcp_f32_e32 v52, v47
	v_fma_f32 v43, -v45, v44, v43
	v_div_fmas_f32 v43, v43, v46, v44
	v_fma_f32 v44, -v47, v52, 1.0
	v_fmac_f32_e32 v52, v44, v52
	v_div_scale_f32 v44, vcc, v32, v48, v32
	v_mul_f32_e32 v45, v44, v52
	v_fma_f32 v46, -v47, v45, v44
	v_fmac_f32_e32 v45, v46, v52
	v_div_scale_f32 v46, s[6:7], v51, v51, v31
	v_rcp_f32_e32 v53, v46
	v_fma_f32 v44, -v47, v45, v44
	v_div_fmas_f32 v52, v44, v52, v45
	;; [unrolled: 10-line block ×4, first 2 shown]
	v_div_fixup_f32 v29, v54, v50, v29
	v_fma_f32 v44, -v46, v55, 1.0
	v_fmac_f32_e32 v55, v44, v55
	v_div_scale_f32 v44, vcc, v42, v23, v42
	v_mul_f32_e32 v45, v44, v55
	v_fma_f32 v47, -v46, v45, v44
	v_fmac_f32_e32 v45, v47, v55
	v_div_scale_f32 v47, s[6:7], v22, v22, v41
	v_rcp_f32_e32 v56, v47
	v_fma_f32 v44, -v46, v45, v44
	v_div_fmas_f32 v55, v44, v55, v45
	v_div_fixup_f32 v23, v55, v23, v42
	v_fma_f32 v44, -v47, v56, 1.0
	v_fmac_f32_e32 v56, v44, v56
	v_div_scale_f32 v44, vcc, v41, v22, v41
	v_mul_f32_e32 v45, v44, v56
	v_fma_f32 v46, -v47, v45, v44
	v_fmac_f32_e32 v45, v46, v56
	v_fma_f32 v44, -v47, v45, v44
	v_div_fmas_f32 v56, v44, v56, v45
	v_div_scale_f32 v44, s[6:7], v25, v25, v40
	v_rcp_f32_e32 v45, v44
	v_cmp_nlt_f32_e32 vcc, s10, v11
	v_cndmask_b32_e32 v11, v57, v11, vcc
	v_cmp_nlt_f32_e32 vcc, s10, v10
	v_fma_f32 v46, -v44, v45, 1.0
	v_cndmask_b32_e32 v10, v57, v10, vcc
	v_fmac_f32_e32 v45, v46, v45
	v_div_scale_f32 v46, vcc, v40, v25, v40
	v_mul_f32_e32 v47, v46, v45
	v_fma_f32 v58, -v44, v47, v46
	v_fmac_f32_e32 v47, v58, v45
	v_fma_f32 v44, -v44, v47, v46
	v_div_fmas_f32 v58, v44, v45, v47
	v_div_scale_f32 v44, s[6:7], v24, v24, v39
	v_rcp_f32_e32 v45, v44
	v_cmp_ngt_f32_e32 vcc, s9, v13
	v_cndmask_b32_e32 v13, v61, v13, vcc
	v_cmp_nlt_f32_e32 vcc, s10, v13
	v_fma_f32 v46, -v44, v45, 1.0
	v_cndmask_b32_e32 v13, v57, v13, vcc
	v_fmac_f32_e32 v45, v46, v45
	v_div_scale_f32 v46, vcc, v39, v24, v39
	v_mul_f32_e32 v47, v46, v45
	v_fma_f32 v59, -v44, v47, v46
	v_fmac_f32_e32 v47, v59, v45
	v_fma_f32 v44, -v44, v47, v46
	s_mov_b32 s6, 0xe000
	v_div_fmas_f32 v59, v44, v45, v47
	v_add_co_u32_e32 v44, vcc, s6, v28
	v_addc_co_u32_e32 v45, vcc, 0, v27, vcc
	global_load_dwordx4 v[44:47], v[44:45], off
	v_cmp_ngt_f32_e32 vcc, s9, v12
	v_cndmask_b32_e32 v12, v61, v12, vcc
	v_cmp_nlt_f32_e32 vcc, s10, v12
	v_div_fixup_f32 v28, v52, v48, v32
	v_cndmask_b32_e32 v12, v57, v12, vcc
	v_div_fixup_f32 v27, v43, v49, v33
	v_cmp_ngt_f32_e32 vcc, s9, v28
	v_cndmask_b32_e32 v28, v61, v28, vcc
	v_cmp_ngt_f32_e32 vcc, s9, v27
	v_cndmask_b32_e32 v27, v61, v27, vcc
	s_add_u32 s6, s16, s20
	v_cmp_nlt_f32_e32 vcc, s10, v27
	s_addc_u32 s7, s17, s21
	v_cndmask_b32_e32 v49, v57, v27, vcc
	v_cmp_nlt_f32_e32 vcc, s10, v28
	v_cndmask_b32_e32 v48, v57, v28, vcc
	v_mov_b32_e32 v27, s7
	v_div_fixup_f32 v28, v53, v51, v31
	v_add_co_u32_e32 v31, vcc, s6, v1
	v_addc_co_u32_e32 v27, vcc, 0, v27, vcc
	v_cmp_ngt_f32_e32 vcc, s9, v29
	v_cndmask_b32_e32 v29, v61, v29, vcc
	v_cmp_ngt_f32_e32 vcc, s9, v28
	v_cndmask_b32_e32 v28, v61, v28, vcc
	v_cmp_nlt_f32_e32 vcc, s10, v28
	v_cndmask_b32_e32 v51, v57, v28, vcc
	v_cmp_nlt_f32_e32 vcc, s10, v29
	v_div_fixup_f32 v22, v56, v22, v41
	v_cndmask_b32_e32 v50, v57, v29, vcc
	v_cmp_ngt_f32_e32 vcc, s9, v22
	v_cndmask_b32_e32 v22, v61, v22, vcc
	v_cmp_ngt_f32_e32 vcc, s9, v23
	v_cndmask_b32_e32 v23, v61, v23, vcc
	v_cmp_nlt_f32_e32 vcc, s10, v23
	v_cndmask_b32_e32 v23, v57, v23, vcc
	v_cmp_nlt_f32_e32 vcc, s10, v22
	v_div_fixup_f32 v24, v59, v24, v39
	v_cndmask_b32_e32 v22, v57, v22, vcc
	v_div_fixup_f32 v25, v58, v25, v40
	v_cmp_ngt_f32_e32 vcc, s9, v24
	v_cndmask_b32_e32 v24, v61, v24, vcc
	v_cmp_ngt_f32_e32 vcc, s9, v25
	v_cndmask_b32_e32 v25, v61, v25, vcc
	v_cmp_nlt_f32_e32 vcc, s10, v25
	v_cndmask_b32_e32 v25, v57, v25, vcc
	v_cmp_nlt_f32_e32 vcc, s10, v24
	v_cndmask_b32_e32 v24, v57, v24, vcc
	global_store_dwordx4 v1, v[2:5], s[6:7]
	s_waitcnt vmcnt(1)
	v_div_scale_f32 v28, s[20:21], v45, v45, v38
	v_rcp_f32_e32 v29, v28
	v_fma_f32 v32, -v28, v29, 1.0
	v_fmac_f32_e32 v29, v32, v29
	v_div_scale_f32 v32, vcc, v38, v45, v38
	v_mul_f32_e32 v33, v32, v29
	v_fma_f32 v39, -v28, v33, v32
	v_fmac_f32_e32 v33, v39, v29
	v_fma_f32 v28, -v28, v33, v32
	v_div_scale_f32 v32, s[20:21], v44, v44, v37
	v_rcp_f32_e32 v39, v32
	v_div_fmas_f32 v28, v28, v29, v33
	v_div_fixup_f32 v28, v28, v45, v38
	v_fma_f32 v29, -v32, v39, 1.0
	v_fmac_f32_e32 v39, v29, v39
	v_div_scale_f32 v29, vcc, v37, v44, v37
	v_mul_f32_e32 v33, v29, v39
	v_fma_f32 v38, -v32, v33, v29
	v_fmac_f32_e32 v33, v38, v39
	v_fma_f32 v29, -v32, v33, v29
	v_div_fmas_f32 v29, v29, v39, v33
	v_div_fixup_f32 v29, v29, v44, v37
	v_div_scale_f32 v37, s[20:21], v47, v47, v35
	v_cmp_ngt_f32_e32 vcc, s9, v29
	v_rcp_f32_e32 v38, v37
	v_cndmask_b32_e32 v29, v61, v29, vcc
	v_cmp_ngt_f32_e32 vcc, s9, v28
	v_cndmask_b32_e32 v28, v61, v28, vcc
	v_cmp_nlt_f32_e32 vcc, s10, v28
	v_cndmask_b32_e32 v33, v57, v28, vcc
	v_cmp_nlt_f32_e32 vcc, s10, v29
	v_fma_f32 v28, -v37, v38, 1.0
	v_cndmask_b32_e32 v32, v57, v29, vcc
	v_fmac_f32_e32 v38, v28, v38
	v_div_scale_f32 v28, vcc, v35, v47, v35
	v_mul_f32_e32 v29, v28, v38
	v_fma_f32 v39, -v37, v29, v28
	v_fmac_f32_e32 v29, v39, v38
	v_fma_f32 v28, -v37, v29, v28
	v_div_scale_f32 v37, s[20:21], v46, v46, v34
	v_rcp_f32_e32 v39, v37
	v_div_fmas_f32 v28, v28, v38, v29
	v_div_fixup_f32 v28, v28, v47, v35
	v_fma_f32 v29, -v37, v39, 1.0
	v_fmac_f32_e32 v39, v29, v39
	v_div_scale_f32 v29, vcc, v34, v46, v34
	v_mul_f32_e32 v35, v29, v39
	v_fma_f32 v38, -v37, v35, v29
	v_fmac_f32_e32 v35, v38, v39
	v_fma_f32 v29, -v37, v35, v29
	v_div_fmas_f32 v29, v29, v39, v35
	v_div_fixup_f32 v29, v29, v46, v34
	v_cmp_ngt_f32_e32 vcc, s9, v29
	v_cndmask_b32_e32 v29, v61, v29, vcc
	v_cmp_ngt_f32_e32 vcc, s9, v28
	v_cndmask_b32_e32 v28, v61, v28, vcc
	v_cmp_nlt_f32_e32 vcc, s10, v28
	v_cndmask_b32_e32 v35, v57, v28, vcc
	v_cmp_nlt_f32_e32 vcc, s10, v29
	v_cndmask_b32_e32 v34, v57, v29, vcc
	v_add_co_u32_e32 v2, vcc, s26, v31
	v_addc_co_u32_e32 v3, vcc, 0, v27, vcc
	global_store_dwordx4 v[2:3], v[6:9], off
	global_store_dwordx4 v26, v[14:17], s[6:7]
	v_add_co_u32_e32 v2, vcc, s8, v31
	v_addc_co_u32_e32 v3, vcc, 0, v27, vcc
	global_store_dwordx4 v[2:3], v[18:21], off
	global_store_dwordx4 v30, v[10:13], s[6:7]
	;; [unrolled: 4-line block ×3, first 2 shown]
	v_add_co_u32_e32 v2, vcc, 0xe000, v31
	v_addc_co_u32_e32 v3, vcc, 0, v27, vcc
	global_store_dwordx4 v[2:3], v[32:35], off
	s_cbranch_execnz .LBB19_2
.LBB19_4:
	s_load_dword s6, s[4:5], 0x24
	s_load_dwordx4 s[20:23], s[4:5], 0x28
	s_add_u32 s8, s4, 56
	s_addc_u32 s9, s5, 0
	v_mov_b32_e32 v31, v0
	s_waitcnt lgkmcnt(0)
	v_lshrrev_b16_e64 v8, 8, s6
	v_mov_b32_e32 v0, s16
	v_mov_b32_e32 v1, s17
	;; [unrolled: 1-line block ×12, first 2 shown]
	s_getpc_b64 s[4:5]
	s_add_u32 s4, s4, _ZN2at6native25elementwise_kernel_helperILb1EZZZNS0_23launch_dirichlet_kernelERNS_18TensorIteratorBaseEENKUlvE_clEvENKUlvE0_clEvEUlffE_NS0_6memory8policies11unroll_baseILi512ESt5arrayIPcLm3EE23TrivialOffsetCalculatorILi2EjESD_ILi1EjENS7_12LoadWithCastILi2EEENS7_13StoreWithCastILi1EEELi32ELi1EEEEEvT0_T1_@rel32@lo+4
	s_addc_u32 s5, s5, _ZN2at6native25elementwise_kernel_helperILb1EZZZNS0_23launch_dirichlet_kernelERNS_18TensorIteratorBaseEENKUlvE_clEvENKUlvE0_clEvEUlffE_NS0_6memory8policies11unroll_baseILi512ESt5arrayIPcLm3EE23TrivialOffsetCalculatorILi2EjESD_ILi1EjENS7_12LoadWithCastILi2EEENS7_13StoreWithCastILi1EEELi32ELi1EEEEEvT0_T1_@rel32@hi+12
	s_swappc_b64 s[30:31], s[4:5]
	s_endpgm
	.section	.rodata,"a",@progbits
	.p2align	6, 0x0
	.amdhsa_kernel _ZN2at6native39vectorized_templated_elementwise_kernelILi4EZZZNS0_23launch_dirichlet_kernelERNS_18TensorIteratorBaseEENKUlvE_clEvENKUlvE0_clEvEUlffE_St5arrayIPcLm3EE23TrivialOffsetCalculatorILi2EjESA_ILi1EjENS0_6memory12LoadWithCastILi2EEENSD_13StoreWithCastILi1EEEfJN3c108BFloat16EfEEEviT0_T1_T2_T3_T4_T5_
		.amdhsa_group_segment_fixed_size 0
		.amdhsa_private_segment_fixed_size 288
		.amdhsa_kernarg_size 312
		.amdhsa_user_sgpr_count 8
		.amdhsa_user_sgpr_private_segment_buffer 1
		.amdhsa_user_sgpr_dispatch_ptr 0
		.amdhsa_user_sgpr_queue_ptr 0
		.amdhsa_user_sgpr_kernarg_segment_ptr 1
		.amdhsa_user_sgpr_dispatch_id 0
		.amdhsa_user_sgpr_flat_scratch_init 1
		.amdhsa_user_sgpr_kernarg_preload_length 0
		.amdhsa_user_sgpr_kernarg_preload_offset 0
		.amdhsa_user_sgpr_private_segment_size 0
		.amdhsa_uses_dynamic_stack 0
		.amdhsa_system_sgpr_private_segment_wavefront_offset 1
		.amdhsa_system_sgpr_workgroup_id_x 1
		.amdhsa_system_sgpr_workgroup_id_y 0
		.amdhsa_system_sgpr_workgroup_id_z 0
		.amdhsa_system_sgpr_workgroup_info 0
		.amdhsa_system_vgpr_workitem_id 0
		.amdhsa_next_free_vgpr 118
		.amdhsa_next_free_sgpr 98
		.amdhsa_accum_offset 120
		.amdhsa_reserve_vcc 1
		.amdhsa_reserve_flat_scratch 1
		.amdhsa_float_round_mode_32 0
		.amdhsa_float_round_mode_16_64 0
		.amdhsa_float_denorm_mode_32 3
		.amdhsa_float_denorm_mode_16_64 3
		.amdhsa_dx10_clamp 1
		.amdhsa_ieee_mode 1
		.amdhsa_fp16_overflow 0
		.amdhsa_tg_split 0
		.amdhsa_exception_fp_ieee_invalid_op 0
		.amdhsa_exception_fp_denorm_src 0
		.amdhsa_exception_fp_ieee_div_zero 0
		.amdhsa_exception_fp_ieee_overflow 0
		.amdhsa_exception_fp_ieee_underflow 0
		.amdhsa_exception_fp_ieee_inexact 0
		.amdhsa_exception_int_div_zero 0
	.end_amdhsa_kernel
	.section	.text._ZN2at6native39vectorized_templated_elementwise_kernelILi4EZZZNS0_23launch_dirichlet_kernelERNS_18TensorIteratorBaseEENKUlvE_clEvENKUlvE0_clEvEUlffE_St5arrayIPcLm3EE23TrivialOffsetCalculatorILi2EjESA_ILi1EjENS0_6memory12LoadWithCastILi2EEENSD_13StoreWithCastILi1EEEfJN3c108BFloat16EfEEEviT0_T1_T2_T3_T4_T5_,"axG",@progbits,_ZN2at6native39vectorized_templated_elementwise_kernelILi4EZZZNS0_23launch_dirichlet_kernelERNS_18TensorIteratorBaseEENKUlvE_clEvENKUlvE0_clEvEUlffE_St5arrayIPcLm3EE23TrivialOffsetCalculatorILi2EjESA_ILi1EjENS0_6memory12LoadWithCastILi2EEENSD_13StoreWithCastILi1EEEfJN3c108BFloat16EfEEEviT0_T1_T2_T3_T4_T5_,comdat
.Lfunc_end19:
	.size	_ZN2at6native39vectorized_templated_elementwise_kernelILi4EZZZNS0_23launch_dirichlet_kernelERNS_18TensorIteratorBaseEENKUlvE_clEvENKUlvE0_clEvEUlffE_St5arrayIPcLm3EE23TrivialOffsetCalculatorILi2EjESA_ILi1EjENS0_6memory12LoadWithCastILi2EEENSD_13StoreWithCastILi1EEEfJN3c108BFloat16EfEEEviT0_T1_T2_T3_T4_T5_, .Lfunc_end19-_ZN2at6native39vectorized_templated_elementwise_kernelILi4EZZZNS0_23launch_dirichlet_kernelERNS_18TensorIteratorBaseEENKUlvE_clEvENKUlvE0_clEvEUlffE_St5arrayIPcLm3EE23TrivialOffsetCalculatorILi2EjESA_ILi1EjENS0_6memory12LoadWithCastILi2EEENSD_13StoreWithCastILi1EEEfJN3c108BFloat16EfEEEviT0_T1_T2_T3_T4_T5_
                                        ; -- End function
	.section	.AMDGPU.csdata,"",@progbits
; Kernel info:
; codeLenInByte = 3804
; NumSgprs: 104
; NumVgprs: 118
; NumAgprs: 0
; TotalNumVgprs: 118
; ScratchSize: 288
; MemoryBound: 0
; FloatMode: 240
; IeeeMode: 1
; LDSByteSize: 0 bytes/workgroup (compile time only)
; SGPRBlocks: 12
; VGPRBlocks: 14
; NumSGPRsForWavesPerEU: 104
; NumVGPRsForWavesPerEU: 118
; AccumOffset: 120
; Occupancy: 4
; WaveLimiterHint : 0
; COMPUTE_PGM_RSRC2:SCRATCH_EN: 1
; COMPUTE_PGM_RSRC2:USER_SGPR: 8
; COMPUTE_PGM_RSRC2:TRAP_HANDLER: 0
; COMPUTE_PGM_RSRC2:TGID_X_EN: 1
; COMPUTE_PGM_RSRC2:TGID_Y_EN: 0
; COMPUTE_PGM_RSRC2:TGID_Z_EN: 0
; COMPUTE_PGM_RSRC2:TIDIG_COMP_CNT: 0
; COMPUTE_PGM_RSRC3_GFX90A:ACCUM_OFFSET: 29
; COMPUTE_PGM_RSRC3_GFX90A:TG_SPLIT: 0
	.section	.text._ZN2at6native39vectorized_templated_elementwise_kernelILi2EZZZNS0_23launch_dirichlet_kernelERNS_18TensorIteratorBaseEENKUlvE_clEvENKUlvE0_clEvEUlffE_St5arrayIPcLm3EE23TrivialOffsetCalculatorILi2EjESA_ILi1EjENS0_6memory12LoadWithCastILi2EEENSD_13StoreWithCastILi1EEEfJN3c108BFloat16EfEEEviT0_T1_T2_T3_T4_T5_,"axG",@progbits,_ZN2at6native39vectorized_templated_elementwise_kernelILi2EZZZNS0_23launch_dirichlet_kernelERNS_18TensorIteratorBaseEENKUlvE_clEvENKUlvE0_clEvEUlffE_St5arrayIPcLm3EE23TrivialOffsetCalculatorILi2EjESA_ILi1EjENS0_6memory12LoadWithCastILi2EEENSD_13StoreWithCastILi1EEEfJN3c108BFloat16EfEEEviT0_T1_T2_T3_T4_T5_,comdat
	.globl	_ZN2at6native39vectorized_templated_elementwise_kernelILi2EZZZNS0_23launch_dirichlet_kernelERNS_18TensorIteratorBaseEENKUlvE_clEvENKUlvE0_clEvEUlffE_St5arrayIPcLm3EE23TrivialOffsetCalculatorILi2EjESA_ILi1EjENS0_6memory12LoadWithCastILi2EEENSD_13StoreWithCastILi1EEEfJN3c108BFloat16EfEEEviT0_T1_T2_T3_T4_T5_ ; -- Begin function _ZN2at6native39vectorized_templated_elementwise_kernelILi2EZZZNS0_23launch_dirichlet_kernelERNS_18TensorIteratorBaseEENKUlvE_clEvENKUlvE0_clEvEUlffE_St5arrayIPcLm3EE23TrivialOffsetCalculatorILi2EjESA_ILi1EjENS0_6memory12LoadWithCastILi2EEENSD_13StoreWithCastILi1EEEfJN3c108BFloat16EfEEEviT0_T1_T2_T3_T4_T5_
	.p2align	8
	.type	_ZN2at6native39vectorized_templated_elementwise_kernelILi2EZZZNS0_23launch_dirichlet_kernelERNS_18TensorIteratorBaseEENKUlvE_clEvENKUlvE0_clEvEUlffE_St5arrayIPcLm3EE23TrivialOffsetCalculatorILi2EjESA_ILi1EjENS0_6memory12LoadWithCastILi2EEENSD_13StoreWithCastILi1EEEfJN3c108BFloat16EfEEEviT0_T1_T2_T3_T4_T5_,@function
_ZN2at6native39vectorized_templated_elementwise_kernelILi2EZZZNS0_23launch_dirichlet_kernelERNS_18TensorIteratorBaseEENKUlvE_clEvENKUlvE0_clEvEUlffE_St5arrayIPcLm3EE23TrivialOffsetCalculatorILi2EjESA_ILi1EjENS0_6memory12LoadWithCastILi2EEENSD_13StoreWithCastILi1EEEfJN3c108BFloat16EfEEEviT0_T1_T2_T3_T4_T5_: ; @_ZN2at6native39vectorized_templated_elementwise_kernelILi2EZZZNS0_23launch_dirichlet_kernelERNS_18TensorIteratorBaseEENKUlvE_clEvENKUlvE0_clEvEUlffE_St5arrayIPcLm3EE23TrivialOffsetCalculatorILi2EjESA_ILi1EjENS0_6memory12LoadWithCastILi2EEENSD_13StoreWithCastILi1EEEfJN3c108BFloat16EfEEEviT0_T1_T2_T3_T4_T5_
; %bb.0:
	s_add_u32 flat_scratch_lo, s6, s9
	s_addc_u32 flat_scratch_hi, s7, 0
	s_add_u32 s0, s0, s9
	s_load_dword s6, s[4:5], 0x38
	s_load_dwordx2 s[14:15], s[4:5], 0x18
	s_load_dword s7, s[4:5], 0x0
	s_load_dwordx4 s[16:19], s[4:5], 0x8
	s_addc_u32 s1, s1, 0
	s_mov_b32 s12, s8
	s_not_b32 s8, s8
	s_waitcnt lgkmcnt(0)
	s_add_i32 s6, s6, s8
	s_lshl_b32 s6, s6, 14
	s_sub_i32 s13, s7, s6
	s_cmpk_gt_i32 s13, 0x3fff
	s_mov_b64 s[8:9], -1
	s_mov_b32 s32, 0
	s_cbranch_scc1 .LBB20_3
; %bb.1:
	s_andn2_b64 vcc, exec, s[8:9]
	s_cbranch_vccz .LBB20_4
.LBB20_2:
	s_endpgm
.LBB20_3:
	s_ashr_i32 s7, s6, 31
	s_lshl_b64 s[8:9], s[6:7], 1
	s_add_u32 s24, s18, s8
	s_addc_u32 s25, s19, s9
	s_lshl_b64 s[20:21], s[6:7], 2
	v_lshlrev_b32_e32 v16, 2, v0
	s_add_u32 s22, s14, s20
	global_load_dword v17, v16, s[24:25]
	s_addc_u32 s23, s15, s21
	v_lshlrev_b32_e32 v1, 3, v0
	global_load_dwordx2 v[6:7], v1, s[22:23]
	v_or_b32_e32 v2, 0x400, v0
	v_lshlrev_b32_e32 v23, 2, v2
	v_lshlrev_b32_e32 v22, 3, v2
	v_mov_b32_e32 v2, s25
	v_add_co_u32_e32 v18, vcc, s24, v16
	s_movk_i32 s27, 0x1000
	v_addc_co_u32_e32 v19, vcc, 0, v2, vcc
	v_add_co_u32_e32 v10, vcc, s27, v18
	s_movk_i32 s6, 0x2000
	v_addc_co_u32_e32 v11, vcc, 0, v19, vcc
	;; [unrolled: 3-line block ×3, first 2 shown]
	v_or_b32_e32 v3, 0x800, v0
	v_or_b32_e32 v4, 0xc00, v0
	v_add_co_u32_e32 v14, vcc, s26, v18
	v_lshlrev_b32_e32 v24, 2, v3
	v_lshlrev_b32_e32 v25, 2, v4
	;; [unrolled: 1-line block ×4, first 2 shown]
	v_addc_co_u32_e32 v15, vcc, 0, v19, vcc
	global_load_dwordx2 v[8:9], v22, s[22:23]
	global_load_dwordx2 v[2:3], v21, s[22:23]
	;; [unrolled: 1-line block ×3, first 2 shown]
	global_load_dword v28, v16, s[24:25] offset:2048
	global_load_dword v29, v23, s[24:25]
	global_load_dword v30, v[10:11], off offset:2048
	global_load_dword v31, v24, s[24:25]
	global_load_dword v32, v[12:13], off offset:2048
	;; [unrolled: 2-line block ×3, first 2 shown]
	v_mov_b32_e32 v26, s23
	v_add_co_u32_e32 v24, vcc, s22, v1
	v_addc_co_u32_e32 v23, vcc, 0, v26, vcc
	s_movk_i32 s29, 0x5000
	v_or_b32_e32 v63, 0x1800, v0
	s_movk_i32 s28, 0x7000
	s_waitcnt vmcnt(11)
	v_and_b32_e32 v34, 0xffff0000, v17
	v_lshlrev_b32_e32 v35, 16, v17
	s_waitcnt vmcnt(10)
	v_div_scale_f32 v10, s[6:7], v7, v7, v34
	v_div_scale_f32 v12, s[6:7], v6, v6, v35
	v_rcp_f32_e32 v13, v10
	v_rcp_f32_e32 v14, v12
	v_div_scale_f32 v11, vcc, v34, v7, v34
	v_fma_f32 v16, -v10, v13, 1.0
	v_fma_f32 v17, -v12, v14, 1.0
	v_fmac_f32_e32 v13, v16, v13
	v_div_scale_f32 v15, s[6:7], v35, v6, v35
	v_fmac_f32_e32 v14, v17, v14
	v_mul_f32_e32 v16, v11, v13
	v_mul_f32_e32 v17, v15, v14
	v_fma_f32 v25, -v10, v16, v11
	v_fma_f32 v26, -v12, v17, v15
	v_fmac_f32_e32 v16, v25, v13
	v_fmac_f32_e32 v17, v26, v14
	v_fma_f32 v10, -v10, v16, v11
	v_fma_f32 v11, -v12, v17, v15
	v_div_fmas_f32 v37, v10, v13, v16
	s_mov_b64 vcc, s[6:7]
	v_div_fmas_f32 v38, v11, v14, v17
	v_add_co_u32_e32 v10, vcc, 0x1000, v24
	v_addc_co_u32_e32 v11, vcc, 0, v23, vcc
	global_load_dwordx2 v[26:27], v[10:11], off
	s_waitcnt vmcnt(6)
	v_and_b32_e32 v42, 0xffff0000, v29
	v_lshlrev_b32_e32 v43, 16, v29
	v_div_scale_f32 v10, s[6:7], v9, v9, v42
	v_div_scale_f32 v12, s[8:9], v8, v8, v43
	v_rcp_f32_e32 v13, v10
	v_rcp_f32_e32 v14, v12
	v_div_scale_f32 v11, s[6:7], v42, v9, v42
	v_fma_f32 v16, -v10, v13, 1.0
	v_fma_f32 v17, -v12, v14, 1.0
	v_div_scale_f32 v15, s[8:9], v43, v8, v43
	v_fmac_f32_e32 v13, v16, v13
	v_fmac_f32_e32 v14, v17, v14
	v_mul_f32_e32 v16, v11, v13
	v_mul_f32_e32 v17, v15, v14
	v_fma_f32 v25, -v10, v16, v11
	v_fma_f32 v29, -v12, v17, v15
	v_and_b32_e32 v39, 0xffff0000, v28
	v_fmac_f32_e32 v16, v25, v13
	v_fmac_f32_e32 v17, v29, v14
	v_lshlrev_b32_e32 v28, 16, v28
	v_fma_f32 v10, -v10, v16, v11
	v_fma_f32 v11, -v12, v17, v15
	s_waitcnt vmcnt(4)
	v_and_b32_e32 v48, 0xffff0000, v31
	v_lshlrev_b32_e32 v49, 16, v31
	s_waitcnt vmcnt(2)
	v_and_b32_e32 v56, 0xffff0000, v33
	v_lshlrev_b32_e32 v57, 16, v33
	s_waitcnt vmcnt(0)
	v_div_scale_f32 v12, s[10:11], v27, v27, v39
	v_div_scale_f32 v25, s[10:11], v26, v26, v28
	v_rcp_f32_e32 v29, v12
	v_rcp_f32_e32 v40, v25
	v_div_scale_f32 v15, vcc, v39, v27, v39
	v_fma_f32 v44, -v12, v29, 1.0
	v_fma_f32 v45, -v25, v40, 1.0
	v_fmac_f32_e32 v29, v44, v29
	v_div_scale_f32 v41, s[10:11], v28, v26, v28
	v_fmac_f32_e32 v40, v45, v40
	v_mul_f32_e32 v44, v15, v29
	v_mul_f32_e32 v45, v41, v40
	v_fma_f32 v46, -v12, v44, v15
	v_fma_f32 v47, -v25, v45, v41
	v_fmac_f32_e32 v44, v46, v29
	v_fmac_f32_e32 v45, v47, v40
	v_fma_f32 v12, -v12, v44, v15
	v_fma_f32 v15, -v25, v45, v41
	v_div_fmas_f32 v29, v12, v29, v44
	s_mov_b64 vcc, s[10:11]
	v_div_fmas_f32 v40, v15, v40, v45
	s_mov_b64 vcc, s[6:7]
	;; [unrolled: 2-line block ×3, first 2 shown]
	v_div_fmas_f32 v45, v11, v14, v17
	v_add_co_u32_e32 v10, vcc, 0x3000, v24
	v_addc_co_u32_e32 v11, vcc, 0, v23, vcc
	global_load_dwordx2 v[12:13], v[10:11], off
	v_div_scale_f32 v10, s[6:7], v3, v3, v48
	v_div_scale_f32 v14, s[8:9], v2, v2, v49
	v_rcp_f32_e32 v15, v10
	v_rcp_f32_e32 v16, v14
	v_and_b32_e32 v46, 0xffff0000, v30
	v_lshlrev_b32_e32 v47, 16, v30
	v_fma_f32 v25, -v10, v15, 1.0
	v_fma_f32 v30, -v14, v16, 1.0
	v_div_scale_f32 v11, s[6:7], v48, v3, v48
	v_div_scale_f32 v17, s[8:9], v49, v2, v49
	v_fmac_f32_e32 v15, v25, v15
	v_fmac_f32_e32 v16, v30, v16
	v_mul_f32_e32 v25, v11, v15
	v_mul_f32_e32 v30, v17, v16
	v_fma_f32 v31, -v10, v25, v11
	v_fma_f32 v41, -v14, v30, v17
	v_fmac_f32_e32 v25, v31, v15
	v_fmac_f32_e32 v30, v41, v16
	v_fma_f32 v10, -v10, v25, v11
	v_fma_f32 v11, -v14, v30, v17
	v_div_fixup_f32 v29, v29, v27, v39
	v_lshlrev_b32_e32 v27, 3, v63
	s_waitcnt vmcnt(0)
	v_div_scale_f32 v14, s[10:11], v13, v13, v46
	v_div_scale_f32 v31, s[10:11], v12, v12, v47
	v_rcp_f32_e32 v41, v14
	v_rcp_f32_e32 v50, v31
	v_div_scale_f32 v17, vcc, v46, v13, v46
	v_fma_f32 v52, -v14, v41, 1.0
	v_fma_f32 v53, -v31, v50, 1.0
	v_fmac_f32_e32 v41, v52, v41
	v_div_scale_f32 v51, s[10:11], v47, v12, v47
	v_fmac_f32_e32 v50, v53, v50
	v_mul_f32_e32 v52, v17, v41
	v_mul_f32_e32 v53, v51, v50
	v_fma_f32 v54, -v14, v52, v17
	v_fma_f32 v55, -v31, v53, v51
	v_fmac_f32_e32 v52, v54, v41
	v_fmac_f32_e32 v53, v55, v50
	v_fma_f32 v14, -v14, v52, v17
	v_fma_f32 v17, -v31, v53, v51
	v_div_fmas_f32 v51, v14, v41, v52
	s_mov_b64 vcc, s[10:11]
	v_div_fmas_f32 v50, v17, v50, v53
	s_mov_b64 vcc, s[6:7]
	v_div_fmas_f32 v52, v10, v15, v25
	s_mov_b64 vcc, s[8:9]
	v_div_fmas_f32 v53, v11, v16, v30
	v_add_co_u32_e32 v10, vcc, 0x5000, v24
	v_addc_co_u32_e32 v11, vcc, 0, v23, vcc
	global_load_dwordx2 v[10:11], v[10:11], off
	v_div_scale_f32 v14, s[6:7], v5, v5, v56
	v_div_scale_f32 v16, s[8:9], v4, v4, v57
	v_rcp_f32_e32 v17, v14
	v_rcp_f32_e32 v25, v16
	v_and_b32_e32 v54, 0xffff0000, v32
	v_lshlrev_b32_e32 v55, 16, v32
	v_fma_f32 v31, -v14, v17, 1.0
	v_fma_f32 v32, -v16, v25, 1.0
	v_div_scale_f32 v15, s[6:7], v56, v5, v56
	v_div_scale_f32 v30, s[8:9], v57, v4, v57
	v_fmac_f32_e32 v17, v31, v17
	v_fmac_f32_e32 v25, v32, v25
	v_mul_f32_e32 v31, v15, v17
	v_mul_f32_e32 v32, v30, v25
	v_fma_f32 v33, -v14, v31, v15
	v_fma_f32 v41, -v16, v32, v30
	v_fmac_f32_e32 v31, v33, v17
	v_fmac_f32_e32 v32, v41, v25
	v_fma_f32 v14, -v14, v31, v15
	v_fma_f32 v15, -v16, v32, v30
	s_waitcnt vmcnt(0)
	v_div_scale_f32 v16, s[10:11], v11, v11, v54
	v_div_scale_f32 v30, s[10:11], v10, v10, v55
	v_rcp_f32_e32 v33, v16
	v_rcp_f32_e32 v41, v30
	v_div_scale_f32 v58, vcc, v54, v11, v54
	v_fma_f32 v59, -v16, v33, 1.0
	v_fmac_f32_e32 v33, v59, v33
	v_fma_f32 v59, -v30, v41, 1.0
	v_fmac_f32_e32 v41, v59, v41
	v_mul_f32_e32 v59, v58, v33
	v_fma_f32 v60, -v16, v59, v58
	v_fmac_f32_e32 v59, v60, v33
	v_div_scale_f32 v60, s[10:11], v55, v10, v55
	v_mul_f32_e32 v61, v60, v41
	v_fma_f32 v62, -v30, v61, v60
	v_fmac_f32_e32 v61, v62, v41
	v_fma_f32 v16, -v16, v59, v58
	v_fma_f32 v30, -v30, v61, v60
	v_div_fmas_f32 v58, v16, v33, v59
	s_mov_b64 vcc, s[10:11]
	v_div_fmas_f32 v59, v30, v41, v61
	s_mov_b64 vcc, s[6:7]
	;; [unrolled: 2-line block ×3, first 2 shown]
	v_div_fmas_f32 v61, v15, v25, v32
	v_add_co_u32_e32 v14, vcc, 0x7000, v24
	v_addc_co_u32_e32 v15, vcc, 0, v23, vcc
	global_load_dwordx2 v[14:15], v[14:15], off
	v_or_b32_e32 v16, 0x1000, v0
	s_movk_i32 s6, 0x4000
	v_lshlrev_b32_e32 v17, 2, v16
	v_div_fixup_f32 v32, v38, v6, v35
	v_add_co_u32_e32 v6, vcc, s6, v18
	global_load_dword v62, v17, s[24:25]
	v_lshlrev_b32_e32 v25, 3, v16
	v_div_fixup_f32 v31, v37, v7, v34
	v_addc_co_u32_e32 v7, vcc, 0, v19, vcc
	global_load_dword v39, v[6:7], off offset:2048
	global_load_dwordx2 v[16:17], v25, s[22:23]
	v_add_co_u32_e32 v34, vcc, s29, v18
	s_movk_i32 s7, 0x6000
	v_addc_co_u32_e32 v35, vcc, 0, v19, vcc
	v_div_fixup_f32 v30, v40, v26, v28
	v_add_co_u32_e32 v40, vcc, s7, v18
	v_or_b32_e32 v33, 0x1400, v0
	v_addc_co_u32_e32 v41, vcc, 0, v19, vcc
	v_or_b32_e32 v37, 0x1c00, v0
	v_add_co_u32_e32 v18, vcc, s28, v18
	v_lshlrev_b32_e32 v26, 2, v33
	v_lshlrev_b32_e32 v6, 2, v63
	v_addc_co_u32_e32 v19, vcc, 0, v19, vcc
	global_load_dword v64, v26, s[24:25]
	global_load_dword v65, v[34:35], off offset:2048
	v_lshlrev_b32_e32 v7, 2, v37
	v_lshlrev_b32_e32 v26, 3, v37
	global_load_dword v63, v6, s[24:25]
	global_load_dword v38, v[40:41], off offset:2048
	global_load_dword v37, v7, s[24:25]
	global_load_dword v35, v[18:19], off offset:2048
	v_div_fixup_f32 v40, v51, v13, v46
	v_and_b32_e32 v13, 0xffff0000, v36
	v_lshlrev_b32_e32 v28, 3, v33
	v_div_fixup_f32 v33, v45, v8, v43
	v_div_fixup_f32 v43, v53, v2, v49
	v_lshlrev_b32_e32 v36, 16, v36
	v_div_fixup_f32 v41, v50, v12, v47
	v_div_fixup_f32 v34, v44, v9, v42
	;; [unrolled: 1-line block ×3, first 2 shown]
	global_load_dwordx2 v[18:19], v28, s[22:23]
	global_load_dwordx2 v[8:9], v27, s[22:23]
	;; [unrolled: 1-line block ×3, first 2 shown]
	v_div_fixup_f32 v53, v61, v4, v57
	v_div_fixup_f32 v51, v59, v10, v55
	;; [unrolled: 1-line block ×3, first 2 shown]
	s_add_u32 s10, s16, s20
	s_addc_u32 s11, s17, s21
	s_mov_b32 s23, 0x800000
	s_mov_b32 s22, 0x3f7ffffe
	;; [unrolled: 1-line block ×4, first 2 shown]
	s_waitcnt vmcnt(12)
	v_div_scale_f32 v2, s[6:7], v15, v15, v13
	v_rcp_f32_e32 v12, v2
	v_div_scale_f32 v3, s[6:7], v14, v14, v36
	v_rcp_f32_e32 v44, v3
	v_fma_f32 v46, -v2, v12, 1.0
	v_div_scale_f32 v45, vcc, v13, v15, v13
	v_fmac_f32_e32 v12, v46, v12
	v_fma_f32 v47, -v3, v44, 1.0
	v_mul_f32_e32 v46, v45, v12
	v_fmac_f32_e32 v44, v47, v44
	v_fma_f32 v47, -v2, v46, v45
	v_fmac_f32_e32 v46, v47, v12
	v_fma_f32 v2, -v2, v46, v45
	v_div_scale_f32 v45, s[6:7], v36, v14, v36
	v_div_fmas_f32 v12, v2, v12, v46
	v_mul_f32_e32 v2, v45, v44
	s_waitcnt vmcnt(11)
	v_and_b32_e32 v47, 0xffff0000, v62
	v_fma_f32 v46, -v3, v2, v45
	v_fmac_f32_e32 v2, v46, v44
	s_waitcnt vmcnt(9)
	v_div_scale_f32 v46, s[8:9], v17, v17, v47
	v_fma_f32 v3, -v3, v2, v45
	v_rcp_f32_e32 v45, v46
	s_mov_b64 vcc, s[6:7]
	v_div_fmas_f32 v44, v3, v44, v2
	v_div_scale_f32 v2, vcc, v47, v17, v47
	v_fma_f32 v3, -v46, v45, 1.0
	v_fmac_f32_e32 v45, v3, v45
	v_mul_f32_e32 v3, v2, v45
	v_fma_f32 v48, -v46, v3, v2
	v_fmac_f32_e32 v3, v48, v45
	v_lshlrev_b32_e32 v48, 16, v62
	v_fma_f32 v2, -v46, v3, v2
	v_div_scale_f32 v46, s[6:7], v16, v16, v48
	v_div_fmas_f32 v45, v2, v45, v3
	v_rcp_f32_e32 v2, v46
	v_div_fixup_f32 v60, v12, v15, v13
	s_waitcnt vmcnt(7)
	v_and_b32_e32 v12, 0xffff0000, v65
	v_lshlrev_b32_e32 v13, 16, v65
	v_fma_f32 v3, -v46, v2, 1.0
	v_fmac_f32_e32 v2, v3, v2
	v_div_scale_f32 v3, vcc, v48, v16, v48
	v_mul_f32_e32 v49, v3, v2
	v_fma_f32 v50, -v46, v49, v3
	v_fmac_f32_e32 v49, v50, v2
	v_fma_f32 v3, -v46, v49, v3
	v_div_fmas_f32 v46, v3, v2, v49
	v_add_co_u32_e32 v2, vcc, 0x9000, v24
	v_addc_co_u32_e32 v3, vcc, 0, v23, vcc
	global_load_dwordx2 v[2:3], v[2:3], off
	v_and_b32_e32 v50, 0xffff0000, v39
	v_lshlrev_b32_e32 v39, 16, v39
	v_div_fixup_f32 v49, v58, v11, v54
	v_lshlrev_b32_e32 v58, 16, v64
	v_div_fixup_f32 v44, v44, v14, v36
	v_div_fixup_f32 v45, v45, v17, v47
	;; [unrolled: 1-line block ×3, first 2 shown]
	s_waitcnt vmcnt(4)
	v_and_b32_e32 v71, 0xffff0000, v35
	v_lshlrev_b32_e32 v72, 16, v35
	s_waitcnt vmcnt(0)
	v_div_scale_f32 v4, s[6:7], v3, v3, v50
	v_rcp_f32_e32 v10, v4
	v_div_scale_f32 v5, s[6:7], v2, v2, v39
	v_rcp_f32_e32 v11, v5
	v_fma_f32 v55, -v4, v10, 1.0
	v_div_scale_f32 v54, vcc, v50, v3, v50
	v_fmac_f32_e32 v10, v55, v10
	v_fma_f32 v56, -v5, v11, 1.0
	v_mul_f32_e32 v55, v54, v10
	v_fmac_f32_e32 v11, v56, v11
	v_fma_f32 v56, -v4, v55, v54
	v_fmac_f32_e32 v55, v56, v10
	v_fma_f32 v4, -v4, v55, v54
	v_div_scale_f32 v54, s[6:7], v39, v2, v39
	v_div_fmas_f32 v55, v4, v10, v55
	v_mul_f32_e32 v4, v54, v11
	v_and_b32_e32 v56, 0xffff0000, v64
	v_fma_f32 v10, -v5, v4, v54
	v_fmac_f32_e32 v4, v10, v11
	v_div_scale_f32 v10, s[8:9], v19, v19, v56
	v_fma_f32 v5, -v5, v4, v54
	v_rcp_f32_e32 v54, v10
	s_mov_b64 vcc, s[6:7]
	v_div_fmas_f32 v57, v5, v11, v4
	v_div_scale_f32 v4, vcc, v56, v19, v56
	v_fma_f32 v5, -v10, v54, 1.0
	v_fmac_f32_e32 v54, v5, v54
	v_mul_f32_e32 v5, v4, v54
	v_fma_f32 v11, -v10, v5, v4
	v_fmac_f32_e32 v5, v11, v54
	v_fma_f32 v4, -v10, v5, v4
	v_div_scale_f32 v10, s[6:7], v18, v18, v58
	v_div_fmas_f32 v54, v4, v54, v5
	v_rcp_f32_e32 v4, v10
	v_div_fixup_f32 v54, v54, v19, v56
	v_lshlrev_b32_e32 v19, 16, v38
	v_fma_f32 v5, -v10, v4, 1.0
	v_fmac_f32_e32 v4, v5, v4
	v_div_scale_f32 v5, vcc, v58, v18, v58
	v_mul_f32_e32 v11, v5, v4
	v_fma_f32 v59, -v10, v11, v5
	v_fmac_f32_e32 v11, v59, v4
	v_fma_f32 v5, -v10, v11, v5
	v_div_fmas_f32 v59, v5, v4, v11
	v_add_co_u32_e32 v4, vcc, 0xb000, v24
	v_addc_co_u32_e32 v5, vcc, 0, v23, vcc
	global_load_dwordx2 v[4:5], v[4:5], off
	v_div_fixup_f32 v56, v59, v18, v58
	v_and_b32_e32 v18, 0xffff0000, v38
	v_and_b32_e32 v58, 0xffff0000, v37
	v_lshlrev_b32_e32 v59, 16, v37
	s_waitcnt vmcnt(0)
	v_div_scale_f32 v10, s[6:7], v5, v5, v12
	v_rcp_f32_e32 v14, v10
	v_div_scale_f32 v11, s[6:7], v4, v4, v13
	v_rcp_f32_e32 v15, v11
	v_fma_f32 v17, -v10, v14, 1.0
	v_div_scale_f32 v16, vcc, v12, v5, v12
	v_fmac_f32_e32 v14, v17, v14
	v_fma_f32 v36, -v11, v15, 1.0
	v_mul_f32_e32 v17, v16, v14
	v_fmac_f32_e32 v15, v36, v15
	v_fma_f32 v36, -v10, v17, v16
	v_fmac_f32_e32 v17, v36, v14
	v_fma_f32 v10, -v10, v17, v16
	v_div_scale_f32 v16, s[6:7], v13, v4, v13
	v_div_fmas_f32 v14, v10, v14, v17
	v_mul_f32_e32 v10, v16, v15
	v_and_b32_e32 v36, 0xffff0000, v63
	v_fma_f32 v17, -v11, v10, v16
	v_fmac_f32_e32 v10, v17, v15
	v_div_scale_f32 v17, s[8:9], v9, v9, v36
	v_fma_f32 v11, -v11, v10, v16
	v_rcp_f32_e32 v16, v17
	s_mov_b64 vcc, s[6:7]
	v_div_fmas_f32 v15, v11, v15, v10
	v_div_scale_f32 v10, vcc, v36, v9, v36
	v_fma_f32 v11, -v17, v16, 1.0
	v_fmac_f32_e32 v16, v11, v16
	v_mul_f32_e32 v11, v10, v16
	v_fma_f32 v47, -v17, v11, v10
	v_fmac_f32_e32 v11, v47, v16
	v_lshlrev_b32_e32 v47, 16, v63
	v_fma_f32 v10, -v17, v11, v10
	v_div_scale_f32 v17, s[6:7], v8, v8, v47
	v_div_fmas_f32 v16, v10, v16, v11
	v_rcp_f32_e32 v10, v17
	v_div_fixup_f32 v64, v15, v4, v13
	v_div_fixup_f32 v63, v14, v5, v12
	v_div_fixup_f32 v65, v16, v9, v36
	v_fma_f32 v11, -v17, v10, 1.0
	v_fmac_f32_e32 v10, v11, v10
	v_div_scale_f32 v11, vcc, v47, v8, v47
	v_mul_f32_e32 v48, v11, v10
	v_fma_f32 v61, -v17, v48, v11
	v_fmac_f32_e32 v48, v61, v10
	v_fma_f32 v11, -v17, v48, v11
	v_div_fmas_f32 v17, v11, v10, v48
	v_add_co_u32_e32 v10, vcc, 0xd000, v24
	v_addc_co_u32_e32 v11, vcc, 0, v23, vcc
	global_load_dwordx2 v[10:11], v[10:11], off
	v_div_fixup_f32 v66, v17, v8, v47
	v_div_fixup_f32 v48, v55, v3, v50
	;; [unrolled: 1-line block ×3, first 2 shown]
	v_mov_b32_e32 v2, s11
	v_add_co_u32_e32 v61, vcc, s10, v1
	v_addc_co_u32_e32 v62, vcc, 0, v2, vcc
	v_add_co_u32_e32 v2, vcc, s27, v61
	v_addc_co_u32_e32 v3, vcc, 0, v62, vcc
	v_div_scale_f32 v12, s[6:7], v7, v7, v58
	v_mov_b32_e32 v55, 0x800000
	v_mov_b32_e32 v57, 0x3f7ffffe
	s_waitcnt vmcnt(0)
	v_div_scale_f32 v4, s[6:7], v11, v11, v18
	v_rcp_f32_e32 v8, v4
	v_div_scale_f32 v5, s[6:7], v10, v10, v19
	v_rcp_f32_e32 v9, v5
	v_fma_f32 v14, -v4, v8, 1.0
	v_div_scale_f32 v13, vcc, v18, v11, v18
	v_fmac_f32_e32 v8, v14, v8
	v_fma_f32 v15, -v5, v9, 1.0
	v_mul_f32_e32 v14, v13, v8
	v_fmac_f32_e32 v9, v15, v9
	v_fma_f32 v15, -v4, v14, v13
	v_fmac_f32_e32 v14, v15, v8
	v_div_scale_f32 v15, s[6:7], v6, v6, v59
	v_fma_f32 v4, -v4, v14, v13
	v_div_scale_f32 v13, s[6:7], v19, v10, v19
	v_div_fmas_f32 v4, v4, v8, v14
	v_mul_f32_e32 v8, v13, v9
	v_fma_f32 v14, -v5, v8, v13
	v_fmac_f32_e32 v8, v14, v9
	v_rcp_f32_e32 v14, v12
	v_fma_f32 v5, -v5, v8, v13
	v_rcp_f32_e32 v13, v15
	s_mov_b64 vcc, s[6:7]
	v_div_fmas_f32 v5, v5, v9, v8
	v_fma_f32 v9, -v12, v14, 1.0
	v_div_scale_f32 v8, vcc, v58, v7, v58
	v_fmac_f32_e32 v14, v9, v14
	v_div_fixup_f32 v67, v4, v11, v18
	v_mul_f32_e32 v11, v8, v14
	v_fma_f32 v9, -v15, v13, 1.0
	v_fma_f32 v4, -v12, v11, v8
	v_fmac_f32_e32 v13, v9, v13
	v_div_scale_f32 v9, s[6:7], v59, v6, v59
	v_fmac_f32_e32 v11, v4, v14
	v_div_fixup_f32 v68, v5, v10, v19
	v_mul_f32_e32 v16, v9, v13
	v_fma_f32 v10, -v12, v11, v8
	v_fma_f32 v5, -v15, v16, v9
	v_div_fmas_f32 v69, v10, v14, v11
	v_add_co_u32_e32 v10, vcc, s28, v61
	v_fmac_f32_e32 v16, v5, v13
	v_addc_co_u32_e32 v11, vcc, 0, v62, vcc
	v_fma_f32 v12, -v15, v16, v9
	s_mov_b64 vcc, s[6:7]
	v_add_co_u32_e64 v4, s[8:9], s26, v61
	s_nop 0
	v_div_fmas_f32 v70, v12, v13, v16
	v_cmp_ngt_f32_e32 vcc, s23, v31
	v_cndmask_b32_e32 v12, v55, v31, vcc
	v_cmp_ngt_f32_e32 vcc, s23, v32
	v_cndmask_b32_e32 v14, v55, v32, vcc
	v_cmp_nlt_f32_e32 vcc, s22, v12
	v_cndmask_b32_e32 v13, v57, v12, vcc
	v_cmp_nlt_f32_e32 vcc, s22, v14
	v_cndmask_b32_e32 v12, v57, v14, vcc
	v_cmp_ngt_f32_e32 vcc, s23, v29
	v_cndmask_b32_e32 v14, v55, v29, vcc
	v_cmp_ngt_f32_e32 vcc, s23, v30
	v_cndmask_b32_e32 v16, v55, v30, vcc
	v_cmp_nlt_f32_e32 vcc, s22, v14
	v_cndmask_b32_e32 v15, v57, v14, vcc
	v_cmp_nlt_f32_e32 vcc, s22, v16
	v_cndmask_b32_e32 v14, v57, v16, vcc
	;; [unrolled: 8-line block ×7, first 2 shown]
	v_add_co_u32_e32 v36, vcc, 0xf000, v24
	v_addc_co_u32_e32 v37, vcc, 0, v23, vcc
	global_load_dwordx2 v[36:37], v[36:37], off
	v_cmp_ngt_f32_e32 vcc, s23, v60
	v_cndmask_b32_e32 v23, v55, v60, vcc
	v_cmp_ngt_f32_e32 vcc, s23, v44
	v_cndmask_b32_e32 v24, v55, v44, vcc
	v_cmp_nlt_f32_e32 vcc, s22, v23
	v_cndmask_b32_e32 v39, v57, v23, vcc
	v_cmp_nlt_f32_e32 vcc, s22, v24
	v_cndmask_b32_e32 v38, v57, v24, vcc
	v_cmp_ngt_f32_e32 vcc, s23, v45
	v_cndmask_b32_e32 v23, v55, v45, vcc
	v_cmp_ngt_f32_e32 vcc, s23, v46
	v_cndmask_b32_e32 v24, v55, v46, vcc
	v_cmp_nlt_f32_e32 vcc, s22, v23
	v_cndmask_b32_e32 v41, v57, v23, vcc
	v_cmp_nlt_f32_e32 vcc, s22, v24
	v_cndmask_b32_e32 v40, v57, v24, vcc
	;; [unrolled: 8-line block ×6, first 2 shown]
	v_cmp_ngt_f32_e32 vcc, s23, v67
	v_cndmask_b32_e32 v23, v55, v67, vcc
	v_cmp_ngt_f32_e32 vcc, s23, v68
	v_addc_co_u32_e64 v5, s[8:9], 0, v62, s[8:9]
	v_cndmask_b32_e32 v24, v55, v68, vcc
	v_cmp_nlt_f32_e32 vcc, s22, v23
	v_add_co_u32_e64 v8, s[8:9], s29, v61
	v_cndmask_b32_e32 v51, v57, v23, vcc
	v_div_fixup_f32 v7, v69, v7, v58
	v_cmp_nlt_f32_e32 vcc, s22, v24
	v_addc_co_u32_e64 v9, s[8:9], 0, v62, s[8:9]
	v_cndmask_b32_e32 v50, v57, v24, vcc
	v_div_fixup_f32 v6, v70, v6, v59
	v_cmp_ngt_f32_e32 vcc, s23, v7
	global_store_dwordx2 v1, v[12:13], s[10:11]
	global_store_dwordx2 v[2:3], v[14:15], off
	global_store_dwordx2 v22, v[16:17], s[10:11]
	global_store_dwordx2 v[4:5], v[18:19], off
	global_store_dwordx2 v21, v[30:31], s[10:11]
	global_store_dwordx2 v[8:9], v[32:33], off
	global_store_dwordx2 v20, v[34:35], s[10:11]
	global_store_dwordx2 v[10:11], v[38:39], off
	global_store_dwordx2 v25, v[40:41], s[10:11]
	global_store_dwordx2 v28, v[44:45], s[10:11]
	;; [unrolled: 1-line block ×3, first 2 shown]
	v_cndmask_b32_e32 v7, v55, v7, vcc
	v_cmp_ngt_f32_e32 vcc, s23, v6
	v_cndmask_b32_e32 v6, v55, v6, vcc
	v_cmp_nlt_f32_e32 vcc, s22, v7
	v_cndmask_b32_e32 v7, v57, v7, vcc
	v_cmp_nlt_f32_e32 vcc, s22, v6
	v_cndmask_b32_e32 v6, v57, v6, vcc
	global_store_dwordx2 v26, v[6:7], s[10:11]
	s_waitcnt vmcnt(12)
	v_div_scale_f32 v1, s[6:7], v37, v37, v71
	v_div_scale_f32 v3, s[6:7], v36, v36, v72
	v_rcp_f32_e32 v4, v1
	v_rcp_f32_e32 v5, v3
	v_div_scale_f32 v2, vcc, v71, v37, v71
	v_fma_f32 v7, -v1, v4, 1.0
	v_fma_f32 v8, -v3, v5, 1.0
	v_fmac_f32_e32 v4, v7, v4
	v_div_scale_f32 v6, s[6:7], v72, v36, v72
	v_fmac_f32_e32 v5, v8, v5
	v_mul_f32_e32 v7, v2, v4
	v_mul_f32_e32 v8, v6, v5
	v_fma_f32 v9, -v1, v7, v2
	v_fma_f32 v10, -v3, v8, v6
	v_fmac_f32_e32 v7, v9, v4
	v_fmac_f32_e32 v8, v10, v5
	v_fma_f32 v1, -v1, v7, v2
	v_fma_f32 v2, -v3, v8, v6
	v_div_fmas_f32 v1, v1, v4, v7
	s_mov_b64 vcc, s[6:7]
	v_div_fixup_f32 v1, v1, v37, v71
	v_div_fmas_f32 v3, v2, v5, v8
	v_add_co_u32_e32 v2, vcc, s25, v61
	v_div_fixup_f32 v5, v3, v36, v72
	v_cmp_ngt_f32_e64 s[6:7], s23, v1
	v_addc_co_u32_e32 v3, vcc, 0, v62, vcc
	v_cndmask_b32_e64 v1, v55, v1, s[6:7]
	v_add_co_u32_e32 v4, vcc, s24, v61
	v_cmp_ngt_f32_e64 s[6:7], s23, v5
	v_cndmask_b32_e64 v6, v55, v5, s[6:7]
	v_addc_co_u32_e32 v5, vcc, 0, v62, vcc
	global_store_dwordx2 v[2:3], v[42:43], off
	v_add_co_u32_e32 v2, vcc, 0xd000, v61
	v_cmp_nlt_f32_e64 s[6:7], s22, v1
	v_addc_co_u32_e32 v3, vcc, 0, v62, vcc
	v_cndmask_b32_e64 v7, v57, v1, s[6:7]
	v_cmp_nlt_f32_e64 s[6:7], s22, v6
	global_store_dwordx2 v[4:5], v[46:47], off
	v_add_co_u32_e32 v4, vcc, 0xf000, v61
	v_cndmask_b32_e64 v6, v57, v6, s[6:7]
	v_addc_co_u32_e32 v5, vcc, 0, v62, vcc
	global_store_dwordx2 v[2:3], v[50:51], off
	global_store_dwordx2 v[4:5], v[6:7], off
	s_cbranch_execnz .LBB20_2
.LBB20_4:
	s_load_dword s6, s[4:5], 0x24
	s_load_dwordx4 s[20:23], s[4:5], 0x28
	s_add_u32 s8, s4, 56
	s_addc_u32 s9, s5, 0
	v_mov_b32_e32 v31, v0
	s_waitcnt lgkmcnt(0)
	v_lshrrev_b16_e64 v8, 8, s6
	v_mov_b32_e32 v0, s16
	v_mov_b32_e32 v1, s17
	;; [unrolled: 1-line block ×12, first 2 shown]
	s_getpc_b64 s[4:5]
	s_add_u32 s4, s4, _ZN2at6native25elementwise_kernel_helperILb1EZZZNS0_23launch_dirichlet_kernelERNS_18TensorIteratorBaseEENKUlvE_clEvENKUlvE0_clEvEUlffE_NS0_6memory8policies11unroll_baseILi512ESt5arrayIPcLm3EE23TrivialOffsetCalculatorILi2EjESD_ILi1EjENS7_12LoadWithCastILi2EEENS7_13StoreWithCastILi1EEELi32ELi1EEEEEvT0_T1_@rel32@lo+4
	s_addc_u32 s5, s5, _ZN2at6native25elementwise_kernel_helperILb1EZZZNS0_23launch_dirichlet_kernelERNS_18TensorIteratorBaseEENKUlvE_clEvENKUlvE0_clEvEUlffE_NS0_6memory8policies11unroll_baseILi512ESt5arrayIPcLm3EE23TrivialOffsetCalculatorILi2EjESD_ILi1EjENS7_12LoadWithCastILi2EEENS7_13StoreWithCastILi1EEELi32ELi1EEEEEvT0_T1_@rel32@hi+12
	s_swappc_b64 s[30:31], s[4:5]
	s_endpgm
	.section	.rodata,"a",@progbits
	.p2align	6, 0x0
	.amdhsa_kernel _ZN2at6native39vectorized_templated_elementwise_kernelILi2EZZZNS0_23launch_dirichlet_kernelERNS_18TensorIteratorBaseEENKUlvE_clEvENKUlvE0_clEvEUlffE_St5arrayIPcLm3EE23TrivialOffsetCalculatorILi2EjESA_ILi1EjENS0_6memory12LoadWithCastILi2EEENSD_13StoreWithCastILi1EEEfJN3c108BFloat16EfEEEviT0_T1_T2_T3_T4_T5_
		.amdhsa_group_segment_fixed_size 0
		.amdhsa_private_segment_fixed_size 288
		.amdhsa_kernarg_size 312
		.amdhsa_user_sgpr_count 8
		.amdhsa_user_sgpr_private_segment_buffer 1
		.amdhsa_user_sgpr_dispatch_ptr 0
		.amdhsa_user_sgpr_queue_ptr 0
		.amdhsa_user_sgpr_kernarg_segment_ptr 1
		.amdhsa_user_sgpr_dispatch_id 0
		.amdhsa_user_sgpr_flat_scratch_init 1
		.amdhsa_user_sgpr_kernarg_preload_length 0
		.amdhsa_user_sgpr_kernarg_preload_offset 0
		.amdhsa_user_sgpr_private_segment_size 0
		.amdhsa_uses_dynamic_stack 0
		.amdhsa_system_sgpr_private_segment_wavefront_offset 1
		.amdhsa_system_sgpr_workgroup_id_x 1
		.amdhsa_system_sgpr_workgroup_id_y 0
		.amdhsa_system_sgpr_workgroup_id_z 0
		.amdhsa_system_sgpr_workgroup_info 0
		.amdhsa_system_vgpr_workitem_id 0
		.amdhsa_next_free_vgpr 118
		.amdhsa_next_free_sgpr 98
		.amdhsa_accum_offset 120
		.amdhsa_reserve_vcc 1
		.amdhsa_reserve_flat_scratch 1
		.amdhsa_float_round_mode_32 0
		.amdhsa_float_round_mode_16_64 0
		.amdhsa_float_denorm_mode_32 3
		.amdhsa_float_denorm_mode_16_64 3
		.amdhsa_dx10_clamp 1
		.amdhsa_ieee_mode 1
		.amdhsa_fp16_overflow 0
		.amdhsa_tg_split 0
		.amdhsa_exception_fp_ieee_invalid_op 0
		.amdhsa_exception_fp_denorm_src 0
		.amdhsa_exception_fp_ieee_div_zero 0
		.amdhsa_exception_fp_ieee_overflow 0
		.amdhsa_exception_fp_ieee_underflow 0
		.amdhsa_exception_fp_ieee_inexact 0
		.amdhsa_exception_int_div_zero 0
	.end_amdhsa_kernel
	.section	.text._ZN2at6native39vectorized_templated_elementwise_kernelILi2EZZZNS0_23launch_dirichlet_kernelERNS_18TensorIteratorBaseEENKUlvE_clEvENKUlvE0_clEvEUlffE_St5arrayIPcLm3EE23TrivialOffsetCalculatorILi2EjESA_ILi1EjENS0_6memory12LoadWithCastILi2EEENSD_13StoreWithCastILi1EEEfJN3c108BFloat16EfEEEviT0_T1_T2_T3_T4_T5_,"axG",@progbits,_ZN2at6native39vectorized_templated_elementwise_kernelILi2EZZZNS0_23launch_dirichlet_kernelERNS_18TensorIteratorBaseEENKUlvE_clEvENKUlvE0_clEvEUlffE_St5arrayIPcLm3EE23TrivialOffsetCalculatorILi2EjESA_ILi1EjENS0_6memory12LoadWithCastILi2EEENSD_13StoreWithCastILi1EEEfJN3c108BFloat16EfEEEviT0_T1_T2_T3_T4_T5_,comdat
.Lfunc_end20:
	.size	_ZN2at6native39vectorized_templated_elementwise_kernelILi2EZZZNS0_23launch_dirichlet_kernelERNS_18TensorIteratorBaseEENKUlvE_clEvENKUlvE0_clEvEUlffE_St5arrayIPcLm3EE23TrivialOffsetCalculatorILi2EjESA_ILi1EjENS0_6memory12LoadWithCastILi2EEENSD_13StoreWithCastILi1EEEfJN3c108BFloat16EfEEEviT0_T1_T2_T3_T4_T5_, .Lfunc_end20-_ZN2at6native39vectorized_templated_elementwise_kernelILi2EZZZNS0_23launch_dirichlet_kernelERNS_18TensorIteratorBaseEENKUlvE_clEvENKUlvE0_clEvEUlffE_St5arrayIPcLm3EE23TrivialOffsetCalculatorILi2EjESA_ILi1EjENS0_6memory12LoadWithCastILi2EEENSD_13StoreWithCastILi1EEEfJN3c108BFloat16EfEEEviT0_T1_T2_T3_T4_T5_
                                        ; -- End function
	.section	.AMDGPU.csdata,"",@progbits
; Kernel info:
; codeLenInByte = 4288
; NumSgprs: 104
; NumVgprs: 118
; NumAgprs: 0
; TotalNumVgprs: 118
; ScratchSize: 288
; MemoryBound: 0
; FloatMode: 240
; IeeeMode: 1
; LDSByteSize: 0 bytes/workgroup (compile time only)
; SGPRBlocks: 12
; VGPRBlocks: 14
; NumSGPRsForWavesPerEU: 104
; NumVGPRsForWavesPerEU: 118
; AccumOffset: 120
; Occupancy: 4
; WaveLimiterHint : 0
; COMPUTE_PGM_RSRC2:SCRATCH_EN: 1
; COMPUTE_PGM_RSRC2:USER_SGPR: 8
; COMPUTE_PGM_RSRC2:TRAP_HANDLER: 0
; COMPUTE_PGM_RSRC2:TGID_X_EN: 1
; COMPUTE_PGM_RSRC2:TGID_Y_EN: 0
; COMPUTE_PGM_RSRC2:TGID_Z_EN: 0
; COMPUTE_PGM_RSRC2:TIDIG_COMP_CNT: 0
; COMPUTE_PGM_RSRC3_GFX90A:ACCUM_OFFSET: 29
; COMPUTE_PGM_RSRC3_GFX90A:TG_SPLIT: 0
	.section	.text._ZN2at6native39vectorized_templated_elementwise_kernelILi8EZZZNS0_23launch_dirichlet_kernelERNS_18TensorIteratorBaseEENKUlvE_clEvENKUlvE0_clEvEUlffE_St5arrayIPcLm3EE23TrivialOffsetCalculatorILi2EjESA_ILi1EjENS0_6memory12LoadWithCastILi2EEENSD_13StoreWithCastILi1EEEN3c108BFloat16EJSJ_fEEEviT0_T1_T2_T3_T4_T5_,"axG",@progbits,_ZN2at6native39vectorized_templated_elementwise_kernelILi8EZZZNS0_23launch_dirichlet_kernelERNS_18TensorIteratorBaseEENKUlvE_clEvENKUlvE0_clEvEUlffE_St5arrayIPcLm3EE23TrivialOffsetCalculatorILi2EjESA_ILi1EjENS0_6memory12LoadWithCastILi2EEENSD_13StoreWithCastILi1EEEN3c108BFloat16EJSJ_fEEEviT0_T1_T2_T3_T4_T5_,comdat
	.globl	_ZN2at6native39vectorized_templated_elementwise_kernelILi8EZZZNS0_23launch_dirichlet_kernelERNS_18TensorIteratorBaseEENKUlvE_clEvENKUlvE0_clEvEUlffE_St5arrayIPcLm3EE23TrivialOffsetCalculatorILi2EjESA_ILi1EjENS0_6memory12LoadWithCastILi2EEENSD_13StoreWithCastILi1EEEN3c108BFloat16EJSJ_fEEEviT0_T1_T2_T3_T4_T5_ ; -- Begin function _ZN2at6native39vectorized_templated_elementwise_kernelILi8EZZZNS0_23launch_dirichlet_kernelERNS_18TensorIteratorBaseEENKUlvE_clEvENKUlvE0_clEvEUlffE_St5arrayIPcLm3EE23TrivialOffsetCalculatorILi2EjESA_ILi1EjENS0_6memory12LoadWithCastILi2EEENSD_13StoreWithCastILi1EEEN3c108BFloat16EJSJ_fEEEviT0_T1_T2_T3_T4_T5_
	.p2align	8
	.type	_ZN2at6native39vectorized_templated_elementwise_kernelILi8EZZZNS0_23launch_dirichlet_kernelERNS_18TensorIteratorBaseEENKUlvE_clEvENKUlvE0_clEvEUlffE_St5arrayIPcLm3EE23TrivialOffsetCalculatorILi2EjESA_ILi1EjENS0_6memory12LoadWithCastILi2EEENSD_13StoreWithCastILi1EEEN3c108BFloat16EJSJ_fEEEviT0_T1_T2_T3_T4_T5_,@function
_ZN2at6native39vectorized_templated_elementwise_kernelILi8EZZZNS0_23launch_dirichlet_kernelERNS_18TensorIteratorBaseEENKUlvE_clEvENKUlvE0_clEvEUlffE_St5arrayIPcLm3EE23TrivialOffsetCalculatorILi2EjESA_ILi1EjENS0_6memory12LoadWithCastILi2EEENSD_13StoreWithCastILi1EEEN3c108BFloat16EJSJ_fEEEviT0_T1_T2_T3_T4_T5_: ; @_ZN2at6native39vectorized_templated_elementwise_kernelILi8EZZZNS0_23launch_dirichlet_kernelERNS_18TensorIteratorBaseEENKUlvE_clEvENKUlvE0_clEvEUlffE_St5arrayIPcLm3EE23TrivialOffsetCalculatorILi2EjESA_ILi1EjENS0_6memory12LoadWithCastILi2EEENSD_13StoreWithCastILi1EEEN3c108BFloat16EJSJ_fEEEviT0_T1_T2_T3_T4_T5_
; %bb.0:
	s_add_u32 flat_scratch_lo, s6, s9
	s_addc_u32 flat_scratch_hi, s7, 0
	s_add_u32 s0, s0, s9
	s_load_dword s6, s[4:5], 0x38
	s_load_dwordx2 s[10:11], s[4:5], 0x18
	s_load_dword s7, s[4:5], 0x0
	s_load_dwordx4 s[16:19], s[4:5], 0x8
	s_addc_u32 s1, s1, 0
	s_mov_b32 s12, s8
	s_not_b32 s8, s8
	s_waitcnt lgkmcnt(0)
	s_add_i32 s6, s6, s8
	s_lshl_b32 s14, s6, 14
	s_sub_i32 s13, s7, s14
	s_cmpk_gt_i32 s13, 0x3fff
	s_mov_b64 s[6:7], -1
	s_mov_b32 s32, 0
	s_cbranch_scc1 .LBB21_3
; %bb.1:
	s_andn2_b64 vcc, exec, s[6:7]
	s_cbranch_vccz .LBB21_4
.LBB21_2:
	s_endpgm
.LBB21_3:
	s_ashr_i32 s15, s14, 31
	s_lshl_b64 s[6:7], s[14:15], 1
	s_add_u32 s8, s18, s6
	s_addc_u32 s9, s19, s7
	s_lshl_b64 s[14:15], s[14:15], 2
	s_add_u32 s20, s10, s14
	v_lshlrev_b32_e32 v1, 4, v0
	s_addc_u32 s21, s11, s15
	v_lshlrev_b32_e32 v18, 5, v0
	global_load_dwordx4 v[10:13], v1, s[8:9]
	global_load_dwordx4 v[14:17], v18, s[20:21]
	global_load_dwordx4 v[6:9], v18, s[20:21] offset:16
	v_mov_b32_e32 v19, s9
	v_add_co_u32_e32 v38, vcc, s8, v1
	v_addc_co_u32_e32 v39, vcc, 0, v19, vcc
	v_mov_b32_e32 v19, s21
	v_add_co_u32_e32 v18, vcc, s20, v18
	s_movk_i32 s24, 0x4000
	v_addc_co_u32_e32 v19, vcc, 0, v19, vcc
	v_add_co_u32_e32 v20, vcc, s24, v18
	s_mov_b32 s23, 0xc000
	v_addc_co_u32_e32 v21, vcc, 0, v19, vcc
	s_add_u32 s14, s16, s6
	v_add_co_u32_e32 v18, vcc, s23, v18
	s_addc_u32 s15, s17, s7
	v_addc_co_u32_e32 v19, vcc, 0, v19, vcc
	s_movk_i32 s22, 0x7fff
	v_mov_b32_e32 v24, s15
	v_add_co_u32_e32 v25, vcc, s14, v1
	v_addc_co_u32_e32 v24, vcc, 0, v24, vcc
	v_mov_b32_e32 v23, 0x7fc00000
	v_or_b32_e32 v2, 0x400, v0
	v_lshlrev_b32_e32 v22, 4, v2
	v_lshlrev_b32_e32 v26, 5, v2
	global_load_dwordx4 v[2:5], v22, s[8:9]
	s_waitcnt vmcnt(3)
	v_lshlrev_b32_e32 v28, 16, v11
	s_waitcnt vmcnt(2)
	v_bfe_u32 v32, v14, 16, 1
	v_bfe_u32 v31, v15, 16, 1
	v_add3_u32 v32, v14, v32, s22
	v_bfe_u32 v30, v16, 16, 1
	v_add3_u32 v31, v15, v31, s22
	v_and_b32_e32 v32, 0xffff0000, v32
	v_cmp_o_f32_e32 vcc, v14, v14
	v_bfe_u32 v29, v17, 16, 1
	v_add3_u32 v30, v16, v30, s22
	v_and_b32_e32 v31, 0xffff0000, v31
	v_cndmask_b32_e32 v14, v23, v32, vcc
	v_cmp_o_f32_e32 vcc, v15, v15
	v_add3_u32 v29, v17, v29, s22
	v_and_b32_e32 v30, 0xffff0000, v30
	v_cndmask_b32_e32 v15, v23, v31, vcc
	v_cmp_o_f32_e32 vcc, v16, v16
	v_and_b32_e32 v29, 0xffff0000, v29
	v_cndmask_b32_e32 v16, v23, v30, vcc
	v_cmp_o_f32_e32 vcc, v17, v17
	v_and_b32_e32 v11, 0xffff0000, v11
	v_cndmask_b32_e32 v17, v23, v29, vcc
	v_div_scale_f32 v29, s[6:7], v17, v17, v11
	v_lshlrev_b32_e32 v27, 16, v10
	v_and_b32_e32 v10, 0xffff0000, v10
	v_div_scale_f32 v31, s[6:7], v16, v16, v28
	v_rcp_f32_e32 v34, v29
	v_div_scale_f32 v33, s[8:9], v15, v15, v10
	v_rcp_f32_e32 v35, v31
	v_rcp_f32_e32 v36, v33
	v_fma_f32 v40, -v29, v34, 1.0
	v_div_scale_f32 v30, vcc, v11, v17, v11
	v_fma_f32 v41, -v31, v35, 1.0
	v_fmac_f32_e32 v34, v40, v34
	v_div_scale_f32 v32, s[6:7], v28, v16, v28
	v_fma_f32 v42, -v33, v36, 1.0
	v_fmac_f32_e32 v35, v41, v35
	v_mul_f32_e32 v40, v30, v34
	v_fmac_f32_e32 v36, v42, v36
	v_mul_f32_e32 v41, v32, v35
	v_fma_f32 v42, -v29, v40, v30
	v_fma_f32 v43, -v31, v41, v32
	v_fmac_f32_e32 v40, v42, v34
	v_fmac_f32_e32 v41, v43, v35
	v_fma_f32 v29, -v29, v40, v30
	v_fma_f32 v30, -v31, v41, v32
	v_div_fmas_f32 v29, v29, v34, v40
	s_mov_b64 vcc, s[6:7]
	v_div_scale_f32 v37, s[8:9], v10, v15, v10
	v_div_fixup_f32 v11, v29, v17, v11
	v_div_fmas_f32 v17, v30, v35, v41
	v_div_fixup_f32 v16, v17, v16, v28
	v_mul_f32_e32 v17, v37, v36
	v_div_scale_f32 v29, s[6:7], v14, v14, v27
	v_fma_f32 v28, -v33, v17, v37
	v_rcp_f32_e32 v30, v29
	v_fmac_f32_e32 v17, v28, v36
	v_fma_f32 v28, -v33, v17, v37
	s_mov_b64 vcc, s[8:9]
	v_div_fmas_f32 v17, v28, v36, v17
	v_div_fixup_f32 v10, v17, v15, v10
	v_fma_f32 v15, -v29, v30, 1.0
	v_fmac_f32_e32 v30, v15, v30
	v_div_scale_f32 v15, vcc, v27, v14, v27
	v_mul_f32_e32 v17, v15, v30
	v_fma_f32 v28, -v29, v17, v15
	v_fmac_f32_e32 v17, v28, v30
	v_fma_f32 v15, -v29, v17, v15
	v_div_fmas_f32 v15, v15, v30, v17
	v_div_fixup_f32 v14, v15, v14, v27
	s_mov_b32 s6, 0x800000
	v_mov_b32_e32 v27, 0x800000
	v_cmp_ngt_f32_e32 vcc, s6, v14
	v_cndmask_b32_e32 v14, v27, v14, vcc
	v_cmp_ngt_f32_e32 vcc, s6, v10
	v_cndmask_b32_e32 v10, v27, v10, vcc
	;; [unrolled: 2-line block ×4, first 2 shown]
	s_mov_b32 s7, 0x3f7ffffe
	v_mov_b32_e32 v29, 0x3f7ffffe
	v_cmp_nlt_f32_e32 vcc, s7, v11
	v_cndmask_b32_e32 v11, v29, v11, vcc
	v_cmp_nlt_f32_e32 vcc, s7, v15
	v_cndmask_b32_e32 v15, v29, v15, vcc
	;; [unrolled: 2-line block ×4, first 2 shown]
	v_bfe_u32 v16, v14, 16, 1
	v_bfe_u32 v17, v10, 16, 1
	;; [unrolled: 1-line block ×3, first 2 shown]
	v_add3_u32 v16, v14, v16, s22
	v_bfe_u32 v30, v11, 16, 1
	v_add3_u32 v28, v15, v28, s22
	v_add3_u32 v17, v10, v17, s22
	v_lshrrev_b32_e32 v16, 16, v16
	v_mov_b32_e32 v31, 0x7fc0
	v_cmp_o_f32_e32 vcc, v14, v14
	v_add3_u32 v30, v11, v30, s22
	v_lshrrev_b32_e32 v17, 16, v17
	v_lshrrev_b32_e32 v32, 16, v28
	v_cndmask_b32_e32 v28, v31, v16, vcc
	v_cmp_o_f32_e32 vcc, v10, v10
	v_lshrrev_b32_e32 v33, 16, v30
	v_cndmask_b32_e32 v30, v31, v17, vcc
	v_cmp_o_f32_e32 vcc, v15, v15
	s_waitcnt vmcnt(1)
	v_bfe_u32 v14, v6, 16, 1
	v_cndmask_b32_e32 v32, v31, v32, vcc
	v_cmp_o_f32_e32 vcc, v11, v11
	v_bfe_u32 v11, v9, 16, 1
	v_add3_u32 v14, v6, v14, s22
	v_cndmask_b32_e32 v33, v31, v33, vcc
	v_add3_u32 v11, v9, v11, s22
	v_and_b32_e32 v14, 0xffff0000, v14
	v_cmp_o_f32_e32 vcc, v6, v6
	v_and_b32_e32 v11, 0xffff0000, v11
	v_cndmask_b32_e32 v37, v23, v14, vcc
	v_cmp_o_f32_e32 vcc, v9, v9
	v_and_b32_e32 v10, 0xffff0000, v13
	v_cndmask_b32_e32 v6, v23, v11, vcc
	v_div_scale_f32 v9, s[8:9], v6, v6, v10
	v_rcp_f32_e32 v11, v9
	v_lshlrev_b32_e32 v36, 16, v13
	v_bfe_u32 v13, v7, 16, 1
	v_lshlrev_b32_e32 v34, 16, v12
	v_and_b32_e32 v35, 0xffff0000, v12
	v_bfe_u32 v12, v8, 16, 1
	v_add3_u32 v13, v7, v13, s22
	v_add3_u32 v12, v8, v12, s22
	v_and_b32_e32 v13, 0xffff0000, v13
	v_cmp_o_f32_e32 vcc, v7, v7
	v_and_b32_e32 v12, 0xffff0000, v12
	v_cndmask_b32_e32 v40, v23, v13, vcc
	v_cmp_o_f32_e32 vcc, v8, v8
	v_fma_f32 v7, -v9, v11, 1.0
	v_cndmask_b32_e32 v8, v23, v12, vcc
	v_fmac_f32_e32 v11, v7, v11
	v_div_scale_f32 v7, vcc, v10, v6, v10
	v_mul_f32_e32 v12, v7, v11
	v_fma_f32 v13, -v9, v12, v7
	v_fmac_f32_e32 v12, v13, v11
	v_fma_f32 v7, -v9, v12, v7
	v_div_scale_f32 v9, s[8:9], v8, v8, v36
	v_rcp_f32_e32 v41, v9
	v_div_fmas_f32 v7, v7, v11, v12
	v_div_fixup_f32 v42, v7, v6, v10
	s_movk_i32 s8, 0x2000
	v_fma_f32 v6, -v9, v41, 1.0
	v_fmac_f32_e32 v41, v6, v41
	v_add_co_u32_e32 v6, vcc, s8, v38
	v_addc_co_u32_e32 v7, vcc, 0, v39, vcc
	global_load_dwordx4 v[10:13], v[6:7], off
	v_div_scale_f32 v6, vcc, v36, v8, v36
	v_mul_f32_e32 v7, v6, v41
	v_fma_f32 v14, -v9, v7, v6
	v_fmac_f32_e32 v7, v14, v41
	global_load_dwordx4 v[14:17], v[20:21], off
	v_fma_f32 v6, -v9, v7, v6
	v_div_scale_f32 v9, s[24:25], v40, v40, v35
	v_rcp_f32_e32 v43, v9
	v_div_fmas_f32 v6, v6, v41, v7
	v_div_fixup_f32 v6, v6, v8, v36
	s_movk_i32 s9, 0x6000
	v_fma_f32 v7, -v9, v43, 1.0
	v_fmac_f32_e32 v43, v7, v43
	v_div_scale_f32 v7, vcc, v35, v40, v35
	v_mul_f32_e32 v8, v7, v43
	v_fma_f32 v36, -v9, v8, v7
	v_fmac_f32_e32 v8, v36, v43
	v_fma_f32 v7, -v9, v8, v7
	v_div_scale_f32 v9, s[24:25], v37, v37, v34
	v_rcp_f32_e32 v36, v9
	v_div_fmas_f32 v7, v7, v43, v8
	v_div_fixup_f32 v7, v7, v40, v35
	v_fma_f32 v8, -v9, v36, 1.0
	v_fmac_f32_e32 v36, v8, v36
	v_div_scale_f32 v8, vcc, v34, v37, v34
	v_mul_f32_e32 v35, v8, v36
	v_fma_f32 v40, -v9, v35, v8
	v_fmac_f32_e32 v35, v40, v36
	v_fma_f32 v8, -v9, v35, v8
	v_div_fmas_f32 v8, v8, v36, v35
	v_div_fixup_f32 v8, v8, v37, v34
	v_cmp_ngt_f32_e32 vcc, s6, v8
	v_cndmask_b32_e32 v8, v27, v8, vcc
	v_cmp_ngt_f32_e32 vcc, s6, v7
	v_cndmask_b32_e32 v7, v27, v7, vcc
	;; [unrolled: 2-line block ×4, first 2 shown]
	v_cmp_nlt_f32_e32 vcc, s7, v9
	v_cndmask_b32_e32 v9, v29, v9, vcc
	v_cmp_nlt_f32_e32 vcc, s7, v6
	v_cndmask_b32_e32 v6, v29, v6, vcc
	;; [unrolled: 2-line block ×4, first 2 shown]
	v_bfe_u32 v34, v8, 16, 1
	v_bfe_u32 v35, v7, 16, 1
	v_add3_u32 v34, v8, v34, s22
	v_bfe_u32 v36, v6, 16, 1
	v_add3_u32 v35, v7, v35, s22
	v_lshrrev_b32_e32 v34, 16, v34
	v_cmp_o_f32_e32 vcc, v8, v8
	v_bfe_u32 v37, v9, 16, 1
	v_add3_u32 v36, v6, v36, s22
	v_lshrrev_b32_e32 v35, 16, v35
	v_cndmask_b32_e32 v34, v31, v34, vcc
	v_cmp_o_f32_e32 vcc, v7, v7
	v_add3_u32 v37, v9, v37, s22
	v_lshrrev_b32_e32 v36, 16, v36
	v_cndmask_b32_e32 v35, v31, v35, vcc
	v_cmp_o_f32_e32 vcc, v6, v6
	v_lshrrev_b32_e32 v37, 16, v37
	v_cndmask_b32_e32 v36, v31, v36, vcc
	v_cmp_o_f32_e32 vcc, v9, v9
	v_cndmask_b32_e32 v37, v31, v37, vcc
	v_add_co_u32_e32 v6, vcc, s9, v38
	v_addc_co_u32_e32 v7, vcc, 0, v39, vcc
	global_load_dwordx4 v[38:41], v[20:21], off offset:16
	s_waitcnt vmcnt(2)
	v_lshlrev_b32_e32 v43, 16, v11
	v_and_b32_e32 v11, 0xffff0000, v11
	v_lshlrev_b32_e32 v42, 16, v10
	v_and_b32_e32 v10, 0xffff0000, v10
	global_load_dwordx4 v[6:9], v[6:7], off
	s_waitcnt vmcnt(2)
	v_bfe_u32 v45, v14, 16, 1
	v_bfe_u32 v20, v17, 16, 1
	v_add3_u32 v45, v14, v45, s22
	v_add3_u32 v20, v17, v20, s22
	v_and_b32_e32 v45, 0xffff0000, v45
	v_cmp_o_f32_e32 vcc, v14, v14
	v_and_b32_e32 v20, 0xffff0000, v20
	v_cndmask_b32_e32 v14, v23, v45, vcc
	v_cmp_o_f32_e32 vcc, v17, v17
	v_cndmask_b32_e32 v17, v23, v20, vcc
	v_div_scale_f32 v20, s[24:25], v17, v17, v11
	v_bfe_u32 v44, v15, 16, 1
	v_rcp_f32_e32 v45, v20
	v_bfe_u32 v21, v16, 16, 1
	v_add3_u32 v44, v15, v44, s22
	v_add3_u32 v21, v16, v21, s22
	v_and_b32_e32 v44, 0xffff0000, v44
	v_cmp_o_f32_e32 vcc, v15, v15
	v_and_b32_e32 v21, 0xffff0000, v21
	v_cndmask_b32_e32 v15, v23, v44, vcc
	v_cmp_o_f32_e32 vcc, v16, v16
	v_cndmask_b32_e32 v16, v23, v21, vcc
	v_fma_f32 v21, -v20, v45, 1.0
	v_fmac_f32_e32 v45, v21, v45
	v_div_scale_f32 v21, vcc, v11, v17, v11
	v_mul_f32_e32 v44, v21, v45
	v_fma_f32 v46, -v20, v44, v21
	v_fmac_f32_e32 v44, v46, v45
	v_fma_f32 v20, -v20, v44, v21
	v_div_scale_f32 v21, s[24:25], v16, v16, v43
	v_rcp_f32_e32 v46, v21
	v_div_fmas_f32 v20, v20, v45, v44
	v_div_fixup_f32 v11, v20, v17, v11
	v_fma_f32 v17, -v21, v46, 1.0
	v_fmac_f32_e32 v46, v17, v46
	v_div_scale_f32 v17, vcc, v43, v16, v43
	v_mul_f32_e32 v20, v17, v46
	v_fma_f32 v44, -v21, v20, v17
	v_fmac_f32_e32 v20, v44, v46
	v_fma_f32 v17, -v21, v20, v17
	v_div_scale_f32 v21, s[24:25], v15, v15, v10
	v_rcp_f32_e32 v44, v21
	v_div_fmas_f32 v17, v17, v46, v20
	v_div_fixup_f32 v16, v17, v16, v43
	;; [unrolled: 11-line block ×3, first 2 shown]
	v_fma_f32 v15, -v21, v43, 1.0
	v_fmac_f32_e32 v43, v15, v43
	v_div_scale_f32 v15, vcc, v42, v14, v42
	v_mul_f32_e32 v17, v15, v43
	v_fma_f32 v20, -v21, v17, v15
	v_fmac_f32_e32 v17, v20, v43
	v_fma_f32 v15, -v21, v17, v15
	v_div_fmas_f32 v15, v15, v43, v17
	v_div_fixup_f32 v14, v15, v14, v42
	v_cmp_ngt_f32_e32 vcc, s6, v14
	v_cndmask_b32_e32 v14, v27, v14, vcc
	v_cmp_ngt_f32_e32 vcc, s6, v10
	v_cndmask_b32_e32 v10, v27, v10, vcc
	;; [unrolled: 2-line block ×4, first 2 shown]
	v_cmp_nlt_f32_e32 vcc, s7, v11
	v_cndmask_b32_e32 v16, v29, v11, vcc
	v_cmp_nlt_f32_e32 vcc, s7, v15
	v_cndmask_b32_e32 v15, v29, v15, vcc
	;; [unrolled: 2-line block ×4, first 2 shown]
	v_bfe_u32 v14, v10, 16, 1
	v_bfe_u32 v17, v11, 16, 1
	v_add3_u32 v14, v10, v14, s22
	v_bfe_u32 v20, v15, 16, 1
	v_add3_u32 v17, v11, v17, s22
	v_lshrrev_b32_e32 v14, 16, v14
	v_cmp_o_f32_e32 vcc, v10, v10
	v_bfe_u32 v21, v16, 16, 1
	v_add3_u32 v20, v15, v20, s22
	v_lshrrev_b32_e32 v17, 16, v17
	v_cndmask_b32_e32 v10, v31, v14, vcc
	v_cmp_o_f32_e32 vcc, v11, v11
	v_add3_u32 v21, v16, v21, s22
	v_lshrrev_b32_e32 v20, 16, v20
	v_cndmask_b32_e32 v11, v31, v17, vcc
	v_cmp_o_f32_e32 vcc, v15, v15
	s_waitcnt vmcnt(1)
	v_bfe_u32 v43, v39, 16, 1
	v_lshrrev_b32_e32 v21, 16, v21
	v_cndmask_b32_e32 v14, v31, v20, vcc
	v_cmp_o_f32_e32 vcc, v16, v16
	v_bfe_u32 v20, v40, 16, 1
	v_add3_u32 v43, v39, v43, s22
	v_cndmask_b32_e32 v15, v31, v21, vcc
	v_add3_u32 v20, v40, v20, s22
	v_and_b32_e32 v43, 0xffff0000, v43
	v_cmp_o_f32_e32 vcc, v39, v39
	v_and_b32_e32 v20, 0xffff0000, v20
	v_cndmask_b32_e32 v46, v23, v43, vcc
	v_cmp_o_f32_e32 vcc, v40, v40
	v_and_b32_e32 v17, 0xffff0000, v13
	v_lshlrev_b32_e32 v13, 16, v13
	v_cndmask_b32_e32 v20, v23, v20, vcc
	v_div_scale_f32 v39, s[24:25], v20, v20, v13
	v_rcp_f32_e32 v40, v39
	v_bfe_u32 v42, v38, 16, 1
	v_bfe_u32 v21, v41, 16, 1
	v_add3_u32 v42, v38, v42, s22
	v_add3_u32 v21, v41, v21, s22
	v_and_b32_e32 v42, 0xffff0000, v42
	v_cmp_o_f32_e32 vcc, v38, v38
	v_and_b32_e32 v21, 0xffff0000, v21
	v_cndmask_b32_e32 v47, v23, v42, vcc
	v_cmp_o_f32_e32 vcc, v41, v41
	v_fma_f32 v38, -v39, v40, 1.0
	v_cndmask_b32_e32 v21, v23, v21, vcc
	v_fmac_f32_e32 v40, v38, v40
	v_div_scale_f32 v38, vcc, v13, v20, v13
	v_mul_f32_e32 v41, v38, v40
	v_fma_f32 v42, -v39, v41, v38
	v_fmac_f32_e32 v41, v42, v40
	v_fma_f32 v38, -v39, v41, v38
	v_div_fmas_f32 v38, v38, v40, v41
	v_div_fixup_f32 v13, v38, v20, v13
	global_load_dwordx4 v[38:41], v26, s[20:21] offset:16
	global_load_dwordx4 v[42:45], v26, s[20:21]
	v_div_scale_f32 v48, s[24:25], v21, v21, v17
	v_rcp_f32_e32 v49, v48
	v_and_b32_e32 v16, 0xffff0000, v12
	v_lshlrev_b32_e32 v12, 16, v12
	v_fma_f32 v20, -v48, v49, 1.0
	v_fmac_f32_e32 v49, v20, v49
	v_div_scale_f32 v20, vcc, v17, v21, v17
	v_mul_f32_e32 v26, v20, v49
	v_fma_f32 v50, -v48, v26, v20
	v_fmac_f32_e32 v26, v50, v49
	v_fma_f32 v20, -v48, v26, v20
	v_div_scale_f32 v48, s[20:21], v47, v47, v12
	v_rcp_f32_e32 v50, v48
	v_div_fmas_f32 v20, v20, v49, v26
	v_div_fixup_f32 v17, v20, v21, v17
	v_fma_f32 v20, -v48, v50, 1.0
	v_fmac_f32_e32 v50, v20, v50
	v_div_scale_f32 v20, vcc, v12, v47, v12
	v_mul_f32_e32 v21, v20, v50
	v_fma_f32 v26, -v48, v21, v20
	v_fmac_f32_e32 v21, v26, v50
	v_div_scale_f32 v26, s[20:21], v46, v46, v16
	v_fma_f32 v20, -v48, v21, v20
	v_rcp_f32_e32 v48, v26
	v_div_fmas_f32 v20, v20, v50, v21
	v_div_fixup_f32 v12, v20, v47, v12
	v_fma_f32 v20, -v26, v48, 1.0
	v_fmac_f32_e32 v48, v20, v48
	v_div_scale_f32 v20, vcc, v16, v46, v16
	v_mul_f32_e32 v21, v20, v48
	v_fma_f32 v47, -v26, v21, v20
	v_fmac_f32_e32 v21, v47, v48
	v_fma_f32 v20, -v26, v21, v20
	v_div_fmas_f32 v20, v20, v48, v21
	v_div_fixup_f32 v16, v20, v46, v16
	v_cmp_ngt_f32_e32 vcc, s6, v16
	v_cndmask_b32_e32 v16, v27, v16, vcc
	v_cmp_ngt_f32_e32 vcc, s6, v12
	v_cndmask_b32_e32 v12, v27, v12, vcc
	;; [unrolled: 2-line block ×4, first 2 shown]
	v_cmp_nlt_f32_e32 vcc, s7, v13
	v_cndmask_b32_e32 v13, v29, v13, vcc
	v_cmp_nlt_f32_e32 vcc, s7, v17
	v_cndmask_b32_e32 v17, v29, v17, vcc
	;; [unrolled: 2-line block ×4, first 2 shown]
	v_bfe_u32 v20, v16, 16, 1
	v_bfe_u32 v21, v12, 16, 1
	v_add3_u32 v20, v16, v20, s22
	v_bfe_u32 v26, v17, 16, 1
	v_add3_u32 v21, v12, v21, s22
	v_lshrrev_b32_e32 v20, 16, v20
	v_cmp_o_f32_e32 vcc, v16, v16
	v_bfe_u32 v46, v13, 16, 1
	v_add3_u32 v26, v17, v26, s22
	v_lshrrev_b32_e32 v21, 16, v21
	v_cndmask_b32_e32 v20, v31, v20, vcc
	v_cmp_o_f32_e32 vcc, v12, v12
	v_add3_u32 v46, v13, v46, s22
	v_lshrrev_b32_e32 v26, 16, v26
	v_cndmask_b32_e32 v12, v31, v21, vcc
	v_cmp_o_f32_e32 vcc, v17, v17
	v_lshrrev_b32_e32 v46, 16, v46
	v_cndmask_b32_e32 v21, v31, v26, vcc
	v_cmp_o_f32_e32 vcc, v13, v13
	s_waitcnt vmcnt(0)
	v_bfe_u32 v48, v42, 16, 1
	v_bfe_u32 v26, v45, 16, 1
	v_add3_u32 v48, v42, v48, s22
	v_cndmask_b32_e32 v13, v31, v46, vcc
	v_add3_u32 v26, v45, v26, s22
	v_and_b32_e32 v48, 0xffff0000, v48
	v_cmp_o_f32_e32 vcc, v42, v42
	v_and_b32_e32 v26, 0xffff0000, v26
	v_cndmask_b32_e32 v42, v23, v48, vcc
	v_cmp_o_f32_e32 vcc, v45, v45
	v_lshlrev_b32_e32 v17, 16, v3
	v_and_b32_e32 v3, 0xffff0000, v3
	v_cndmask_b32_e32 v26, v23, v26, vcc
	v_div_scale_f32 v45, s[20:21], v26, v26, v3
	v_bfe_u32 v47, v43, 16, 1
	v_rcp_f32_e32 v48, v45
	v_bfe_u32 v46, v44, 16, 1
	v_add3_u32 v47, v43, v47, s22
	v_add3_u32 v46, v44, v46, s22
	v_and_b32_e32 v47, 0xffff0000, v47
	v_cmp_o_f32_e32 vcc, v43, v43
	v_and_b32_e32 v46, 0xffff0000, v46
	v_cndmask_b32_e32 v43, v23, v47, vcc
	v_cmp_o_f32_e32 vcc, v44, v44
	v_cndmask_b32_e32 v44, v23, v46, vcc
	v_fma_f32 v46, -v45, v48, 1.0
	v_fmac_f32_e32 v48, v46, v48
	v_div_scale_f32 v46, vcc, v3, v26, v3
	v_mul_f32_e32 v47, v46, v48
	v_fma_f32 v49, -v45, v47, v46
	v_fmac_f32_e32 v47, v49, v48
	v_fma_f32 v45, -v45, v47, v46
	v_div_scale_f32 v46, s[20:21], v44, v44, v17
	v_rcp_f32_e32 v49, v46
	v_div_fmas_f32 v45, v45, v48, v47
	v_div_fixup_f32 v3, v45, v26, v3
	v_lshlrev_b32_e32 v16, 16, v2
	v_fma_f32 v26, -v46, v49, 1.0
	v_fmac_f32_e32 v49, v26, v49
	v_div_scale_f32 v26, vcc, v17, v44, v17
	v_mul_f32_e32 v45, v26, v49
	v_fma_f32 v47, -v46, v45, v26
	v_and_b32_e32 v2, 0xffff0000, v2
	v_fmac_f32_e32 v45, v47, v49
	v_fma_f32 v26, -v46, v45, v26
	v_div_scale_f32 v46, s[20:21], v43, v43, v2
	v_rcp_f32_e32 v47, v46
	v_div_fmas_f32 v26, v26, v49, v45
	v_div_fixup_f32 v17, v26, v44, v17
	v_fma_f32 v26, -v46, v47, 1.0
	v_fmac_f32_e32 v47, v26, v47
	v_div_scale_f32 v26, vcc, v2, v43, v2
	v_mul_f32_e32 v44, v26, v47
	v_fma_f32 v45, -v46, v44, v26
	v_fmac_f32_e32 v44, v45, v47
	v_div_scale_f32 v45, s[20:21], v42, v42, v16
	v_fma_f32 v26, -v46, v44, v26
	v_rcp_f32_e32 v46, v45
	v_div_fmas_f32 v26, v26, v47, v44
	v_div_fixup_f32 v2, v26, v43, v2
	v_fma_f32 v26, -v45, v46, 1.0
	v_fmac_f32_e32 v46, v26, v46
	v_div_scale_f32 v26, vcc, v16, v42, v16
	v_mul_f32_e32 v43, v26, v46
	v_fma_f32 v44, -v45, v43, v26
	v_fmac_f32_e32 v43, v44, v46
	v_fma_f32 v26, -v45, v43, v26
	v_div_fmas_f32 v26, v26, v46, v43
	v_div_fixup_f32 v16, v26, v42, v16
	v_cmp_ngt_f32_e32 vcc, s6, v16
	v_cndmask_b32_e32 v16, v27, v16, vcc
	v_cmp_ngt_f32_e32 vcc, s6, v2
	v_cndmask_b32_e32 v2, v27, v2, vcc
	v_cmp_ngt_f32_e32 vcc, s6, v17
	v_cndmask_b32_e32 v17, v27, v17, vcc
	v_cmp_ngt_f32_e32 vcc, s6, v3
	v_cndmask_b32_e32 v3, v27, v3, vcc
	v_cmp_nlt_f32_e32 vcc, s7, v3
	v_cndmask_b32_e32 v3, v29, v3, vcc
	v_cmp_nlt_f32_e32 vcc, s7, v17
	v_cndmask_b32_e32 v17, v29, v17, vcc
	;; [unrolled: 2-line block ×4, first 2 shown]
	v_bfe_u32 v26, v16, 16, 1
	v_bfe_u32 v42, v2, 16, 1
	v_add3_u32 v26, v16, v26, s22
	v_bfe_u32 v43, v17, 16, 1
	v_add3_u32 v42, v2, v42, s22
	v_lshrrev_b32_e32 v26, 16, v26
	v_cmp_o_f32_e32 vcc, v16, v16
	v_bfe_u32 v44, v3, 16, 1
	v_add3_u32 v43, v17, v43, s22
	v_lshrrev_b32_e32 v42, 16, v42
	v_cndmask_b32_e32 v26, v31, v26, vcc
	v_cmp_o_f32_e32 vcc, v2, v2
	v_add3_u32 v44, v3, v44, s22
	v_lshrrev_b32_e32 v43, 16, v43
	v_cndmask_b32_e32 v42, v31, v42, vcc
	v_cmp_o_f32_e32 vcc, v17, v17
	v_bfe_u32 v46, v38, 16, 1
	v_lshrrev_b32_e32 v44, 16, v44
	v_cndmask_b32_e32 v43, v31, v43, vcc
	v_cmp_o_f32_e32 vcc, v3, v3
	v_bfe_u32 v3, v41, 16, 1
	v_add3_u32 v46, v38, v46, s22
	v_cndmask_b32_e32 v44, v31, v44, vcc
	v_add3_u32 v3, v41, v3, s22
	v_and_b32_e32 v46, 0xffff0000, v46
	v_cmp_o_f32_e32 vcc, v38, v38
	v_and_b32_e32 v3, 0xffff0000, v3
	v_cndmask_b32_e32 v38, v23, v46, vcc
	v_cmp_o_f32_e32 vcc, v41, v41
	v_and_b32_e32 v2, 0xffff0000, v5
	v_cndmask_b32_e32 v3, v23, v3, vcc
	v_div_scale_f32 v41, s[20:21], v3, v3, v2
	v_lshlrev_b32_e32 v45, 16, v5
	v_bfe_u32 v5, v39, 16, 1
	v_rcp_f32_e32 v46, v41
	v_lshlrev_b32_e32 v16, 16, v4
	v_and_b32_e32 v17, 0xffff0000, v4
	v_bfe_u32 v4, v40, 16, 1
	v_add3_u32 v5, v39, v5, s22
	v_add3_u32 v4, v40, v4, s22
	v_and_b32_e32 v5, 0xffff0000, v5
	v_cmp_o_f32_e32 vcc, v39, v39
	v_and_b32_e32 v4, 0xffff0000, v4
	v_cndmask_b32_e32 v39, v23, v5, vcc
	v_cmp_o_f32_e32 vcc, v40, v40
	v_cndmask_b32_e32 v40, v23, v4, vcc
	v_fma_f32 v4, -v41, v46, 1.0
	v_fmac_f32_e32 v46, v4, v46
	v_div_scale_f32 v4, vcc, v2, v3, v2
	v_mul_f32_e32 v5, v4, v46
	v_fma_f32 v47, -v41, v5, v4
	v_fmac_f32_e32 v5, v47, v46
	v_fma_f32 v4, -v41, v5, v4
	v_div_fmas_f32 v4, v4, v46, v5
	v_div_fixup_f32 v46, v4, v3, v2
	global_load_dwordx4 v[2:5], v[18:19], off
	v_div_scale_f32 v41, s[20:21], v40, v40, v45
	v_rcp_f32_e32 v47, v41
	v_fma_f32 v48, -v41, v47, 1.0
	v_fmac_f32_e32 v47, v48, v47
	v_div_scale_f32 v48, vcc, v45, v40, v45
	v_mul_f32_e32 v49, v48, v47
	v_fma_f32 v50, -v41, v49, v48
	v_fmac_f32_e32 v49, v50, v47
	v_fma_f32 v41, -v41, v49, v48
	v_div_scale_f32 v48, s[20:21], v39, v39, v17
	v_rcp_f32_e32 v50, v48
	v_div_fmas_f32 v41, v41, v47, v49
	v_div_fixup_f32 v40, v41, v40, v45
	v_fma_f32 v41, -v48, v50, 1.0
	v_fmac_f32_e32 v50, v41, v50
	v_div_scale_f32 v41, vcc, v17, v39, v17
	v_mul_f32_e32 v45, v41, v50
	v_fma_f32 v47, -v48, v45, v41
	v_fmac_f32_e32 v45, v47, v50
	v_div_scale_f32 v47, s[20:21], v38, v38, v16
	v_fma_f32 v41, -v48, v45, v41
	v_rcp_f32_e32 v48, v47
	v_div_fmas_f32 v41, v41, v50, v45
	v_div_fixup_f32 v17, v41, v39, v17
	v_fma_f32 v39, -v47, v48, 1.0
	v_fmac_f32_e32 v48, v39, v48
	v_div_scale_f32 v39, vcc, v16, v38, v16
	v_mul_f32_e32 v41, v39, v48
	v_fma_f32 v45, -v47, v41, v39
	v_fmac_f32_e32 v41, v45, v48
	v_fma_f32 v39, -v47, v41, v39
	v_div_fmas_f32 v39, v39, v48, v41
	v_div_fixup_f32 v16, v39, v38, v16
	v_cmp_ngt_f32_e32 vcc, s6, v16
	v_cndmask_b32_e32 v16, v27, v16, vcc
	v_cmp_ngt_f32_e32 vcc, s6, v17
	v_cndmask_b32_e32 v17, v27, v17, vcc
	;; [unrolled: 2-line block ×4, first 2 shown]
	v_cmp_nlt_f32_e32 vcc, s7, v39
	v_cndmask_b32_e32 v39, v29, v39, vcc
	v_cmp_nlt_f32_e32 vcc, s7, v38
	v_cndmask_b32_e32 v38, v29, v38, vcc
	;; [unrolled: 2-line block ×4, first 2 shown]
	v_bfe_u32 v40, v16, 16, 1
	v_add3_u32 v40, v16, v40, s22
	v_bfe_u32 v41, v17, 16, 1
	v_lshrrev_b32_e32 v40, 16, v40
	v_cmp_o_f32_e32 vcc, v16, v16
	v_add3_u32 v41, v17, v41, s22
	v_cndmask_b32_e32 v40, v31, v40, vcc
	v_cmp_o_f32_e32 vcc, v17, v17
	global_load_dwordx4 v[16:19], v[18:19], off offset:16
	v_bfe_u32 v45, v38, 16, 1
	v_bfe_u32 v46, v39, 16, 1
	v_add3_u32 v45, v38, v45, s22
	v_lshrrev_b32_e32 v41, 16, v41
	v_add3_u32 v46, v39, v46, s22
	v_lshrrev_b32_e32 v45, 16, v45
	v_cndmask_b32_e32 v41, v31, v41, vcc
	v_cmp_o_f32_e32 vcc, v38, v38
	v_lshrrev_b32_e32 v46, 16, v46
	v_cndmask_b32_e32 v38, v31, v45, vcc
	s_waitcnt vmcnt(1)
	v_bfe_u32 v50, v2, 16, 1
	v_cmp_o_f32_e32 vcc, v39, v39
	v_bfe_u32 v47, v5, 16, 1
	v_add3_u32 v50, v2, v50, s22
	v_cndmask_b32_e32 v39, v31, v46, vcc
	v_add3_u32 v47, v5, v47, s22
	v_and_b32_e32 v50, 0xffff0000, v50
	v_cmp_o_f32_e32 vcc, v2, v2
	v_and_b32_e32 v47, 0xffff0000, v47
	v_cndmask_b32_e32 v2, v23, v50, vcc
	v_cmp_o_f32_e32 vcc, v5, v5
	v_lshlrev_b32_e32 v46, 16, v7
	v_and_b32_e32 v7, 0xffff0000, v7
	v_cndmask_b32_e32 v5, v23, v47, vcc
	v_div_scale_f32 v47, s[20:21], v5, v5, v7
	v_bfe_u32 v49, v3, 16, 1
	v_rcp_f32_e32 v50, v47
	v_bfe_u32 v48, v4, 16, 1
	v_add3_u32 v49, v3, v49, s22
	v_add3_u32 v48, v4, v48, s22
	v_and_b32_e32 v49, 0xffff0000, v49
	v_cmp_o_f32_e32 vcc, v3, v3
	v_and_b32_e32 v48, 0xffff0000, v48
	v_cndmask_b32_e32 v3, v23, v49, vcc
	v_cmp_o_f32_e32 vcc, v4, v4
	v_cndmask_b32_e32 v4, v23, v48, vcc
	v_fma_f32 v48, -v47, v50, 1.0
	v_fmac_f32_e32 v50, v48, v50
	v_div_scale_f32 v48, vcc, v7, v5, v7
	v_mul_f32_e32 v49, v48, v50
	v_fma_f32 v51, -v47, v49, v48
	v_fmac_f32_e32 v49, v51, v50
	v_fma_f32 v47, -v47, v49, v48
	v_div_scale_f32 v48, s[20:21], v4, v4, v46
	v_rcp_f32_e32 v51, v48
	v_div_fmas_f32 v47, v47, v50, v49
	v_div_fixup_f32 v5, v47, v5, v7
	v_lshlrev_b32_e32 v45, 16, v6
	v_fma_f32 v7, -v48, v51, 1.0
	v_fmac_f32_e32 v51, v7, v51
	v_div_scale_f32 v7, vcc, v46, v4, v46
	v_mul_f32_e32 v47, v7, v51
	v_fma_f32 v49, -v48, v47, v7
	v_and_b32_e32 v6, 0xffff0000, v6
	v_fmac_f32_e32 v47, v49, v51
	v_fma_f32 v7, -v48, v47, v7
	v_div_scale_f32 v48, s[20:21], v3, v3, v6
	v_rcp_f32_e32 v49, v48
	v_div_fmas_f32 v7, v7, v51, v47
	v_div_fixup_f32 v4, v7, v4, v46
	v_fma_f32 v7, -v48, v49, 1.0
	v_fmac_f32_e32 v49, v7, v49
	v_div_scale_f32 v7, vcc, v6, v3, v6
	v_mul_f32_e32 v46, v7, v49
	v_fma_f32 v47, -v48, v46, v7
	v_fmac_f32_e32 v46, v47, v49
	v_div_scale_f32 v47, s[20:21], v2, v2, v45
	v_fma_f32 v7, -v48, v46, v7
	v_rcp_f32_e32 v48, v47
	v_div_fmas_f32 v7, v7, v49, v46
	v_div_fixup_f32 v3, v7, v3, v6
	v_fma_f32 v6, -v47, v48, 1.0
	v_fmac_f32_e32 v48, v6, v48
	v_div_scale_f32 v6, vcc, v45, v2, v45
	v_mul_f32_e32 v7, v6, v48
	v_fma_f32 v46, -v47, v7, v6
	v_fmac_f32_e32 v7, v46, v48
	v_fma_f32 v6, -v47, v7, v6
	v_div_fmas_f32 v6, v6, v48, v7
	v_div_fixup_f32 v2, v6, v2, v45
	v_cmp_ngt_f32_e32 vcc, s6, v2
	v_cndmask_b32_e32 v2, v27, v2, vcc
	v_cmp_ngt_f32_e32 vcc, s6, v3
	v_cndmask_b32_e32 v3, v27, v3, vcc
	;; [unrolled: 2-line block ×4, first 2 shown]
	v_cmp_nlt_f32_e32 vcc, s7, v5
	v_cndmask_b32_e32 v5, v29, v5, vcc
	v_cmp_nlt_f32_e32 vcc, s7, v4
	v_cndmask_b32_e32 v4, v29, v4, vcc
	;; [unrolled: 2-line block ×4, first 2 shown]
	v_bfe_u32 v6, v2, 16, 1
	v_bfe_u32 v7, v3, 16, 1
	v_add3_u32 v6, v2, v6, s22
	v_bfe_u32 v45, v4, 16, 1
	v_add3_u32 v7, v3, v7, s22
	v_lshrrev_b32_e32 v6, 16, v6
	v_cmp_o_f32_e32 vcc, v2, v2
	v_add3_u32 v45, v4, v45, s22
	v_lshrrev_b32_e32 v7, 16, v7
	v_cndmask_b32_e32 v47, v31, v6, vcc
	v_cmp_o_f32_e32 vcc, v3, v3
	v_bfe_u32 v46, v5, 16, 1
	v_lshrrev_b32_e32 v45, 16, v45
	v_cndmask_b32_e32 v48, v31, v7, vcc
	v_cmp_o_f32_e32 vcc, v4, v4
	v_add3_u32 v46, v5, v46, s22
	v_cndmask_b32_e32 v45, v31, v45, vcc
	v_cmp_o_f32_e32 vcc, v5, v5
	v_and_b32_e32 v4, 0xffff0000, v9
	v_lshlrev_b32_e32 v5, 16, v9
	s_waitcnt vmcnt(0)
	v_bfe_u32 v9, v17, 16, 1
	v_lshrrev_b32_e32 v46, 16, v46
	v_bfe_u32 v6, v18, 16, 1
	v_add3_u32 v9, v17, v9, s22
	v_cndmask_b32_e32 v46, v31, v46, vcc
	v_add3_u32 v6, v18, v6, s22
	v_and_b32_e32 v9, 0xffff0000, v9
	v_cmp_o_f32_e32 vcc, v17, v17
	v_and_b32_e32 v6, 0xffff0000, v6
	v_cndmask_b32_e32 v9, v23, v9, vcc
	v_cmp_o_f32_e32 vcc, v18, v18
	v_cndmask_b32_e32 v6, v23, v6, vcc
	v_div_scale_f32 v17, s[20:21], v6, v6, v5
	v_rcp_f32_e32 v18, v17
	v_and_b32_e32 v2, 0xffff0000, v8
	v_lshlrev_b32_e32 v3, 16, v8
	v_bfe_u32 v8, v16, 16, 1
	v_bfe_u32 v7, v19, 16, 1
	v_add3_u32 v8, v16, v8, s22
	v_add3_u32 v7, v19, v7, s22
	v_and_b32_e32 v8, 0xffff0000, v8
	v_cmp_o_f32_e32 vcc, v16, v16
	v_and_b32_e32 v7, 0xffff0000, v7
	v_cndmask_b32_e32 v8, v23, v8, vcc
	v_cmp_o_f32_e32 vcc, v19, v19
	v_fma_f32 v16, -v17, v18, 1.0
	v_cndmask_b32_e32 v7, v23, v7, vcc
	v_fmac_f32_e32 v18, v16, v18
	v_div_scale_f32 v16, vcc, v5, v6, v5
	v_mul_f32_e32 v19, v16, v18
	v_fma_f32 v23, -v17, v19, v16
	v_fmac_f32_e32 v19, v23, v18
	v_fma_f32 v16, -v17, v19, v16
	v_div_scale_f32 v17, s[20:21], v7, v7, v4
	v_rcp_f32_e32 v23, v17
	v_div_fmas_f32 v16, v16, v18, v19
	v_div_fixup_f32 v5, v16, v6, v5
	v_fma_f32 v6, -v17, v23, 1.0
	v_fmac_f32_e32 v23, v6, v23
	v_div_scale_f32 v6, vcc, v4, v7, v4
	v_mul_f32_e32 v16, v6, v23
	v_fma_f32 v18, -v17, v16, v6
	v_fmac_f32_e32 v16, v18, v23
	v_fma_f32 v6, -v17, v16, v6
	v_div_scale_f32 v17, s[20:21], v8, v8, v3
	v_rcp_f32_e32 v18, v17
	v_div_fmas_f32 v6, v6, v23, v16
	v_div_fixup_f32 v4, v6, v7, v4
	v_fma_f32 v6, -v17, v18, 1.0
	v_fmac_f32_e32 v18, v6, v18
	v_div_scale_f32 v6, vcc, v3, v8, v3
	v_mul_f32_e32 v7, v6, v18
	v_fma_f32 v16, -v17, v7, v6
	v_fmac_f32_e32 v7, v16, v18
	v_div_scale_f32 v16, s[20:21], v9, v9, v2
	v_fma_f32 v6, -v17, v7, v6
	v_rcp_f32_e32 v17, v16
	v_div_fmas_f32 v6, v6, v18, v7
	v_div_fixup_f32 v3, v6, v8, v3
	v_fma_f32 v6, -v16, v17, 1.0
	v_fmac_f32_e32 v17, v6, v17
	v_div_scale_f32 v6, vcc, v2, v9, v2
	v_mul_f32_e32 v7, v6, v17
	v_fma_f32 v8, -v16, v7, v6
	v_fmac_f32_e32 v7, v8, v17
	v_fma_f32 v6, -v16, v7, v6
	v_div_fmas_f32 v6, v6, v17, v7
	v_div_fixup_f32 v2, v6, v9, v2
	v_cmp_ngt_f32_e32 vcc, s6, v2
	v_cndmask_b32_e32 v2, v27, v2, vcc
	v_cmp_ngt_f32_e32 vcc, s6, v3
	v_cndmask_b32_e32 v3, v27, v3, vcc
	;; [unrolled: 2-line block ×4, first 2 shown]
	v_cmp_nlt_f32_e32 vcc, s7, v5
	v_cndmask_b32_e32 v5, v29, v5, vcc
	v_cmp_nlt_f32_e32 vcc, s7, v4
	v_cndmask_b32_e32 v4, v29, v4, vcc
	;; [unrolled: 2-line block ×4, first 2 shown]
	v_bfe_u32 v6, v2, 16, 1
	v_bfe_u32 v7, v3, 16, 1
	v_add3_u32 v6, v2, v6, s22
	v_bfe_u32 v8, v4, 16, 1
	v_add3_u32 v7, v3, v7, s22
	v_lshrrev_b32_e32 v6, 16, v6
	v_cmp_o_f32_e32 vcc, v2, v2
	v_bfe_u32 v9, v5, 16, 1
	v_add3_u32 v8, v4, v8, s22
	v_lshrrev_b32_e32 v7, 16, v7
	v_cndmask_b32_e32 v16, v31, v6, vcc
	v_cmp_o_f32_e32 vcc, v3, v3
	v_add3_u32 v9, v5, v9, s22
	v_lshrrev_b32_e32 v8, 16, v8
	v_cndmask_b32_e32 v17, v31, v7, vcc
	v_cmp_o_f32_e32 vcc, v4, v4
	v_lshrrev_b32_e32 v9, 16, v9
	v_cndmask_b32_e32 v8, v31, v8, vcc
	v_cmp_o_f32_e32 vcc, v5, v5
	s_mov_b32 s6, 0x5040100
	v_cndmask_b32_e32 v9, v31, v9, vcc
	v_perm_b32 v5, v37, v36, s6
	v_perm_b32 v4, v35, v34, s6
	;; [unrolled: 1-line block ×4, first 2 shown]
	v_add_co_u32_e32 v6, vcc, s8, v25
	global_store_dwordx4 v1, v[2:5], s[14:15]
	v_addc_co_u32_e32 v7, vcc, 0, v24, vcc
	v_perm_b32 v5, v21, v13, s6
	v_perm_b32 v4, v20, v12, s6
	;; [unrolled: 1-line block ×4, first 2 shown]
	global_store_dwordx4 v[6:7], v[2:5], off
	v_add_co_u32_e32 v6, vcc, 0x6000, v25
	v_perm_b32 v5, v39, v38, s6
	v_perm_b32 v4, v41, v40, s6
	;; [unrolled: 1-line block ×4, first 2 shown]
	global_store_dwordx4 v22, v[2:5], s[14:15]
	v_addc_co_u32_e32 v7, vcc, 0, v24, vcc
	v_perm_b32 v5, v8, v9, s6
	v_perm_b32 v4, v16, v17, s6
	;; [unrolled: 1-line block ×4, first 2 shown]
	global_store_dwordx4 v[6:7], v[2:5], off
	s_cbranch_execnz .LBB21_2
.LBB21_4:
	s_load_dword s6, s[4:5], 0x24
	s_load_dwordx4 s[20:23], s[4:5], 0x28
	s_add_u32 s8, s4, 56
	s_addc_u32 s9, s5, 0
	v_mov_b32_e32 v31, v0
	s_waitcnt lgkmcnt(0)
	v_lshrrev_b16_e64 v8, 8, s6
	v_mov_b32_e32 v0, s16
	v_mov_b32_e32 v1, s17
	;; [unrolled: 1-line block ×12, first 2 shown]
	s_getpc_b64 s[4:5]
	s_add_u32 s4, s4, _ZN2at6native25elementwise_kernel_helperILb1EZZZNS0_23launch_dirichlet_kernelERNS_18TensorIteratorBaseEENKUlvE_clEvENKUlvE0_clEvEUlffE_NS0_6memory8policies11unroll_baseILi512ESt5arrayIPcLm3EE23TrivialOffsetCalculatorILi2EjESD_ILi1EjENS7_12LoadWithCastILi2EEENS7_13StoreWithCastILi1EEELi32ELi1EEEEEvT0_T1_@rel32@lo+4
	s_addc_u32 s5, s5, _ZN2at6native25elementwise_kernel_helperILb1EZZZNS0_23launch_dirichlet_kernelERNS_18TensorIteratorBaseEENKUlvE_clEvENKUlvE0_clEvEUlffE_NS0_6memory8policies11unroll_baseILi512ESt5arrayIPcLm3EE23TrivialOffsetCalculatorILi2EjESD_ILi1EjENS7_12LoadWithCastILi2EEENS7_13StoreWithCastILi1EEELi32ELi1EEEEEvT0_T1_@rel32@hi+12
	s_swappc_b64 s[30:31], s[4:5]
	s_endpgm
	.section	.rodata,"a",@progbits
	.p2align	6, 0x0
	.amdhsa_kernel _ZN2at6native39vectorized_templated_elementwise_kernelILi8EZZZNS0_23launch_dirichlet_kernelERNS_18TensorIteratorBaseEENKUlvE_clEvENKUlvE0_clEvEUlffE_St5arrayIPcLm3EE23TrivialOffsetCalculatorILi2EjESA_ILi1EjENS0_6memory12LoadWithCastILi2EEENSD_13StoreWithCastILi1EEEN3c108BFloat16EJSJ_fEEEviT0_T1_T2_T3_T4_T5_
		.amdhsa_group_segment_fixed_size 0
		.amdhsa_private_segment_fixed_size 288
		.amdhsa_kernarg_size 312
		.amdhsa_user_sgpr_count 8
		.amdhsa_user_sgpr_private_segment_buffer 1
		.amdhsa_user_sgpr_dispatch_ptr 0
		.amdhsa_user_sgpr_queue_ptr 0
		.amdhsa_user_sgpr_kernarg_segment_ptr 1
		.amdhsa_user_sgpr_dispatch_id 0
		.amdhsa_user_sgpr_flat_scratch_init 1
		.amdhsa_user_sgpr_kernarg_preload_length 0
		.amdhsa_user_sgpr_kernarg_preload_offset 0
		.amdhsa_user_sgpr_private_segment_size 0
		.amdhsa_uses_dynamic_stack 0
		.amdhsa_system_sgpr_private_segment_wavefront_offset 1
		.amdhsa_system_sgpr_workgroup_id_x 1
		.amdhsa_system_sgpr_workgroup_id_y 0
		.amdhsa_system_sgpr_workgroup_id_z 0
		.amdhsa_system_sgpr_workgroup_info 0
		.amdhsa_system_vgpr_workitem_id 0
		.amdhsa_next_free_vgpr 118
		.amdhsa_next_free_sgpr 98
		.amdhsa_accum_offset 120
		.amdhsa_reserve_vcc 1
		.amdhsa_reserve_flat_scratch 1
		.amdhsa_float_round_mode_32 0
		.amdhsa_float_round_mode_16_64 0
		.amdhsa_float_denorm_mode_32 3
		.amdhsa_float_denorm_mode_16_64 3
		.amdhsa_dx10_clamp 1
		.amdhsa_ieee_mode 1
		.amdhsa_fp16_overflow 0
		.amdhsa_tg_split 0
		.amdhsa_exception_fp_ieee_invalid_op 0
		.amdhsa_exception_fp_denorm_src 0
		.amdhsa_exception_fp_ieee_div_zero 0
		.amdhsa_exception_fp_ieee_overflow 0
		.amdhsa_exception_fp_ieee_underflow 0
		.amdhsa_exception_fp_ieee_inexact 0
		.amdhsa_exception_int_div_zero 0
	.end_amdhsa_kernel
	.section	.text._ZN2at6native39vectorized_templated_elementwise_kernelILi8EZZZNS0_23launch_dirichlet_kernelERNS_18TensorIteratorBaseEENKUlvE_clEvENKUlvE0_clEvEUlffE_St5arrayIPcLm3EE23TrivialOffsetCalculatorILi2EjESA_ILi1EjENS0_6memory12LoadWithCastILi2EEENSD_13StoreWithCastILi1EEEN3c108BFloat16EJSJ_fEEEviT0_T1_T2_T3_T4_T5_,"axG",@progbits,_ZN2at6native39vectorized_templated_elementwise_kernelILi8EZZZNS0_23launch_dirichlet_kernelERNS_18TensorIteratorBaseEENKUlvE_clEvENKUlvE0_clEvEUlffE_St5arrayIPcLm3EE23TrivialOffsetCalculatorILi2EjESA_ILi1EjENS0_6memory12LoadWithCastILi2EEENSD_13StoreWithCastILi1EEEN3c108BFloat16EJSJ_fEEEviT0_T1_T2_T3_T4_T5_,comdat
.Lfunc_end21:
	.size	_ZN2at6native39vectorized_templated_elementwise_kernelILi8EZZZNS0_23launch_dirichlet_kernelERNS_18TensorIteratorBaseEENKUlvE_clEvENKUlvE0_clEvEUlffE_St5arrayIPcLm3EE23TrivialOffsetCalculatorILi2EjESA_ILi1EjENS0_6memory12LoadWithCastILi2EEENSD_13StoreWithCastILi1EEEN3c108BFloat16EJSJ_fEEEviT0_T1_T2_T3_T4_T5_, .Lfunc_end21-_ZN2at6native39vectorized_templated_elementwise_kernelILi8EZZZNS0_23launch_dirichlet_kernelERNS_18TensorIteratorBaseEENKUlvE_clEvENKUlvE0_clEvEUlffE_St5arrayIPcLm3EE23TrivialOffsetCalculatorILi2EjESA_ILi1EjENS0_6memory12LoadWithCastILi2EEENSD_13StoreWithCastILi1EEEN3c108BFloat16EJSJ_fEEEviT0_T1_T2_T3_T4_T5_
                                        ; -- End function
	.section	.AMDGPU.csdata,"",@progbits
; Kernel info:
; codeLenInByte = 5676
; NumSgprs: 104
; NumVgprs: 118
; NumAgprs: 0
; TotalNumVgprs: 118
; ScratchSize: 288
; MemoryBound: 0
; FloatMode: 240
; IeeeMode: 1
; LDSByteSize: 0 bytes/workgroup (compile time only)
; SGPRBlocks: 12
; VGPRBlocks: 14
; NumSGPRsForWavesPerEU: 104
; NumVGPRsForWavesPerEU: 118
; AccumOffset: 120
; Occupancy: 4
; WaveLimiterHint : 0
; COMPUTE_PGM_RSRC2:SCRATCH_EN: 1
; COMPUTE_PGM_RSRC2:USER_SGPR: 8
; COMPUTE_PGM_RSRC2:TRAP_HANDLER: 0
; COMPUTE_PGM_RSRC2:TGID_X_EN: 1
; COMPUTE_PGM_RSRC2:TGID_Y_EN: 0
; COMPUTE_PGM_RSRC2:TGID_Z_EN: 0
; COMPUTE_PGM_RSRC2:TIDIG_COMP_CNT: 0
; COMPUTE_PGM_RSRC3_GFX90A:ACCUM_OFFSET: 29
; COMPUTE_PGM_RSRC3_GFX90A:TG_SPLIT: 0
	.section	.text._ZN2at6native39vectorized_templated_elementwise_kernelILi4EZZZNS0_23launch_dirichlet_kernelERNS_18TensorIteratorBaseEENKUlvE_clEvENKUlvE0_clEvEUlffE_St5arrayIPcLm3EE23TrivialOffsetCalculatorILi2EjESA_ILi1EjENS0_6memory12LoadWithCastILi2EEENSD_13StoreWithCastILi1EEEN3c108BFloat16EJSJ_fEEEviT0_T1_T2_T3_T4_T5_,"axG",@progbits,_ZN2at6native39vectorized_templated_elementwise_kernelILi4EZZZNS0_23launch_dirichlet_kernelERNS_18TensorIteratorBaseEENKUlvE_clEvENKUlvE0_clEvEUlffE_St5arrayIPcLm3EE23TrivialOffsetCalculatorILi2EjESA_ILi1EjENS0_6memory12LoadWithCastILi2EEENSD_13StoreWithCastILi1EEEN3c108BFloat16EJSJ_fEEEviT0_T1_T2_T3_T4_T5_,comdat
	.globl	_ZN2at6native39vectorized_templated_elementwise_kernelILi4EZZZNS0_23launch_dirichlet_kernelERNS_18TensorIteratorBaseEENKUlvE_clEvENKUlvE0_clEvEUlffE_St5arrayIPcLm3EE23TrivialOffsetCalculatorILi2EjESA_ILi1EjENS0_6memory12LoadWithCastILi2EEENSD_13StoreWithCastILi1EEEN3c108BFloat16EJSJ_fEEEviT0_T1_T2_T3_T4_T5_ ; -- Begin function _ZN2at6native39vectorized_templated_elementwise_kernelILi4EZZZNS0_23launch_dirichlet_kernelERNS_18TensorIteratorBaseEENKUlvE_clEvENKUlvE0_clEvEUlffE_St5arrayIPcLm3EE23TrivialOffsetCalculatorILi2EjESA_ILi1EjENS0_6memory12LoadWithCastILi2EEENSD_13StoreWithCastILi1EEEN3c108BFloat16EJSJ_fEEEviT0_T1_T2_T3_T4_T5_
	.p2align	8
	.type	_ZN2at6native39vectorized_templated_elementwise_kernelILi4EZZZNS0_23launch_dirichlet_kernelERNS_18TensorIteratorBaseEENKUlvE_clEvENKUlvE0_clEvEUlffE_St5arrayIPcLm3EE23TrivialOffsetCalculatorILi2EjESA_ILi1EjENS0_6memory12LoadWithCastILi2EEENSD_13StoreWithCastILi1EEEN3c108BFloat16EJSJ_fEEEviT0_T1_T2_T3_T4_T5_,@function
_ZN2at6native39vectorized_templated_elementwise_kernelILi4EZZZNS0_23launch_dirichlet_kernelERNS_18TensorIteratorBaseEENKUlvE_clEvENKUlvE0_clEvEUlffE_St5arrayIPcLm3EE23TrivialOffsetCalculatorILi2EjESA_ILi1EjENS0_6memory12LoadWithCastILi2EEENSD_13StoreWithCastILi1EEEN3c108BFloat16EJSJ_fEEEviT0_T1_T2_T3_T4_T5_: ; @_ZN2at6native39vectorized_templated_elementwise_kernelILi4EZZZNS0_23launch_dirichlet_kernelERNS_18TensorIteratorBaseEENKUlvE_clEvENKUlvE0_clEvEUlffE_St5arrayIPcLm3EE23TrivialOffsetCalculatorILi2EjESA_ILi1EjENS0_6memory12LoadWithCastILi2EEENSD_13StoreWithCastILi1EEEN3c108BFloat16EJSJ_fEEEviT0_T1_T2_T3_T4_T5_
; %bb.0:
	s_add_u32 flat_scratch_lo, s6, s9
	s_addc_u32 flat_scratch_hi, s7, 0
	s_add_u32 s0, s0, s9
	s_load_dword s6, s[4:5], 0x38
	s_load_dwordx2 s[54:55], s[4:5], 0x18
	s_load_dword s7, s[4:5], 0x0
	s_load_dwordx4 s[56:59], s[4:5], 0x8
	s_addc_u32 s1, s1, 0
	s_mov_b32 s33, s8
	s_not_b32 s8, s8
	s_waitcnt lgkmcnt(0)
	s_add_i32 s6, s6, s8
	s_lshl_b32 s6, s6, 14
	s_sub_i32 s64, s7, s6
	s_cmpk_gt_i32 s64, 0x3fff
	s_mov_b64 s[8:9], -1
	s_mov_b32 s32, 0
	s_cbranch_scc1 .LBB22_3
; %bb.1:
	s_andn2_b64 vcc, exec, s[8:9]
	s_cbranch_vccz .LBB22_4
.LBB22_2:
	s_endpgm
.LBB22_3:
	s_ashr_i32 s7, s6, 31
	s_lshl_b64 s[60:61], s[6:7], 1
	s_add_u32 s62, s58, s60
	s_addc_u32 s63, s59, s61
	s_lshl_b64 s[6:7], s[6:7], 2
	v_lshlrev_b32_e32 v1, 3, v0
	s_add_u32 s6, s54, s6
	v_mov_b32_e32 v2, s63
	v_add_co_u32_e32 v50, vcc, s62, v1
	s_addc_u32 s7, s55, s7
	v_lshlrev_b32_e32 v5, 4, v0
	v_addc_co_u32_e32 v51, vcc, 0, v2, vcc
	s_movk_i32 s65, 0x1000
	v_or_b32_e32 v4, 0x400, v0
	global_load_dwordx4 v[6:9], v5, s[6:7]
	v_add_co_u32_e32 v2, vcc, s65, v50
	v_lshlrev_b32_e32 v10, 4, v4
	v_addc_co_u32_e32 v3, vcc, 0, v51, vcc
	global_load_dwordx2 v[38:39], v1, s[62:63]
	global_load_dwordx4 v[14:17], v10, s[6:7]
	global_load_dwordx2 v[40:41], v[2:3], off
	s_movk_i32 s67, 0x3000
	v_add_co_u32_e32 v2, vcc, s67, v50
	v_lshlrev_b32_e32 v13, 3, v4
	v_addc_co_u32_e32 v3, vcc, 0, v51, vcc
	v_or_b32_e32 v52, 0x800, v0
	global_load_dwordx2 v[42:43], v13, s[62:63]
	global_load_dwordx2 v[10:11], v[2:3], off
	v_lshlrev_b32_e32 v2, 4, v52
	global_load_dwordx4 v[18:21], v2, s[6:7]
	v_mov_b32_e32 v2, s7
	v_add_co_u32_e32 v4, vcc, s6, v5
	s_mov_b32 s8, 0xa000
	v_addc_co_u32_e32 v5, vcc, 0, v2, vcc
	v_add_co_u32_e32 v2, vcc, s8, v4
	v_addc_co_u32_e32 v3, vcc, 0, v5, vcc
	global_load_dwordx4 v[22:25], v[2:3], off
	v_or_b32_e32 v53, 0xc00, v0
	v_lshlrev_b32_e32 v2, 4, v53
	global_load_dwordx4 v[26:29], v2, s[6:7]
	s_movk_i32 s8, 0x2000
	v_add_co_u32_e32 v44, vcc, s8, v4
	s_movk_i32 s9, 0x6000
	v_addc_co_u32_e32 v45, vcc, 0, v5, vcc
	v_add_co_u32_e32 v46, vcc, s9, v4
	s_mov_b32 s10, 0xe000
	v_addc_co_u32_e32 v47, vcc, 0, v5, vcc
	v_add_co_u32_e32 v48, vcc, s10, v4
	v_addc_co_u32_e32 v49, vcc, 0, v5, vcc
	global_load_dwordx4 v[30:33], v[44:45], off
	global_load_dwordx4 v[2:5], v[46:47], off
	global_load_dwordx4 v[34:37], v[48:49], off
	s_movk_i32 s66, 0x7fff
	v_mov_b32_e32 v12, 0x7fc00000
	s_movk_i32 s68, 0x5000
	s_waitcnt vmcnt(11)
	v_bfe_u32 v46, v6, 16, 1
	v_add3_u32 v46, v6, v46, s66
	v_cmp_o_f32_e32 vcc, v6, v6
	v_and_b32_e32 v46, 0xffff0000, v46
	v_cndmask_b32_e32 v46, v12, v46, vcc
	v_cmp_o_f32_e64 s[48:49], v8, v8
	s_waitcnt vmcnt(9)
	v_bfe_u32 v6, v15, 16, 1
	v_add3_u32 v6, v15, v6, s66
	v_and_b32_e32 v57, 0xffff0000, v6
	v_bfe_u32 v6, v16, 16, 1
	v_add3_u32 v6, v16, v6, s66
	v_and_b32_e32 v58, 0xffff0000, v6
	;; [unrolled: 3-line block ×3, first 2 shown]
	v_bfe_u32 v47, v14, 16, 1
	v_lshlrev_b32_e32 v44, 16, v38
	v_add3_u32 v47, v14, v47, s66
	s_waitcnt vmcnt(5)
	v_bfe_u32 v6, v18, 16, 1
	v_add3_u32 v6, v18, v6, s66
	v_and_b32_e32 v60, 0xffff0000, v6
	v_bfe_u32 v6, v19, 16, 1
	v_add3_u32 v6, v19, v6, s66
	v_cmp_o_f32_e64 s[6:7], v18, v18
	v_and_b32_e32 v18, 0xffff0000, v6
	v_bfe_u32 v6, v20, 16, 1
	v_add3_u32 v6, v20, v6, s66
	v_cmp_o_f32_e64 s[8:9], v19, v19
	v_and_b32_e32 v19, 0xffff0000, v6
	v_bfe_u32 v6, v21, 16, 1
	v_add3_u32 v6, v21, v6, s66
	v_cmp_o_f32_e64 s[10:11], v20, v20
	v_and_b32_e32 v20, 0xffff0000, v6
	s_waitcnt vmcnt(4)
	v_bfe_u32 v6, v22, 16, 1
	v_add3_u32 v6, v22, v6, s66
	v_cmp_o_f32_e64 s[12:13], v21, v21
	v_and_b32_e32 v21, 0xffff0000, v6
	v_bfe_u32 v6, v23, 16, 1
	v_add3_u32 v6, v23, v6, s66
	v_cmp_o_f32_e64 s[14:15], v22, v22
	v_and_b32_e32 v22, 0xffff0000, v6
	v_bfe_u32 v6, v24, 16, 1
	v_add3_u32 v6, v24, v6, s66
	v_cmp_o_f32_e64 s[16:17], v23, v23
	v_and_b32_e32 v23, 0xffff0000, v6
	v_bfe_u32 v6, v25, 16, 1
	v_add3_u32 v6, v25, v6, s66
	v_cmp_o_f32_e64 s[18:19], v24, v24
	v_and_b32_e32 v24, 0xffff0000, v6
	s_waitcnt vmcnt(3)
	v_bfe_u32 v6, v26, 16, 1
	v_add3_u32 v6, v26, v6, s66
	v_cmp_o_f32_e64 s[20:21], v25, v25
	v_and_b32_e32 v25, 0xffff0000, v6
	v_bfe_u32 v6, v27, 16, 1
	v_add3_u32 v6, v27, v6, s66
	v_cmp_o_f32_e64 s[22:23], v26, v26
	v_and_b32_e32 v26, 0xffff0000, v6
	v_bfe_u32 v6, v28, 16, 1
	v_add3_u32 v6, v28, v6, s66
	v_cmp_o_f32_e64 s[24:25], v27, v27
	v_and_b32_e32 v27, 0xffff0000, v6
	v_bfe_u32 v6, v29, 16, 1
	v_add3_u32 v6, v29, v6, s66
	v_cmp_o_f32_e64 s[26:27], v28, v28
	v_and_b32_e32 v28, 0xffff0000, v6
	s_waitcnt vmcnt(0)
	v_bfe_u32 v6, v34, 16, 1
	v_add3_u32 v6, v34, v6, s66
	v_cmp_o_f32_e64 s[28:29], v29, v29
	v_and_b32_e32 v29, 0xffff0000, v6
	v_bfe_u32 v6, v35, 16, 1
	v_add3_u32 v6, v35, v6, s66
	v_cmp_o_f32_e64 s[30:31], v34, v34
	v_and_b32_e32 v34, 0xffff0000, v6
	v_bfe_u32 v6, v36, 16, 1
	v_add3_u32 v6, v36, v6, s66
	v_cmp_o_f32_e64 s[36:37], v35, v35
	;; [unrolled: 4-line block ×4, first 2 shown]
	v_and_b32_e32 v14, 0xffff0000, v6
	v_bfe_u32 v6, v8, 16, 1
	v_add3_u32 v6, v8, v6, s66
	v_div_scale_f32 v8, s[52:53], v46, v46, v44
	v_cmp_o_f32_e32 vcc, v7, v7
	v_rcp_f32_e32 v7, v8
	v_cmp_o_f32_e64 s[44:45], v15, v15
	v_and_b32_e32 v15, 0xffff0000, v6
	v_bfe_u32 v6, v9, 16, 1
	v_add3_u32 v6, v9, v6, s66
	v_cmp_o_f32_e64 s[42:43], v16, v16
	v_and_b32_e32 v16, 0xffff0000, v6
	v_fma_f32 v6, -v8, v7, 1.0
	v_cmp_o_f32_e64 s[50:51], v9, v9
	v_fmac_f32_e32 v7, v6, v7
	v_div_scale_f32 v9, s[52:53], v44, v46, v44
	v_lshlrev_b32_e32 v56, 16, v10
	v_cmp_o_f32_e64 s[34:35], v37, v37
	v_and_b32_e32 v37, 0xffff0000, v10
	v_mul_f32_e32 v10, v9, v7
	v_fma_f32 v6, -v8, v10, v9
	v_fmac_f32_e32 v10, v6, v7
	v_and_b32_e32 v38, 0xffff0000, v38
	v_lshlrev_b32_e32 v61, 16, v11
	v_and_b32_e32 v62, 0xffff0000, v11
	v_cndmask_b32_e32 v11, v12, v14, vcc
	v_fma_f32 v8, -v8, v10, v9
	s_mov_b64 vcc, s[52:53]
	v_div_fmas_f32 v7, v8, v7, v10
	v_div_scale_f32 v8, s[52:53], v11, v11, v38
	v_rcp_f32_e32 v9, v8
	v_div_fixup_f32 v44, v7, v46, v44
	v_lshlrev_b32_e32 v45, 16, v39
	v_cndmask_b32_e64 v14, v12, v15, s[48:49]
	v_fma_f32 v7, -v8, v9, 1.0
	v_fmac_f32_e32 v9, v7, v9
	v_div_scale_f32 v7, vcc, v38, v11, v38
	v_mul_f32_e32 v10, v7, v9
	v_fma_f32 v15, -v8, v10, v7
	v_fmac_f32_e32 v10, v15, v9
	v_div_scale_f32 v15, s[48:49], v14, v14, v45
	v_cmp_o_f32_e64 s[40:41], v17, v17
	v_rcp_f32_e32 v17, v15
	v_fma_f32 v7, -v8, v10, v7
	v_div_fmas_f32 v7, v7, v9, v10
	v_div_fixup_f32 v38, v7, v11, v38
	v_fma_f32 v7, -v15, v17, 1.0
	v_fmac_f32_e32 v17, v7, v17
	v_div_scale_f32 v7, vcc, v45, v14, v45
	v_mul_f32_e32 v10, v7, v17
	v_fma_f32 v8, -v15, v10, v7
	v_and_b32_e32 v39, 0xffff0000, v39
	v_fmac_f32_e32 v10, v8, v17
	v_add_co_u32_e64 v8, s[48:49], s68, v50
	v_cndmask_b32_e64 v16, v12, v16, s[50:51]
	v_addc_co_u32_e64 v9, s[48:49], 0, v51, s[48:49]
	v_fma_f32 v7, -v15, v10, v7
	v_div_scale_f32 v15, s[48:49], v16, v16, v39
	v_div_fmas_f32 v7, v7, v17, v10
	v_rcp_f32_e32 v17, v15
	s_movk_i32 s52, 0x7000
	v_add_co_u32_e32 v10, vcc, s52, v50
	v_addc_co_u32_e32 v11, vcc, 0, v51, vcc
	v_div_fixup_f32 v45, v7, v14, v45
	v_fma_f32 v7, -v15, v17, 1.0
	v_fmac_f32_e32 v17, v7, v17
	v_div_scale_f32 v7, vcc, v39, v16, v39
	v_mul_f32_e32 v14, v7, v17
	v_fma_f32 v46, -v15, v14, v7
	v_fmac_f32_e32 v14, v46, v17
	v_bfe_u32 v46, v30, 16, 1
	v_add3_u32 v46, v30, v46, s66
	v_and_b32_e32 v46, 0xffff0000, v46
	v_cmp_o_f32_e64 s[48:49], v30, v30
	v_fma_f32 v7, -v15, v14, v7
	v_lshlrev_b32_e32 v48, 16, v40
	v_cndmask_b32_e64 v30, v12, v46, s[48:49]
	v_div_fmas_f32 v7, v7, v17, v14
	v_div_fixup_f32 v39, v7, v16, v39
	v_div_scale_f32 v16, s[48:49], v30, v30, v48
	v_rcp_f32_e32 v17, v16
	v_bfe_u32 v14, v32, 16, 1
	v_add3_u32 v7, v32, v14, s66
	v_bfe_u32 v15, v31, 16, 1
	v_and_b32_e32 v50, 0xffff0000, v7
	v_fma_f32 v7, -v16, v17, 1.0
	v_add3_u32 v15, v31, v15, s66
	v_fmac_f32_e32 v17, v7, v17
	v_bfe_u32 v7, v33, 16, 1
	v_cmp_o_f32_e64 s[50:51], v31, v31
	v_div_scale_f32 v31, s[52:53], v48, v30, v48
	v_add3_u32 v7, v33, v7, s66
	v_cmp_o_f32_e64 s[48:49], v33, v33
	v_mul_f32_e32 v33, v31, v17
	v_cmp_o_f32_e32 vcc, v32, v32
	v_and_b32_e32 v32, 0xffff0000, v7
	v_fma_f32 v7, -v16, v33, v31
	v_and_b32_e32 v46, 0xffff0000, v15
	v_fmac_f32_e32 v33, v7, v17
	v_and_b32_e32 v40, 0xffff0000, v40
	v_cndmask_b32_e64 v46, v12, v46, s[50:51]
	v_cndmask_b32_e32 v50, v12, v50, vcc
	v_fma_f32 v16, -v16, v33, v31
	s_mov_b64 vcc, s[52:53]
	v_div_fmas_f32 v16, v16, v17, v33
	v_div_scale_f32 v17, s[50:51], v46, v46, v40
	v_rcp_f32_e32 v31, v17
	v_div_fixup_f32 v30, v16, v30, v48
	v_lshlrev_b32_e32 v49, 16, v41
	v_cndmask_b32_e64 v32, v12, v32, s[48:49]
	v_fma_f32 v16, -v17, v31, 1.0
	v_fmac_f32_e32 v31, v16, v31
	v_div_scale_f32 v16, vcc, v40, v46, v40
	v_mul_f32_e32 v33, v16, v31
	v_fma_f32 v48, -v17, v33, v16
	v_fmac_f32_e32 v33, v48, v31
	v_fma_f32 v16, -v17, v33, v16
	v_div_scale_f32 v17, s[48:49], v50, v50, v49
	v_rcp_f32_e32 v48, v17
	v_div_fmas_f32 v16, v16, v31, v33
	v_div_fixup_f32 v31, v16, v46, v40
	v_and_b32_e32 v41, 0xffff0000, v41
	v_fma_f32 v16, -v17, v48, 1.0
	v_fmac_f32_e32 v48, v16, v48
	v_div_scale_f32 v16, vcc, v49, v50, v49
	v_mul_f32_e32 v33, v16, v48
	v_fma_f32 v40, -v17, v33, v16
	v_fmac_f32_e32 v33, v40, v48
	v_div_scale_f32 v40, s[48:49], v32, v32, v41
	v_rcp_f32_e32 v46, v40
	v_fma_f32 v16, -v17, v33, v16
	v_div_fmas_f32 v33, v16, v48, v33
	v_div_fixup_f32 v33, v33, v50, v49
	v_fma_f32 v48, -v40, v46, 1.0
	v_fmac_f32_e32 v46, v48, v46
	v_div_scale_f32 v48, vcc, v41, v32, v41
	v_mul_f32_e32 v49, v48, v46
	v_and_b32_e32 v47, 0xffff0000, v47
	v_fma_f32 v50, -v40, v49, v48
	v_lshlrev_b32_e32 v54, 16, v42
	v_cndmask_b32_e64 v47, v12, v47, s[46:47]
	v_fmac_f32_e32 v49, v50, v46
	v_fma_f32 v40, -v40, v49, v48
	v_div_scale_f32 v48, s[46:47], v47, v47, v54
	v_rcp_f32_e32 v50, v48
	v_div_fmas_f32 v40, v40, v46, v49
	v_div_fixup_f32 v32, v40, v32, v41
	v_lshlrev_b32_e32 v6, 3, v52
	v_fma_f32 v40, -v48, v50, 1.0
	v_fmac_f32_e32 v50, v40, v50
	v_div_scale_f32 v40, vcc, v54, v47, v54
	v_mul_f32_e32 v41, v40, v50
	v_fma_f32 v49, -v48, v41, v40
	v_fmac_f32_e32 v41, v49, v50
	v_and_b32_e32 v42, 0xffff0000, v42
	global_load_dwordx2 v[14:15], v6, s[62:63]
	v_fma_f32 v40, -v48, v41, v40
	v_cndmask_b32_e64 v49, v12, v57, s[44:45]
	v_div_fmas_f32 v40, v40, v50, v41
	v_div_scale_f32 v41, s[44:45], v49, v49, v42
	v_rcp_f32_e32 v50, v41
	v_div_fixup_f32 v40, v40, v47, v54
	v_lshlrev_b32_e32 v7, 3, v53
	v_lshlrev_b32_e32 v55, 16, v43
	v_fma_f32 v47, -v41, v50, 1.0
	v_fmac_f32_e32 v50, v47, v50
	v_div_scale_f32 v47, vcc, v42, v49, v42
	v_mul_f32_e32 v52, v47, v50
	v_fma_f32 v53, -v41, v52, v47
	v_cndmask_b32_e64 v51, v12, v58, s[42:43]
	v_fmac_f32_e32 v52, v53, v50
	v_fma_f32 v41, -v41, v52, v47
	v_div_scale_f32 v47, s[42:43], v51, v51, v55
	v_rcp_f32_e32 v53, v47
	v_div_fmas_f32 v41, v41, v50, v52
	v_div_fixup_f32 v41, v41, v49, v42
	v_and_b32_e32 v43, 0xffff0000, v43
	v_fma_f32 v42, -v47, v53, 1.0
	v_fmac_f32_e32 v53, v42, v53
	v_div_scale_f32 v42, vcc, v55, v51, v55
	v_mul_f32_e32 v49, v42, v53
	v_fma_f32 v52, -v47, v49, v42
	v_fmac_f32_e32 v49, v52, v53
	v_cndmask_b32_e64 v52, v12, v59, s[40:41]
	v_fma_f32 v42, -v47, v49, v42
	v_div_scale_f32 v47, s[40:41], v52, v52, v43
	v_div_fmas_f32 v42, v42, v53, v49
	v_rcp_f32_e32 v49, v47
	v_div_fixup_f32 v42, v42, v51, v55
	v_cmp_o_f32_e64 s[40:41], v2, v2
	global_load_dwordx2 v[8:9], v[8:9], off
	v_fma_f32 v51, -v47, v49, 1.0
	global_load_dwordx2 v[10:11], v[10:11], off
	v_fmac_f32_e32 v49, v51, v49
	v_div_scale_f32 v51, vcc, v43, v52, v43
	v_mul_f32_e32 v54, v51, v49
	v_fma_f32 v55, -v47, v54, v51
	v_fmac_f32_e32 v54, v55, v49
	v_fma_f32 v47, -v47, v54, v51
	v_bfe_u32 v51, v2, 16, 1
	v_add3_u32 v51, v2, v51, s66
	v_and_b32_e32 v51, 0xffff0000, v51
	v_cndmask_b32_e64 v2, v12, v51, s[40:41]
	v_div_fmas_f32 v47, v47, v49, v54
	v_div_fixup_f32 v43, v47, v52, v43
	v_div_scale_f32 v47, s[40:41], v2, v2, v56
	v_rcp_f32_e32 v49, v47
	v_cmp_o_f32_e64 s[40:41], v5, v5
	global_load_dwordx2 v[16:17], v7, s[62:63]
	v_cndmask_b32_e64 v18, v12, v18, s[8:9]
	v_fma_f32 v52, -v47, v49, 1.0
	v_fmac_f32_e32 v49, v52, v49
	v_div_scale_f32 v52, vcc, v56, v2, v56
	v_mul_f32_e32 v54, v52, v49
	v_fma_f32 v57, -v47, v54, v52
	v_fmac_f32_e32 v54, v57, v49
	v_fma_f32 v47, -v47, v54, v52
	v_bfe_u32 v52, v3, 16, 1
	v_add3_u32 v52, v3, v52, s66
	v_div_fmas_f32 v47, v47, v49, v54
	v_and_b32_e32 v52, 0xffff0000, v52
	v_cmp_o_f32_e32 vcc, v3, v3
	v_cndmask_b32_e32 v3, v12, v52, vcc
	v_div_fixup_f32 v2, v47, v2, v56
	v_bfe_u32 v47, v4, 16, 1
	v_add3_u32 v47, v4, v47, s66
	v_bfe_u32 v52, v5, 16, 1
	v_cmp_o_f32_e32 vcc, v4, v4
	v_div_scale_f32 v4, s[42:43], v3, v3, v37
	v_add3_u32 v52, v5, v52, s66
	v_rcp_f32_e32 v5, v4
	v_and_b32_e32 v47, 0xffff0000, v47
	v_cndmask_b32_e32 v47, v12, v47, vcc
	v_and_b32_e32 v52, 0xffff0000, v52
	v_fma_f32 v56, -v4, v5, 1.0
	v_fmac_f32_e32 v5, v56, v5
	v_div_scale_f32 v56, s[42:43], v37, v3, v37
	v_mul_f32_e32 v57, v56, v5
	v_fma_f32 v58, -v4, v57, v56
	v_fmac_f32_e32 v57, v58, v5
	v_fma_f32 v4, -v4, v57, v56
	s_mov_b64 vcc, s[42:43]
	v_div_fmas_f32 v4, v4, v5, v57
	v_div_scale_f32 v5, s[42:43], v47, v47, v61
	v_rcp_f32_e32 v56, v5
	v_div_fixup_f32 v3, v4, v3, v37
	v_cndmask_b32_e64 v52, v12, v52, s[40:41]
	s_waitcnt vmcnt(3)
	v_lshlrev_b32_e32 v46, 16, v14
	v_fma_f32 v4, -v5, v56, 1.0
	v_fmac_f32_e32 v56, v4, v56
	v_div_scale_f32 v4, vcc, v61, v47, v61
	v_mul_f32_e32 v37, v4, v56
	v_fma_f32 v57, -v5, v37, v4
	v_fmac_f32_e32 v37, v57, v56
	v_cndmask_b32_e64 v57, v12, v60, s[6:7]
	v_fma_f32 v4, -v5, v37, v4
	v_div_scale_f32 v5, s[6:7], v52, v52, v62
	v_div_fmas_f32 v4, v4, v56, v37
	v_rcp_f32_e32 v37, v5
	v_div_fixup_f32 v4, v4, v47, v61
	s_mov_b32 s8, 0x800000
	s_mov_b32 s9, 0x3f7ffffe
	v_fma_f32 v47, -v5, v37, 1.0
	v_fmac_f32_e32 v37, v47, v37
	v_div_scale_f32 v47, vcc, v62, v52, v62
	v_mul_f32_e32 v56, v47, v37
	v_fma_f32 v58, -v5, v56, v47
	v_fmac_f32_e32 v56, v58, v37
	v_fma_f32 v5, -v5, v56, v47
	v_div_fmas_f32 v5, v5, v37, v56
	v_div_scale_f32 v37, s[6:7], v57, v57, v46
	v_rcp_f32_e32 v47, v37
	v_mov_b32_e32 v58, 0x800000
	v_cmp_ngt_f32_e32 vcc, s8, v44
	v_div_fixup_f32 v5, v5, v52, v62
	v_fma_f32 v52, -v37, v47, 1.0
	v_cndmask_b32_e32 v44, v58, v44, vcc
	v_fmac_f32_e32 v47, v52, v47
	v_div_scale_f32 v52, vcc, v46, v57, v46
	v_mul_f32_e32 v56, v52, v47
	v_fma_f32 v59, -v37, v56, v52
	v_fmac_f32_e32 v56, v59, v47
	v_mov_b32_e32 v59, 0x3f7ffffe
	v_cmp_nlt_f32_e64 s[6:7], s9, v44
	v_cndmask_b32_e64 v44, v59, v44, s[6:7]
	v_cmp_ngt_f32_e64 s[6:7], s8, v38
	v_cndmask_b32_e64 v38, v58, v38, s[6:7]
	v_cmp_nlt_f32_e64 s[6:7], s9, v38
	v_cndmask_b32_e64 v38, v59, v38, s[6:7]
	v_cmp_ngt_f32_e64 s[6:7], s8, v45
	v_cndmask_b32_e64 v45, v58, v45, s[6:7]
	;; [unrolled: 4-line block ×15, first 2 shown]
	v_cmp_nlt_f32_e64 s[6:7], s9, v2
	v_and_b32_e32 v14, 0xffff0000, v14
	v_cndmask_b32_e64 v63, v59, v2, s[6:7]
	v_fma_f32 v2, -v37, v56, v52
	v_div_fmas_f32 v2, v2, v47, v56
	v_div_scale_f32 v3, s[6:7], v18, v18, v14
	v_div_fixup_f32 v2, v2, v57, v46
	v_rcp_f32_e32 v4, v3
	v_cmp_ngt_f32_e32 vcc, s8, v2
	v_cndmask_b32_e32 v2, v58, v2, vcc
	v_cmp_nlt_f32_e32 vcc, s9, v2
	v_cndmask_b32_e32 v37, v59, v2, vcc
	v_fma_f32 v2, -v3, v4, 1.0
	v_fmac_f32_e32 v4, v2, v4
	v_div_scale_f32 v2, vcc, v14, v18, v14
	v_mul_f32_e32 v5, v2, v4
	v_fma_f32 v46, -v3, v5, v2
	v_fmac_f32_e32 v5, v46, v4
	v_lshlrev_b32_e32 v48, 16, v15
	v_cndmask_b32_e64 v19, v12, v19, s[10:11]
	v_fma_f32 v2, -v3, v5, v2
	v_div_fmas_f32 v2, v2, v4, v5
	v_div_scale_f32 v3, s[6:7], v19, v19, v48
	v_div_fixup_f32 v2, v2, v18, v14
	v_rcp_f32_e32 v4, v3
	v_cmp_ngt_f32_e32 vcc, s8, v2
	v_cndmask_b32_e32 v2, v58, v2, vcc
	v_cmp_nlt_f32_e32 vcc, s9, v2
	v_cndmask_b32_e32 v14, v59, v2, vcc
	v_fma_f32 v2, -v3, v4, 1.0
	v_fmac_f32_e32 v4, v2, v4
	v_div_scale_f32 v2, vcc, v48, v19, v48
	v_mul_f32_e32 v5, v2, v4
	v_fma_f32 v18, -v3, v5, v2
	v_fmac_f32_e32 v5, v18, v4
	v_and_b32_e32 v15, 0xffff0000, v15
	v_cndmask_b32_e64 v20, v12, v20, s[12:13]
	v_fma_f32 v2, -v3, v5, v2
	v_div_fmas_f32 v2, v2, v4, v5
	v_div_scale_f32 v3, s[6:7], v20, v20, v15
	v_div_fixup_f32 v2, v2, v19, v48
	v_rcp_f32_e32 v4, v3
	v_cmp_ngt_f32_e32 vcc, s8, v2
	v_cndmask_b32_e32 v2, v58, v2, vcc
	v_cmp_nlt_f32_e32 vcc, s9, v2
	v_cndmask_b32_e32 v18, v59, v2, vcc
	v_fma_f32 v2, -v3, v4, 1.0
	v_fmac_f32_e32 v4, v2, v4
	v_div_scale_f32 v2, vcc, v15, v20, v15
	v_mul_f32_e32 v5, v2, v4
	v_fma_f32 v19, -v3, v5, v2
	v_fmac_f32_e32 v5, v19, v4
	s_waitcnt vmcnt(2)
	v_lshlrev_b32_e32 v50, 16, v8
	v_cndmask_b32_e64 v21, v12, v21, s[14:15]
	v_fma_f32 v2, -v3, v5, v2
	v_div_fmas_f32 v2, v2, v4, v5
	v_div_scale_f32 v3, s[6:7], v21, v21, v50
	v_div_fixup_f32 v2, v2, v20, v15
	v_rcp_f32_e32 v4, v3
	v_cmp_ngt_f32_e32 vcc, s8, v2
	v_cndmask_b32_e32 v2, v58, v2, vcc
	v_cmp_nlt_f32_e32 vcc, s9, v2
	v_cndmask_b32_e32 v15, v59, v2, vcc
	v_fma_f32 v2, -v3, v4, 1.0
	v_fmac_f32_e32 v4, v2, v4
	v_div_scale_f32 v2, vcc, v50, v21, v50
	v_mul_f32_e32 v5, v2, v4
	v_fma_f32 v19, -v3, v5, v2
	v_fmac_f32_e32 v5, v19, v4
	v_and_b32_e32 v8, 0xffff0000, v8
	v_cndmask_b32_e64 v22, v12, v22, s[16:17]
	v_fma_f32 v2, -v3, v5, v2
	v_div_fmas_f32 v2, v2, v4, v5
	v_div_scale_f32 v3, s[6:7], v22, v22, v8
	v_div_fixup_f32 v2, v2, v21, v50
	v_rcp_f32_e32 v4, v3
	v_cmp_ngt_f32_e32 vcc, s8, v2
	v_cndmask_b32_e32 v2, v58, v2, vcc
	v_cmp_nlt_f32_e32 vcc, s9, v2
	v_cndmask_b32_e32 v19, v59, v2, vcc
	v_fma_f32 v2, -v3, v4, 1.0
	v_fmac_f32_e32 v4, v2, v4
	v_div_scale_f32 v2, vcc, v8, v22, v8
	v_mul_f32_e32 v5, v2, v4
	v_fma_f32 v20, -v3, v5, v2
	v_fmac_f32_e32 v5, v20, v4
	v_lshlrev_b32_e32 v53, 16, v9
	v_cndmask_b32_e64 v23, v12, v23, s[18:19]
	v_fma_f32 v2, -v3, v5, v2
	v_div_fmas_f32 v2, v2, v4, v5
	v_div_scale_f32 v3, s[6:7], v23, v23, v53
	v_div_fixup_f32 v2, v2, v22, v8
	v_rcp_f32_e32 v4, v3
	v_cmp_ngt_f32_e32 vcc, s8, v2
	v_cndmask_b32_e32 v2, v58, v2, vcc
	v_cmp_nlt_f32_e32 vcc, s9, v2
	v_cndmask_b32_e32 v8, v59, v2, vcc
	v_fma_f32 v2, -v3, v4, 1.0
	v_fmac_f32_e32 v4, v2, v4
	v_div_scale_f32 v2, vcc, v53, v23, v53
	v_mul_f32_e32 v5, v2, v4
	v_fma_f32 v20, -v3, v5, v2
	v_fmac_f32_e32 v5, v20, v4
	v_and_b32_e32 v9, 0xffff0000, v9
	v_cndmask_b32_e64 v24, v12, v24, s[20:21]
	v_fma_f32 v2, -v3, v5, v2
	v_div_fmas_f32 v2, v2, v4, v5
	v_div_scale_f32 v3, s[6:7], v24, v24, v9
	v_div_fixup_f32 v2, v2, v23, v53
	v_rcp_f32_e32 v4, v3
	v_cmp_ngt_f32_e32 vcc, s8, v2
	v_cndmask_b32_e32 v2, v58, v2, vcc
	v_cmp_nlt_f32_e32 vcc, s9, v2
	v_cndmask_b32_e32 v20, v59, v2, vcc
	v_fma_f32 v2, -v3, v4, 1.0
	v_fmac_f32_e32 v4, v2, v4
	v_div_scale_f32 v2, vcc, v9, v24, v9
	v_mul_f32_e32 v5, v2, v4
	v_fma_f32 v21, -v3, v5, v2
	v_fmac_f32_e32 v5, v21, v4
	s_waitcnt vmcnt(0)
	v_lshlrev_b32_e32 v55, 16, v16
	v_cndmask_b32_e64 v25, v12, v25, s[22:23]
	v_fma_f32 v2, -v3, v5, v2
	v_div_fmas_f32 v2, v2, v4, v5
	v_div_scale_f32 v3, s[6:7], v25, v25, v55
	v_div_fixup_f32 v2, v2, v24, v9
	v_rcp_f32_e32 v4, v3
	v_cmp_ngt_f32_e32 vcc, s8, v2
	v_cndmask_b32_e32 v2, v58, v2, vcc
	v_cmp_nlt_f32_e32 vcc, s9, v2
	v_cndmask_b32_e32 v9, v59, v2, vcc
	v_fma_f32 v2, -v3, v4, 1.0
	v_fmac_f32_e32 v4, v2, v4
	v_div_scale_f32 v2, vcc, v55, v25, v55
	v_mul_f32_e32 v5, v2, v4
	v_fma_f32 v21, -v3, v5, v2
	v_fmac_f32_e32 v5, v21, v4
	v_and_b32_e32 v16, 0xffff0000, v16
	v_cndmask_b32_e64 v26, v12, v26, s[24:25]
	v_fma_f32 v2, -v3, v5, v2
	v_div_fmas_f32 v2, v2, v4, v5
	v_div_scale_f32 v3, s[6:7], v26, v26, v16
	v_div_fixup_f32 v2, v2, v25, v55
	v_rcp_f32_e32 v4, v3
	v_cmp_ngt_f32_e32 vcc, s8, v2
	v_cndmask_b32_e32 v2, v58, v2, vcc
	v_cmp_nlt_f32_e32 vcc, s9, v2
	v_cndmask_b32_e32 v21, v59, v2, vcc
	v_fma_f32 v2, -v3, v4, 1.0
	v_fmac_f32_e32 v4, v2, v4
	v_div_scale_f32 v2, vcc, v16, v26, v16
	v_mul_f32_e32 v5, v2, v4
	v_fma_f32 v22, -v3, v5, v2
	v_fmac_f32_e32 v5, v22, v4
	v_lshlrev_b32_e32 v51, 16, v17
	v_cndmask_b32_e64 v27, v12, v27, s[26:27]
	v_fma_f32 v2, -v3, v5, v2
	v_div_fmas_f32 v2, v2, v4, v5
	v_div_scale_f32 v3, s[6:7], v27, v27, v51
	v_div_fixup_f32 v2, v2, v26, v16
	v_rcp_f32_e32 v4, v3
	v_cmp_ngt_f32_e32 vcc, s8, v2
	v_cndmask_b32_e32 v2, v58, v2, vcc
	v_cmp_nlt_f32_e32 vcc, s9, v2
	v_cndmask_b32_e32 v16, v59, v2, vcc
	v_fma_f32 v2, -v3, v4, 1.0
	v_fmac_f32_e32 v4, v2, v4
	v_div_scale_f32 v2, vcc, v51, v27, v51
	v_mul_f32_e32 v5, v2, v4
	v_fma_f32 v22, -v3, v5, v2
	v_fmac_f32_e32 v5, v22, v4
	v_and_b32_e32 v17, 0xffff0000, v17
	v_cndmask_b32_e64 v28, v12, v28, s[28:29]
	v_fma_f32 v2, -v3, v5, v2
	v_div_fmas_f32 v2, v2, v4, v5
	v_div_scale_f32 v3, s[6:7], v28, v28, v17
	v_div_fixup_f32 v2, v2, v27, v51
	v_rcp_f32_e32 v4, v3
	v_cmp_ngt_f32_e32 vcc, s8, v2
	v_cndmask_b32_e32 v2, v58, v2, vcc
	v_cmp_nlt_f32_e32 vcc, s9, v2
	v_cndmask_b32_e32 v22, v59, v2, vcc
	v_fma_f32 v2, -v3, v4, 1.0
	v_fmac_f32_e32 v4, v2, v4
	v_div_scale_f32 v2, vcc, v17, v28, v17
	v_mul_f32_e32 v5, v2, v4
	v_fma_f32 v23, -v3, v5, v2
	v_fmac_f32_e32 v5, v23, v4
	;; [unrolled: 34-line block ×4, first 2 shown]
	v_fma_f32 v2, -v3, v5, v2
	v_div_fmas_f32 v2, v2, v4, v5
	v_div_fixup_f32 v2, v2, v36, v11
	v_cmp_ngt_f32_e32 vcc, s8, v2
	v_cndmask_b32_e32 v2, v58, v2, vcc
	s_add_u32 s6, s56, s60
	v_cmp_nlt_f32_e32 vcc, s9, v2
	s_addc_u32 s7, s57, s61
	v_cndmask_b32_e32 v11, v59, v2, vcc
	v_bfe_u32 v5, v39, 16, 1
	v_mov_b32_e32 v25, s7
	v_add_co_u32_e32 v26, vcc, s6, v1
	v_bfe_u32 v4, v45, 16, 1
	v_add3_u32 v5, v39, v5, s66
	v_addc_co_u32_e32 v25, vcc, 0, v25, vcc
	v_bfe_u32 v3, v38, 16, 1
	v_add3_u32 v4, v45, v4, s66
	v_and_b32_e32 v5, 0xffff0000, v5
	v_cmp_o_f32_e32 vcc, v39, v39
	v_bfe_u32 v2, v44, 16, 1
	v_add3_u32 v3, v38, v3, s66
	v_lshrrev_b32_e32 v4, 16, v4
	v_cndmask_b32_e32 v5, v12, v5, vcc
	v_mov_b32_e32 v27, 0x7fc0
	v_cmp_o_f32_e32 vcc, v45, v45
	v_add3_u32 v2, v44, v2, s66
	v_and_b32_e32 v3, 0xffff0000, v3
	v_cndmask_b32_e32 v4, v27, v4, vcc
	v_cmp_o_f32_e32 vcc, v38, v38
	v_lshrrev_b32_e32 v2, 16, v2
	v_cndmask_b32_e32 v3, v12, v3, vcc
	v_cmp_o_f32_e32 vcc, v44, v44
	v_cndmask_b32_e32 v2, v27, v2, vcc
	v_or_b32_e32 v2, v3, v2
	v_or3_b32 v3, 0, v4, v5
	v_or3_b32 v2, v2, 0, 0
	v_bfe_u32 v4, v32, 16, 1
	global_store_dwordx2 v1, v[2:3], s[6:7]
	v_bfe_u32 v3, v33, 16, 1
	v_add3_u32 v4, v32, v4, s66
	v_bfe_u32 v2, v31, 16, 1
	v_add3_u32 v3, v33, v3, s66
	v_and_b32_e32 v4, 0xffff0000, v4
	v_cmp_o_f32_e32 vcc, v32, v32
	v_bfe_u32 v1, v30, 16, 1
	v_add3_u32 v2, v31, v2, s66
	v_lshrrev_b32_e32 v3, 16, v3
	v_cndmask_b32_e32 v4, v12, v4, vcc
	v_cmp_o_f32_e32 vcc, v33, v33
	v_add3_u32 v1, v30, v1, s66
	v_and_b32_e32 v2, 0xffff0000, v2
	v_cndmask_b32_e32 v3, v27, v3, vcc
	v_cmp_o_f32_e32 vcc, v31, v31
	v_lshrrev_b32_e32 v1, 16, v1
	v_cndmask_b32_e32 v2, v12, v2, vcc
	v_cmp_o_f32_e32 vcc, v30, v30
	v_cndmask_b32_e32 v1, v27, v1, vcc
	v_or_b32_e32 v1, v2, v1
	v_or3_b32 v3, 0, v3, v4
	v_add_co_u32_e32 v4, vcc, s65, v26
	v_or3_b32 v2, v1, 0, 0
	v_addc_co_u32_e32 v5, vcc, 0, v25, vcc
	global_store_dwordx2 v[4:5], v[2:3], off
	v_bfe_u32 v4, v43, 16, 1
	v_bfe_u32 v3, v42, 16, 1
	v_add3_u32 v4, v43, v4, s66
	v_bfe_u32 v2, v41, 16, 1
	v_add3_u32 v3, v42, v3, s66
	v_and_b32_e32 v4, 0xffff0000, v4
	v_cmp_o_f32_e32 vcc, v43, v43
	v_bfe_u32 v1, v40, 16, 1
	v_add3_u32 v2, v41, v2, s66
	v_lshrrev_b32_e32 v3, 16, v3
	v_cndmask_b32_e32 v4, v12, v4, vcc
	v_cmp_o_f32_e32 vcc, v42, v42
	v_add3_u32 v1, v40, v1, s66
	v_and_b32_e32 v2, 0xffff0000, v2
	v_cndmask_b32_e32 v3, v27, v3, vcc
	v_cmp_o_f32_e32 vcc, v41, v41
	v_lshrrev_b32_e32 v1, 16, v1
	v_cndmask_b32_e32 v2, v12, v2, vcc
	v_cmp_o_f32_e32 vcc, v40, v40
	v_cndmask_b32_e32 v1, v27, v1, vcc
	v_or_b32_e32 v1, v2, v1
	v_or3_b32 v3, 0, v3, v4
	v_or3_b32 v2, v1, 0, 0
	v_bfe_u32 v4, v63, 16, 1
	global_store_dwordx2 v13, v[2:3], s[6:7]
	v_bfe_u32 v3, v62, 16, 1
	v_add3_u32 v4, v63, v4, s66
	v_bfe_u32 v2, v61, 16, 1
	v_add3_u32 v3, v62, v3, s66
	v_and_b32_e32 v4, 0xffff0000, v4
	v_cmp_o_f32_e32 vcc, v63, v63
	v_bfe_u32 v1, v60, 16, 1
	v_add3_u32 v2, v61, v2, s66
	v_lshrrev_b32_e32 v3, 16, v3
	v_cndmask_b32_e32 v4, v12, v4, vcc
	v_cmp_o_f32_e32 vcc, v62, v62
	v_add3_u32 v1, v60, v1, s66
	v_and_b32_e32 v2, 0xffff0000, v2
	v_cndmask_b32_e32 v3, v27, v3, vcc
	v_cmp_o_f32_e32 vcc, v61, v61
	v_lshrrev_b32_e32 v1, 16, v1
	v_cndmask_b32_e32 v2, v12, v2, vcc
	v_cmp_o_f32_e32 vcc, v60, v60
	v_cndmask_b32_e32 v1, v27, v1, vcc
	v_or_b32_e32 v1, v2, v1
	v_or3_b32 v3, 0, v3, v4
	v_add_co_u32_e32 v4, vcc, s67, v26
	v_or3_b32 v2, v1, 0, 0
	v_addc_co_u32_e32 v5, vcc, 0, v25, vcc
	global_store_dwordx2 v[4:5], v[2:3], off
	v_bfe_u32 v4, v15, 16, 1
	v_bfe_u32 v3, v18, 16, 1
	v_add3_u32 v4, v15, v4, s66
	v_bfe_u32 v2, v14, 16, 1
	v_add3_u32 v3, v18, v3, s66
	v_and_b32_e32 v4, 0xffff0000, v4
	v_cmp_o_f32_e32 vcc, v15, v15
	v_bfe_u32 v1, v37, 16, 1
	v_add3_u32 v2, v14, v2, s66
	v_lshrrev_b32_e32 v3, 16, v3
	v_cndmask_b32_e32 v4, v12, v4, vcc
	;; [unrolled: 50-line block ×3, first 2 shown]
	v_cmp_o_f32_e32 vcc, v22, v22
	v_add3_u32 v1, v21, v1, s66
	v_and_b32_e32 v2, 0xffff0000, v2
	v_cndmask_b32_e32 v3, v27, v3, vcc
	v_cmp_o_f32_e32 vcc, v16, v16
	v_lshrrev_b32_e32 v1, 16, v1
	v_cndmask_b32_e32 v2, v12, v2, vcc
	v_cmp_o_f32_e32 vcc, v21, v21
	v_cndmask_b32_e32 v1, v27, v1, vcc
	v_or_b32_e32 v1, v2, v1
	v_or3_b32 v3, 0, v3, v4
	v_or3_b32 v2, v1, 0, 0
	v_bfe_u32 v4, v11, 16, 1
	global_store_dwordx2 v7, v[2:3], s[6:7]
	v_bfe_u32 v3, v24, 16, 1
	v_add3_u32 v4, v11, v4, s66
	v_bfe_u32 v2, v10, 16, 1
	v_add3_u32 v3, v24, v3, s66
	v_and_b32_e32 v4, 0xffff0000, v4
	v_cmp_o_f32_e32 vcc, v11, v11
	v_bfe_u32 v1, v23, 16, 1
	v_add3_u32 v2, v10, v2, s66
	v_lshrrev_b32_e32 v3, 16, v3
	v_cndmask_b32_e32 v4, v12, v4, vcc
	v_cmp_o_f32_e32 vcc, v24, v24
	v_add3_u32 v1, v23, v1, s66
	v_and_b32_e32 v2, 0xffff0000, v2
	v_cndmask_b32_e32 v3, v27, v3, vcc
	v_cmp_o_f32_e32 vcc, v10, v10
	v_lshrrev_b32_e32 v1, 16, v1
	v_cndmask_b32_e32 v2, v12, v2, vcc
	v_cmp_o_f32_e32 vcc, v23, v23
	v_cndmask_b32_e32 v1, v27, v1, vcc
	v_or_b32_e32 v1, v2, v1
	v_or3_b32 v3, 0, v3, v4
	v_add_co_u32_e32 v4, vcc, 0x7000, v26
	v_or3_b32 v2, v1, 0, 0
	v_addc_co_u32_e32 v5, vcc, 0, v25, vcc
	global_store_dwordx2 v[4:5], v[2:3], off
	s_cbranch_execnz .LBB22_2
.LBB22_4:
	s_load_dword s6, s[4:5], 0x24
	s_load_dwordx4 s[16:19], s[4:5], 0x28
	s_add_u32 s8, s4, 56
	s_addc_u32 s9, s5, 0
	s_mov_b32 s12, s33
	s_waitcnt lgkmcnt(0)
	v_lshrrev_b16_e64 v8, 8, s6
	v_mov_b32_e32 v31, v0
	v_mov_b32_e32 v0, s56
	;; [unrolled: 1-line block ×13, first 2 shown]
	s_getpc_b64 s[4:5]
	s_add_u32 s4, s4, _ZN2at6native25elementwise_kernel_helperILb1EZZZNS0_23launch_dirichlet_kernelERNS_18TensorIteratorBaseEENKUlvE_clEvENKUlvE0_clEvEUlffE_NS0_6memory8policies11unroll_baseILi512ESt5arrayIPcLm3EE23TrivialOffsetCalculatorILi2EjESD_ILi1EjENS7_12LoadWithCastILi2EEENS7_13StoreWithCastILi1EEELi32ELi1EEEEEvT0_T1_@rel32@lo+4
	s_addc_u32 s5, s5, _ZN2at6native25elementwise_kernel_helperILb1EZZZNS0_23launch_dirichlet_kernelERNS_18TensorIteratorBaseEENKUlvE_clEvENKUlvE0_clEvEUlffE_NS0_6memory8policies11unroll_baseILi512ESt5arrayIPcLm3EE23TrivialOffsetCalculatorILi2EjESD_ILi1EjENS7_12LoadWithCastILi2EEENS7_13StoreWithCastILi1EEELi32ELi1EEEEEvT0_T1_@rel32@hi+12
	s_swappc_b64 s[30:31], s[4:5]
	s_endpgm
	.section	.rodata,"a",@progbits
	.p2align	6, 0x0
	.amdhsa_kernel _ZN2at6native39vectorized_templated_elementwise_kernelILi4EZZZNS0_23launch_dirichlet_kernelERNS_18TensorIteratorBaseEENKUlvE_clEvENKUlvE0_clEvEUlffE_St5arrayIPcLm3EE23TrivialOffsetCalculatorILi2EjESA_ILi1EjENS0_6memory12LoadWithCastILi2EEENSD_13StoreWithCastILi1EEEN3c108BFloat16EJSJ_fEEEviT0_T1_T2_T3_T4_T5_
		.amdhsa_group_segment_fixed_size 0
		.amdhsa_private_segment_fixed_size 288
		.amdhsa_kernarg_size 312
		.amdhsa_user_sgpr_count 8
		.amdhsa_user_sgpr_private_segment_buffer 1
		.amdhsa_user_sgpr_dispatch_ptr 0
		.amdhsa_user_sgpr_queue_ptr 0
		.amdhsa_user_sgpr_kernarg_segment_ptr 1
		.amdhsa_user_sgpr_dispatch_id 0
		.amdhsa_user_sgpr_flat_scratch_init 1
		.amdhsa_user_sgpr_kernarg_preload_length 0
		.amdhsa_user_sgpr_kernarg_preload_offset 0
		.amdhsa_user_sgpr_private_segment_size 0
		.amdhsa_uses_dynamic_stack 0
		.amdhsa_system_sgpr_private_segment_wavefront_offset 1
		.amdhsa_system_sgpr_workgroup_id_x 1
		.amdhsa_system_sgpr_workgroup_id_y 0
		.amdhsa_system_sgpr_workgroup_id_z 0
		.amdhsa_system_sgpr_workgroup_info 0
		.amdhsa_system_vgpr_workitem_id 0
		.amdhsa_next_free_vgpr 118
		.amdhsa_next_free_sgpr 98
		.amdhsa_accum_offset 120
		.amdhsa_reserve_vcc 1
		.amdhsa_reserve_flat_scratch 1
		.amdhsa_float_round_mode_32 0
		.amdhsa_float_round_mode_16_64 0
		.amdhsa_float_denorm_mode_32 3
		.amdhsa_float_denorm_mode_16_64 3
		.amdhsa_dx10_clamp 1
		.amdhsa_ieee_mode 1
		.amdhsa_fp16_overflow 0
		.amdhsa_tg_split 0
		.amdhsa_exception_fp_ieee_invalid_op 0
		.amdhsa_exception_fp_denorm_src 0
		.amdhsa_exception_fp_ieee_div_zero 0
		.amdhsa_exception_fp_ieee_overflow 0
		.amdhsa_exception_fp_ieee_underflow 0
		.amdhsa_exception_fp_ieee_inexact 0
		.amdhsa_exception_int_div_zero 0
	.end_amdhsa_kernel
	.section	.text._ZN2at6native39vectorized_templated_elementwise_kernelILi4EZZZNS0_23launch_dirichlet_kernelERNS_18TensorIteratorBaseEENKUlvE_clEvENKUlvE0_clEvEUlffE_St5arrayIPcLm3EE23TrivialOffsetCalculatorILi2EjESA_ILi1EjENS0_6memory12LoadWithCastILi2EEENSD_13StoreWithCastILi1EEEN3c108BFloat16EJSJ_fEEEviT0_T1_T2_T3_T4_T5_,"axG",@progbits,_ZN2at6native39vectorized_templated_elementwise_kernelILi4EZZZNS0_23launch_dirichlet_kernelERNS_18TensorIteratorBaseEENKUlvE_clEvENKUlvE0_clEvEUlffE_St5arrayIPcLm3EE23TrivialOffsetCalculatorILi2EjESA_ILi1EjENS0_6memory12LoadWithCastILi2EEENSD_13StoreWithCastILi1EEEN3c108BFloat16EJSJ_fEEEviT0_T1_T2_T3_T4_T5_,comdat
.Lfunc_end22:
	.size	_ZN2at6native39vectorized_templated_elementwise_kernelILi4EZZZNS0_23launch_dirichlet_kernelERNS_18TensorIteratorBaseEENKUlvE_clEvENKUlvE0_clEvEUlffE_St5arrayIPcLm3EE23TrivialOffsetCalculatorILi2EjESA_ILi1EjENS0_6memory12LoadWithCastILi2EEENSD_13StoreWithCastILi1EEEN3c108BFloat16EJSJ_fEEEviT0_T1_T2_T3_T4_T5_, .Lfunc_end22-_ZN2at6native39vectorized_templated_elementwise_kernelILi4EZZZNS0_23launch_dirichlet_kernelERNS_18TensorIteratorBaseEENKUlvE_clEvENKUlvE0_clEvEUlffE_St5arrayIPcLm3EE23TrivialOffsetCalculatorILi2EjESA_ILi1EjENS0_6memory12LoadWithCastILi2EEENSD_13StoreWithCastILi1EEEN3c108BFloat16EJSJ_fEEEviT0_T1_T2_T3_T4_T5_
                                        ; -- End function
	.section	.AMDGPU.csdata,"",@progbits
; Kernel info:
; codeLenInByte = 6408
; NumSgprs: 104
; NumVgprs: 118
; NumAgprs: 0
; TotalNumVgprs: 118
; ScratchSize: 288
; MemoryBound: 0
; FloatMode: 240
; IeeeMode: 1
; LDSByteSize: 0 bytes/workgroup (compile time only)
; SGPRBlocks: 12
; VGPRBlocks: 14
; NumSGPRsForWavesPerEU: 104
; NumVGPRsForWavesPerEU: 118
; AccumOffset: 120
; Occupancy: 4
; WaveLimiterHint : 0
; COMPUTE_PGM_RSRC2:SCRATCH_EN: 1
; COMPUTE_PGM_RSRC2:USER_SGPR: 8
; COMPUTE_PGM_RSRC2:TRAP_HANDLER: 0
; COMPUTE_PGM_RSRC2:TGID_X_EN: 1
; COMPUTE_PGM_RSRC2:TGID_Y_EN: 0
; COMPUTE_PGM_RSRC2:TGID_Z_EN: 0
; COMPUTE_PGM_RSRC2:TIDIG_COMP_CNT: 0
; COMPUTE_PGM_RSRC3_GFX90A:ACCUM_OFFSET: 29
; COMPUTE_PGM_RSRC3_GFX90A:TG_SPLIT: 0
	.section	.text._ZN2at6native39vectorized_templated_elementwise_kernelILi2EZZZNS0_23launch_dirichlet_kernelERNS_18TensorIteratorBaseEENKUlvE_clEvENKUlvE0_clEvEUlffE_St5arrayIPcLm3EE23TrivialOffsetCalculatorILi2EjESA_ILi1EjENS0_6memory12LoadWithCastILi2EEENSD_13StoreWithCastILi1EEEN3c108BFloat16EJSJ_fEEEviT0_T1_T2_T3_T4_T5_,"axG",@progbits,_ZN2at6native39vectorized_templated_elementwise_kernelILi2EZZZNS0_23launch_dirichlet_kernelERNS_18TensorIteratorBaseEENKUlvE_clEvENKUlvE0_clEvEUlffE_St5arrayIPcLm3EE23TrivialOffsetCalculatorILi2EjESA_ILi1EjENS0_6memory12LoadWithCastILi2EEENSD_13StoreWithCastILi1EEEN3c108BFloat16EJSJ_fEEEviT0_T1_T2_T3_T4_T5_,comdat
	.globl	_ZN2at6native39vectorized_templated_elementwise_kernelILi2EZZZNS0_23launch_dirichlet_kernelERNS_18TensorIteratorBaseEENKUlvE_clEvENKUlvE0_clEvEUlffE_St5arrayIPcLm3EE23TrivialOffsetCalculatorILi2EjESA_ILi1EjENS0_6memory12LoadWithCastILi2EEENSD_13StoreWithCastILi1EEEN3c108BFloat16EJSJ_fEEEviT0_T1_T2_T3_T4_T5_ ; -- Begin function _ZN2at6native39vectorized_templated_elementwise_kernelILi2EZZZNS0_23launch_dirichlet_kernelERNS_18TensorIteratorBaseEENKUlvE_clEvENKUlvE0_clEvEUlffE_St5arrayIPcLm3EE23TrivialOffsetCalculatorILi2EjESA_ILi1EjENS0_6memory12LoadWithCastILi2EEENSD_13StoreWithCastILi1EEEN3c108BFloat16EJSJ_fEEEviT0_T1_T2_T3_T4_T5_
	.p2align	8
	.type	_ZN2at6native39vectorized_templated_elementwise_kernelILi2EZZZNS0_23launch_dirichlet_kernelERNS_18TensorIteratorBaseEENKUlvE_clEvENKUlvE0_clEvEUlffE_St5arrayIPcLm3EE23TrivialOffsetCalculatorILi2EjESA_ILi1EjENS0_6memory12LoadWithCastILi2EEENSD_13StoreWithCastILi1EEEN3c108BFloat16EJSJ_fEEEviT0_T1_T2_T3_T4_T5_,@function
_ZN2at6native39vectorized_templated_elementwise_kernelILi2EZZZNS0_23launch_dirichlet_kernelERNS_18TensorIteratorBaseEENKUlvE_clEvENKUlvE0_clEvEUlffE_St5arrayIPcLm3EE23TrivialOffsetCalculatorILi2EjESA_ILi1EjENS0_6memory12LoadWithCastILi2EEENSD_13StoreWithCastILi1EEEN3c108BFloat16EJSJ_fEEEviT0_T1_T2_T3_T4_T5_: ; @_ZN2at6native39vectorized_templated_elementwise_kernelILi2EZZZNS0_23launch_dirichlet_kernelERNS_18TensorIteratorBaseEENKUlvE_clEvENKUlvE0_clEvEUlffE_St5arrayIPcLm3EE23TrivialOffsetCalculatorILi2EjESA_ILi1EjENS0_6memory12LoadWithCastILi2EEENSD_13StoreWithCastILi1EEEN3c108BFloat16EJSJ_fEEEviT0_T1_T2_T3_T4_T5_
; %bb.0:
	s_add_u32 flat_scratch_lo, s6, s9
	s_addc_u32 flat_scratch_hi, s7, 0
	s_add_u32 s0, s0, s9
	s_load_dword s6, s[4:5], 0x38
	s_load_dwordx2 s[38:39], s[4:5], 0x18
	s_load_dword s7, s[4:5], 0x0
	s_load_dwordx4 s[40:43], s[4:5], 0x8
	s_addc_u32 s1, s1, 0
	s_mov_b32 s30, s8
	s_not_b32 s8, s8
	s_waitcnt lgkmcnt(0)
	s_add_i32 s6, s6, s8
	s_lshl_b32 s6, s6, 14
	s_sub_i32 s31, s7, s6
	s_cmpk_gt_i32 s31, 0x3fff
	s_mov_b64 s[8:9], -1
	s_mov_b32 s32, 0
	s_cbranch_scc1 .LBB23_3
; %bb.1:
	s_andn2_b64 vcc, exec, s[8:9]
	s_cbranch_vccz .LBB23_4
.LBB23_2:
	s_endpgm
.LBB23_3:
	s_ashr_i32 s7, s6, 31
	s_lshl_b64 s[44:45], s[6:7], 1
	s_add_u32 s46, s42, s44
	s_addc_u32 s47, s43, s45
	v_lshlrev_b32_e32 v10, 2, v0
	v_mov_b32_e32 v1, s47
	v_add_co_u32_e32 v15, vcc, s46, v10
	v_addc_co_u32_e32 v16, vcc, 0, v1, vcc
	s_movk_i32 s33, 0x1000
	v_add_co_u32_e32 v2, vcc, s33, v15
	s_lshl_b64 s[6:7], s[6:7], 2
	v_addc_co_u32_e32 v3, vcc, 0, v16, vcc
	s_add_u32 s48, s38, s6
	global_load_dword v14, v10, s[46:47]
	global_load_dword v17, v10, s[46:47] offset:2048
	global_load_dword v37, v[2:3], off offset:2048
	s_addc_u32 s49, s39, s7
	v_lshlrev_b32_e32 v2, 3, v0
	global_load_dwordx2 v[6:7], v2, s[48:49]
	v_or_b32_e32 v4, 0x400, v0
	v_mov_b32_e32 v3, s49
	v_add_co_u32_e32 v39, vcc, s48, v2
	v_lshlrev_b32_e32 v2, 3, v4
	v_or_b32_e32 v36, 0x800, v0
	v_addc_co_u32_e32 v40, vcc, 0, v3, vcc
	global_load_dwordx2 v[18:19], v2, s[48:49]
	v_lshlrev_b32_e32 v1, 2, v36
	v_add_co_u32_e32 v2, vcc, s33, v39
	global_load_dword v38, v1, s[46:47]
	v_addc_co_u32_e32 v3, vcc, 0, v40, vcc
	v_or_b32_e32 v21, 0x1400, v0
	global_load_dwordx2 v[8:9], v[2:3], off
	v_lshlrev_b32_e32 v2, 3, v21
	global_load_dwordx2 v[22:23], v2, s[48:49]
	s_mov_b32 s6, 0xb000
	v_add_co_u32_e32 v2, vcc, s6, v39
	v_addc_co_u32_e32 v3, vcc, 0, v40, vcc
	s_mov_b32 s6, 0x9000
	v_add_co_u32_e32 v12, vcc, s6, v39
	v_or_b32_e32 v41, 0x1000, v0
	global_load_dwordx2 v[24:25], v[2:3], off
	v_addc_co_u32_e32 v13, vcc, 0, v40, vcc
	s_movk_i32 s51, 0x2000
	v_lshlrev_b32_e32 v11, 2, v4
	v_lshlrev_b32_e32 v26, 3, v41
	v_or_b32_e32 v44, 0x1800, v0
	v_add_co_u32_e32 v28, vcc, s51, v15
	global_load_dword v20, v11, s[46:47]
	global_load_dwordx2 v[4:5], v26, s[48:49]
	global_load_dwordx2 v[2:3], v[12:13], off
	v_lshlrev_b32_e32 v12, 3, v44
	v_addc_co_u32_e32 v29, vcc, 0, v16, vcc
	s_mov_b32 s6, 0xd000
	global_load_dwordx2 v[26:27], v12, s[48:49]
	v_add_co_u32_e32 v12, vcc, s6, v39
	v_addc_co_u32_e32 v13, vcc, 0, v40, vcc
	v_or_b32_e32 v45, 0x1c00, v0
	global_load_dwordx2 v[30:31], v[12:13], off
	v_lshlrev_b32_e32 v12, 3, v45
	global_load_dwordx2 v[32:33], v12, s[48:49]
	s_movk_i32 s52, 0x3000
	v_add_co_u32_e32 v34, vcc, s52, v15
	v_or_b32_e32 v42, 0xc00, v0
	v_addc_co_u32_e32 v35, vcc, 0, v16, vcc
	v_lshlrev_b32_e32 v13, 2, v42
	global_load_dword v46, v[28:29], off offset:2048
	global_load_dword v47, v13, s[46:47]
	global_load_dword v48, v[34:35], off offset:2048
	v_add_co_u32_e32 v28, vcc, s52, v39
	v_addc_co_u32_e32 v29, vcc, 0, v40, vcc
	global_load_dwordx2 v[34:35], v[28:29], off
	s_movk_i32 s50, 0x7fff
	s_mov_b32 s14, 0xf000
	v_lshlrev_b32_e32 v36, 3, v36
	s_movk_i32 s53, 0x4000
	v_lshlrev_b32_e32 v42, 3, v42
	s_waitcnt vmcnt(18)
	v_and_b32_e32 v43, 0xffff0000, v14
	v_lshlrev_b32_e32 v49, 16, v14
	s_waitcnt vmcnt(16)
	v_and_b32_e32 v54, 0xffff0000, v37
	v_lshlrev_b32_e32 v55, 16, v37
	v_lshlrev_b32_e32 v14, 2, v41
	s_waitcnt vmcnt(15)
	v_bfe_u32 v12, v6, 16, 1
	v_add3_u32 v12, v6, v12, s50
	v_cmp_o_f32_e32 vcc, v6, v6
	v_bfe_u32 v6, v7, 16, 1
	v_add3_u32 v6, v7, v6, s50
	v_and_b32_e32 v37, 0xffff0000, v6
	v_and_b32_e32 v50, 0xffff0000, v17
	v_lshlrev_b32_e32 v51, 16, v17
	v_and_b32_e32 v17, 0xffff0000, v12
	s_waitcnt vmcnt(14)
	v_bfe_u32 v6, v18, 16, 1
	v_add3_u32 v6, v18, v6, s50
	v_mov_b32_e32 v12, 0x7fc00000
	v_cndmask_b32_e32 v29, v12, v17, vcc
	s_waitcnt vmcnt(13)
	v_and_b32_e32 v56, 0xffff0000, v38
	v_lshlrev_b32_e32 v57, 16, v38
	v_and_b32_e32 v38, 0xffff0000, v6
	v_bfe_u32 v6, v19, 16, 1
	v_add3_u32 v6, v19, v6, s50
	v_and_b32_e32 v41, 0xffff0000, v6
	s_waitcnt vmcnt(11)
	v_bfe_u32 v6, v22, 16, 1
	v_add3_u32 v6, v22, v6, s50
	v_and_b32_e32 v17, 0xffff0000, v6
	v_bfe_u32 v6, v23, 16, 1
	v_add3_u32 v6, v23, v6, s50
	v_cmp_o_f32_e64 s[26:27], v18, v18
	v_and_b32_e32 v18, 0xffff0000, v6
	v_cmp_o_f32_e64 s[28:29], v19, v19
	v_cmp_o_f32_e32 vcc, v7, v7
	v_cmp_o_f32_e64 s[6:7], v22, v22
	s_waitcnt vmcnt(10)
	v_bfe_u32 v6, v24, 16, 1
	v_add3_u32 v6, v24, v6, s50
	v_and_b32_e32 v19, 0xffff0000, v6
	v_bfe_u32 v6, v25, 16, 1
	v_add3_u32 v6, v25, v6, s50
	v_cmp_o_f32_e64 s[8:9], v23, v23
	v_cmp_o_f32_e64 s[10:11], v24, v24
	v_cndmask_b32_e32 v37, v12, v37, vcc
	v_cmp_o_f32_e32 vcc, v8, v8
	s_waitcnt vmcnt(9)
	v_and_b32_e32 v52, 0xffff0000, v20
	v_lshlrev_b32_e32 v53, 16, v20
	v_and_b32_e32 v20, 0xffff0000, v6
	v_add_co_u32_e64 v6, s[14:15], s14, v39
	v_addc_co_u32_e64 v7, s[14:15], 0, v40, s[14:15]
	s_waitcnt vmcnt(6)
	v_bfe_u32 v22, v26, 16, 1
	v_add3_u32 v22, v26, v22, s50
	v_cmp_o_f32_e64 s[14:15], v26, v26
	v_bfe_u32 v23, v27, 16, 1
	v_add3_u32 v23, v27, v23, s50
	v_cmp_o_f32_e64 s[16:17], v27, v27
	s_waitcnt vmcnt(5)
	v_bfe_u32 v24, v30, 16, 1
	s_waitcnt vmcnt(4)
	v_bfe_u32 v26, v32, 16, 1
	v_add3_u32 v26, v32, v26, s50
	v_cmp_o_f32_e64 s[22:23], v32, v32
	v_div_scale_f32 v32, s[24:25], v29, v29, v49
	v_rcp_f32_e32 v59, v32
	v_bfe_u32 v27, v33, 16, 1
	v_add3_u32 v27, v33, v27, s50
	v_and_b32_e32 v28, 0xffff0000, v27
	v_fma_f32 v27, -v32, v59, 1.0
	v_fmac_f32_e32 v59, v27, v59
	v_div_scale_f32 v27, s[34:35], v49, v29, v49
	v_cmp_o_f32_e64 s[24:25], v33, v33
	v_mul_f32_e32 v33, v27, v59
	v_add3_u32 v24, v30, v24, s50
	v_cmp_o_f32_e64 s[18:19], v30, v30
	v_fma_f32 v30, -v32, v33, v27
	v_fmac_f32_e32 v33, v30, v59
	v_fma_f32 v27, -v32, v33, v27
	v_bfe_u32 v32, v8, 16, 1
	v_add3_u32 v32, v8, v32, s50
	v_and_b32_e32 v32, 0xffff0000, v32
	v_cndmask_b32_e32 v32, v12, v32, vcc
	s_mov_b64 vcc, s[34:35]
	v_div_fmas_f32 v8, v27, v59, v33
	v_bfe_u32 v27, v9, 16, 1
	v_div_scale_f32 v33, s[34:35], v37, v37, v43
	v_add3_u32 v27, v9, v27, s50
	v_cmp_o_f32_e32 vcc, v9, v9
	v_rcp_f32_e32 v9, v33
	v_and_b32_e32 v27, 0xffff0000, v27
	v_cndmask_b32_e32 v59, v12, v27, vcc
	v_div_fixup_f32 v27, v8, v29, v49
	v_fma_f32 v8, -v33, v9, 1.0
	v_fmac_f32_e32 v9, v8, v9
	v_div_scale_f32 v8, vcc, v43, v37, v43
	v_mul_f32_e32 v29, v8, v9
	v_fma_f32 v49, -v33, v29, v8
	v_fmac_f32_e32 v29, v49, v9
	v_fma_f32 v8, -v33, v29, v8
	v_div_scale_f32 v33, s[34:35], v32, v32, v51
	v_rcp_f32_e32 v49, v33
	global_load_dwordx2 v[6:7], v[6:7], off
	v_div_fmas_f32 v29, v8, v9, v29
	global_load_dwordx2 v[8:9], v36, s[48:49]
	v_fma_f32 v36, -v33, v49, 1.0
	v_fmac_f32_e32 v49, v36, v49
	v_div_scale_f32 v36, vcc, v51, v32, v51
	v_div_fixup_f32 v29, v29, v37, v43
	v_mul_f32_e32 v37, v36, v49
	v_fma_f32 v43, -v33, v37, v36
	v_fmac_f32_e32 v37, v43, v49
	v_fma_f32 v33, -v33, v37, v36
	v_div_scale_f32 v36, s[34:35], v59, v59, v50
	v_rcp_f32_e32 v43, v36
	v_div_fmas_f32 v33, v33, v49, v37
	v_div_fixup_f32 v49, v33, v32, v51
	v_div_scale_f32 v37, vcc, v50, v59, v50
	v_fma_f32 v32, -v36, v43, 1.0
	v_fmac_f32_e32 v43, v32, v43
	v_mul_f32_e32 v51, v37, v43
	v_fma_f32 v32, -v36, v51, v37
	v_fmac_f32_e32 v51, v32, v43
	v_fma_f32 v36, -v36, v51, v37
	v_cndmask_b32_e64 v38, v12, v38, s[26:27]
	v_div_fmas_f32 v36, v36, v43, v51
	s_waitcnt vmcnt(2)
	v_bfe_u32 v43, v35, 16, 1
	v_bfe_u32 v37, v34, 16, 1
	v_add3_u32 v43, v35, v43, s50
	v_cmp_o_f32_e32 vcc, v35, v35
	v_div_scale_f32 v35, s[26:27], v38, v38, v53
	v_add3_u32 v37, v34, v37, s50
	v_cmp_o_f32_e64 s[26:27], v34, v34
	v_rcp_f32_e32 v34, v35
	v_and_b32_e32 v43, 0xffff0000, v43
	v_div_fixup_f32 v50, v36, v59, v50
	v_and_b32_e32 v37, 0xffff0000, v37
	v_fma_f32 v36, -v35, v34, 1.0
	v_cndmask_b32_e32 v43, v12, v43, vcc
	v_fmac_f32_e32 v34, v36, v34
	v_div_scale_f32 v36, vcc, v53, v38, v53
	v_cndmask_b32_e64 v51, v12, v37, s[26:27]
	v_mul_f32_e32 v37, v36, v34
	v_fma_f32 v59, -v35, v37, v36
	v_cndmask_b32_e64 v41, v12, v41, s[28:29]
	v_fmac_f32_e32 v37, v59, v34
	v_fma_f32 v35, -v35, v37, v36
	v_div_scale_f32 v36, s[26:27], v41, v41, v52
	v_rcp_f32_e32 v59, v36
	v_div_fmas_f32 v34, v35, v34, v37
	v_div_fixup_f32 v53, v34, v38, v53
	v_cmp_o_f32_e64 s[12:13], v25, v25
	v_fma_f32 v34, -v36, v59, 1.0
	v_bfe_u32 v25, v31, 16, 1
	v_add_co_u32_e64 v30, s[36:37], s53, v15
	v_fmac_f32_e32 v59, v34, v59
	v_div_scale_f32 v37, vcc, v52, v41, v52
	v_add3_u32 v25, v31, v25, s50
	v_cmp_o_f32_e64 s[20:21], v31, v31
	v_addc_co_u32_e64 v31, s[36:37], 0, v16, s[36:37]
	v_mul_f32_e32 v38, v37, v59
	s_movk_i32 s36, 0x5000
	v_fma_f32 v34, -v36, v38, v37
	v_fmac_f32_e32 v38, v34, v59
	v_add_co_u32_e64 v34, s[26:27], s36, v39
	v_addc_co_u32_e64 v35, s[26:27], 0, v40, s[26:27]
	global_load_dwordx2 v[34:35], v[34:35], off
	v_fma_f32 v36, -v36, v38, v37
	v_div_fmas_f32 v38, v36, v59, v38
	v_div_scale_f32 v59, s[26:27], v51, v51, v55
	v_add_co_u32_e64 v32, s[34:35], s36, v15
	v_rcp_f32_e32 v60, v59
	v_addc_co_u32_e64 v33, s[34:35], 0, v16, s[34:35]
	s_movk_i32 s35, 0x7000
	v_add_co_u32_e32 v36, vcc, s35, v39
	v_addc_co_u32_e32 v37, vcc, 0, v40, vcc
	v_div_fixup_f32 v52, v38, v41, v52
	v_fma_f32 v38, -v59, v60, 1.0
	v_fmac_f32_e32 v60, v38, v60
	v_div_scale_f32 v61, vcc, v55, v51, v55
	v_mul_f32_e32 v62, v61, v60
	v_fma_f32 v38, -v59, v62, v61
	global_load_dword v58, v14, s[46:47]
	v_fmac_f32_e32 v62, v38, v60
	global_load_dwordx2 v[38:39], v42, s[48:49]
	global_load_dwordx2 v[40:41], v[36:37], off
	s_waitcnt vmcnt(4)
	v_bfe_u32 v42, v9, 16, 1
	v_fma_f32 v36, -v59, v62, v61
	v_bfe_u32 v37, v8, 16, 1
	v_add3_u32 v42, v9, v42, s50
	v_cmp_o_f32_e64 s[26:27], v9, v9
	v_div_scale_f32 v9, s[28:29], v43, v43, v54
	v_add3_u32 v37, v8, v37, s50
	v_div_fmas_f32 v36, v36, v60, v62
	v_cmp_o_f32_e32 vcc, v8, v8
	v_rcp_f32_e32 v8, v9
	v_and_b32_e32 v37, 0xffff0000, v37
	v_div_fixup_f32 v51, v36, v51, v55
	v_cndmask_b32_e32 v59, v12, v37, vcc
	v_fma_f32 v36, -v9, v8, 1.0
	v_fmac_f32_e32 v8, v36, v8
	v_div_scale_f32 v36, vcc, v54, v43, v54
	v_mul_f32_e32 v37, v36, v8
	v_fma_f32 v55, -v9, v37, v36
	v_fmac_f32_e32 v37, v55, v8
	v_div_scale_f32 v55, s[28:29], v59, v59, v57
	v_rcp_f32_e32 v60, v55
	v_fma_f32 v9, -v9, v37, v36
	v_div_fmas_f32 v8, v9, v8, v37
	v_div_fixup_f32 v54, v8, v43, v54
	v_fma_f32 v8, -v55, v60, 1.0
	v_fmac_f32_e32 v60, v8, v60
	v_div_scale_f32 v8, vcc, v57, v59, v57
	v_mul_f32_e32 v9, v8, v60
	v_and_b32_e32 v42, 0xffff0000, v42
	v_fma_f32 v36, -v55, v9, v8
	v_fmac_f32_e32 v9, v36, v60
	v_cndmask_b32_e64 v61, v12, v42, s[26:27]
	v_fma_f32 v8, -v55, v9, v8
	v_div_scale_f32 v55, s[26:27], v61, v61, v56
	v_div_fmas_f32 v8, v8, v60, v9
	v_rcp_f32_e32 v60, v55
	s_movk_i32 s34, 0x6000
	v_add_co_u32_e64 v36, s[28:29], s34, v15
	v_add_co_u32_e32 v42, vcc, s35, v15
	v_addc_co_u32_e64 v37, s[28:29], 0, v16, s[28:29]
	v_addc_co_u32_e32 v43, vcc, 0, v16, vcc
	v_div_fixup_f32 v16, v8, v59, v57
	v_fma_f32 v8, -v55, v60, 1.0
	v_fmac_f32_e32 v60, v8, v60
	v_div_scale_f32 v8, vcc, v56, v61, v56
	v_mul_f32_e32 v15, v8, v60
	v_fma_f32 v9, -v55, v15, v8
	v_fmac_f32_e32 v15, v9, v60
	v_lshlrev_b32_e32 v9, 2, v21
	global_load_dword v21, v[30:31], off offset:2048
	s_nop 0
	global_load_dword v30, v9, s[46:47]
	s_waitcnt vmcnt(5)
	v_bfe_u32 v31, v34, 16, 1
	v_add3_u32 v31, v34, v31, s50
	v_fma_f32 v8, -v55, v15, v8
	v_and_b32_e32 v31, 0xffff0000, v31
	v_cmp_o_f32_e64 s[26:27], v34, v34
	v_and_b32_e32 v57, 0xffff0000, v46
	v_lshlrev_b32_e32 v46, 16, v46
	v_cndmask_b32_e64 v31, v12, v31, s[26:27]
	v_div_fmas_f32 v8, v8, v60, v15
	v_div_fixup_f32 v34, v8, v61, v56
	v_div_scale_f32 v8, s[26:27], v31, v31, v46
	v_rcp_f32_e32 v55, v8
	v_bfe_u32 v15, v35, 16, 1
	v_add3_u32 v15, v35, v15, s50
	v_and_b32_e32 v56, 0xffff0000, v15
	v_fma_f32 v15, -v8, v55, 1.0
	v_fmac_f32_e32 v55, v15, v55
	v_div_scale_f32 v15, vcc, v46, v31, v46
	v_cmp_o_f32_e64 s[26:27], v35, v35
	v_mul_f32_e32 v35, v15, v55
	v_fma_f32 v59, -v8, v35, v15
	v_fmac_f32_e32 v35, v59, v55
	v_fma_f32 v60, -v8, v35, v15
	v_lshlrev_b32_e32 v15, 2, v44
	v_lshlrev_b32_e32 v8, 2, v45
	v_cndmask_b32_e64 v44, v12, v56, s[26:27]
	v_div_fmas_f32 v35, v60, v55, v35
	global_load_dword v56, v[32:33], off offset:2048
	global_load_dword v60, v15, s[46:47]
	global_load_dword v62, v[36:37], off offset:2048
	global_load_dword v63, v8, s[46:47]
                                        ; kill: killed $vgpr36 killed $vgpr37
                                        ; kill: killed $vgpr32 killed $vgpr33
                                        ; kill: killed $sgpr46 killed $sgpr47
	s_nop 0
	global_load_dword v32, v[42:43], off offset:2048
	v_div_scale_f32 v45, s[26:27], v44, v44, v57
	v_rcp_f32_e32 v55, v45
	v_div_fixup_f32 v31, v35, v31, v46
	s_waitcnt vmcnt(8)
	v_bfe_u32 v37, v38, 16, 1
	v_add3_u32 v37, v38, v37, s50
	v_fma_f32 v33, -v45, v55, 1.0
	v_fmac_f32_e32 v55, v33, v55
	v_div_scale_f32 v33, vcc, v57, v44, v57
	v_mul_f32_e32 v35, v33, v55
	v_fma_f32 v36, -v45, v35, v33
	v_fmac_f32_e32 v35, v36, v55
	v_and_b32_e32 v37, 0xffff0000, v37
	v_cmp_o_f32_e64 s[26:27], v38, v38
	v_and_b32_e32 v59, 0xffff0000, v47
	v_lshlrev_b32_e32 v47, 16, v47
	v_fma_f32 v33, -v45, v35, v33
	v_cndmask_b32_e64 v37, v12, v37, s[26:27]
	v_div_fmas_f32 v33, v33, v55, v35
	v_bfe_u32 v35, v39, 16, 1
	v_div_scale_f32 v38, s[26:27], v37, v37, v47
	v_add3_u32 v35, v39, v35, s50
	v_cmp_o_f32_e32 vcc, v39, v39
	v_rcp_f32_e32 v39, v38
	v_and_b32_e32 v35, 0xffff0000, v35
	v_cndmask_b32_e32 v35, v12, v35, vcc
	v_div_fixup_f32 v33, v33, v44, v57
	v_fma_f32 v43, -v38, v39, 1.0
	v_fmac_f32_e32 v39, v43, v39
	v_div_scale_f32 v43, vcc, v47, v37, v47
	v_mul_f32_e32 v44, v43, v39
	v_fma_f32 v45, -v38, v44, v43
	v_fmac_f32_e32 v44, v45, v39
	v_fma_f32 v38, -v38, v44, v43
	v_div_fmas_f32 v38, v38, v39, v44
	v_div_scale_f32 v39, s[26:27], v35, v35, v59
	v_rcp_f32_e32 v43, v39
	v_div_fixup_f32 v37, v38, v37, v47
	s_waitcnt vmcnt(7)
	v_cmp_o_f32_e64 s[26:27], v40, v40
	v_and_b32_e32 v61, 0xffff0000, v48
	v_fma_f32 v38, -v39, v43, 1.0
	v_fmac_f32_e32 v43, v38, v43
	v_div_scale_f32 v38, vcc, v59, v35, v59
	v_mul_f32_e32 v45, v38, v43
	v_fma_f32 v46, -v39, v45, v38
	v_fmac_f32_e32 v45, v46, v43
	v_fma_f32 v38, -v39, v45, v38
	v_bfe_u32 v39, v40, 16, 1
	v_add3_u32 v39, v40, v39, s50
	v_and_b32_e32 v39, 0xffff0000, v39
	v_lshlrev_b32_e32 v48, 16, v48
	v_cndmask_b32_e64 v39, v12, v39, s[26:27]
	v_div_fmas_f32 v38, v38, v43, v45
	v_bfe_u32 v40, v41, 16, 1
	v_div_scale_f32 v43, s[26:27], v39, v39, v48
	v_add3_u32 v40, v41, v40, s50
	v_cmp_o_f32_e32 vcc, v41, v41
	v_rcp_f32_e32 v41, v43
	v_and_b32_e32 v40, 0xffff0000, v40
	v_div_fixup_f32 v35, v38, v35, v59
	v_cndmask_b32_e32 v40, v12, v40, vcc
	v_fma_f32 v38, -v43, v41, 1.0
	v_fmac_f32_e32 v41, v38, v41
	v_div_scale_f32 v38, vcc, v48, v39, v48
	v_mul_f32_e32 v45, v38, v41
	v_fma_f32 v47, -v43, v45, v38
	v_fmac_f32_e32 v45, v47, v41
	v_fma_f32 v38, -v43, v45, v38
	v_div_fmas_f32 v38, v38, v41, v45
	v_div_scale_f32 v41, s[26:27], v40, v40, v61
	v_rcp_f32_e32 v43, v41
	v_div_fixup_f32 v38, v38, v39, v48
	v_cmp_o_f32_e64 s[26:27], v4, v4
	v_lshlrev_b32_e32 v42, 16, v58
	v_fma_f32 v39, -v41, v43, 1.0
	v_fmac_f32_e32 v43, v39, v43
	v_div_scale_f32 v39, vcc, v61, v40, v61
	v_mul_f32_e32 v48, v39, v43
	v_fma_f32 v55, -v41, v48, v39
	v_fmac_f32_e32 v48, v55, v43
	v_fma_f32 v39, -v41, v48, v39
	v_bfe_u32 v41, v4, 16, 1
	v_add3_u32 v41, v4, v41, s50
	v_and_b32_e32 v41, 0xffff0000, v41
	v_cndmask_b32_e64 v4, v12, v41, s[26:27]
	v_div_fmas_f32 v39, v39, v43, v48
	v_bfe_u32 v41, v5, 16, 1
	v_div_scale_f32 v43, s[26:27], v4, v4, v42
	v_add3_u32 v41, v5, v41, s50
	v_cmp_o_f32_e32 vcc, v5, v5
	v_rcp_f32_e32 v5, v43
	v_and_b32_e32 v41, 0xffff0000, v41
	v_div_fixup_f32 v39, v39, v40, v61
	v_cndmask_b32_e32 v41, v12, v41, vcc
	v_fma_f32 v40, -v43, v5, 1.0
	v_fmac_f32_e32 v5, v40, v5
	v_div_scale_f32 v40, vcc, v42, v4, v42
	s_waitcnt vmcnt(4)
	v_and_b32_e32 v45, 0xffff0000, v56
	v_lshlrev_b32_e32 v47, 16, v56
	v_mul_f32_e32 v56, v40, v5
	v_fma_f32 v57, -v43, v56, v40
	v_fmac_f32_e32 v56, v57, v5
	v_and_b32_e32 v36, 0xffff0000, v58
	v_fma_f32 v40, -v43, v56, v40
	v_div_fmas_f32 v5, v40, v5, v56
	v_div_scale_f32 v40, s[26:27], v41, v41, v36
	v_rcp_f32_e32 v43, v40
	v_div_fixup_f32 v4, v5, v4, v42
	v_cmp_o_f32_e64 s[26:27], v2, v2
	v_and_b32_e32 v44, 0xffff0000, v21
	v_fma_f32 v5, -v40, v43, 1.0
	v_fmac_f32_e32 v43, v5, v43
	v_div_scale_f32 v5, vcc, v36, v41, v36
	v_mul_f32_e32 v42, v5, v43
	v_fma_f32 v58, -v40, v42, v5
	v_fmac_f32_e32 v42, v58, v43
	v_fma_f32 v5, -v40, v42, v5
	v_bfe_u32 v40, v2, 16, 1
	v_add3_u32 v40, v2, v40, s50
	v_and_b32_e32 v40, 0xffff0000, v40
	v_lshlrev_b32_e32 v21, 16, v21
	v_cndmask_b32_e64 v2, v12, v40, s[26:27]
	v_div_fmas_f32 v5, v5, v43, v42
	v_div_fixup_f32 v5, v5, v41, v36
	v_div_scale_f32 v36, s[26:27], v2, v2, v21
	v_rcp_f32_e32 v40, v36
	v_bfe_u32 v41, v3, 16, 1
	v_add3_u32 v41, v3, v41, s50
	v_cmp_o_f32_e64 s[26:27], v3, v3
	v_fma_f32 v42, -v36, v40, 1.0
	v_fmac_f32_e32 v40, v42, v40
	v_div_scale_f32 v42, vcc, v21, v2, v21
	v_mul_f32_e32 v3, v42, v40
	v_fma_f32 v43, -v36, v3, v42
	v_fmac_f32_e32 v3, v43, v40
	v_fma_f32 v36, -v36, v3, v42
	v_bfe_u32 v42, v6, 16, 1
	v_and_b32_e32 v41, 0xffff0000, v41
	v_add3_u32 v42, v6, v42, s50
	v_cndmask_b32_e64 v41, v12, v41, s[26:27]
	v_cndmask_b32_e64 v17, v12, v17, s[6:7]
	v_and_b32_e32 v42, 0xffff0000, v42
	v_cmp_o_f32_e64 s[6:7], v6, v6
	v_cndmask_b32_e64 v6, v12, v42, s[6:7]
	v_div_fmas_f32 v3, v36, v40, v3
	v_bfe_u32 v36, v7, 16, 1
	v_div_scale_f32 v40, s[6:7], v41, v41, v44
	v_add3_u32 v36, v7, v36, s50
	v_cmp_o_f32_e32 vcc, v7, v7
	v_rcp_f32_e32 v7, v40
	v_and_b32_e32 v36, 0xffff0000, v36
	v_div_fixup_f32 v2, v3, v2, v21
	v_cndmask_b32_e32 v36, v12, v36, vcc
	v_fma_f32 v3, -v40, v7, 1.0
	v_fmac_f32_e32 v7, v3, v7
	v_div_scale_f32 v3, vcc, v44, v41, v44
	v_mul_f32_e32 v21, v3, v7
	v_fma_f32 v42, -v40, v21, v3
	v_fmac_f32_e32 v21, v42, v7
	v_and_b32_e32 v46, 0xffff0000, v30
	v_lshlrev_b32_e32 v30, 16, v30
	v_fma_f32 v3, -v40, v21, v3
	v_div_fmas_f32 v3, v3, v7, v21
	v_div_scale_f32 v7, s[6:7], v17, v17, v30
	v_rcp_f32_e32 v21, v7
	v_cndmask_b32_e64 v18, v12, v18, s[8:9]
	s_mov_b32 s8, 0x800000
	v_mov_b32_e32 v42, 0x800000
	v_cmp_ngt_f32_e32 vcc, s8, v27
	v_fma_f32 v40, -v7, v21, 1.0
	v_cndmask_b32_e32 v27, v42, v27, vcc
	v_fmac_f32_e32 v21, v40, v21
	v_div_scale_f32 v40, vcc, v30, v17, v30
	v_div_fixup_f32 v3, v3, v41, v44
	v_mul_f32_e32 v41, v40, v21
	s_mov_b32 s9, 0x3f7ffffe
	v_fma_f32 v44, -v7, v41, v40
	v_fmac_f32_e32 v41, v44, v21
	v_mov_b32_e32 v44, 0x3f7ffffe
	v_cmp_nlt_f32_e64 s[6:7], s9, v27
	v_cndmask_b32_e64 v27, v44, v27, s[6:7]
	v_cmp_ngt_f32_e64 s[6:7], s8, v29
	v_cndmask_b32_e64 v29, v42, v29, s[6:7]
	v_cmp_nlt_f32_e64 s[6:7], s9, v29
	v_cndmask_b32_e64 v29, v44, v29, s[6:7]
	v_cmp_ngt_f32_e64 s[6:7], s8, v49
	v_cndmask_b32_e64 v49, v42, v49, s[6:7]
	;; [unrolled: 4-line block ×18, first 2 shown]
	v_cmp_nlt_f32_e64 s[6:7], s9, v2
	s_waitcnt vmcnt(3)
	v_and_b32_e32 v55, 0xffff0000, v60
	v_lshlrev_b32_e32 v48, 16, v60
	v_cndmask_b32_e64 v60, v44, v2, s[6:7]
	v_cmp_ngt_f32_e64 s[6:7], s8, v3
	v_cndmask_b32_e64 v2, v42, v3, s[6:7]
	v_cmp_nlt_f32_e64 s[6:7], s9, v2
	v_cndmask_b32_e64 v61, v44, v2, s[6:7]
	v_fma_f32 v2, -v7, v41, v40
	v_div_fmas_f32 v2, v2, v21, v41
	v_div_scale_f32 v3, s[6:7], v18, v18, v46
	v_div_fixup_f32 v2, v2, v17, v30
	v_rcp_f32_e32 v7, v3
	v_cmp_ngt_f32_e32 vcc, s8, v2
	v_cndmask_b32_e32 v2, v42, v2, vcc
	v_cmp_nlt_f32_e32 vcc, s9, v2
	v_cndmask_b32_e32 v17, v44, v2, vcc
	v_fma_f32 v2, -v3, v7, 1.0
	v_fmac_f32_e32 v7, v2, v7
	v_div_scale_f32 v2, vcc, v46, v18, v46
	v_mul_f32_e32 v21, v2, v7
	v_fma_f32 v30, -v3, v21, v2
	v_fmac_f32_e32 v21, v30, v7
	v_cndmask_b32_e64 v19, v12, v19, s[10:11]
	v_fma_f32 v2, -v3, v21, v2
	v_div_fmas_f32 v2, v2, v7, v21
	v_div_scale_f32 v3, s[6:7], v19, v19, v47
	v_div_fixup_f32 v2, v2, v18, v46
	v_rcp_f32_e32 v7, v3
	v_cmp_ngt_f32_e32 vcc, s8, v2
	v_cndmask_b32_e32 v2, v42, v2, vcc
	v_cmp_nlt_f32_e32 vcc, s9, v2
	v_cndmask_b32_e32 v18, v44, v2, vcc
	v_fma_f32 v2, -v3, v7, 1.0
	v_fmac_f32_e32 v7, v2, v7
	v_div_scale_f32 v2, vcc, v47, v19, v47
	v_mul_f32_e32 v21, v2, v7
	v_fma_f32 v30, -v3, v21, v2
	v_fmac_f32_e32 v21, v30, v7
	v_cndmask_b32_e64 v20, v12, v20, s[12:13]
	v_fma_f32 v2, -v3, v21, v2
	v_div_fmas_f32 v2, v2, v7, v21
	v_div_scale_f32 v3, s[6:7], v20, v20, v45
	v_div_fixup_f32 v2, v2, v19, v47
	v_rcp_f32_e32 v7, v3
	v_cmp_ngt_f32_e32 vcc, s8, v2
	v_cndmask_b32_e32 v2, v42, v2, vcc
	v_cmp_nlt_f32_e32 vcc, s9, v2
	v_cndmask_b32_e32 v19, v44, v2, vcc
	v_fma_f32 v2, -v3, v7, 1.0
	v_fmac_f32_e32 v7, v2, v7
	v_div_scale_f32 v2, vcc, v45, v20, v45
	v_mul_f32_e32 v21, v2, v7
	v_fma_f32 v30, -v3, v21, v2
	v_and_b32_e32 v22, 0xffff0000, v22
	v_fmac_f32_e32 v21, v30, v7
	v_cndmask_b32_e64 v22, v12, v22, s[14:15]
	v_fma_f32 v2, -v3, v21, v2
	v_div_fmas_f32 v2, v2, v7, v21
	v_div_scale_f32 v3, s[6:7], v22, v22, v48
	v_div_fixup_f32 v2, v2, v20, v45
	v_rcp_f32_e32 v7, v3
	v_cmp_ngt_f32_e32 vcc, s8, v2
	v_cndmask_b32_e32 v2, v42, v2, vcc
	v_cmp_nlt_f32_e32 vcc, s9, v2
	v_cndmask_b32_e32 v20, v44, v2, vcc
	v_fma_f32 v2, -v3, v7, 1.0
	v_fmac_f32_e32 v7, v2, v7
	v_div_scale_f32 v2, vcc, v48, v22, v48
	v_mul_f32_e32 v21, v2, v7
	v_fma_f32 v30, -v3, v21, v2
	v_and_b32_e32 v23, 0xffff0000, v23
	;; [unrolled: 17-line block ×3, first 2 shown]
	v_fmac_f32_e32 v22, v30, v7
	s_waitcnt vmcnt(2)
	v_lshlrev_b32_e32 v57, 16, v62
	v_cndmask_b32_e64 v24, v12, v24, s[18:19]
	v_fma_f32 v2, -v3, v22, v2
	v_div_fmas_f32 v2, v2, v7, v22
	v_div_scale_f32 v3, s[6:7], v24, v24, v57
	v_div_fixup_f32 v2, v2, v23, v55
	v_rcp_f32_e32 v7, v3
	v_cmp_ngt_f32_e32 vcc, s8, v2
	v_cndmask_b32_e32 v2, v42, v2, vcc
	v_cmp_nlt_f32_e32 vcc, s9, v2
	v_cndmask_b32_e32 v22, v44, v2, vcc
	v_fma_f32 v2, -v3, v7, 1.0
	v_fmac_f32_e32 v7, v2, v7
	v_div_scale_f32 v2, vcc, v57, v24, v57
	v_mul_f32_e32 v23, v2, v7
	v_fma_f32 v30, -v3, v23, v2
	v_and_b32_e32 v25, 0xffff0000, v25
	v_fmac_f32_e32 v23, v30, v7
	v_and_b32_e32 v56, 0xffff0000, v62
	v_cndmask_b32_e64 v25, v12, v25, s[20:21]
	v_fma_f32 v2, -v3, v23, v2
	v_div_fmas_f32 v2, v2, v7, v23
	v_div_scale_f32 v3, s[6:7], v25, v25, v56
	v_div_fixup_f32 v2, v2, v24, v57
	v_rcp_f32_e32 v7, v3
	v_cmp_ngt_f32_e32 vcc, s8, v2
	v_cndmask_b32_e32 v2, v42, v2, vcc
	v_cmp_nlt_f32_e32 vcc, s9, v2
	v_cndmask_b32_e32 v23, v44, v2, vcc
	v_fma_f32 v2, -v3, v7, 1.0
	v_fmac_f32_e32 v7, v2, v7
	v_div_scale_f32 v2, vcc, v56, v25, v56
	v_mul_f32_e32 v24, v2, v7
	v_fma_f32 v30, -v3, v24, v2
	v_and_b32_e32 v26, 0xffff0000, v26
	v_fmac_f32_e32 v24, v30, v7
	s_waitcnt vmcnt(1)
	v_lshlrev_b32_e32 v59, 16, v63
	v_cndmask_b32_e64 v26, v12, v26, s[22:23]
	v_fma_f32 v2, -v3, v24, v2
	v_div_fmas_f32 v2, v2, v7, v24
	v_div_scale_f32 v3, s[6:7], v26, v26, v59
	v_div_fixup_f32 v2, v2, v25, v56
	v_rcp_f32_e32 v7, v3
	v_cmp_ngt_f32_e32 vcc, s8, v2
	v_cndmask_b32_e32 v2, v42, v2, vcc
	v_cmp_nlt_f32_e32 vcc, s9, v2
	v_cndmask_b32_e32 v24, v44, v2, vcc
	v_fma_f32 v2, -v3, v7, 1.0
	v_fmac_f32_e32 v7, v2, v7
	v_div_scale_f32 v2, vcc, v59, v26, v59
	v_mul_f32_e32 v25, v2, v7
	v_fma_f32 v30, -v3, v25, v2
	v_fmac_f32_e32 v25, v30, v7
	v_and_b32_e32 v58, 0xffff0000, v63
	v_cndmask_b32_e64 v28, v12, v28, s[24:25]
	v_fma_f32 v2, -v3, v25, v2
	v_div_fmas_f32 v2, v2, v7, v25
	v_div_scale_f32 v3, s[6:7], v28, v28, v58
	v_div_fixup_f32 v2, v2, v26, v59
	v_rcp_f32_e32 v7, v3
	v_cmp_ngt_f32_e32 vcc, s8, v2
	v_cndmask_b32_e32 v2, v42, v2, vcc
	v_cmp_nlt_f32_e32 vcc, s9, v2
	v_cndmask_b32_e32 v25, v44, v2, vcc
	v_fma_f32 v2, -v3, v7, 1.0
	v_fmac_f32_e32 v7, v2, v7
	v_div_scale_f32 v2, vcc, v58, v28, v58
	v_mul_f32_e32 v26, v2, v7
	v_fma_f32 v30, -v3, v26, v2
	v_fmac_f32_e32 v26, v30, v7
	s_waitcnt vmcnt(0)
	v_and_b32_e32 v43, 0xffff0000, v32
	v_lshlrev_b32_e32 v32, 16, v32
	v_fma_f32 v2, -v3, v26, v2
	v_div_fmas_f32 v2, v2, v7, v26
	v_div_scale_f32 v3, s[6:7], v6, v6, v32
	v_div_fixup_f32 v2, v2, v28, v58
	v_rcp_f32_e32 v7, v3
	v_cmp_ngt_f32_e32 vcc, s8, v2
	v_cndmask_b32_e32 v2, v42, v2, vcc
	v_cmp_nlt_f32_e32 vcc, s9, v2
	v_cndmask_b32_e32 v26, v44, v2, vcc
	v_fma_f32 v2, -v3, v7, 1.0
	v_fmac_f32_e32 v7, v2, v7
	v_div_scale_f32 v2, vcc, v32, v6, v32
	v_mul_f32_e32 v28, v2, v7
	v_fma_f32 v30, -v3, v28, v2
	v_fmac_f32_e32 v28, v30, v7
	v_fma_f32 v2, -v3, v28, v2
	v_div_fmas_f32 v2, v2, v7, v28
	v_div_scale_f32 v3, s[6:7], v36, v36, v43
	v_div_fixup_f32 v2, v2, v6, v32
	v_rcp_f32_e32 v6, v3
	v_cmp_ngt_f32_e32 vcc, s8, v2
	v_cndmask_b32_e32 v2, v42, v2, vcc
	v_cmp_nlt_f32_e32 vcc, s9, v2
	v_cndmask_b32_e32 v7, v44, v2, vcc
	v_fma_f32 v2, -v3, v6, 1.0
	v_fmac_f32_e32 v6, v2, v6
	v_div_scale_f32 v2, vcc, v43, v36, v43
	v_mul_f32_e32 v28, v2, v6
	v_fma_f32 v30, -v3, v28, v2
	v_fmac_f32_e32 v28, v30, v6
	v_fma_f32 v2, -v3, v28, v2
	v_div_fmas_f32 v2, v2, v6, v28
	v_div_fixup_f32 v2, v2, v36, v43
	v_cmp_ngt_f32_e32 vcc, s8, v2
	v_cndmask_b32_e32 v2, v42, v2, vcc
	s_add_u32 s6, s40, s44
	v_cmp_nlt_f32_e32 vcc, s9, v2
	s_addc_u32 s7, s41, s45
	v_cndmask_b32_e32 v6, v44, v2, vcc
	v_bfe_u32 v3, v29, 16, 1
	v_mov_b32_e32 v28, s7
	v_add_co_u32_e32 v30, vcc, s6, v10
	v_bfe_u32 v2, v27, 16, 1
	v_add3_u32 v3, v29, v3, s50
	v_addc_co_u32_e32 v28, vcc, 0, v28, vcc
	v_add3_u32 v2, v27, v2, s50
	v_and_b32_e32 v3, 0xffff0000, v3
	v_cmp_o_f32_e32 vcc, v29, v29
	v_lshrrev_b32_e32 v2, 16, v2
	v_cndmask_b32_e32 v3, v12, v3, vcc
	v_mov_b32_e32 v29, 0x7fc0
	v_cmp_o_f32_e32 vcc, v27, v27
	v_cndmask_b32_e32 v2, v29, v2, vcc
	v_or_b32_e32 v2, v3, v2
	v_bfe_u32 v3, v50, 16, 1
	global_store_dword v10, v2, s[6:7]
	v_bfe_u32 v2, v49, 16, 1
	v_add3_u32 v3, v50, v3, s50
	v_add3_u32 v2, v49, v2, s50
	v_and_b32_e32 v3, 0xffff0000, v3
	v_cmp_o_f32_e32 vcc, v50, v50
	v_lshrrev_b32_e32 v2, 16, v2
	v_cndmask_b32_e32 v3, v12, v3, vcc
	v_cmp_o_f32_e32 vcc, v49, v49
	v_cndmask_b32_e32 v2, v29, v2, vcc
	v_or_b32_e32 v2, v3, v2
	v_bfe_u32 v3, v52, 16, 1
	global_store_dword v10, v2, s[6:7] offset:2048
	v_bfe_u32 v2, v53, 16, 1
	v_add3_u32 v3, v52, v3, s50
	v_add3_u32 v2, v53, v2, s50
	v_and_b32_e32 v3, 0xffff0000, v3
	v_cmp_o_f32_e32 vcc, v52, v52
	v_lshrrev_b32_e32 v2, 16, v2
	v_cndmask_b32_e32 v3, v12, v3, vcc
	v_cmp_o_f32_e32 vcc, v53, v53
	v_cndmask_b32_e32 v2, v29, v2, vcc
	v_or_b32_e32 v2, v3, v2
	v_bfe_u32 v3, v54, 16, 1
	global_store_dword v11, v2, s[6:7]
	v_bfe_u32 v2, v51, 16, 1
	v_add3_u32 v3, v54, v3, s50
	v_add3_u32 v2, v51, v2, s50
	v_and_b32_e32 v3, 0xffff0000, v3
	v_cmp_o_f32_e32 vcc, v54, v54
	v_lshrrev_b32_e32 v2, 16, v2
	v_cndmask_b32_e32 v3, v12, v3, vcc
	v_cmp_o_f32_e32 vcc, v51, v51
	v_cndmask_b32_e32 v2, v29, v2, vcc
	v_or_b32_e32 v10, v3, v2
	v_add_co_u32_e32 v2, vcc, s33, v30
	v_addc_co_u32_e32 v3, vcc, 0, v28, vcc
	global_store_dword v[2:3], v10, off offset:2048
	v_bfe_u32 v3, v34, 16, 1
	v_bfe_u32 v2, v16, 16, 1
	v_add3_u32 v3, v34, v3, s50
	v_add3_u32 v2, v16, v2, s50
	v_and_b32_e32 v3, 0xffff0000, v3
	v_cmp_o_f32_e32 vcc, v34, v34
	v_lshrrev_b32_e32 v2, 16, v2
	v_cndmask_b32_e32 v3, v12, v3, vcc
	v_cmp_o_f32_e32 vcc, v16, v16
	v_cndmask_b32_e32 v2, v29, v2, vcc
	v_or_b32_e32 v2, v3, v2
	global_store_dword v1, v2, s[6:7]
	v_bfe_u32 v2, v33, 16, 1
	v_bfe_u32 v1, v31, 16, 1
	v_add3_u32 v2, v33, v2, s50
	v_add3_u32 v1, v31, v1, s50
	v_and_b32_e32 v2, 0xffff0000, v2
	v_cmp_o_f32_e32 vcc, v33, v33
	v_lshrrev_b32_e32 v1, 16, v1
	v_cndmask_b32_e32 v2, v12, v2, vcc
	v_cmp_o_f32_e32 vcc, v31, v31
	v_cndmask_b32_e32 v1, v29, v1, vcc
	v_or_b32_e32 v1, v2, v1
	v_add_co_u32_e32 v2, vcc, s51, v30
	v_addc_co_u32_e32 v3, vcc, 0, v28, vcc
	global_store_dword v[2:3], v1, off offset:2048
	v_bfe_u32 v2, v35, 16, 1
	v_bfe_u32 v1, v37, 16, 1
	v_add3_u32 v2, v35, v2, s50
	v_add3_u32 v1, v37, v1, s50
	v_and_b32_e32 v2, 0xffff0000, v2
	v_cmp_o_f32_e32 vcc, v35, v35
	v_lshrrev_b32_e32 v1, 16, v1
	v_cndmask_b32_e32 v2, v12, v2, vcc
	v_cmp_o_f32_e32 vcc, v37, v37
	v_cndmask_b32_e32 v1, v29, v1, vcc
	v_or_b32_e32 v1, v2, v1
	v_bfe_u32 v2, v39, 16, 1
	global_store_dword v13, v1, s[6:7]
	v_bfe_u32 v1, v38, 16, 1
	v_add3_u32 v2, v39, v2, s50
	v_add3_u32 v1, v38, v1, s50
	v_and_b32_e32 v2, 0xffff0000, v2
	v_cmp_o_f32_e32 vcc, v39, v39
	v_lshrrev_b32_e32 v1, 16, v1
	v_cndmask_b32_e32 v2, v12, v2, vcc
	v_cmp_o_f32_e32 vcc, v38, v38
	v_cndmask_b32_e32 v1, v29, v1, vcc
	v_or_b32_e32 v1, v2, v1
	v_add_co_u32_e32 v2, vcc, s52, v30
	v_addc_co_u32_e32 v3, vcc, 0, v28, vcc
	global_store_dword v[2:3], v1, off offset:2048
	v_bfe_u32 v2, v5, 16, 1
	v_bfe_u32 v1, v4, 16, 1
	v_add3_u32 v2, v5, v2, s50
	v_add3_u32 v1, v4, v1, s50
	v_and_b32_e32 v2, 0xffff0000, v2
	v_cmp_o_f32_e32 vcc, v5, v5
	v_lshrrev_b32_e32 v1, 16, v1
	v_cndmask_b32_e32 v2, v12, v2, vcc
	v_cmp_o_f32_e32 vcc, v4, v4
	v_cndmask_b32_e32 v1, v29, v1, vcc
	v_or_b32_e32 v1, v2, v1
	v_bfe_u32 v2, v61, 16, 1
	global_store_dword v14, v1, s[6:7]
	;; [unrolled: 26-line block ×5, first 2 shown]
	v_bfe_u32 v1, v7, 16, 1
	v_add3_u32 v2, v6, v2, s50
	v_add3_u32 v1, v7, v1, s50
	v_and_b32_e32 v2, 0xffff0000, v2
	v_cmp_o_f32_e32 vcc, v6, v6
	v_lshrrev_b32_e32 v1, 16, v1
	v_cndmask_b32_e32 v2, v12, v2, vcc
	v_cmp_o_f32_e32 vcc, v7, v7
	v_cndmask_b32_e32 v1, v29, v1, vcc
	v_or_b32_e32 v1, v2, v1
	v_add_co_u32_e32 v2, vcc, 0x7000, v30
	v_addc_co_u32_e32 v3, vcc, 0, v28, vcc
	global_store_dword v[2:3], v1, off offset:2048
	s_cbranch_execnz .LBB23_2
.LBB23_4:
	s_load_dword s6, s[4:5], 0x24
	s_load_dwordx4 s[16:19], s[4:5], 0x28
	s_add_u32 s8, s4, 56
	s_addc_u32 s9, s5, 0
	s_mov_b32 s12, s30
	s_waitcnt lgkmcnt(0)
	v_lshrrev_b16_e64 v8, 8, s6
	v_mov_b32_e32 v31, v0
	v_mov_b32_e32 v0, s40
	;; [unrolled: 1-line block ×13, first 2 shown]
	s_getpc_b64 s[4:5]
	s_add_u32 s4, s4, _ZN2at6native25elementwise_kernel_helperILb1EZZZNS0_23launch_dirichlet_kernelERNS_18TensorIteratorBaseEENKUlvE_clEvENKUlvE0_clEvEUlffE_NS0_6memory8policies11unroll_baseILi512ESt5arrayIPcLm3EE23TrivialOffsetCalculatorILi2EjESD_ILi1EjENS7_12LoadWithCastILi2EEENS7_13StoreWithCastILi1EEELi32ELi1EEEEEvT0_T1_@rel32@lo+4
	s_addc_u32 s5, s5, _ZN2at6native25elementwise_kernel_helperILb1EZZZNS0_23launch_dirichlet_kernelERNS_18TensorIteratorBaseEENKUlvE_clEvENKUlvE0_clEvEUlffE_NS0_6memory8policies11unroll_baseILi512ESt5arrayIPcLm3EE23TrivialOffsetCalculatorILi2EjESD_ILi1EjENS7_12LoadWithCastILi2EEENS7_13StoreWithCastILi1EEELi32ELi1EEEEEvT0_T1_@rel32@hi+12
	s_swappc_b64 s[30:31], s[4:5]
	s_endpgm
	.section	.rodata,"a",@progbits
	.p2align	6, 0x0
	.amdhsa_kernel _ZN2at6native39vectorized_templated_elementwise_kernelILi2EZZZNS0_23launch_dirichlet_kernelERNS_18TensorIteratorBaseEENKUlvE_clEvENKUlvE0_clEvEUlffE_St5arrayIPcLm3EE23TrivialOffsetCalculatorILi2EjESA_ILi1EjENS0_6memory12LoadWithCastILi2EEENSD_13StoreWithCastILi1EEEN3c108BFloat16EJSJ_fEEEviT0_T1_T2_T3_T4_T5_
		.amdhsa_group_segment_fixed_size 0
		.amdhsa_private_segment_fixed_size 288
		.amdhsa_kernarg_size 312
		.amdhsa_user_sgpr_count 8
		.amdhsa_user_sgpr_private_segment_buffer 1
		.amdhsa_user_sgpr_dispatch_ptr 0
		.amdhsa_user_sgpr_queue_ptr 0
		.amdhsa_user_sgpr_kernarg_segment_ptr 1
		.amdhsa_user_sgpr_dispatch_id 0
		.amdhsa_user_sgpr_flat_scratch_init 1
		.amdhsa_user_sgpr_kernarg_preload_length 0
		.amdhsa_user_sgpr_kernarg_preload_offset 0
		.amdhsa_user_sgpr_private_segment_size 0
		.amdhsa_uses_dynamic_stack 0
		.amdhsa_system_sgpr_private_segment_wavefront_offset 1
		.amdhsa_system_sgpr_workgroup_id_x 1
		.amdhsa_system_sgpr_workgroup_id_y 0
		.amdhsa_system_sgpr_workgroup_id_z 0
		.amdhsa_system_sgpr_workgroup_info 0
		.amdhsa_system_vgpr_workitem_id 0
		.amdhsa_next_free_vgpr 118
		.amdhsa_next_free_sgpr 98
		.amdhsa_accum_offset 120
		.amdhsa_reserve_vcc 1
		.amdhsa_reserve_flat_scratch 1
		.amdhsa_float_round_mode_32 0
		.amdhsa_float_round_mode_16_64 0
		.amdhsa_float_denorm_mode_32 3
		.amdhsa_float_denorm_mode_16_64 3
		.amdhsa_dx10_clamp 1
		.amdhsa_ieee_mode 1
		.amdhsa_fp16_overflow 0
		.amdhsa_tg_split 0
		.amdhsa_exception_fp_ieee_invalid_op 0
		.amdhsa_exception_fp_denorm_src 0
		.amdhsa_exception_fp_ieee_div_zero 0
		.amdhsa_exception_fp_ieee_overflow 0
		.amdhsa_exception_fp_ieee_underflow 0
		.amdhsa_exception_fp_ieee_inexact 0
		.amdhsa_exception_int_div_zero 0
	.end_amdhsa_kernel
	.section	.text._ZN2at6native39vectorized_templated_elementwise_kernelILi2EZZZNS0_23launch_dirichlet_kernelERNS_18TensorIteratorBaseEENKUlvE_clEvENKUlvE0_clEvEUlffE_St5arrayIPcLm3EE23TrivialOffsetCalculatorILi2EjESA_ILi1EjENS0_6memory12LoadWithCastILi2EEENSD_13StoreWithCastILi1EEEN3c108BFloat16EJSJ_fEEEviT0_T1_T2_T3_T4_T5_,"axG",@progbits,_ZN2at6native39vectorized_templated_elementwise_kernelILi2EZZZNS0_23launch_dirichlet_kernelERNS_18TensorIteratorBaseEENKUlvE_clEvENKUlvE0_clEvEUlffE_St5arrayIPcLm3EE23TrivialOffsetCalculatorILi2EjESA_ILi1EjENS0_6memory12LoadWithCastILi2EEENSD_13StoreWithCastILi1EEEN3c108BFloat16EJSJ_fEEEviT0_T1_T2_T3_T4_T5_,comdat
.Lfunc_end23:
	.size	_ZN2at6native39vectorized_templated_elementwise_kernelILi2EZZZNS0_23launch_dirichlet_kernelERNS_18TensorIteratorBaseEENKUlvE_clEvENKUlvE0_clEvEUlffE_St5arrayIPcLm3EE23TrivialOffsetCalculatorILi2EjESA_ILi1EjENS0_6memory12LoadWithCastILi2EEENSD_13StoreWithCastILi1EEEN3c108BFloat16EJSJ_fEEEviT0_T1_T2_T3_T4_T5_, .Lfunc_end23-_ZN2at6native39vectorized_templated_elementwise_kernelILi2EZZZNS0_23launch_dirichlet_kernelERNS_18TensorIteratorBaseEENKUlvE_clEvENKUlvE0_clEvEUlffE_St5arrayIPcLm3EE23TrivialOffsetCalculatorILi2EjESA_ILi1EjENS0_6memory12LoadWithCastILi2EEENSD_13StoreWithCastILi1EEEN3c108BFloat16EJSJ_fEEEviT0_T1_T2_T3_T4_T5_
                                        ; -- End function
	.section	.AMDGPU.csdata,"",@progbits
; Kernel info:
; codeLenInByte = 6772
; NumSgprs: 104
; NumVgprs: 118
; NumAgprs: 0
; TotalNumVgprs: 118
; ScratchSize: 288
; MemoryBound: 0
; FloatMode: 240
; IeeeMode: 1
; LDSByteSize: 0 bytes/workgroup (compile time only)
; SGPRBlocks: 12
; VGPRBlocks: 14
; NumSGPRsForWavesPerEU: 104
; NumVGPRsForWavesPerEU: 118
; AccumOffset: 120
; Occupancy: 4
; WaveLimiterHint : 0
; COMPUTE_PGM_RSRC2:SCRATCH_EN: 1
; COMPUTE_PGM_RSRC2:USER_SGPR: 8
; COMPUTE_PGM_RSRC2:TRAP_HANDLER: 0
; COMPUTE_PGM_RSRC2:TGID_X_EN: 1
; COMPUTE_PGM_RSRC2:TGID_Y_EN: 0
; COMPUTE_PGM_RSRC2:TGID_Z_EN: 0
; COMPUTE_PGM_RSRC2:TIDIG_COMP_CNT: 0
; COMPUTE_PGM_RSRC3_GFX90A:ACCUM_OFFSET: 29
; COMPUTE_PGM_RSRC3_GFX90A:TG_SPLIT: 0
	.section	.text._ZN2at6native39vectorized_templated_elementwise_kernelILi8EZZZNS0_23launch_dirichlet_kernelERNS_18TensorIteratorBaseEENKUlvE_clEvENKUlvE0_clEvEUlffE_St5arrayIPcLm3EE23TrivialOffsetCalculatorILi2EjESA_ILi1EjENS0_6memory12LoadWithCastILi2EEENSD_13StoreWithCastILi1EEEfJfN3c104HalfEEEEviT0_T1_T2_T3_T4_T5_,"axG",@progbits,_ZN2at6native39vectorized_templated_elementwise_kernelILi8EZZZNS0_23launch_dirichlet_kernelERNS_18TensorIteratorBaseEENKUlvE_clEvENKUlvE0_clEvEUlffE_St5arrayIPcLm3EE23TrivialOffsetCalculatorILi2EjESA_ILi1EjENS0_6memory12LoadWithCastILi2EEENSD_13StoreWithCastILi1EEEfJfN3c104HalfEEEEviT0_T1_T2_T3_T4_T5_,comdat
	.globl	_ZN2at6native39vectorized_templated_elementwise_kernelILi8EZZZNS0_23launch_dirichlet_kernelERNS_18TensorIteratorBaseEENKUlvE_clEvENKUlvE0_clEvEUlffE_St5arrayIPcLm3EE23TrivialOffsetCalculatorILi2EjESA_ILi1EjENS0_6memory12LoadWithCastILi2EEENSD_13StoreWithCastILi1EEEfJfN3c104HalfEEEEviT0_T1_T2_T3_T4_T5_ ; -- Begin function _ZN2at6native39vectorized_templated_elementwise_kernelILi8EZZZNS0_23launch_dirichlet_kernelERNS_18TensorIteratorBaseEENKUlvE_clEvENKUlvE0_clEvEUlffE_St5arrayIPcLm3EE23TrivialOffsetCalculatorILi2EjESA_ILi1EjENS0_6memory12LoadWithCastILi2EEENSD_13StoreWithCastILi1EEEfJfN3c104HalfEEEEviT0_T1_T2_T3_T4_T5_
	.p2align	8
	.type	_ZN2at6native39vectorized_templated_elementwise_kernelILi8EZZZNS0_23launch_dirichlet_kernelERNS_18TensorIteratorBaseEENKUlvE_clEvENKUlvE0_clEvEUlffE_St5arrayIPcLm3EE23TrivialOffsetCalculatorILi2EjESA_ILi1EjENS0_6memory12LoadWithCastILi2EEENSD_13StoreWithCastILi1EEEfJfN3c104HalfEEEEviT0_T1_T2_T3_T4_T5_,@function
_ZN2at6native39vectorized_templated_elementwise_kernelILi8EZZZNS0_23launch_dirichlet_kernelERNS_18TensorIteratorBaseEENKUlvE_clEvENKUlvE0_clEvEUlffE_St5arrayIPcLm3EE23TrivialOffsetCalculatorILi2EjESA_ILi1EjENS0_6memory12LoadWithCastILi2EEENSD_13StoreWithCastILi1EEEfJfN3c104HalfEEEEviT0_T1_T2_T3_T4_T5_: ; @_ZN2at6native39vectorized_templated_elementwise_kernelILi8EZZZNS0_23launch_dirichlet_kernelERNS_18TensorIteratorBaseEENKUlvE_clEvENKUlvE0_clEvEUlffE_St5arrayIPcLm3EE23TrivialOffsetCalculatorILi2EjESA_ILi1EjENS0_6memory12LoadWithCastILi2EEENSD_13StoreWithCastILi1EEEfJfN3c104HalfEEEEviT0_T1_T2_T3_T4_T5_
; %bb.0:
	s_add_u32 flat_scratch_lo, s6, s9
	s_addc_u32 flat_scratch_hi, s7, 0
	s_add_u32 s0, s0, s9
	s_load_dword s6, s[4:5], 0x38
	s_load_dwordx2 s[10:11], s[4:5], 0x18
	s_load_dword s7, s[4:5], 0x0
	s_load_dwordx4 s[16:19], s[4:5], 0x8
	s_addc_u32 s1, s1, 0
	s_mov_b32 s12, s8
	s_not_b32 s8, s8
	s_waitcnt lgkmcnt(0)
	s_add_i32 s6, s6, s8
	s_lshl_b32 s8, s6, 14
	s_sub_i32 s13, s7, s8
	s_cmpk_gt_i32 s13, 0x3fff
	s_mov_b64 s[6:7], -1
	s_mov_b32 s32, 0
	s_cbranch_scc1 .LBB24_3
; %bb.1:
	s_andn2_b64 vcc, exec, s[6:7]
	s_cbranch_vccz .LBB24_4
.LBB24_2:
	s_endpgm
.LBB24_3:
	s_ashr_i32 s9, s8, 31
	s_lshl_b64 s[6:7], s[8:9], 2
	s_add_u32 s20, s18, s6
	s_addc_u32 s21, s19, s7
	s_lshl_b64 s[8:9], s[8:9], 1
	s_add_u32 s8, s10, s8
	s_addc_u32 s9, s11, s9
	v_lshlrev_b32_e32 v20, 4, v0
	global_load_dwordx4 v[10:13], v20, s[8:9]
	v_lshlrev_b32_e32 v1, 5, v0
	global_load_dwordx4 v[2:5], v1, s[20:21]
	global_load_dwordx4 v[6:9], v1, s[20:21] offset:16
	v_mov_b32_e32 v15, s21
	v_add_co_u32_e32 v24, vcc, s20, v1
	v_addc_co_u32_e32 v25, vcc, 0, v15, vcc
	v_add_co_u32_e32 v18, vcc, 0x4000, v24
	v_addc_co_u32_e32 v19, vcc, 0, v25, vcc
	;; [unrolled: 2-line block ×3, first 2 shown]
	v_mov_b32_e32 v21, s9
	s_add_u32 s14, s16, s6
	v_add_co_u32_e32 v33, vcc, s8, v20
	v_addc_co_u32_e32 v42, vcc, 0, v21, vcc
	s_addc_u32 s15, s17, s7
	v_mov_b32_e32 v20, s15
	v_add_co_u32_e32 v32, vcc, s14, v1
	v_addc_co_u32_e32 v31, vcc, 0, v20, vcc
	v_or_b32_e32 v14, 0x400, v0
	v_lshlrev_b32_e32 v28, 5, v14
	v_lshlrev_b32_e32 v14, 4, v14
	global_load_dwordx4 v[14:17], v14, s[8:9]
	s_mov_b32 s23, 0x800000
	v_mov_b32_e32 v29, 0x800000
	s_mov_b32 s24, 0x3f7ffffe
	v_mov_b32_e32 v30, 0x3f7ffffe
	s_movk_i32 s22, 0x4000
	s_mov_b32 s25, 0xc000
	s_waitcnt vmcnt(3)
	v_cvt_f32_f16_sdwa v20, v10 dst_sel:DWORD dst_unused:UNUSED_PAD src0_sel:WORD_1
	v_cvt_f32_f16_e32 v10, v10
	v_cvt_f32_f16_sdwa v21, v11 dst_sel:DWORD dst_unused:UNUSED_PAD src0_sel:WORD_1
	v_cvt_f32_f16_e32 v11, v11
	s_waitcnt vmcnt(2)
	v_div_scale_f32 v34, s[6:7], v20, v20, v3
	v_div_scale_f32 v22, s[6:7], v10, v10, v2
	v_rcp_f32_e32 v39, v22
	v_rcp_f32_e32 v40, v34
	v_div_scale_f32 v36, s[8:9], v11, v11, v4
	v_rcp_f32_e32 v41, v36
	v_fma_f32 v44, -v22, v39, 1.0
	v_div_scale_f32 v23, vcc, v2, v10, v2
	v_fmac_f32_e32 v39, v44, v39
	v_fma_f32 v45, -v34, v40, 1.0
	v_mul_f32_e32 v44, v23, v39
	v_div_scale_f32 v35, s[6:7], v3, v20, v3
	v_fmac_f32_e32 v40, v45, v40
	v_fma_f32 v47, -v22, v44, v23
	v_fma_f32 v46, -v36, v41, 1.0
	v_mul_f32_e32 v45, v35, v40
	v_fmac_f32_e32 v44, v47, v39
	v_div_scale_f32 v37, s[8:9], v4, v11, v4
	v_fmac_f32_e32 v41, v46, v41
	v_fma_f32 v48, -v34, v45, v35
	v_fma_f32 v22, -v22, v44, v23
	v_mul_f32_e32 v46, v37, v41
	v_fmac_f32_e32 v45, v48, v40
	v_div_fmas_f32 v22, v22, v39, v44
	v_div_scale_f32 v38, s[26:27], v21, v21, v5
	v_fma_f32 v49, -v36, v46, v37
	v_fma_f32 v23, -v34, v45, v35
	v_div_fixup_f32 v2, v22, v10, v2
	s_mov_b64 vcc, s[6:7]
	v_rcp_f32_e32 v43, v38
	v_fmac_f32_e32 v46, v49, v41
	v_div_fmas_f32 v10, v23, v40, v45
	v_cmp_ngt_f32_e32 vcc, s23, v2
	v_fma_f32 v34, -v36, v46, v37
	v_div_fixup_f32 v3, v10, v20, v3
	v_cndmask_b32_e32 v2, v29, v2, vcc
	s_mov_b64 vcc, s[8:9]
	v_div_fmas_f32 v10, v34, v41, v46
	v_cmp_ngt_f32_e32 vcc, s23, v3
	v_cndmask_b32_e32 v3, v29, v3, vcc
	v_cmp_nlt_f32_e32 vcc, s24, v2
	v_cndmask_b32_e32 v2, v30, v2, vcc
	v_div_fixup_f32 v4, v10, v11, v4
	v_cmp_nlt_f32_e32 vcc, s24, v3
	v_fma_f32 v10, -v38, v43, 1.0
	v_cndmask_b32_e32 v3, v30, v3, vcc
	v_fmac_f32_e32 v43, v10, v43
	v_div_scale_f32 v10, vcc, v5, v21, v5
	v_mul_f32_e32 v11, v10, v43
	v_fma_f32 v20, -v38, v11, v10
	v_fmac_f32_e32 v11, v20, v43
	v_fma_f32 v10, -v38, v11, v10
	v_div_fmas_f32 v10, v10, v43, v11
	v_div_fixup_f32 v5, v10, v21, v5
	v_cmp_ngt_f32_e32 vcc, s23, v5
	v_cndmask_b32_e32 v10, v29, v5, vcc
	v_cmp_ngt_f32_e32 vcc, s23, v4
	s_movk_i32 s6, 0x2000
	v_cndmask_b32_e32 v11, v29, v4, vcc
	v_add_co_u32_e32 v4, vcc, s6, v33
	v_addc_co_u32_e32 v5, vcc, 0, v42, vcc
	global_load_dwordx4 v[20:23], v[4:5], off
	v_add_co_u32_e32 v4, vcc, s22, v24
	v_addc_co_u32_e32 v5, vcc, 0, v25, vcc
	global_load_dwordx4 v[34:37], v[4:5], off
	v_cvt_f32_f16_e32 v38, v12
	v_cmp_nlt_f32_e32 vcc, s24, v11
	v_cndmask_b32_e32 v4, v30, v11, vcc
	v_cmp_nlt_f32_e32 vcc, s24, v10
	s_waitcnt vmcnt(3)
	v_div_scale_f32 v11, s[6:7], v38, v38, v6
	v_rcp_f32_e32 v39, v11
	v_cndmask_b32_e32 v5, v30, v10, vcc
	v_cvt_f32_f16_sdwa v10, v12 dst_sel:DWORD dst_unused:UNUSED_PAD src0_sel:WORD_1
	s_waitcnt vmcnt(2)
	v_cvt_f32_f16_e32 v51, v16
	v_fma_f32 v12, -v11, v39, 1.0
	v_fmac_f32_e32 v39, v12, v39
	v_div_scale_f32 v12, vcc, v6, v38, v6
	v_mul_f32_e32 v40, v12, v39
	v_fma_f32 v41, -v11, v40, v12
	v_fmac_f32_e32 v40, v41, v39
	v_fma_f32 v11, -v11, v40, v12
	v_div_scale_f32 v12, s[6:7], v10, v10, v7
	v_rcp_f32_e32 v41, v12
	v_div_fmas_f32 v11, v11, v39, v40
	v_div_fixup_f32 v6, v11, v38, v6
	v_cvt_f32_f16_sdwa v16, v16 dst_sel:DWORD dst_unused:UNUSED_PAD src0_sel:WORD_1
	v_fma_f32 v11, -v12, v41, 1.0
	v_fmac_f32_e32 v41, v11, v41
	v_div_scale_f32 v11, vcc, v7, v10, v7
	v_mul_f32_e32 v38, v11, v41
	v_fma_f32 v39, -v12, v38, v11
	v_fmac_f32_e32 v38, v39, v41
	v_fma_f32 v11, -v12, v38, v11
	v_div_fmas_f32 v11, v11, v41, v38
	v_div_fixup_f32 v7, v11, v10, v7
	v_cvt_f32_f16_e32 v10, v13
	v_cmp_ngt_f32_e32 vcc, s23, v7
	v_cndmask_b32_e32 v7, v29, v7, vcc
	v_cmp_ngt_f32_e32 vcc, s23, v6
	v_div_scale_f32 v11, s[6:7], v10, v10, v8
	v_rcp_f32_e32 v12, v11
	v_cndmask_b32_e32 v6, v29, v6, vcc
	v_cmp_nlt_f32_e32 vcc, s24, v6
	v_cndmask_b32_e32 v6, v30, v6, vcc
	v_cmp_nlt_f32_e32 vcc, s24, v7
	v_fma_f32 v38, -v11, v12, 1.0
	v_cndmask_b32_e32 v7, v30, v7, vcc
	v_cvt_f32_f16_sdwa v13, v13 dst_sel:DWORD dst_unused:UNUSED_PAD src0_sel:WORD_1
	v_fmac_f32_e32 v12, v38, v12
	v_div_scale_f32 v38, vcc, v8, v10, v8
	v_mul_f32_e32 v39, v38, v12
	v_fma_f32 v40, -v11, v39, v38
	v_fmac_f32_e32 v39, v40, v12
	v_fma_f32 v11, -v11, v39, v38
	v_div_scale_f32 v38, s[6:7], v13, v13, v9
	v_rcp_f32_e32 v40, v38
	v_div_fmas_f32 v11, v11, v12, v39
	v_div_fixup_f32 v8, v11, v10, v8
	v_fma_f32 v10, -v38, v40, 1.0
	v_fmac_f32_e32 v40, v10, v40
	v_div_scale_f32 v10, vcc, v9, v13, v9
	v_mul_f32_e32 v11, v10, v40
	v_fma_f32 v12, -v38, v11, v10
	v_fmac_f32_e32 v11, v12, v40
	v_fma_f32 v10, -v38, v11, v10
	v_div_fmas_f32 v10, v10, v40, v11
	v_div_fixup_f32 v9, v10, v13, v9
	global_load_dwordx4 v[38:41], v[18:19], off offset:16
	v_cmp_ngt_f32_e32 vcc, s23, v9
	v_cndmask_b32_e32 v9, v29, v9, vcc
	s_waitcnt vmcnt(2)
	v_cvt_f32_f16_e32 v10, v20
	v_cmp_ngt_f32_e32 vcc, s23, v8
	v_cndmask_b32_e32 v8, v29, v8, vcc
	v_cmp_nlt_f32_e32 vcc, s24, v8
	v_cndmask_b32_e32 v8, v30, v8, vcc
	s_waitcnt vmcnt(1)
	v_div_scale_f32 v11, s[6:7], v10, v10, v34
	v_rcp_f32_e32 v12, v11
	v_cmp_nlt_f32_e32 vcc, s24, v9
	v_cndmask_b32_e32 v9, v30, v9, vcc
	v_cvt_f32_f16_sdwa v13, v20 dst_sel:DWORD dst_unused:UNUSED_PAD src0_sel:WORD_1
	v_fma_f32 v18, -v11, v12, 1.0
	v_fmac_f32_e32 v12, v18, v12
	v_div_scale_f32 v18, vcc, v34, v10, v34
	v_mul_f32_e32 v19, v18, v12
	v_fma_f32 v20, -v11, v19, v18
	v_fmac_f32_e32 v19, v20, v12
	v_fma_f32 v11, -v11, v19, v18
	v_div_scale_f32 v18, s[6:7], v13, v13, v35
	v_rcp_f32_e32 v20, v18
	v_div_fmas_f32 v11, v11, v12, v19
	v_div_fixup_f32 v10, v11, v10, v34
	v_fma_f32 v11, -v18, v20, 1.0
	v_fmac_f32_e32 v20, v11, v20
	v_div_scale_f32 v11, vcc, v35, v13, v35
	v_mul_f32_e32 v12, v11, v20
	v_fma_f32 v19, -v18, v12, v11
	v_fmac_f32_e32 v12, v19, v20
	v_fma_f32 v11, -v18, v12, v11
	v_div_fmas_f32 v11, v11, v20, v12
	v_cvt_f32_f16_e32 v12, v21
	v_div_fixup_f32 v11, v11, v13, v35
	v_cmp_ngt_f32_e32 vcc, s23, v11
	v_cndmask_b32_e32 v11, v29, v11, vcc
	v_div_scale_f32 v13, s[6:7], v12, v12, v36
	v_rcp_f32_e32 v18, v13
	v_cmp_ngt_f32_e32 vcc, s23, v10
	v_cndmask_b32_e32 v10, v29, v10, vcc
	v_cmp_nlt_f32_e32 vcc, s24, v10
	v_cndmask_b32_e32 v10, v30, v10, vcc
	v_cmp_nlt_f32_e32 vcc, s24, v11
	v_fma_f32 v20, -v13, v18, 1.0
	v_cndmask_b32_e32 v11, v30, v11, vcc
	v_cvt_f32_f16_sdwa v19, v21 dst_sel:DWORD dst_unused:UNUSED_PAD src0_sel:WORD_1
	v_fmac_f32_e32 v18, v20, v18
	v_div_scale_f32 v20, vcc, v36, v12, v36
	v_mul_f32_e32 v21, v20, v18
	v_fma_f32 v34, -v13, v21, v20
	v_fmac_f32_e32 v21, v34, v18
	v_fma_f32 v13, -v13, v21, v20
	v_div_scale_f32 v20, s[6:7], v19, v19, v37
	v_rcp_f32_e32 v34, v20
	v_div_fmas_f32 v13, v13, v18, v21
	v_div_fixup_f32 v12, v13, v12, v36
	v_fma_f32 v13, -v20, v34, 1.0
	v_fmac_f32_e32 v34, v13, v34
	v_div_scale_f32 v13, vcc, v37, v19, v37
	v_mul_f32_e32 v18, v13, v34
	v_fma_f32 v21, -v20, v18, v13
	v_fmac_f32_e32 v18, v21, v34
	v_fma_f32 v13, -v20, v18, v13
	v_div_fmas_f32 v13, v13, v34, v18
	v_div_fixup_f32 v13, v13, v19, v37
	global_load_dwordx4 v[34:37], v28, s[20:21]
	v_cvt_f32_f16_e32 v18, v22
	v_cmp_ngt_f32_e32 vcc, s23, v13
	v_cndmask_b32_e32 v13, v29, v13, vcc
	v_cmp_ngt_f32_e32 vcc, s23, v12
	s_waitcnt vmcnt(1)
	v_div_scale_f32 v19, s[6:7], v18, v18, v38
	v_rcp_f32_e32 v20, v19
	v_cndmask_b32_e32 v12, v29, v12, vcc
	v_cmp_nlt_f32_e32 vcc, s24, v12
	v_cndmask_b32_e32 v12, v30, v12, vcc
	v_cmp_nlt_f32_e32 vcc, s24, v13
	v_cvt_f32_f16_sdwa v21, v22 dst_sel:DWORD dst_unused:UNUSED_PAD src0_sel:WORD_1
	v_fma_f32 v22, -v19, v20, 1.0
	v_cndmask_b32_e32 v13, v30, v13, vcc
	v_fmac_f32_e32 v20, v22, v20
	v_div_scale_f32 v22, vcc, v38, v18, v38
	v_mul_f32_e32 v43, v22, v20
	v_fma_f32 v44, -v19, v43, v22
	v_fmac_f32_e32 v43, v44, v20
	v_fma_f32 v19, -v19, v43, v22
	v_div_scale_f32 v22, s[6:7], v21, v21, v39
	v_rcp_f32_e32 v44, v22
	v_div_fmas_f32 v19, v19, v20, v43
	v_div_fixup_f32 v18, v19, v18, v38
	v_fma_f32 v19, -v22, v44, 1.0
	v_fmac_f32_e32 v44, v19, v44
	v_div_scale_f32 v19, vcc, v39, v21, v39
	v_mul_f32_e32 v20, v19, v44
	v_fma_f32 v38, -v22, v20, v19
	v_fmac_f32_e32 v20, v38, v44
	v_fma_f32 v19, -v22, v20, v19
	v_div_fmas_f32 v19, v19, v44, v20
	v_cvt_f32_f16_e32 v20, v23
	v_div_fixup_f32 v19, v19, v21, v39
	v_cmp_ngt_f32_e32 vcc, s23, v19
	v_cndmask_b32_e32 v19, v29, v19, vcc
	v_div_scale_f32 v21, s[6:7], v20, v20, v40
	v_rcp_f32_e32 v22, v21
	v_cmp_ngt_f32_e32 vcc, s23, v18
	v_cndmask_b32_e32 v18, v29, v18, vcc
	v_cmp_nlt_f32_e32 vcc, s24, v18
	v_cndmask_b32_e32 v18, v30, v18, vcc
	v_cmp_nlt_f32_e32 vcc, s24, v19
	v_fma_f32 v38, -v21, v22, 1.0
	v_cndmask_b32_e32 v19, v30, v19, vcc
	v_cvt_f32_f16_sdwa v23, v23 dst_sel:DWORD dst_unused:UNUSED_PAD src0_sel:WORD_1
	v_fmac_f32_e32 v22, v38, v22
	v_div_scale_f32 v38, vcc, v40, v20, v40
	v_mul_f32_e32 v39, v38, v22
	v_fma_f32 v43, -v21, v39, v38
	v_fmac_f32_e32 v39, v43, v22
	v_fma_f32 v21, -v21, v39, v38
	v_div_scale_f32 v38, s[6:7], v23, v23, v41
	v_rcp_f32_e32 v43, v38
	v_div_fmas_f32 v21, v21, v22, v39
	v_div_fixup_f32 v20, v21, v20, v40
	v_fma_f32 v21, -v38, v43, 1.0
	v_fmac_f32_e32 v43, v21, v43
	v_div_scale_f32 v21, vcc, v41, v23, v41
	v_mul_f32_e32 v22, v21, v43
	v_fma_f32 v39, -v38, v22, v21
	v_fmac_f32_e32 v22, v39, v43
	v_fma_f32 v21, -v38, v22, v21
	v_div_fmas_f32 v21, v21, v43, v22
	v_cvt_f32_f16_e32 v22, v14
	v_div_fixup_f32 v21, v21, v23, v41
	global_load_dwordx4 v[38:41], v28, s[20:21] offset:16
	v_cmp_ngt_f32_e32 vcc, s23, v21
	v_cndmask_b32_e32 v21, v29, v21, vcc
	v_cmp_ngt_f32_e32 vcc, s23, v20
	s_waitcnt vmcnt(1)
	v_div_scale_f32 v23, s[6:7], v22, v22, v34
	v_rcp_f32_e32 v43, v23
	v_cndmask_b32_e32 v20, v29, v20, vcc
	v_cmp_nlt_f32_e32 vcc, s24, v20
	v_cndmask_b32_e32 v20, v30, v20, vcc
	v_cmp_nlt_f32_e32 vcc, s24, v21
	v_fma_f32 v44, -v23, v43, 1.0
	v_cndmask_b32_e32 v21, v30, v21, vcc
	v_cvt_f32_f16_sdwa v14, v14 dst_sel:DWORD dst_unused:UNUSED_PAD src0_sel:WORD_1
	v_fmac_f32_e32 v43, v44, v43
	v_div_scale_f32 v44, vcc, v34, v22, v34
	v_mul_f32_e32 v45, v44, v43
	v_fma_f32 v46, -v23, v45, v44
	v_fmac_f32_e32 v45, v46, v43
	v_fma_f32 v23, -v23, v45, v44
	v_div_scale_f32 v44, s[6:7], v14, v14, v35
	v_rcp_f32_e32 v46, v44
	v_div_fmas_f32 v23, v23, v43, v45
	v_div_fixup_f32 v22, v23, v22, v34
	v_fma_f32 v23, -v44, v46, 1.0
	v_fmac_f32_e32 v46, v23, v46
	v_div_scale_f32 v23, vcc, v35, v14, v35
	v_mul_f32_e32 v34, v23, v46
	v_fma_f32 v43, -v44, v34, v23
	v_fmac_f32_e32 v34, v43, v46
	v_fma_f32 v23, -v44, v34, v23
	v_div_fmas_f32 v23, v23, v46, v34
	v_cvt_f32_f16_e32 v34, v15
	v_div_fixup_f32 v14, v23, v14, v35
	v_cmp_ngt_f32_e32 vcc, s23, v14
	v_cndmask_b32_e32 v14, v29, v14, vcc
	v_div_scale_f32 v35, s[6:7], v34, v34, v36
	v_cmp_ngt_f32_e32 vcc, s23, v22
	v_rcp_f32_e32 v43, v35
	v_cndmask_b32_e32 v22, v29, v22, vcc
	v_cmp_nlt_f32_e32 vcc, s24, v22
	v_cndmask_b32_e32 v22, v30, v22, vcc
	v_cmp_nlt_f32_e32 vcc, s24, v14
	v_cndmask_b32_e32 v23, v30, v14, vcc
	v_cvt_f32_f16_sdwa v14, v15 dst_sel:DWORD dst_unused:UNUSED_PAD src0_sel:WORD_1
	v_fma_f32 v15, -v35, v43, 1.0
	v_fmac_f32_e32 v43, v15, v43
	v_div_scale_f32 v15, vcc, v36, v34, v36
	v_mul_f32_e32 v44, v15, v43
	v_fma_f32 v45, -v35, v44, v15
	v_fmac_f32_e32 v44, v45, v43
	v_fma_f32 v15, -v35, v44, v15
	v_div_scale_f32 v35, s[6:7], v14, v14, v37
	v_rcp_f32_e32 v45, v35
	v_div_fmas_f32 v15, v15, v43, v44
	v_div_fixup_f32 v15, v15, v34, v36
	s_movk_i32 s6, 0x6000
	v_fma_f32 v34, -v35, v45, 1.0
	v_fmac_f32_e32 v45, v34, v45
	v_div_scale_f32 v34, vcc, v37, v14, v37
	v_mul_f32_e32 v36, v34, v45
	v_fma_f32 v43, -v35, v36, v34
	v_fmac_f32_e32 v36, v43, v45
	v_fma_f32 v34, -v35, v36, v34
	v_div_fmas_f32 v34, v34, v45, v36
	v_div_fixup_f32 v14, v34, v14, v37
	v_cmp_ngt_f32_e32 vcc, s23, v14
	v_cndmask_b32_e32 v50, v29, v14, vcc
	v_cmp_ngt_f32_e32 vcc, s23, v15
	v_cndmask_b32_e32 v46, v29, v15, vcc
	v_add_co_u32_e32 v14, vcc, s6, v33
	v_addc_co_u32_e32 v15, vcc, 0, v42, vcc
	global_load_dwordx4 v[34:37], v[14:15], off
	v_add_co_u32_e32 v14, vcc, s25, v24
	v_addc_co_u32_e32 v15, vcc, 0, v25, vcc
	global_load_dwordx4 v[42:45], v[14:15], off
	v_cmp_nlt_f32_e32 vcc, s24, v46
	v_cndmask_b32_e32 v24, v30, v46, vcc
	global_load_dwordx4 v[46:49], v[26:27], off offset:16
	s_waitcnt vmcnt(3)
	v_div_scale_f32 v14, s[6:7], v51, v51, v38
	v_rcp_f32_e32 v15, v14
	v_cmp_nlt_f32_e32 vcc, s24, v50
	v_cndmask_b32_e32 v25, v30, v50, vcc
	global_store_dwordx4 v1, v[2:5], s[14:15]
	global_store_dwordx4 v1, v[6:9], s[14:15] offset:16
	v_fma_f32 v26, -v14, v15, 1.0
	v_fmac_f32_e32 v15, v26, v15
	v_div_scale_f32 v26, vcc, v38, v51, v38
	v_mul_f32_e32 v27, v26, v15
	v_fma_f32 v33, -v14, v27, v26
	v_fmac_f32_e32 v27, v33, v15
	v_fma_f32 v14, -v14, v27, v26
	v_div_scale_f32 v26, s[6:7], v16, v16, v39
	v_rcp_f32_e32 v33, v26
	v_div_fmas_f32 v14, v14, v15, v27
	v_div_fixup_f32 v14, v14, v51, v38
	v_fma_f32 v15, -v26, v33, 1.0
	v_fmac_f32_e32 v33, v15, v33
	v_div_scale_f32 v15, vcc, v39, v16, v39
	v_mul_f32_e32 v27, v15, v33
	v_fma_f32 v38, -v26, v27, v15
	v_fmac_f32_e32 v27, v38, v33
	v_fma_f32 v15, -v26, v27, v15
	v_div_fmas_f32 v15, v15, v33, v27
	v_div_fixup_f32 v15, v15, v16, v39
	v_cvt_f32_f16_e32 v16, v17
	v_cmp_ngt_f32_e32 vcc, s23, v15
	v_cndmask_b32_e32 v15, v29, v15, vcc
	v_cmp_ngt_f32_e32 vcc, s23, v14
	v_div_scale_f32 v26, s[6:7], v16, v16, v40
	v_rcp_f32_e32 v27, v26
	v_cndmask_b32_e32 v14, v29, v14, vcc
	v_cmp_nlt_f32_e32 vcc, s24, v14
	v_cndmask_b32_e32 v14, v30, v14, vcc
	v_cmp_nlt_f32_e32 vcc, s24, v15
	v_fma_f32 v33, -v26, v27, 1.0
	v_cndmask_b32_e32 v15, v30, v15, vcc
	v_cvt_f32_f16_sdwa v17, v17 dst_sel:DWORD dst_unused:UNUSED_PAD src0_sel:WORD_1
	v_fmac_f32_e32 v27, v33, v27
	v_div_scale_f32 v33, vcc, v40, v16, v40
	v_mul_f32_e32 v38, v33, v27
	v_fma_f32 v39, -v26, v38, v33
	v_fmac_f32_e32 v38, v39, v27
	v_fma_f32 v26, -v26, v38, v33
	v_div_scale_f32 v33, s[6:7], v17, v17, v41
	v_rcp_f32_e32 v39, v33
	v_div_fmas_f32 v26, v26, v27, v38
	v_div_fixup_f32 v16, v26, v16, v40
	v_fma_f32 v26, -v33, v39, 1.0
	v_fmac_f32_e32 v39, v26, v39
	v_div_scale_f32 v26, vcc, v41, v17, v41
	v_mul_f32_e32 v27, v26, v39
	v_fma_f32 v38, -v33, v27, v26
	v_fmac_f32_e32 v27, v38, v39
	v_fma_f32 v26, -v33, v27, v26
	v_div_fmas_f32 v26, v26, v39, v27
	v_div_fixup_f32 v17, v26, v17, v41
	v_cmp_ngt_f32_e32 vcc, s23, v17
	v_cndmask_b32_e32 v17, v29, v17, vcc
	v_cmp_ngt_f32_e32 vcc, s23, v16
	v_cndmask_b32_e32 v16, v29, v16, vcc
	s_waitcnt vmcnt(4)
	v_cvt_f32_f16_e32 v26, v34
	v_cmp_nlt_f32_e32 vcc, s24, v16
	v_cndmask_b32_e32 v16, v30, v16, vcc
	v_cmp_nlt_f32_e32 vcc, s24, v17
	v_cndmask_b32_e32 v17, v30, v17, vcc
	s_waitcnt vmcnt(3)
	v_div_scale_f32 v27, s[6:7], v26, v26, v42
	v_rcp_f32_e32 v33, v27
	v_cvt_f32_f16_sdwa v34, v34 dst_sel:DWORD dst_unused:UNUSED_PAD src0_sel:WORD_1
	v_fma_f32 v38, -v27, v33, 1.0
	v_fmac_f32_e32 v33, v38, v33
	v_div_scale_f32 v38, vcc, v42, v26, v42
	v_mul_f32_e32 v39, v38, v33
	v_fma_f32 v40, -v27, v39, v38
	v_fmac_f32_e32 v39, v40, v33
	v_fma_f32 v27, -v27, v39, v38
	v_div_scale_f32 v38, s[6:7], v34, v34, v43
	v_rcp_f32_e32 v40, v38
	v_div_fmas_f32 v27, v27, v33, v39
	v_div_fixup_f32 v26, v27, v26, v42
	v_fma_f32 v27, -v38, v40, 1.0
	v_fmac_f32_e32 v40, v27, v40
	v_div_scale_f32 v27, vcc, v43, v34, v43
	v_mul_f32_e32 v33, v27, v40
	v_fma_f32 v39, -v38, v33, v27
	v_fmac_f32_e32 v33, v39, v40
	v_fma_f32 v27, -v38, v33, v27
	v_div_fmas_f32 v27, v27, v40, v33
	v_div_fixup_f32 v27, v27, v34, v43
	v_cmp_ngt_f32_e32 vcc, s23, v27
	v_cvt_f32_f16_e32 v33, v35
	v_cndmask_b32_e32 v27, v29, v27, vcc
	v_cmp_ngt_f32_e32 vcc, s23, v26
	v_cndmask_b32_e32 v26, v29, v26, vcc
	v_cmp_nlt_f32_e32 vcc, s24, v26
	v_cndmask_b32_e32 v38, v30, v26, vcc
	v_div_scale_f32 v26, s[6:7], v33, v33, v44
	v_rcp_f32_e32 v34, v26
	v_cmp_nlt_f32_e32 vcc, s24, v27
	v_cndmask_b32_e32 v39, v30, v27, vcc
	v_cvt_f32_f16_sdwa v27, v35 dst_sel:DWORD dst_unused:UNUSED_PAD src0_sel:WORD_1
	v_fma_f32 v35, -v26, v34, 1.0
	v_fmac_f32_e32 v34, v35, v34
	v_div_scale_f32 v35, vcc, v44, v33, v44
	v_mul_f32_e32 v40, v35, v34
	v_fma_f32 v41, -v26, v40, v35
	v_fmac_f32_e32 v40, v41, v34
	v_fma_f32 v26, -v26, v40, v35
	v_div_scale_f32 v35, s[6:7], v27, v27, v45
	v_rcp_f32_e32 v41, v35
	v_div_fmas_f32 v26, v26, v34, v40
	v_div_fixup_f32 v26, v26, v33, v44
	v_fma_f32 v33, -v35, v41, 1.0
	v_fmac_f32_e32 v41, v33, v41
	v_div_scale_f32 v33, vcc, v45, v27, v45
	v_mul_f32_e32 v34, v33, v41
	v_fma_f32 v40, -v35, v34, v33
	v_fmac_f32_e32 v34, v40, v41
	v_fma_f32 v33, -v35, v34, v33
	v_div_fmas_f32 v33, v33, v41, v34
	v_div_fixup_f32 v27, v33, v27, v45
	v_cmp_ngt_f32_e32 vcc, s23, v27
	v_cvt_f32_f16_e32 v33, v36
	v_cndmask_b32_e32 v27, v29, v27, vcc
	v_cmp_ngt_f32_e32 vcc, s23, v26
	v_cndmask_b32_e32 v26, v29, v26, vcc
	v_cmp_nlt_f32_e32 vcc, s24, v26
	v_cndmask_b32_e32 v40, v30, v26, vcc
	s_waitcnt vmcnt(2)
	v_div_scale_f32 v26, s[6:7], v33, v33, v46
	v_rcp_f32_e32 v34, v26
	v_cmp_nlt_f32_e32 vcc, s24, v27
	v_cndmask_b32_e32 v41, v30, v27, vcc
	v_cvt_f32_f16_sdwa v27, v36 dst_sel:DWORD dst_unused:UNUSED_PAD src0_sel:WORD_1
	v_fma_f32 v35, -v26, v34, 1.0
	v_fmac_f32_e32 v34, v35, v34
	v_div_scale_f32 v35, vcc, v46, v33, v46
	v_mul_f32_e32 v36, v35, v34
	v_fma_f32 v42, -v26, v36, v35
	v_fmac_f32_e32 v36, v42, v34
	v_fma_f32 v26, -v26, v36, v35
	v_div_scale_f32 v35, s[6:7], v27, v27, v47
	v_rcp_f32_e32 v42, v35
	v_div_fmas_f32 v26, v26, v34, v36
	v_div_fixup_f32 v26, v26, v33, v46
	v_fma_f32 v33, -v35, v42, 1.0
	v_fmac_f32_e32 v42, v33, v42
	v_div_scale_f32 v33, vcc, v47, v27, v47
	v_mul_f32_e32 v34, v33, v42
	v_fma_f32 v36, -v35, v34, v33
	v_fmac_f32_e32 v34, v36, v42
	v_fma_f32 v33, -v35, v34, v33
	v_div_fmas_f32 v33, v33, v42, v34
	v_div_fixup_f32 v27, v33, v27, v47
	v_cmp_ngt_f32_e32 vcc, s23, v27
	v_cvt_f32_f16_e32 v33, v37
	v_cndmask_b32_e32 v27, v29, v27, vcc
	v_cmp_ngt_f32_e32 vcc, s23, v26
	v_cndmask_b32_e32 v26, v29, v26, vcc
	v_cmp_nlt_f32_e32 vcc, s24, v26
	v_cndmask_b32_e32 v34, v30, v26, vcc
	v_div_scale_f32 v26, s[6:7], v33, v33, v48
	v_rcp_f32_e32 v36, v26
	v_cmp_nlt_f32_e32 vcc, s24, v27
	v_cndmask_b32_e32 v35, v30, v27, vcc
	v_cvt_f32_f16_sdwa v27, v37 dst_sel:DWORD dst_unused:UNUSED_PAD src0_sel:WORD_1
	v_fma_f32 v37, -v26, v36, 1.0
	v_fmac_f32_e32 v36, v37, v36
	v_div_scale_f32 v37, vcc, v48, v33, v48
	v_mul_f32_e32 v42, v37, v36
	v_fma_f32 v43, -v26, v42, v37
	v_fmac_f32_e32 v42, v43, v36
	v_fma_f32 v26, -v26, v42, v37
	v_div_scale_f32 v37, s[6:7], v27, v27, v49
	v_rcp_f32_e32 v43, v37
	v_div_fmas_f32 v26, v26, v36, v42
	v_div_fixup_f32 v26, v26, v33, v48
	v_fma_f32 v33, -v37, v43, 1.0
	v_fmac_f32_e32 v43, v33, v43
	v_div_scale_f32 v33, vcc, v49, v27, v49
	v_mul_f32_e32 v36, v33, v43
	v_fma_f32 v42, -v37, v36, v33
	v_fmac_f32_e32 v36, v42, v43
	v_fma_f32 v33, -v37, v36, v33
	v_div_fmas_f32 v33, v33, v43, v36
	v_div_fixup_f32 v27, v33, v27, v49
	v_cmp_ngt_f32_e32 vcc, s23, v27
	v_cndmask_b32_e32 v27, v29, v27, vcc
	v_cmp_ngt_f32_e32 vcc, s23, v26
	v_cndmask_b32_e32 v26, v29, v26, vcc
	v_cmp_nlt_f32_e32 vcc, s24, v26
	v_cndmask_b32_e32 v36, v30, v26, vcc
	v_cmp_nlt_f32_e32 vcc, s24, v27
	v_cndmask_b32_e32 v37, v30, v27, vcc
	v_add_co_u32_e32 v2, vcc, s22, v32
	v_addc_co_u32_e32 v3, vcc, 0, v31, vcc
	global_store_dwordx4 v[2:3], v[10:13], off
	global_store_dwordx4 v[2:3], v[18:21], off offset:16
	global_store_dwordx4 v28, v[22:25], s[14:15]
	global_store_dwordx4 v28, v[14:17], s[14:15] offset:16
	v_add_co_u32_e32 v2, vcc, 0xc000, v32
	v_addc_co_u32_e32 v3, vcc, 0, v31, vcc
	global_store_dwordx4 v[2:3], v[38:41], off
	global_store_dwordx4 v[2:3], v[34:37], off offset:16
	s_cbranch_execnz .LBB24_2
.LBB24_4:
	s_load_dword s6, s[4:5], 0x24
	s_load_dwordx4 s[20:23], s[4:5], 0x28
	s_add_u32 s8, s4, 56
	s_addc_u32 s9, s5, 0
	v_mov_b32_e32 v31, v0
	s_waitcnt lgkmcnt(0)
	v_lshrrev_b16_e64 v8, 8, s6
	v_mov_b32_e32 v0, s16
	v_mov_b32_e32 v1, s17
	;; [unrolled: 1-line block ×12, first 2 shown]
	s_getpc_b64 s[4:5]
	s_add_u32 s4, s4, _ZN2at6native25elementwise_kernel_helperILb1EZZZNS0_23launch_dirichlet_kernelERNS_18TensorIteratorBaseEENKUlvE_clEvENKUlvE0_clEvEUlffE_NS0_6memory8policies11unroll_baseILi512ESt5arrayIPcLm3EE23TrivialOffsetCalculatorILi2EjESD_ILi1EjENS7_12LoadWithCastILi2EEENS7_13StoreWithCastILi1EEELi32ELi1EEEEEvT0_T1_@rel32@lo+4
	s_addc_u32 s5, s5, _ZN2at6native25elementwise_kernel_helperILb1EZZZNS0_23launch_dirichlet_kernelERNS_18TensorIteratorBaseEENKUlvE_clEvENKUlvE0_clEvEUlffE_NS0_6memory8policies11unroll_baseILi512ESt5arrayIPcLm3EE23TrivialOffsetCalculatorILi2EjESD_ILi1EjENS7_12LoadWithCastILi2EEENS7_13StoreWithCastILi1EEELi32ELi1EEEEEvT0_T1_@rel32@hi+12
	s_swappc_b64 s[30:31], s[4:5]
	s_endpgm
	.section	.rodata,"a",@progbits
	.p2align	6, 0x0
	.amdhsa_kernel _ZN2at6native39vectorized_templated_elementwise_kernelILi8EZZZNS0_23launch_dirichlet_kernelERNS_18TensorIteratorBaseEENKUlvE_clEvENKUlvE0_clEvEUlffE_St5arrayIPcLm3EE23TrivialOffsetCalculatorILi2EjESA_ILi1EjENS0_6memory12LoadWithCastILi2EEENSD_13StoreWithCastILi1EEEfJfN3c104HalfEEEEviT0_T1_T2_T3_T4_T5_
		.amdhsa_group_segment_fixed_size 0
		.amdhsa_private_segment_fixed_size 288
		.amdhsa_kernarg_size 312
		.amdhsa_user_sgpr_count 8
		.amdhsa_user_sgpr_private_segment_buffer 1
		.amdhsa_user_sgpr_dispatch_ptr 0
		.amdhsa_user_sgpr_queue_ptr 0
		.amdhsa_user_sgpr_kernarg_segment_ptr 1
		.amdhsa_user_sgpr_dispatch_id 0
		.amdhsa_user_sgpr_flat_scratch_init 1
		.amdhsa_user_sgpr_kernarg_preload_length 0
		.amdhsa_user_sgpr_kernarg_preload_offset 0
		.amdhsa_user_sgpr_private_segment_size 0
		.amdhsa_uses_dynamic_stack 0
		.amdhsa_system_sgpr_private_segment_wavefront_offset 1
		.amdhsa_system_sgpr_workgroup_id_x 1
		.amdhsa_system_sgpr_workgroup_id_y 0
		.amdhsa_system_sgpr_workgroup_id_z 0
		.amdhsa_system_sgpr_workgroup_info 0
		.amdhsa_system_vgpr_workitem_id 0
		.amdhsa_next_free_vgpr 118
		.amdhsa_next_free_sgpr 98
		.amdhsa_accum_offset 120
		.amdhsa_reserve_vcc 1
		.amdhsa_reserve_flat_scratch 1
		.amdhsa_float_round_mode_32 0
		.amdhsa_float_round_mode_16_64 0
		.amdhsa_float_denorm_mode_32 3
		.amdhsa_float_denorm_mode_16_64 3
		.amdhsa_dx10_clamp 1
		.amdhsa_ieee_mode 1
		.amdhsa_fp16_overflow 0
		.amdhsa_tg_split 0
		.amdhsa_exception_fp_ieee_invalid_op 0
		.amdhsa_exception_fp_denorm_src 0
		.amdhsa_exception_fp_ieee_div_zero 0
		.amdhsa_exception_fp_ieee_overflow 0
		.amdhsa_exception_fp_ieee_underflow 0
		.amdhsa_exception_fp_ieee_inexact 0
		.amdhsa_exception_int_div_zero 0
	.end_amdhsa_kernel
	.section	.text._ZN2at6native39vectorized_templated_elementwise_kernelILi8EZZZNS0_23launch_dirichlet_kernelERNS_18TensorIteratorBaseEENKUlvE_clEvENKUlvE0_clEvEUlffE_St5arrayIPcLm3EE23TrivialOffsetCalculatorILi2EjESA_ILi1EjENS0_6memory12LoadWithCastILi2EEENSD_13StoreWithCastILi1EEEfJfN3c104HalfEEEEviT0_T1_T2_T3_T4_T5_,"axG",@progbits,_ZN2at6native39vectorized_templated_elementwise_kernelILi8EZZZNS0_23launch_dirichlet_kernelERNS_18TensorIteratorBaseEENKUlvE_clEvENKUlvE0_clEvEUlffE_St5arrayIPcLm3EE23TrivialOffsetCalculatorILi2EjESA_ILi1EjENS0_6memory12LoadWithCastILi2EEENSD_13StoreWithCastILi1EEEfJfN3c104HalfEEEEviT0_T1_T2_T3_T4_T5_,comdat
.Lfunc_end24:
	.size	_ZN2at6native39vectorized_templated_elementwise_kernelILi8EZZZNS0_23launch_dirichlet_kernelERNS_18TensorIteratorBaseEENKUlvE_clEvENKUlvE0_clEvEUlffE_St5arrayIPcLm3EE23TrivialOffsetCalculatorILi2EjESA_ILi1EjENS0_6memory12LoadWithCastILi2EEENSD_13StoreWithCastILi1EEEfJfN3c104HalfEEEEviT0_T1_T2_T3_T4_T5_, .Lfunc_end24-_ZN2at6native39vectorized_templated_elementwise_kernelILi8EZZZNS0_23launch_dirichlet_kernelERNS_18TensorIteratorBaseEENKUlvE_clEvENKUlvE0_clEvEUlffE_St5arrayIPcLm3EE23TrivialOffsetCalculatorILi2EjESA_ILi1EjENS0_6memory12LoadWithCastILi2EEENSD_13StoreWithCastILi1EEEfJfN3c104HalfEEEEviT0_T1_T2_T3_T4_T5_
                                        ; -- End function
	.section	.AMDGPU.csdata,"",@progbits
; Kernel info:
; codeLenInByte = 3668
; NumSgprs: 104
; NumVgprs: 118
; NumAgprs: 0
; TotalNumVgprs: 118
; ScratchSize: 288
; MemoryBound: 0
; FloatMode: 240
; IeeeMode: 1
; LDSByteSize: 0 bytes/workgroup (compile time only)
; SGPRBlocks: 12
; VGPRBlocks: 14
; NumSGPRsForWavesPerEU: 104
; NumVGPRsForWavesPerEU: 118
; AccumOffset: 120
; Occupancy: 4
; WaveLimiterHint : 0
; COMPUTE_PGM_RSRC2:SCRATCH_EN: 1
; COMPUTE_PGM_RSRC2:USER_SGPR: 8
; COMPUTE_PGM_RSRC2:TRAP_HANDLER: 0
; COMPUTE_PGM_RSRC2:TGID_X_EN: 1
; COMPUTE_PGM_RSRC2:TGID_Y_EN: 0
; COMPUTE_PGM_RSRC2:TGID_Z_EN: 0
; COMPUTE_PGM_RSRC2:TIDIG_COMP_CNT: 0
; COMPUTE_PGM_RSRC3_GFX90A:ACCUM_OFFSET: 29
; COMPUTE_PGM_RSRC3_GFX90A:TG_SPLIT: 0
	.section	.text._ZN2at6native39vectorized_templated_elementwise_kernelILi4EZZZNS0_23launch_dirichlet_kernelERNS_18TensorIteratorBaseEENKUlvE_clEvENKUlvE0_clEvEUlffE_St5arrayIPcLm3EE23TrivialOffsetCalculatorILi2EjESA_ILi1EjENS0_6memory12LoadWithCastILi2EEENSD_13StoreWithCastILi1EEEfJfN3c104HalfEEEEviT0_T1_T2_T3_T4_T5_,"axG",@progbits,_ZN2at6native39vectorized_templated_elementwise_kernelILi4EZZZNS0_23launch_dirichlet_kernelERNS_18TensorIteratorBaseEENKUlvE_clEvENKUlvE0_clEvEUlffE_St5arrayIPcLm3EE23TrivialOffsetCalculatorILi2EjESA_ILi1EjENS0_6memory12LoadWithCastILi2EEENSD_13StoreWithCastILi1EEEfJfN3c104HalfEEEEviT0_T1_T2_T3_T4_T5_,comdat
	.globl	_ZN2at6native39vectorized_templated_elementwise_kernelILi4EZZZNS0_23launch_dirichlet_kernelERNS_18TensorIteratorBaseEENKUlvE_clEvENKUlvE0_clEvEUlffE_St5arrayIPcLm3EE23TrivialOffsetCalculatorILi2EjESA_ILi1EjENS0_6memory12LoadWithCastILi2EEENSD_13StoreWithCastILi1EEEfJfN3c104HalfEEEEviT0_T1_T2_T3_T4_T5_ ; -- Begin function _ZN2at6native39vectorized_templated_elementwise_kernelILi4EZZZNS0_23launch_dirichlet_kernelERNS_18TensorIteratorBaseEENKUlvE_clEvENKUlvE0_clEvEUlffE_St5arrayIPcLm3EE23TrivialOffsetCalculatorILi2EjESA_ILi1EjENS0_6memory12LoadWithCastILi2EEENSD_13StoreWithCastILi1EEEfJfN3c104HalfEEEEviT0_T1_T2_T3_T4_T5_
	.p2align	8
	.type	_ZN2at6native39vectorized_templated_elementwise_kernelILi4EZZZNS0_23launch_dirichlet_kernelERNS_18TensorIteratorBaseEENKUlvE_clEvENKUlvE0_clEvEUlffE_St5arrayIPcLm3EE23TrivialOffsetCalculatorILi2EjESA_ILi1EjENS0_6memory12LoadWithCastILi2EEENSD_13StoreWithCastILi1EEEfJfN3c104HalfEEEEviT0_T1_T2_T3_T4_T5_,@function
_ZN2at6native39vectorized_templated_elementwise_kernelILi4EZZZNS0_23launch_dirichlet_kernelERNS_18TensorIteratorBaseEENKUlvE_clEvENKUlvE0_clEvEUlffE_St5arrayIPcLm3EE23TrivialOffsetCalculatorILi2EjESA_ILi1EjENS0_6memory12LoadWithCastILi2EEENSD_13StoreWithCastILi1EEEfJfN3c104HalfEEEEviT0_T1_T2_T3_T4_T5_: ; @_ZN2at6native39vectorized_templated_elementwise_kernelILi4EZZZNS0_23launch_dirichlet_kernelERNS_18TensorIteratorBaseEENKUlvE_clEvENKUlvE0_clEvEUlffE_St5arrayIPcLm3EE23TrivialOffsetCalculatorILi2EjESA_ILi1EjENS0_6memory12LoadWithCastILi2EEENSD_13StoreWithCastILi1EEEfJfN3c104HalfEEEEviT0_T1_T2_T3_T4_T5_
; %bb.0:
	s_add_u32 flat_scratch_lo, s6, s9
	s_addc_u32 flat_scratch_hi, s7, 0
	s_add_u32 s0, s0, s9
	s_load_dword s6, s[4:5], 0x38
	s_load_dwordx2 s[10:11], s[4:5], 0x18
	s_load_dword s7, s[4:5], 0x0
	s_load_dwordx4 s[16:19], s[4:5], 0x8
	s_addc_u32 s1, s1, 0
	s_mov_b32 s12, s8
	s_not_b32 s8, s8
	s_waitcnt lgkmcnt(0)
	s_add_i32 s6, s6, s8
	s_lshl_b32 s8, s6, 14
	s_sub_i32 s13, s7, s8
	s_cmpk_gt_i32 s13, 0x3fff
	s_mov_b64 s[6:7], -1
	s_mov_b32 s32, 0
	s_cbranch_scc1 .LBB25_3
; %bb.1:
	s_andn2_b64 vcc, exec, s[6:7]
	s_cbranch_vccz .LBB25_4
.LBB25_2:
	s_endpgm
.LBB25_3:
	s_ashr_i32 s9, s8, 31
	s_lshl_b64 s[6:7], s[8:9], 2
	s_add_u32 s20, s18, s6
	s_addc_u32 s21, s19, s7
	s_lshl_b64 s[8:9], s[8:9], 1
	s_add_u32 s8, s10, s8
	s_addc_u32 s9, s11, s9
	v_lshlrev_b32_e32 v16, 3, v0
	global_load_dwordx2 v[6:7], v16, s[8:9]
	v_lshlrev_b32_e32 v1, 4, v0
	global_load_dwordx4 v[2:5], v1, s[20:21]
	v_or_b32_e32 v8, 0x400, v0
	v_lshlrev_b32_e32 v36, 4, v8
	v_lshlrev_b32_e32 v17, 3, v8
	v_mov_b32_e32 v8, s21
	v_add_co_u32_e32 v24, vcc, s20, v1
	s_movk_i32 s24, 0x2000
	v_addc_co_u32_e32 v25, vcc, 0, v8, vcc
	v_or_b32_e32 v9, 0x800, v0
	v_add_co_u32_e32 v8, vcc, s24, v24
	v_lshlrev_b32_e32 v35, 4, v9
	v_lshlrev_b32_e32 v18, 3, v9
	v_addc_co_u32_e32 v9, vcc, 0, v25, vcc
	v_mov_b32_e32 v22, s9
	v_add_co_u32_e32 v39, vcc, s8, v16
	s_movk_i32 s15, 0x1000
	v_addc_co_u32_e32 v40, vcc, 0, v22, vcc
	v_or_b32_e32 v10, 0xc00, v0
	v_add_co_u32_e32 v16, vcc, s15, v39
	v_lshlrev_b32_e32 v34, 4, v10
	v_lshlrev_b32_e32 v19, 3, v10
	global_load_dwordx4 v[10:13], v36, s[20:21]
	global_load_dwordx2 v[14:15], v17, s[8:9]
	global_load_dwordx2 v[20:21], v18, s[8:9]
	;; [unrolled: 1-line block ×3, first 2 shown]
	v_addc_co_u32_e32 v17, vcc, 0, v40, vcc
	global_load_dwordx2 v[22:23], v[16:17], off
	s_add_u32 s14, s16, s6
	global_load_dwordx4 v[16:19], v[8:9], off
	s_addc_u32 s15, s17, s7
	v_mov_b32_e32 v8, s15
	v_add_co_u32_e32 v38, vcc, s14, v1
	v_addc_co_u32_e32 v37, vcc, 0, v8, vcc
	s_mov_b32 s22, 0x800000
	v_mov_b32_e32 v32, 0x800000
	s_mov_b32 s23, 0x3f7ffffe
	v_mov_b32_e32 v33, 0x3f7ffffe
	s_waitcnt vmcnt(7)
	v_cvt_f32_f16_sdwa v8, v6 dst_sel:DWORD dst_unused:UNUSED_PAD src0_sel:WORD_1
	v_cvt_f32_f16_e32 v6, v6
	v_cvt_f32_f16_sdwa v9, v7 dst_sel:DWORD dst_unused:UNUSED_PAD src0_sel:WORD_1
	v_cvt_f32_f16_e32 v7, v7
	s_waitcnt vmcnt(6)
	v_div_scale_f32 v28, s[6:7], v8, v8, v3
	v_div_scale_f32 v26, s[6:7], v6, v6, v2
	v_rcp_f32_e32 v42, v26
	v_rcp_f32_e32 v43, v28
	v_div_scale_f32 v27, vcc, v2, v6, v2
	v_fma_f32 v46, -v26, v42, 1.0
	v_fma_f32 v47, -v28, v43, 1.0
	v_fmac_f32_e32 v42, v46, v42
	v_div_scale_f32 v29, s[6:7], v3, v8, v3
	v_div_scale_f32 v41, s[8:9], v7, v7, v4
	v_fmac_f32_e32 v43, v47, v43
	v_mul_f32_e32 v46, v27, v42
	v_rcp_f32_e32 v44, v41
	v_mul_f32_e32 v47, v29, v43
	v_fma_f32 v49, -v26, v46, v27
	v_fma_f32 v50, -v28, v47, v29
	v_fmac_f32_e32 v46, v49, v42
	v_fmac_f32_e32 v47, v50, v43
	v_fma_f32 v26, -v26, v46, v27
	v_fma_f32 v27, -v28, v47, v29
	v_div_fmas_f32 v26, v26, v42, v46
	s_mov_b64 vcc, s[6:7]
	v_fma_f32 v48, -v41, v44, 1.0
	v_div_fixup_f32 v2, v26, v6, v2
	v_div_fmas_f32 v6, v27, v43, v47
	v_div_scale_f32 v45, s[8:9], v4, v7, v4
	v_fmac_f32_e32 v44, v48, v44
	v_div_fixup_f32 v3, v6, v8, v3
	v_cmp_ngt_f32_e32 vcc, s22, v2
	v_mul_f32_e32 v48, v45, v44
	v_cndmask_b32_e32 v2, v32, v2, vcc
	v_cmp_ngt_f32_e32 vcc, s22, v3
	v_div_scale_f32 v8, s[6:7], v9, v9, v5
	v_fma_f32 v51, -v41, v48, v45
	v_cndmask_b32_e32 v3, v32, v3, vcc
	v_cmp_nlt_f32_e32 vcc, s23, v2
	v_rcp_f32_e32 v26, v8
	v_cndmask_b32_e32 v2, v33, v2, vcc
	v_cmp_nlt_f32_e32 vcc, s23, v3
	v_fmac_f32_e32 v48, v51, v44
	v_cndmask_b32_e32 v3, v33, v3, vcc
	v_fma_f32 v6, -v41, v48, v45
	s_mov_b64 vcc, s[8:9]
	v_div_fmas_f32 v6, v6, v44, v48
	v_div_fixup_f32 v4, v6, v7, v4
	v_fma_f32 v6, -v8, v26, 1.0
	v_fmac_f32_e32 v26, v6, v26
	v_div_scale_f32 v6, vcc, v5, v9, v5
	v_mul_f32_e32 v7, v6, v26
	v_fma_f32 v27, -v8, v7, v6
	v_fmac_f32_e32 v7, v27, v26
	v_fma_f32 v6, -v8, v7, v6
	v_div_fmas_f32 v6, v6, v26, v7
	v_div_fixup_f32 v5, v6, v9, v5
	s_waitcnt vmcnt(1)
	v_cvt_f32_f16_e32 v6, v22
	v_cmp_ngt_f32_e32 vcc, s22, v5
	v_cndmask_b32_e32 v5, v32, v5, vcc
	v_cmp_ngt_f32_e32 vcc, s22, v4
	s_waitcnt vmcnt(0)
	v_div_scale_f32 v7, s[6:7], v6, v6, v16
	v_rcp_f32_e32 v8, v7
	v_cndmask_b32_e32 v4, v32, v4, vcc
	v_cmp_nlt_f32_e32 vcc, s23, v4
	v_cndmask_b32_e32 v4, v33, v4, vcc
	v_cmp_nlt_f32_e32 vcc, s23, v5
	v_cvt_f32_f16_sdwa v9, v22 dst_sel:DWORD dst_unused:UNUSED_PAD src0_sel:WORD_1
	v_fma_f32 v22, -v7, v8, 1.0
	v_cndmask_b32_e32 v5, v33, v5, vcc
	v_fmac_f32_e32 v8, v22, v8
	v_div_scale_f32 v22, vcc, v16, v6, v16
	v_mul_f32_e32 v26, v22, v8
	v_fma_f32 v27, -v7, v26, v22
	v_fmac_f32_e32 v26, v27, v8
	v_fma_f32 v7, -v7, v26, v22
	v_div_scale_f32 v22, s[6:7], v9, v9, v17
	v_rcp_f32_e32 v27, v22
	v_div_fmas_f32 v7, v7, v8, v26
	v_div_fixup_f32 v6, v7, v6, v16
	v_cvt_f32_f16_e32 v28, v14
	v_fma_f32 v7, -v22, v27, 1.0
	v_fmac_f32_e32 v27, v7, v27
	v_div_scale_f32 v7, vcc, v17, v9, v17
	v_mul_f32_e32 v8, v7, v27
	v_fma_f32 v16, -v22, v8, v7
	v_fmac_f32_e32 v8, v16, v27
	v_fma_f32 v7, -v22, v8, v7
	v_div_fmas_f32 v7, v7, v27, v8
	v_cvt_f32_f16_e32 v8, v23
	v_div_fixup_f32 v7, v7, v9, v17
	v_cmp_ngt_f32_e32 vcc, s22, v7
	v_cndmask_b32_e32 v7, v32, v7, vcc
	v_div_scale_f32 v9, s[6:7], v8, v8, v18
	v_rcp_f32_e32 v16, v9
	v_cmp_ngt_f32_e32 vcc, s22, v6
	v_cndmask_b32_e32 v6, v32, v6, vcc
	v_cmp_nlt_f32_e32 vcc, s23, v6
	v_cndmask_b32_e32 v6, v33, v6, vcc
	v_cmp_nlt_f32_e32 vcc, s23, v7
	v_fma_f32 v22, -v9, v16, 1.0
	v_cndmask_b32_e32 v7, v33, v7, vcc
	v_cvt_f32_f16_sdwa v17, v23 dst_sel:DWORD dst_unused:UNUSED_PAD src0_sel:WORD_1
	v_fmac_f32_e32 v16, v22, v16
	v_div_scale_f32 v22, vcc, v18, v8, v18
	v_mul_f32_e32 v23, v22, v16
	v_fma_f32 v26, -v9, v23, v22
	v_fmac_f32_e32 v23, v26, v16
	v_fma_f32 v9, -v9, v23, v22
	v_div_scale_f32 v22, s[6:7], v17, v17, v19
	v_rcp_f32_e32 v26, v22
	v_div_fmas_f32 v9, v9, v16, v23
	v_div_fixup_f32 v8, v9, v8, v18
	s_movk_i32 s7, 0x3000
	v_fma_f32 v9, -v22, v26, 1.0
	v_fmac_f32_e32 v26, v9, v26
	v_div_scale_f32 v9, vcc, v19, v17, v19
	v_mul_f32_e32 v16, v9, v26
	v_fma_f32 v18, -v22, v16, v9
	v_fmac_f32_e32 v16, v18, v26
	v_fma_f32 v9, -v22, v16, v9
	v_div_fmas_f32 v9, v9, v26, v16
	v_div_fixup_f32 v9, v9, v17, v19
	v_cmp_ngt_f32_e32 vcc, s22, v9
	v_cndmask_b32_e32 v26, v32, v9, vcc
	v_cmp_ngt_f32_e32 vcc, s22, v8
	v_cndmask_b32_e32 v27, v32, v8, vcc
	v_add_co_u32_e32 v8, vcc, s7, v39
	v_addc_co_u32_e32 v9, vcc, 0, v40, vcc
	global_load_dwordx2 v[22:23], v[8:9], off
	s_movk_i32 s6, 0x6000
	v_add_co_u32_e32 v8, vcc, s6, v24
	v_addc_co_u32_e32 v9, vcc, 0, v25, vcc
	global_load_dwordx4 v[16:19], v[8:9], off
	v_cmp_nlt_f32_e32 vcc, s23, v27
	v_cndmask_b32_e32 v8, v33, v27, vcc
	v_div_scale_f32 v27, s[8:9], v28, v28, v10
	v_rcp_f32_e32 v29, v27
	v_cmp_nlt_f32_e32 vcc, s23, v26
	v_cndmask_b32_e32 v9, v33, v26, vcc
	v_cvt_f32_f16_sdwa v14, v14 dst_sel:DWORD dst_unused:UNUSED_PAD src0_sel:WORD_1
	v_fma_f32 v26, -v27, v29, 1.0
	v_fmac_f32_e32 v29, v26, v29
	v_div_scale_f32 v26, vcc, v10, v28, v10
	v_mul_f32_e32 v41, v26, v29
	v_fma_f32 v42, -v27, v41, v26
	v_fmac_f32_e32 v41, v42, v29
	v_fma_f32 v26, -v27, v41, v26
	v_div_scale_f32 v27, s[8:9], v14, v14, v11
	v_rcp_f32_e32 v42, v27
	v_div_fmas_f32 v26, v26, v29, v41
	v_div_fixup_f32 v10, v26, v28, v10
	s_mov_b32 s7, 0xa000
	v_fma_f32 v26, -v27, v42, 1.0
	v_fmac_f32_e32 v42, v26, v42
	v_div_scale_f32 v26, vcc, v11, v14, v11
	v_mul_f32_e32 v28, v26, v42
	v_fma_f32 v29, -v27, v28, v26
	v_fmac_f32_e32 v28, v29, v42
	v_fma_f32 v26, -v27, v28, v26
	v_div_fmas_f32 v26, v26, v42, v28
	v_div_fixup_f32 v11, v26, v14, v11
	v_cvt_f32_f16_e32 v14, v15
	v_cmp_ngt_f32_e32 vcc, s22, v11
	v_cndmask_b32_e32 v11, v32, v11, vcc
	v_cmp_ngt_f32_e32 vcc, s22, v10
	v_div_scale_f32 v26, s[8:9], v14, v14, v12
	v_rcp_f32_e32 v27, v26
	v_cndmask_b32_e32 v10, v32, v10, vcc
	v_cmp_nlt_f32_e32 vcc, s23, v10
	v_cndmask_b32_e32 v10, v33, v10, vcc
	v_cmp_nlt_f32_e32 vcc, s23, v11
	v_fma_f32 v28, -v26, v27, 1.0
	v_cndmask_b32_e32 v11, v33, v11, vcc
	v_cvt_f32_f16_sdwa v15, v15 dst_sel:DWORD dst_unused:UNUSED_PAD src0_sel:WORD_1
	v_fmac_f32_e32 v27, v28, v27
	v_div_scale_f32 v28, vcc, v12, v14, v12
	v_mul_f32_e32 v29, v28, v27
	v_fma_f32 v41, -v26, v29, v28
	v_fmac_f32_e32 v29, v41, v27
	v_fma_f32 v26, -v26, v29, v28
	v_div_scale_f32 v28, s[8:9], v15, v15, v13
	v_rcp_f32_e32 v41, v28
	v_div_fmas_f32 v26, v26, v27, v29
	v_div_fixup_f32 v12, v26, v14, v12
	global_load_dwordx4 v[42:45], v35, s[20:21]
	v_fma_f32 v14, -v28, v41, 1.0
	v_fmac_f32_e32 v41, v14, v41
	v_div_scale_f32 v14, vcc, v13, v15, v13
	v_mul_f32_e32 v26, v14, v41
	v_fma_f32 v27, -v28, v26, v14
	v_fmac_f32_e32 v26, v27, v41
	v_fma_f32 v14, -v28, v26, v14
	v_div_fmas_f32 v14, v14, v41, v26
	v_div_fixup_f32 v13, v14, v15, v13
	v_cmp_ngt_f32_e32 vcc, s22, v13
	v_cndmask_b32_e32 v13, v32, v13, vcc
	v_cmp_ngt_f32_e32 vcc, s22, v12
	v_cndmask_b32_e32 v12, v32, v12, vcc
	s_waitcnt vmcnt(2)
	v_cvt_f32_f16_e32 v14, v22
	v_cmp_nlt_f32_e32 vcc, s23, v12
	v_cndmask_b32_e32 v12, v33, v12, vcc
	v_cmp_nlt_f32_e32 vcc, s23, v13
	v_cndmask_b32_e32 v13, v33, v13, vcc
	v_cvt_f32_f16_sdwa v22, v22 dst_sel:DWORD dst_unused:UNUSED_PAD src0_sel:WORD_1
	s_waitcnt vmcnt(1)
	v_div_scale_f32 v15, s[8:9], v14, v14, v16
	v_rcp_f32_e32 v26, v15
	v_fma_f32 v27, -v15, v26, 1.0
	v_fmac_f32_e32 v26, v27, v26
	v_div_scale_f32 v27, vcc, v16, v14, v16
	v_mul_f32_e32 v28, v27, v26
	v_fma_f32 v29, -v15, v28, v27
	v_fmac_f32_e32 v28, v29, v26
	v_fma_f32 v15, -v15, v28, v27
	v_div_scale_f32 v27, s[8:9], v22, v22, v17
	v_rcp_f32_e32 v29, v27
	v_div_fmas_f32 v15, v15, v26, v28
	v_div_fixup_f32 v14, v15, v14, v16
	v_fma_f32 v15, -v27, v29, 1.0
	v_fmac_f32_e32 v29, v15, v29
	v_div_scale_f32 v15, vcc, v17, v22, v17
	v_mul_f32_e32 v16, v15, v29
	v_fma_f32 v26, -v27, v16, v15
	v_fmac_f32_e32 v16, v26, v29
	v_fma_f32 v15, -v27, v16, v15
	v_div_fmas_f32 v15, v15, v29, v16
	v_cvt_f32_f16_e32 v16, v23
	v_div_fixup_f32 v15, v15, v22, v17
	v_cmp_ngt_f32_e32 vcc, s22, v15
	v_cndmask_b32_e32 v15, v32, v15, vcc
	v_div_scale_f32 v17, s[8:9], v16, v16, v18
	v_rcp_f32_e32 v22, v17
	v_cmp_ngt_f32_e32 vcc, s22, v14
	v_cndmask_b32_e32 v14, v32, v14, vcc
	v_cmp_nlt_f32_e32 vcc, s23, v14
	v_cndmask_b32_e32 v14, v33, v14, vcc
	v_cmp_nlt_f32_e32 vcc, s23, v15
	v_fma_f32 v26, -v17, v22, 1.0
	v_cndmask_b32_e32 v15, v33, v15, vcc
	v_cvt_f32_f16_sdwa v23, v23 dst_sel:DWORD dst_unused:UNUSED_PAD src0_sel:WORD_1
	v_fmac_f32_e32 v22, v26, v22
	v_div_scale_f32 v26, vcc, v18, v16, v18
	v_mul_f32_e32 v27, v26, v22
	v_fma_f32 v28, -v17, v27, v26
	v_fmac_f32_e32 v27, v28, v22
	v_fma_f32 v17, -v17, v27, v26
	v_div_scale_f32 v26, s[8:9], v23, v23, v19
	v_rcp_f32_e32 v28, v26
	v_div_fmas_f32 v17, v17, v22, v27
	v_div_fixup_f32 v16, v17, v16, v18
	s_movk_i32 s8, 0x5000
	v_fma_f32 v17, -v26, v28, 1.0
	v_fmac_f32_e32 v28, v17, v28
	v_div_scale_f32 v17, vcc, v19, v23, v19
	v_mul_f32_e32 v18, v17, v28
	v_fma_f32 v22, -v26, v18, v17
	v_fmac_f32_e32 v18, v22, v28
	v_fma_f32 v17, -v26, v18, v17
	v_div_fmas_f32 v17, v17, v28, v18
	global_load_dwordx4 v[26:29], v34, s[20:21]
	v_div_fixup_f32 v17, v17, v23, v19
	v_cmp_ngt_f32_e32 vcc, s22, v17
	v_cndmask_b32_e32 v18, v32, v17, vcc
	v_cmp_ngt_f32_e32 vcc, s22, v16
	v_cndmask_b32_e32 v19, v32, v16, vcc
	v_add_co_u32_e32 v16, vcc, s8, v39
	v_addc_co_u32_e32 v17, vcc, 0, v40, vcc
	global_load_dwordx2 v[50:51], v[16:17], off
	v_add_co_u32_e32 v16, vcc, s7, v24
	v_addc_co_u32_e32 v17, vcc, 0, v25, vcc
	global_load_dwordx4 v[46:49], v[16:17], off
	v_cvt_f32_f16_e32 v22, v20
	v_cmp_nlt_f32_e32 vcc, s23, v19
	v_cndmask_b32_e32 v16, v33, v19, vcc
	v_cmp_nlt_f32_e32 vcc, s23, v18
	s_waitcnt vmcnt(3)
	v_div_scale_f32 v19, s[8:9], v22, v22, v42
	v_rcp_f32_e32 v23, v19
	v_cndmask_b32_e32 v17, v33, v18, vcc
	v_cvt_f32_f16_sdwa v18, v20 dst_sel:DWORD dst_unused:UNUSED_PAD src0_sel:WORD_1
	s_mov_b32 s7, 0xe000
	v_fma_f32 v20, -v19, v23, 1.0
	v_fmac_f32_e32 v23, v20, v23
	v_div_scale_f32 v20, vcc, v42, v22, v42
	v_mul_f32_e32 v41, v20, v23
	v_fma_f32 v52, -v19, v41, v20
	v_fmac_f32_e32 v41, v52, v23
	v_fma_f32 v19, -v19, v41, v20
	v_div_scale_f32 v20, s[8:9], v18, v18, v43
	v_rcp_f32_e32 v52, v20
	v_div_fmas_f32 v19, v19, v23, v41
	v_div_fixup_f32 v19, v19, v22, v42
	v_fma_f32 v22, -v20, v52, 1.0
	v_fmac_f32_e32 v52, v22, v52
	v_div_scale_f32 v22, vcc, v43, v18, v43
	v_mul_f32_e32 v23, v22, v52
	v_fma_f32 v41, -v20, v23, v22
	v_fmac_f32_e32 v23, v41, v52
	v_fma_f32 v20, -v20, v23, v22
	v_cvt_f32_f16_e32 v22, v21
	v_div_fmas_f32 v20, v20, v52, v23
	v_div_fixup_f32 v18, v20, v18, v43
	v_cmp_ngt_f32_e32 vcc, s22, v18
	v_div_scale_f32 v23, s[8:9], v22, v22, v44
	v_cndmask_b32_e32 v20, v32, v18, vcc
	v_cmp_ngt_f32_e32 vcc, s22, v19
	v_rcp_f32_e32 v41, v23
	v_cndmask_b32_e32 v18, v32, v19, vcc
	v_cmp_nlt_f32_e32 vcc, s23, v18
	v_cndmask_b32_e32 v18, v33, v18, vcc
	v_cmp_nlt_f32_e32 vcc, s23, v20
	v_cndmask_b32_e32 v19, v33, v20, vcc
	v_cvt_f32_f16_sdwa v20, v21 dst_sel:DWORD dst_unused:UNUSED_PAD src0_sel:WORD_1
	v_fma_f32 v21, -v23, v41, 1.0
	v_fmac_f32_e32 v41, v21, v41
	v_div_scale_f32 v21, vcc, v44, v22, v44
	v_mul_f32_e32 v42, v21, v41
	v_fma_f32 v43, -v23, v42, v21
	v_fmac_f32_e32 v42, v43, v41
	v_fma_f32 v21, -v23, v42, v21
	v_div_scale_f32 v23, s[8:9], v20, v20, v45
	v_rcp_f32_e32 v43, v23
	v_div_fmas_f32 v21, v21, v41, v42
	v_div_fixup_f32 v21, v21, v22, v44
	v_fma_f32 v22, -v23, v43, 1.0
	v_fmac_f32_e32 v43, v22, v43
	v_div_scale_f32 v22, vcc, v45, v20, v45
	v_mul_f32_e32 v41, v22, v43
	v_fma_f32 v42, -v23, v41, v22
	v_fmac_f32_e32 v41, v42, v43
	v_fma_f32 v22, -v23, v41, v22
	v_div_fmas_f32 v22, v22, v43, v41
	v_div_fixup_f32 v20, v22, v20, v45
	v_cmp_ngt_f32_e32 vcc, s22, v20
	v_cndmask_b32_e32 v22, v32, v20, vcc
	v_cmp_ngt_f32_e32 vcc, s22, v21
	s_waitcnt vmcnt(1)
	v_cvt_f32_f16_e32 v23, v50
	v_cndmask_b32_e32 v20, v32, v21, vcc
	v_cmp_nlt_f32_e32 vcc, s23, v20
	v_cndmask_b32_e32 v20, v33, v20, vcc
	v_cmp_nlt_f32_e32 vcc, s23, v22
	s_waitcnt vmcnt(0)
	v_div_scale_f32 v41, s[8:9], v23, v23, v46
	v_rcp_f32_e32 v42, v41
	v_cndmask_b32_e32 v21, v33, v22, vcc
	v_cvt_f32_f16_sdwa v22, v50 dst_sel:DWORD dst_unused:UNUSED_PAD src0_sel:WORD_1
	v_fma_f32 v43, -v41, v42, 1.0
	v_fmac_f32_e32 v42, v43, v42
	v_div_scale_f32 v43, vcc, v46, v23, v46
	v_mul_f32_e32 v44, v43, v42
	v_fma_f32 v45, -v41, v44, v43
	v_fmac_f32_e32 v44, v45, v42
	v_fma_f32 v41, -v41, v44, v43
	v_div_scale_f32 v43, s[8:9], v22, v22, v47
	v_rcp_f32_e32 v45, v43
	v_div_fmas_f32 v41, v41, v42, v44
	v_div_fixup_f32 v23, v41, v23, v46
	v_fma_f32 v41, -v43, v45, 1.0
	v_fmac_f32_e32 v45, v41, v45
	v_div_scale_f32 v41, vcc, v47, v22, v47
	v_mul_f32_e32 v42, v41, v45
	v_fma_f32 v44, -v43, v42, v41
	v_fmac_f32_e32 v42, v44, v45
	v_fma_f32 v41, -v43, v42, v41
	v_div_fmas_f32 v41, v41, v45, v42
	v_cvt_f32_f16_e32 v42, v51
	v_div_fixup_f32 v22, v41, v22, v47
	v_cmp_ngt_f32_e32 vcc, s22, v22
	v_cndmask_b32_e32 v41, v32, v22, vcc
	v_div_scale_f32 v43, s[8:9], v42, v42, v48
	v_rcp_f32_e32 v44, v43
	v_cmp_ngt_f32_e32 vcc, s22, v23
	v_cndmask_b32_e32 v22, v32, v23, vcc
	v_cmp_nlt_f32_e32 vcc, s23, v22
	v_cndmask_b32_e32 v22, v33, v22, vcc
	v_cmp_nlt_f32_e32 vcc, s23, v41
	v_fma_f32 v45, -v43, v44, 1.0
	v_cndmask_b32_e32 v23, v33, v41, vcc
	v_cvt_f32_f16_sdwa v41, v51 dst_sel:DWORD dst_unused:UNUSED_PAD src0_sel:WORD_1
	v_fmac_f32_e32 v44, v45, v44
	v_div_scale_f32 v45, vcc, v48, v42, v48
	v_mul_f32_e32 v46, v45, v44
	v_fma_f32 v47, -v43, v46, v45
	v_fmac_f32_e32 v46, v47, v44
	v_fma_f32 v43, -v43, v46, v45
	v_div_scale_f32 v45, s[8:9], v41, v41, v49
	v_rcp_f32_e32 v47, v45
	v_div_fmas_f32 v43, v43, v44, v46
	v_div_fixup_f32 v42, v43, v42, v48
	s_movk_i32 s8, 0x7000
	v_fma_f32 v43, -v45, v47, 1.0
	v_fmac_f32_e32 v47, v43, v47
	v_div_scale_f32 v43, vcc, v49, v41, v49
	v_mul_f32_e32 v44, v43, v47
	v_fma_f32 v46, -v45, v44, v43
	v_fmac_f32_e32 v44, v46, v47
	v_fma_f32 v43, -v45, v44, v43
	v_div_fmas_f32 v43, v43, v47, v44
	v_div_fixup_f32 v41, v43, v41, v49
	v_cmp_ngt_f32_e32 vcc, s22, v41
	v_cndmask_b32_e32 v46, v32, v41, vcc
	v_cmp_ngt_f32_e32 vcc, s22, v42
	v_cndmask_b32_e32 v47, v32, v42, vcc
	v_add_co_u32_e32 v42, vcc, s8, v39
	v_addc_co_u32_e32 v43, vcc, 0, v40, vcc
	global_load_dwordx2 v[44:45], v[42:43], off
	v_add_co_u32_e32 v24, vcc, s7, v24
	v_addc_co_u32_e32 v25, vcc, 0, v25, vcc
	global_load_dwordx4 v[40:43], v[24:25], off
	v_cvt_f32_f16_e32 v48, v30
	v_cmp_nlt_f32_e32 vcc, s23, v47
	v_cndmask_b32_e32 v24, v33, v47, vcc
	v_cmp_nlt_f32_e32 vcc, s23, v46
	v_div_scale_f32 v39, s[8:9], v48, v48, v26
	v_rcp_f32_e32 v47, v39
	v_cndmask_b32_e32 v25, v33, v46, vcc
	v_cvt_f32_f16_sdwa v30, v30 dst_sel:DWORD dst_unused:UNUSED_PAD src0_sel:WORD_1
	global_store_dwordx4 v1, v[2:5], s[14:15]
	v_fma_f32 v46, -v39, v47, 1.0
	v_fmac_f32_e32 v47, v46, v47
	v_div_scale_f32 v46, vcc, v26, v48, v26
	v_mul_f32_e32 v49, v46, v47
	v_fma_f32 v50, -v39, v49, v46
	v_fmac_f32_e32 v49, v50, v47
	v_fma_f32 v39, -v39, v49, v46
	v_div_scale_f32 v46, s[8:9], v30, v30, v27
	v_rcp_f32_e32 v50, v46
	v_div_fmas_f32 v39, v39, v47, v49
	v_div_fixup_f32 v26, v39, v48, v26
	v_fma_f32 v39, -v46, v50, 1.0
	v_fmac_f32_e32 v50, v39, v50
	v_div_scale_f32 v39, vcc, v27, v30, v27
	v_mul_f32_e32 v47, v39, v50
	v_fma_f32 v48, -v46, v47, v39
	v_fmac_f32_e32 v47, v48, v50
	v_fma_f32 v39, -v46, v47, v39
	v_div_fmas_f32 v39, v39, v50, v47
	v_div_fixup_f32 v27, v39, v30, v27
	v_cvt_f32_f16_e32 v30, v31
	v_cmp_ngt_f32_e32 vcc, s22, v27
	v_cndmask_b32_e32 v27, v32, v27, vcc
	v_cmp_ngt_f32_e32 vcc, s22, v26
	v_div_scale_f32 v39, s[8:9], v30, v30, v28
	v_rcp_f32_e32 v46, v39
	v_cndmask_b32_e32 v26, v32, v26, vcc
	v_cmp_nlt_f32_e32 vcc, s23, v26
	v_cndmask_b32_e32 v26, v33, v26, vcc
	v_cmp_nlt_f32_e32 vcc, s23, v27
	v_fma_f32 v47, -v39, v46, 1.0
	v_cndmask_b32_e32 v27, v33, v27, vcc
	v_cvt_f32_f16_sdwa v31, v31 dst_sel:DWORD dst_unused:UNUSED_PAD src0_sel:WORD_1
	v_fmac_f32_e32 v46, v47, v46
	v_div_scale_f32 v47, vcc, v28, v30, v28
	v_mul_f32_e32 v48, v47, v46
	v_fma_f32 v49, -v39, v48, v47
	v_fmac_f32_e32 v48, v49, v46
	v_fma_f32 v39, -v39, v48, v47
	v_div_scale_f32 v47, s[8:9], v31, v31, v29
	v_rcp_f32_e32 v49, v47
	v_div_fmas_f32 v39, v39, v46, v48
	v_div_fixup_f32 v28, v39, v30, v28
	v_fma_f32 v30, -v47, v49, 1.0
	v_fmac_f32_e32 v49, v30, v49
	v_div_scale_f32 v30, vcc, v29, v31, v29
	v_mul_f32_e32 v39, v30, v49
	v_fma_f32 v46, -v47, v39, v30
	v_fmac_f32_e32 v39, v46, v49
	v_fma_f32 v30, -v47, v39, v30
	v_div_fmas_f32 v30, v30, v49, v39
	v_div_fixup_f32 v29, v30, v31, v29
	v_cmp_ngt_f32_e32 vcc, s22, v29
	v_cndmask_b32_e32 v29, v32, v29, vcc
	v_cmp_ngt_f32_e32 vcc, s22, v28
	s_waitcnt vmcnt(2)
	v_cvt_f32_f16_e32 v30, v44
	v_cndmask_b32_e32 v28, v32, v28, vcc
	v_cmp_nlt_f32_e32 vcc, s23, v28
	v_cndmask_b32_e32 v28, v33, v28, vcc
	v_cmp_nlt_f32_e32 vcc, s23, v29
	s_waitcnt vmcnt(1)
	v_div_scale_f32 v31, s[8:9], v30, v30, v40
	v_rcp_f32_e32 v39, v31
	v_cndmask_b32_e32 v29, v33, v29, vcc
	v_cvt_f32_f16_sdwa v44, v44 dst_sel:DWORD dst_unused:UNUSED_PAD src0_sel:WORD_1
	v_fma_f32 v46, -v31, v39, 1.0
	v_fmac_f32_e32 v39, v46, v39
	v_div_scale_f32 v46, vcc, v40, v30, v40
	v_mul_f32_e32 v47, v46, v39
	v_fma_f32 v48, -v31, v47, v46
	v_fmac_f32_e32 v47, v48, v39
	v_fma_f32 v31, -v31, v47, v46
	v_div_scale_f32 v46, s[8:9], v44, v44, v41
	v_rcp_f32_e32 v48, v46
	v_div_fmas_f32 v31, v31, v39, v47
	v_div_fixup_f32 v30, v31, v30, v40
	v_fma_f32 v31, -v46, v48, 1.0
	v_fmac_f32_e32 v48, v31, v48
	v_div_scale_f32 v31, vcc, v41, v44, v41
	v_mul_f32_e32 v39, v31, v48
	v_fma_f32 v40, -v46, v39, v31
	v_fmac_f32_e32 v39, v40, v48
	v_fma_f32 v31, -v46, v39, v31
	v_div_fmas_f32 v31, v31, v48, v39
	v_cvt_f32_f16_e32 v39, v45
	v_div_fixup_f32 v31, v31, v44, v41
	v_cmp_ngt_f32_e32 vcc, s22, v31
	v_cndmask_b32_e32 v31, v32, v31, vcc
	v_div_scale_f32 v40, s[8:9], v39, v39, v42
	v_rcp_f32_e32 v41, v40
	v_cmp_ngt_f32_e32 vcc, s22, v30
	v_cndmask_b32_e32 v30, v32, v30, vcc
	v_cmp_nlt_f32_e32 vcc, s23, v30
	v_cndmask_b32_e32 v30, v33, v30, vcc
	v_cmp_nlt_f32_e32 vcc, s23, v31
	v_cvt_f32_f16_sdwa v44, v45 dst_sel:DWORD dst_unused:UNUSED_PAD src0_sel:WORD_1
	v_fma_f32 v45, -v40, v41, 1.0
	v_cndmask_b32_e32 v31, v33, v31, vcc
	v_fmac_f32_e32 v41, v45, v41
	v_div_scale_f32 v45, vcc, v42, v39, v42
	v_mul_f32_e32 v46, v45, v41
	v_fma_f32 v47, -v40, v46, v45
	v_fmac_f32_e32 v46, v47, v41
	v_fma_f32 v40, -v40, v46, v45
	v_div_scale_f32 v45, s[8:9], v44, v44, v43
	v_rcp_f32_e32 v47, v45
	v_div_fmas_f32 v40, v40, v41, v46
	v_div_fixup_f32 v39, v40, v39, v42
	v_fma_f32 v40, -v45, v47, 1.0
	v_fmac_f32_e32 v47, v40, v47
	v_div_scale_f32 v40, vcc, v43, v44, v43
	v_mul_f32_e32 v41, v40, v47
	v_fma_f32 v42, -v45, v41, v40
	v_fmac_f32_e32 v41, v42, v47
	v_fma_f32 v40, -v45, v41, v40
	v_div_fmas_f32 v40, v40, v47, v41
	v_div_fixup_f32 v40, v40, v44, v43
	v_cmp_ngt_f32_e32 vcc, s22, v40
	v_cndmask_b32_e32 v40, v32, v40, vcc
	v_cmp_ngt_f32_e32 vcc, s22, v39
	v_cndmask_b32_e32 v32, v32, v39, vcc
	v_cmp_nlt_f32_e32 vcc, s23, v32
	v_cndmask_b32_e32 v32, v33, v32, vcc
	v_cmp_nlt_f32_e32 vcc, s23, v40
	v_cndmask_b32_e32 v33, v33, v40, vcc
	v_add_co_u32_e32 v2, vcc, s24, v38
	v_addc_co_u32_e32 v3, vcc, 0, v37, vcc
	global_store_dwordx4 v[2:3], v[6:9], off
	global_store_dwordx4 v36, v[10:13], s[14:15]
	v_add_co_u32_e32 v2, vcc, s6, v38
	v_addc_co_u32_e32 v3, vcc, 0, v37, vcc
	global_store_dwordx4 v[2:3], v[14:17], off
	global_store_dwordx4 v35, v[18:21], s[14:15]
	;; [unrolled: 4-line block ×3, first 2 shown]
	v_add_co_u32_e32 v2, vcc, 0xe000, v38
	v_addc_co_u32_e32 v3, vcc, 0, v37, vcc
	global_store_dwordx4 v[2:3], v[30:33], off
	s_cbranch_execnz .LBB25_2
.LBB25_4:
	s_load_dword s6, s[4:5], 0x24
	s_load_dwordx4 s[20:23], s[4:5], 0x28
	s_add_u32 s8, s4, 56
	s_addc_u32 s9, s5, 0
	v_mov_b32_e32 v31, v0
	s_waitcnt lgkmcnt(0)
	v_lshrrev_b16_e64 v8, 8, s6
	v_mov_b32_e32 v0, s16
	v_mov_b32_e32 v1, s17
	;; [unrolled: 1-line block ×12, first 2 shown]
	s_getpc_b64 s[4:5]
	s_add_u32 s4, s4, _ZN2at6native25elementwise_kernel_helperILb1EZZZNS0_23launch_dirichlet_kernelERNS_18TensorIteratorBaseEENKUlvE_clEvENKUlvE0_clEvEUlffE_NS0_6memory8policies11unroll_baseILi512ESt5arrayIPcLm3EE23TrivialOffsetCalculatorILi2EjESD_ILi1EjENS7_12LoadWithCastILi2EEENS7_13StoreWithCastILi1EEELi32ELi1EEEEEvT0_T1_@rel32@lo+4
	s_addc_u32 s5, s5, _ZN2at6native25elementwise_kernel_helperILb1EZZZNS0_23launch_dirichlet_kernelERNS_18TensorIteratorBaseEENKUlvE_clEvENKUlvE0_clEvEUlffE_NS0_6memory8policies11unroll_baseILi512ESt5arrayIPcLm3EE23TrivialOffsetCalculatorILi2EjESD_ILi1EjENS7_12LoadWithCastILi2EEENS7_13StoreWithCastILi1EEELi32ELi1EEEEEvT0_T1_@rel32@hi+12
	s_swappc_b64 s[30:31], s[4:5]
	s_endpgm
	.section	.rodata,"a",@progbits
	.p2align	6, 0x0
	.amdhsa_kernel _ZN2at6native39vectorized_templated_elementwise_kernelILi4EZZZNS0_23launch_dirichlet_kernelERNS_18TensorIteratorBaseEENKUlvE_clEvENKUlvE0_clEvEUlffE_St5arrayIPcLm3EE23TrivialOffsetCalculatorILi2EjESA_ILi1EjENS0_6memory12LoadWithCastILi2EEENSD_13StoreWithCastILi1EEEfJfN3c104HalfEEEEviT0_T1_T2_T3_T4_T5_
		.amdhsa_group_segment_fixed_size 0
		.amdhsa_private_segment_fixed_size 288
		.amdhsa_kernarg_size 312
		.amdhsa_user_sgpr_count 8
		.amdhsa_user_sgpr_private_segment_buffer 1
		.amdhsa_user_sgpr_dispatch_ptr 0
		.amdhsa_user_sgpr_queue_ptr 0
		.amdhsa_user_sgpr_kernarg_segment_ptr 1
		.amdhsa_user_sgpr_dispatch_id 0
		.amdhsa_user_sgpr_flat_scratch_init 1
		.amdhsa_user_sgpr_kernarg_preload_length 0
		.amdhsa_user_sgpr_kernarg_preload_offset 0
		.amdhsa_user_sgpr_private_segment_size 0
		.amdhsa_uses_dynamic_stack 0
		.amdhsa_system_sgpr_private_segment_wavefront_offset 1
		.amdhsa_system_sgpr_workgroup_id_x 1
		.amdhsa_system_sgpr_workgroup_id_y 0
		.amdhsa_system_sgpr_workgroup_id_z 0
		.amdhsa_system_sgpr_workgroup_info 0
		.amdhsa_system_vgpr_workitem_id 0
		.amdhsa_next_free_vgpr 118
		.amdhsa_next_free_sgpr 98
		.amdhsa_accum_offset 120
		.amdhsa_reserve_vcc 1
		.amdhsa_reserve_flat_scratch 1
		.amdhsa_float_round_mode_32 0
		.amdhsa_float_round_mode_16_64 0
		.amdhsa_float_denorm_mode_32 3
		.amdhsa_float_denorm_mode_16_64 3
		.amdhsa_dx10_clamp 1
		.amdhsa_ieee_mode 1
		.amdhsa_fp16_overflow 0
		.amdhsa_tg_split 0
		.amdhsa_exception_fp_ieee_invalid_op 0
		.amdhsa_exception_fp_denorm_src 0
		.amdhsa_exception_fp_ieee_div_zero 0
		.amdhsa_exception_fp_ieee_overflow 0
		.amdhsa_exception_fp_ieee_underflow 0
		.amdhsa_exception_fp_ieee_inexact 0
		.amdhsa_exception_int_div_zero 0
	.end_amdhsa_kernel
	.section	.text._ZN2at6native39vectorized_templated_elementwise_kernelILi4EZZZNS0_23launch_dirichlet_kernelERNS_18TensorIteratorBaseEENKUlvE_clEvENKUlvE0_clEvEUlffE_St5arrayIPcLm3EE23TrivialOffsetCalculatorILi2EjESA_ILi1EjENS0_6memory12LoadWithCastILi2EEENSD_13StoreWithCastILi1EEEfJfN3c104HalfEEEEviT0_T1_T2_T3_T4_T5_,"axG",@progbits,_ZN2at6native39vectorized_templated_elementwise_kernelILi4EZZZNS0_23launch_dirichlet_kernelERNS_18TensorIteratorBaseEENKUlvE_clEvENKUlvE0_clEvEUlffE_St5arrayIPcLm3EE23TrivialOffsetCalculatorILi2EjESA_ILi1EjENS0_6memory12LoadWithCastILi2EEENSD_13StoreWithCastILi1EEEfJfN3c104HalfEEEEviT0_T1_T2_T3_T4_T5_,comdat
.Lfunc_end25:
	.size	_ZN2at6native39vectorized_templated_elementwise_kernelILi4EZZZNS0_23launch_dirichlet_kernelERNS_18TensorIteratorBaseEENKUlvE_clEvENKUlvE0_clEvEUlffE_St5arrayIPcLm3EE23TrivialOffsetCalculatorILi2EjESA_ILi1EjENS0_6memory12LoadWithCastILi2EEENSD_13StoreWithCastILi1EEEfJfN3c104HalfEEEEviT0_T1_T2_T3_T4_T5_, .Lfunc_end25-_ZN2at6native39vectorized_templated_elementwise_kernelILi4EZZZNS0_23launch_dirichlet_kernelERNS_18TensorIteratorBaseEENKUlvE_clEvENKUlvE0_clEvEUlffE_St5arrayIPcLm3EE23TrivialOffsetCalculatorILi2EjESA_ILi1EjENS0_6memory12LoadWithCastILi2EEENSD_13StoreWithCastILi1EEEfJfN3c104HalfEEEEviT0_T1_T2_T3_T4_T5_
                                        ; -- End function
	.section	.AMDGPU.csdata,"",@progbits
; Kernel info:
; codeLenInByte = 3776
; NumSgprs: 104
; NumVgprs: 118
; NumAgprs: 0
; TotalNumVgprs: 118
; ScratchSize: 288
; MemoryBound: 0
; FloatMode: 240
; IeeeMode: 1
; LDSByteSize: 0 bytes/workgroup (compile time only)
; SGPRBlocks: 12
; VGPRBlocks: 14
; NumSGPRsForWavesPerEU: 104
; NumVGPRsForWavesPerEU: 118
; AccumOffset: 120
; Occupancy: 4
; WaveLimiterHint : 0
; COMPUTE_PGM_RSRC2:SCRATCH_EN: 1
; COMPUTE_PGM_RSRC2:USER_SGPR: 8
; COMPUTE_PGM_RSRC2:TRAP_HANDLER: 0
; COMPUTE_PGM_RSRC2:TGID_X_EN: 1
; COMPUTE_PGM_RSRC2:TGID_Y_EN: 0
; COMPUTE_PGM_RSRC2:TGID_Z_EN: 0
; COMPUTE_PGM_RSRC2:TIDIG_COMP_CNT: 0
; COMPUTE_PGM_RSRC3_GFX90A:ACCUM_OFFSET: 29
; COMPUTE_PGM_RSRC3_GFX90A:TG_SPLIT: 0
	.section	.text._ZN2at6native39vectorized_templated_elementwise_kernelILi2EZZZNS0_23launch_dirichlet_kernelERNS_18TensorIteratorBaseEENKUlvE_clEvENKUlvE0_clEvEUlffE_St5arrayIPcLm3EE23TrivialOffsetCalculatorILi2EjESA_ILi1EjENS0_6memory12LoadWithCastILi2EEENSD_13StoreWithCastILi1EEEfJfN3c104HalfEEEEviT0_T1_T2_T3_T4_T5_,"axG",@progbits,_ZN2at6native39vectorized_templated_elementwise_kernelILi2EZZZNS0_23launch_dirichlet_kernelERNS_18TensorIteratorBaseEENKUlvE_clEvENKUlvE0_clEvEUlffE_St5arrayIPcLm3EE23TrivialOffsetCalculatorILi2EjESA_ILi1EjENS0_6memory12LoadWithCastILi2EEENSD_13StoreWithCastILi1EEEfJfN3c104HalfEEEEviT0_T1_T2_T3_T4_T5_,comdat
	.globl	_ZN2at6native39vectorized_templated_elementwise_kernelILi2EZZZNS0_23launch_dirichlet_kernelERNS_18TensorIteratorBaseEENKUlvE_clEvENKUlvE0_clEvEUlffE_St5arrayIPcLm3EE23TrivialOffsetCalculatorILi2EjESA_ILi1EjENS0_6memory12LoadWithCastILi2EEENSD_13StoreWithCastILi1EEEfJfN3c104HalfEEEEviT0_T1_T2_T3_T4_T5_ ; -- Begin function _ZN2at6native39vectorized_templated_elementwise_kernelILi2EZZZNS0_23launch_dirichlet_kernelERNS_18TensorIteratorBaseEENKUlvE_clEvENKUlvE0_clEvEUlffE_St5arrayIPcLm3EE23TrivialOffsetCalculatorILi2EjESA_ILi1EjENS0_6memory12LoadWithCastILi2EEENSD_13StoreWithCastILi1EEEfJfN3c104HalfEEEEviT0_T1_T2_T3_T4_T5_
	.p2align	8
	.type	_ZN2at6native39vectorized_templated_elementwise_kernelILi2EZZZNS0_23launch_dirichlet_kernelERNS_18TensorIteratorBaseEENKUlvE_clEvENKUlvE0_clEvEUlffE_St5arrayIPcLm3EE23TrivialOffsetCalculatorILi2EjESA_ILi1EjENS0_6memory12LoadWithCastILi2EEENSD_13StoreWithCastILi1EEEfJfN3c104HalfEEEEviT0_T1_T2_T3_T4_T5_,@function
_ZN2at6native39vectorized_templated_elementwise_kernelILi2EZZZNS0_23launch_dirichlet_kernelERNS_18TensorIteratorBaseEENKUlvE_clEvENKUlvE0_clEvEUlffE_St5arrayIPcLm3EE23TrivialOffsetCalculatorILi2EjESA_ILi1EjENS0_6memory12LoadWithCastILi2EEENSD_13StoreWithCastILi1EEEfJfN3c104HalfEEEEviT0_T1_T2_T3_T4_T5_: ; @_ZN2at6native39vectorized_templated_elementwise_kernelILi2EZZZNS0_23launch_dirichlet_kernelERNS_18TensorIteratorBaseEENKUlvE_clEvENKUlvE0_clEvEUlffE_St5arrayIPcLm3EE23TrivialOffsetCalculatorILi2EjESA_ILi1EjENS0_6memory12LoadWithCastILi2EEENSD_13StoreWithCastILi1EEEfJfN3c104HalfEEEEviT0_T1_T2_T3_T4_T5_
; %bb.0:
	s_add_u32 flat_scratch_lo, s6, s9
	s_addc_u32 flat_scratch_hi, s7, 0
	s_add_u32 s0, s0, s9
	s_load_dword s6, s[4:5], 0x38
	s_load_dwordx2 s[10:11], s[4:5], 0x18
	s_load_dword s7, s[4:5], 0x0
	s_load_dwordx4 s[16:19], s[4:5], 0x8
	s_addc_u32 s1, s1, 0
	s_mov_b32 s12, s8
	s_not_b32 s8, s8
	s_waitcnt lgkmcnt(0)
	s_add_i32 s6, s6, s8
	s_lshl_b32 s8, s6, 14
	s_sub_i32 s13, s7, s8
	s_cmpk_gt_i32 s13, 0x3fff
	s_mov_b64 s[6:7], -1
	s_mov_b32 s32, 0
	s_cbranch_scc1 .LBB26_3
; %bb.1:
	s_andn2_b64 vcc, exec, s[6:7]
	s_cbranch_vccz .LBB26_4
.LBB26_2:
	s_endpgm
.LBB26_3:
	s_ashr_i32 s9, s8, 31
	s_lshl_b64 s[6:7], s[8:9], 2
	s_add_u32 s20, s18, s6
	s_addc_u32 s21, s19, s7
	s_lshl_b64 s[8:9], s[8:9], 1
	s_add_u32 s8, s10, s8
	s_addc_u32 s9, s11, s9
	v_lshlrev_b32_e32 v8, 2, v0
	global_load_dword v9, v8, s[8:9]
	global_load_dword v12, v8, s[8:9] offset:2048
	v_lshlrev_b32_e32 v30, 3, v0
	global_load_dwordx2 v[2:3], v30, s[20:21]
	v_mov_b32_e32 v1, s21
	v_add_co_u32_e32 v39, vcc, s20, v30
	s_movk_i32 s22, 0x1000
	v_addc_co_u32_e32 v40, vcc, 0, v1, vcc
	v_add_co_u32_e32 v4, vcc, s22, v39
	v_addc_co_u32_e32 v5, vcc, 0, v40, vcc
	global_load_dwordx2 v[4:5], v[4:5], off
	v_or_b32_e32 v6, 0x400, v0
	v_or_b32_e32 v7, 0x800, v0
	;; [unrolled: 1-line block ×7, first 2 shown]
	v_lshlrev_b32_e32 v36, 3, v6
	v_lshlrev_b32_e32 v16, 2, v6
	;; [unrolled: 1-line block ×14, first 2 shown]
	global_load_dwordx2 v[6:7], v36, s[20:21]
	global_load_dwordx2 v[10:11], v34, s[20:21]
	;; [unrolled: 1-line block ×3, first 2 shown]
	global_load_dword v23, v16, s[8:9]
	global_load_dword v25, v17, s[8:9]
	;; [unrolled: 1-line block ×6, first 2 shown]
	v_mov_b32_e32 v22, s9
	s_add_u32 s14, s16, s6
	v_add_co_u32_e32 v44, vcc, s8, v8
	v_addc_co_u32_e32 v45, vcc, 0, v22, vcc
	s_addc_u32 s15, s17, s7
	v_mov_b32_e32 v8, s15
	v_add_co_u32_e32 v43, vcc, s14, v30
	v_addc_co_u32_e32 v42, vcc, 0, v8, vcc
	s_mov_b32 s23, 0x800000
	v_mov_b32_e32 v37, 0x800000
	s_mov_b32 s24, 0x3f7ffffe
	v_mov_b32_e32 v38, 0x3f7ffffe
	s_movk_i32 s25, 0x3000
	s_movk_i32 s26, 0x5000
	;; [unrolled: 1-line block ×3, first 2 shown]
	s_mov_b32 s28, 0x9000
	s_waitcnt vmcnt(12)
	v_cvt_f32_f16_e32 v13, v9
	v_cvt_f32_f16_sdwa v8, v9 dst_sel:DWORD dst_unused:UNUSED_PAD src0_sel:WORD_1
	s_waitcnt vmcnt(10)
	v_div_scale_f32 v9, s[6:7], v13, v13, v2
	v_rcp_f32_e32 v19, v9
	v_div_scale_f32 v17, s[6:7], v8, v8, v3
	v_rcp_f32_e32 v20, v17
	v_fma_f32 v22, -v9, v19, 1.0
	v_div_scale_f32 v16, vcc, v2, v13, v2
	v_fmac_f32_e32 v19, v22, v19
	v_fma_f32 v27, -v17, v20, 1.0
	v_mul_f32_e32 v22, v16, v19
	v_div_scale_f32 v21, s[6:7], v3, v8, v3
	v_fmac_f32_e32 v20, v27, v20
	v_fma_f32 v28, -v9, v22, v16
	v_mul_f32_e32 v27, v21, v20
	v_fmac_f32_e32 v22, v28, v19
	v_fma_f32 v29, -v17, v27, v21
	v_fma_f32 v9, -v9, v22, v16
	v_fmac_f32_e32 v27, v29, v20
	v_div_fmas_f32 v9, v9, v19, v22
	v_fma_f32 v16, -v17, v27, v21
	v_div_fixup_f32 v2, v9, v13, v2
	s_mov_b64 vcc, s[6:7]
	v_cvt_f32_f16_sdwa v13, v12 dst_sel:DWORD dst_unused:UNUSED_PAD src0_sel:WORD_1
	v_div_fmas_f32 v9, v16, v20, v27
	v_div_fixup_f32 v3, v9, v8, v3
	v_cmp_ngt_f32_e32 vcc, s23, v2
	v_cndmask_b32_e32 v2, v37, v2, vcc
	v_cmp_ngt_f32_e32 vcc, s23, v3
	v_cndmask_b32_e32 v3, v37, v3, vcc
	v_cmp_nlt_f32_e32 vcc, s24, v2
	s_waitcnt vmcnt(9)
	v_div_scale_f32 v17, s[6:7], v13, v13, v5
	v_cndmask_b32_e32 v2, v38, v2, vcc
	v_add_co_u32_e32 v8, vcc, s22, v44
	v_rcp_f32_e32 v19, v17
	v_addc_co_u32_e32 v9, vcc, 0, v45, vcc
	global_load_dword v16, v[8:9], off offset:2048
	v_add_co_u32_e32 v8, vcc, s25, v39
	v_addc_co_u32_e32 v9, vcc, 0, v40, vcc
	v_cmp_nlt_f32_e32 vcc, s24, v3
	v_fma_f32 v20, -v17, v19, 1.0
	v_cndmask_b32_e32 v3, v38, v3, vcc
	v_cvt_f32_f16_e32 v12, v12
	v_fmac_f32_e32 v19, v20, v19
	v_div_scale_f32 v20, vcc, v5, v13, v5
	global_load_dwordx2 v[8:9], v[8:9], off
	v_mul_f32_e32 v21, v20, v19
	v_fma_f32 v22, -v17, v21, v20
	v_fmac_f32_e32 v21, v22, v19
	v_fma_f32 v17, -v17, v21, v20
	v_div_scale_f32 v20, s[6:7], v12, v12, v4
	v_rcp_f32_e32 v22, v20
	v_div_fmas_f32 v17, v17, v19, v21
	v_div_fixup_f32 v5, v17, v13, v5
	v_fma_f32 v13, -v20, v22, 1.0
	v_fmac_f32_e32 v22, v13, v22
	v_div_scale_f32 v13, vcc, v4, v12, v4
	v_mul_f32_e32 v17, v13, v22
	v_fma_f32 v19, -v20, v17, v13
	v_fmac_f32_e32 v17, v19, v22
	v_fma_f32 v13, -v20, v17, v13
	v_div_fmas_f32 v13, v13, v22, v17
	v_div_fixup_f32 v4, v13, v12, v4
	s_waitcnt vmcnt(7)
	v_cvt_f32_f16_e32 v12, v23
	v_cmp_ngt_f32_e32 vcc, s23, v4
	v_cndmask_b32_e32 v4, v37, v4, vcc
	v_cmp_ngt_f32_e32 vcc, s23, v5
	v_div_scale_f32 v13, s[6:7], v12, v12, v6
	v_rcp_f32_e32 v17, v13
	v_cndmask_b32_e32 v5, v37, v5, vcc
	v_cmp_nlt_f32_e32 vcc, s24, v5
	v_cndmask_b32_e32 v5, v38, v5, vcc
	v_cmp_nlt_f32_e32 vcc, s24, v4
	v_fma_f32 v20, -v13, v17, 1.0
	v_cndmask_b32_e32 v4, v38, v4, vcc
	v_cvt_f32_f16_sdwa v19, v23 dst_sel:DWORD dst_unused:UNUSED_PAD src0_sel:WORD_1
	v_fmac_f32_e32 v17, v20, v17
	v_div_scale_f32 v20, vcc, v6, v12, v6
	v_mul_f32_e32 v21, v20, v17
	v_fma_f32 v22, -v13, v21, v20
	v_fmac_f32_e32 v21, v22, v17
	v_fma_f32 v13, -v13, v21, v20
	v_div_scale_f32 v20, s[6:7], v19, v19, v7
	v_rcp_f32_e32 v22, v20
	v_div_fmas_f32 v13, v13, v17, v21
	v_div_fixup_f32 v6, v13, v12, v6
	s_movk_i32 s6, 0x2000
	v_fma_f32 v12, -v20, v22, 1.0
	v_fmac_f32_e32 v22, v12, v22
	v_div_scale_f32 v12, vcc, v7, v19, v7
	v_mul_f32_e32 v13, v12, v22
	v_fma_f32 v17, -v20, v13, v12
	v_fmac_f32_e32 v13, v17, v22
	v_fma_f32 v12, -v20, v13, v12
	v_div_fmas_f32 v12, v12, v22, v13
	v_div_fixup_f32 v7, v12, v19, v7
	v_cmp_ngt_f32_e32 vcc, s23, v7
	v_cndmask_b32_e32 v17, v37, v7, vcc
	v_cmp_ngt_f32_e32 vcc, s23, v6
	v_cndmask_b32_e32 v19, v37, v6, vcc
	v_add_co_u32_e32 v6, vcc, s6, v44
	v_addc_co_u32_e32 v7, vcc, 0, v45, vcc
	global_load_dword v21, v[6:7], off offset:2048
	v_add_co_u32_e32 v6, vcc, s26, v39
	v_addc_co_u32_e32 v7, vcc, 0, v40, vcc
	global_load_dwordx2 v[12:13], v[6:7], off
	s_waitcnt vmcnt(3)
	v_cvt_f32_f16_e32 v20, v16
	v_cmp_nlt_f32_e32 vcc, s24, v19
	v_cndmask_b32_e32 v6, v38, v19, vcc
	v_cmp_nlt_f32_e32 vcc, s24, v17
	v_cndmask_b32_e32 v7, v38, v17, vcc
	v_cvt_f32_f16_sdwa v16, v16 dst_sel:DWORD dst_unused:UNUSED_PAD src0_sel:WORD_1
	s_waitcnt vmcnt(2)
	v_div_scale_f32 v19, s[6:7], v20, v20, v8
	v_rcp_f32_e32 v22, v19
	v_fma_f32 v17, -v19, v22, 1.0
	v_fmac_f32_e32 v22, v17, v22
	v_div_scale_f32 v17, vcc, v8, v20, v8
	v_mul_f32_e32 v23, v17, v22
	v_fma_f32 v27, -v19, v23, v17
	v_fmac_f32_e32 v23, v27, v22
	v_fma_f32 v17, -v19, v23, v17
	v_div_scale_f32 v19, s[6:7], v16, v16, v9
	v_rcp_f32_e32 v27, v19
	v_div_fmas_f32 v17, v17, v22, v23
	v_div_fixup_f32 v8, v17, v20, v8
	v_fma_f32 v17, -v19, v27, 1.0
	v_fmac_f32_e32 v27, v17, v27
	v_div_scale_f32 v17, vcc, v9, v16, v9
	v_mul_f32_e32 v20, v17, v27
	v_fma_f32 v22, -v19, v20, v17
	v_fmac_f32_e32 v20, v22, v27
	v_fma_f32 v17, -v19, v20, v17
	v_div_fmas_f32 v17, v17, v27, v20
	v_div_fixup_f32 v9, v17, v16, v9
	v_cvt_f32_f16_e32 v16, v25
	v_cmp_ngt_f32_e32 vcc, s23, v9
	v_cndmask_b32_e32 v9, v37, v9, vcc
	v_cmp_ngt_f32_e32 vcc, s23, v8
	v_div_scale_f32 v17, s[6:7], v16, v16, v10
	v_rcp_f32_e32 v19, v17
	v_cndmask_b32_e32 v8, v37, v8, vcc
	v_cmp_nlt_f32_e32 vcc, s24, v8
	v_cndmask_b32_e32 v8, v38, v8, vcc
	v_cmp_nlt_f32_e32 vcc, s24, v9
	v_fma_f32 v22, -v17, v19, 1.0
	v_cndmask_b32_e32 v9, v38, v9, vcc
	v_cvt_f32_f16_sdwa v20, v25 dst_sel:DWORD dst_unused:UNUSED_PAD src0_sel:WORD_1
	v_fmac_f32_e32 v19, v22, v19
	v_div_scale_f32 v22, vcc, v10, v16, v10
	v_mul_f32_e32 v23, v22, v19
	v_fma_f32 v25, -v17, v23, v22
	v_fmac_f32_e32 v23, v25, v19
	v_fma_f32 v17, -v17, v23, v22
	v_div_scale_f32 v22, s[6:7], v20, v20, v11
	v_rcp_f32_e32 v25, v22
	v_div_fmas_f32 v17, v17, v19, v23
	v_div_fixup_f32 v10, v17, v16, v10
	v_fma_f32 v16, -v22, v25, 1.0
	v_fmac_f32_e32 v25, v16, v25
	v_div_scale_f32 v16, vcc, v11, v20, v11
	v_mul_f32_e32 v17, v16, v25
	v_fma_f32 v19, -v22, v17, v16
	v_fmac_f32_e32 v17, v19, v25
	v_fma_f32 v16, -v22, v17, v16
	v_div_fmas_f32 v16, v16, v25, v17
	s_waitcnt vmcnt(1)
	v_cvt_f32_f16_e32 v19, v21
	v_div_fixup_f32 v11, v16, v20, v11
	v_cmp_ngt_f32_e32 vcc, s23, v11
	v_cndmask_b32_e32 v11, v37, v11, vcc
	v_cmp_ngt_f32_e32 vcc, s23, v10
	s_waitcnt vmcnt(0)
	v_div_scale_f32 v20, s[6:7], v19, v19, v12
	v_cndmask_b32_e32 v10, v37, v10, vcc
	v_rcp_f32_e32 v22, v20
	v_cmp_nlt_f32_e32 vcc, s24, v10
	v_cndmask_b32_e32 v10, v38, v10, vcc
	v_add_co_u32_e32 v16, vcc, s25, v44
	v_addc_co_u32_e32 v17, vcc, 0, v45, vcc
	global_load_dword v25, v[16:17], off offset:2048
	v_cmp_nlt_f32_e32 vcc, s24, v11
	v_fma_f32 v16, -v20, v22, 1.0
	v_cndmask_b32_e32 v11, v38, v11, vcc
	v_cvt_f32_f16_sdwa v21, v21 dst_sel:DWORD dst_unused:UNUSED_PAD src0_sel:WORD_1
	v_fmac_f32_e32 v22, v16, v22
	v_div_scale_f32 v23, vcc, v12, v19, v12
	v_mul_f32_e32 v27, v23, v22
	v_fma_f32 v28, -v20, v27, v23
	v_add_co_u32_e64 v16, s[6:7], s27, v39
	v_fmac_f32_e32 v27, v28, v22
	v_addc_co_u32_e64 v17, s[6:7], 0, v40, s[6:7]
	v_fma_f32 v20, -v20, v27, v23
	v_div_scale_f32 v23, s[6:7], v21, v21, v13
	v_rcp_f32_e32 v28, v23
	v_div_fmas_f32 v20, v20, v22, v27
	v_div_fixup_f32 v12, v20, v19, v12
	global_load_dwordx2 v[16:17], v[16:17], off
	v_fma_f32 v19, -v23, v28, 1.0
	v_fmac_f32_e32 v28, v19, v28
	v_div_scale_f32 v19, vcc, v13, v21, v13
	v_mul_f32_e32 v20, v19, v28
	v_fma_f32 v22, -v23, v20, v19
	v_fmac_f32_e32 v20, v22, v28
	v_fma_f32 v19, -v23, v20, v19
	v_div_fmas_f32 v19, v19, v28, v20
	v_div_fixup_f32 v13, v19, v21, v13
	v_cvt_f32_f16_e32 v19, v26
	v_cmp_ngt_f32_e32 vcc, s23, v13
	v_cndmask_b32_e32 v13, v37, v13, vcc
	v_cmp_ngt_f32_e32 vcc, s23, v12
	v_div_scale_f32 v22, s[6:7], v19, v19, v14
	v_rcp_f32_e32 v23, v22
	v_cndmask_b32_e32 v12, v37, v12, vcc
	v_cmp_nlt_f32_e32 vcc, s24, v12
	v_cndmask_b32_e32 v12, v38, v12, vcc
	v_cmp_nlt_f32_e32 vcc, s24, v13
	v_fma_f32 v20, -v22, v23, 1.0
	v_cndmask_b32_e32 v13, v38, v13, vcc
	v_cvt_f32_f16_sdwa v26, v26 dst_sel:DWORD dst_unused:UNUSED_PAD src0_sel:WORD_1
	v_fmac_f32_e32 v23, v20, v23
	v_div_scale_f32 v27, vcc, v14, v19, v14
	v_mul_f32_e32 v28, v27, v23
	v_fma_f32 v20, -v22, v28, v27
	v_fmac_f32_e32 v28, v20, v23
	v_fma_f32 v22, -v22, v28, v27
	v_div_scale_f32 v27, s[6:7], v26, v26, v15
	v_rcp_f32_e32 v29, v27
	v_div_fmas_f32 v22, v22, v23, v28
	v_div_fixup_f32 v14, v22, v19, v14
	s_movk_i32 s6, 0x4000
	v_fma_f32 v19, -v27, v29, 1.0
	v_fmac_f32_e32 v29, v19, v29
	v_div_scale_f32 v19, vcc, v15, v26, v15
	v_mul_f32_e32 v22, v19, v29
	v_fma_f32 v23, -v27, v22, v19
	v_fmac_f32_e32 v22, v23, v29
	v_fma_f32 v19, -v27, v22, v19
	v_div_fmas_f32 v19, v19, v29, v22
	v_div_fixup_f32 v15, v19, v26, v15
	v_cmp_ngt_f32_e32 vcc, s23, v15
	v_cndmask_b32_e32 v15, v37, v15, vcc
	v_cmp_ngt_f32_e32 vcc, s23, v14
	v_cndmask_b32_e32 v14, v37, v14, vcc
	v_cmp_nlt_f32_e32 vcc, s24, v14
	v_cndmask_b32_e32 v14, v38, v14, vcc
	v_add_co_u32_e32 v22, vcc, s6, v44
	v_addc_co_u32_e32 v23, vcc, 0, v45, vcc
	global_load_dword v47, v[22:23], off offset:2048
	v_add_co_u32_e32 v22, vcc, s28, v39
	v_addc_co_u32_e32 v23, vcc, 0, v40, vcc
	global_load_dwordx2 v[28:29], v[22:23], off
	global_load_dwordx2 v[20:21], v33, s[20:21]
	s_waitcnt vmcnt(4)
	v_cvt_f32_f16_e32 v19, v25
	v_cmp_nlt_f32_e32 vcc, s24, v15
	v_cndmask_b32_e32 v15, v38, v15, vcc
	v_cvt_f32_f16_sdwa v25, v25 dst_sel:DWORD dst_unused:UNUSED_PAD src0_sel:WORD_1
	s_waitcnt vmcnt(3)
	v_div_scale_f32 v22, s[6:7], v19, v19, v16
	v_rcp_f32_e32 v23, v22
	v_fma_f32 v26, -v22, v23, 1.0
	v_fmac_f32_e32 v23, v26, v23
	v_div_scale_f32 v26, vcc, v16, v19, v16
	v_mul_f32_e32 v27, v26, v23
	v_fma_f32 v48, -v22, v27, v26
	v_fmac_f32_e32 v27, v48, v23
	v_fma_f32 v22, -v22, v27, v26
	v_div_scale_f32 v26, s[6:7], v25, v25, v17
	v_rcp_f32_e32 v48, v26
	v_div_fmas_f32 v22, v22, v23, v27
	v_div_fixup_f32 v16, v22, v19, v16
	v_fma_f32 v19, -v26, v48, 1.0
	v_fmac_f32_e32 v48, v19, v48
	v_div_scale_f32 v19, vcc, v17, v25, v17
	v_mul_f32_e32 v22, v19, v48
	v_fma_f32 v23, -v26, v22, v19
	v_fmac_f32_e32 v22, v23, v48
	v_fma_f32 v19, -v26, v22, v19
	v_div_fmas_f32 v19, v19, v48, v22
	v_div_fixup_f32 v17, v19, v25, v17
	v_cvt_f32_f16_e32 v19, v18
	v_cmp_ngt_f32_e32 vcc, s23, v17
	v_cndmask_b32_e32 v17, v37, v17, vcc
	v_cmp_ngt_f32_e32 vcc, s23, v16
	v_cndmask_b32_e32 v16, v37, v16, vcc
	v_cmp_nlt_f32_e32 vcc, s24, v16
	v_cndmask_b32_e32 v16, v38, v16, vcc
	v_cmp_nlt_f32_e32 vcc, s24, v17
	v_cndmask_b32_e32 v17, v38, v17, vcc
	v_cvt_f32_f16_sdwa v18, v18 dst_sel:DWORD dst_unused:UNUSED_PAD src0_sel:WORD_1
	global_load_dwordx2 v[48:49], v32, s[20:21]
	global_load_dwordx2 v[26:27], v31, s[20:21]
	;; [unrolled: 1-line block ×3, first 2 shown]
	s_mov_b32 s20, 0xb000
	s_waitcnt vmcnt(3)
	v_div_scale_f32 v25, s[6:7], v19, v19, v20
	v_rcp_f32_e32 v50, v25
	v_fma_f32 v51, -v25, v50, 1.0
	v_fmac_f32_e32 v50, v51, v50
	v_div_scale_f32 v51, vcc, v20, v19, v20
	v_mul_f32_e32 v52, v51, v50
	v_fma_f32 v53, -v25, v52, v51
	v_fmac_f32_e32 v52, v53, v50
	v_fma_f32 v25, -v25, v52, v51
	v_div_scale_f32 v51, s[6:7], v18, v18, v21
	v_rcp_f32_e32 v53, v51
	v_div_fmas_f32 v25, v25, v50, v52
	v_div_fixup_f32 v19, v25, v19, v20
	v_cvt_f32_f16_e32 v52, v47
	v_fma_f32 v20, -v51, v53, 1.0
	v_fmac_f32_e32 v53, v20, v53
	v_div_scale_f32 v20, vcc, v21, v18, v21
	v_mul_f32_e32 v25, v20, v53
	v_fma_f32 v50, -v51, v25, v20
	v_fmac_f32_e32 v25, v50, v53
	v_fma_f32 v20, -v51, v25, v20
	v_div_fmas_f32 v20, v20, v53, v25
	v_div_fixup_f32 v18, v20, v18, v21
	v_cmp_ngt_f32_e32 vcc, s23, v18
	v_cndmask_b32_e32 v25, v37, v18, vcc
	v_cmp_ngt_f32_e32 vcc, s23, v19
	v_cndmask_b32_e32 v18, v37, v19, vcc
	v_cmp_nlt_f32_e32 vcc, s24, v18
	v_cndmask_b32_e32 v18, v38, v18, vcc
	v_add_co_u32_e32 v20, vcc, s26, v44
	v_addc_co_u32_e32 v21, vcc, 0, v45, vcc
	global_load_dword v54, v[20:21], off offset:2048
	v_add_co_u32_e32 v20, vcc, s20, v39
	v_addc_co_u32_e32 v21, vcc, 0, v40, vcc
	global_load_dwordx2 v[50:51], v[20:21], off
	v_div_scale_f32 v53, s[6:7], v52, v52, v28
	v_rcp_f32_e32 v55, v53
	v_cmp_nlt_f32_e32 vcc, s24, v25
	v_cvt_f32_f16_sdwa v20, v47 dst_sel:DWORD dst_unused:UNUSED_PAD src0_sel:WORD_1
	v_cndmask_b32_e32 v19, v38, v25, vcc
	v_fma_f32 v21, -v53, v55, 1.0
	v_fmac_f32_e32 v55, v21, v55
	v_div_scale_f32 v21, vcc, v28, v52, v28
	v_mul_f32_e32 v25, v21, v55
	v_fma_f32 v47, -v53, v25, v21
	v_fmac_f32_e32 v25, v47, v55
	v_div_scale_f32 v47, s[6:7], v20, v20, v29
	v_fma_f32 v21, -v53, v25, v21
	v_rcp_f32_e32 v53, v47
	v_div_fmas_f32 v21, v21, v55, v25
	v_div_fixup_f32 v21, v21, v52, v28
	v_fma_f32 v25, -v47, v53, 1.0
	v_fmac_f32_e32 v53, v25, v53
	v_div_scale_f32 v25, vcc, v29, v20, v29
	v_mul_f32_e32 v28, v25, v53
	v_fma_f32 v52, -v47, v28, v25
	v_fmac_f32_e32 v28, v52, v53
	v_fma_f32 v25, -v47, v28, v25
	v_div_fmas_f32 v25, v25, v53, v28
	v_cvt_f32_f16_e32 v28, v24
	v_div_fixup_f32 v20, v25, v20, v29
	v_cmp_ngt_f32_e32 vcc, s23, v20
	v_cndmask_b32_e32 v25, v37, v20, vcc
	s_waitcnt vmcnt(4)
	v_div_scale_f32 v29, s[6:7], v28, v28, v48
	v_cmp_ngt_f32_e32 vcc, s23, v21
	v_rcp_f32_e32 v47, v29
	v_cndmask_b32_e32 v20, v37, v21, vcc
	v_cmp_nlt_f32_e32 vcc, s24, v20
	v_cndmask_b32_e32 v20, v38, v20, vcc
	v_cmp_nlt_f32_e32 vcc, s24, v25
	v_cndmask_b32_e32 v21, v38, v25, vcc
	v_fma_f32 v25, -v29, v47, 1.0
	v_cvt_f32_f16_sdwa v24, v24 dst_sel:DWORD dst_unused:UNUSED_PAD src0_sel:WORD_1
	v_fmac_f32_e32 v47, v25, v47
	v_div_scale_f32 v25, vcc, v48, v28, v48
	v_mul_f32_e32 v52, v25, v47
	v_fma_f32 v53, -v29, v52, v25
	v_fmac_f32_e32 v52, v53, v47
	v_fma_f32 v25, -v29, v52, v25
	v_div_scale_f32 v29, s[6:7], v24, v24, v49
	v_rcp_f32_e32 v53, v29
	v_div_fmas_f32 v25, v25, v47, v52
	v_div_fixup_f32 v25, v25, v28, v48
	s_movk_i32 s6, 0x6000
	v_fma_f32 v28, -v29, v53, 1.0
	v_fmac_f32_e32 v53, v28, v53
	v_div_scale_f32 v28, vcc, v49, v24, v49
	v_mul_f32_e32 v47, v28, v53
	v_fma_f32 v48, -v29, v47, v28
	v_fmac_f32_e32 v47, v48, v53
	v_fma_f32 v28, -v29, v47, v28
	v_div_fmas_f32 v28, v28, v53, v47
	v_div_fixup_f32 v24, v28, v24, v49
	v_cmp_ngt_f32_e32 vcc, s23, v24
	v_cndmask_b32_e32 v47, v37, v24, vcc
	v_cmp_ngt_f32_e32 vcc, s23, v25
	v_cndmask_b32_e32 v24, v37, v25, vcc
	v_cmp_nlt_f32_e32 vcc, s24, v24
	v_cndmask_b32_e32 v24, v38, v24, vcc
	v_add_co_u32_e32 v28, vcc, s6, v44
	s_waitcnt vmcnt(1)
	v_cvt_f32_f16_e32 v52, v54
	v_addc_co_u32_e32 v29, vcc, 0, v45, vcc
	global_load_dword v53, v[28:29], off offset:2048
	s_waitcnt vmcnt(1)
	v_div_scale_f32 v55, s[6:7], v52, v52, v50
	v_rcp_f32_e32 v56, v55
	s_mov_b32 s6, 0xd000
	v_cmp_nlt_f32_e32 vcc, s24, v47
	v_cndmask_b32_e32 v25, v38, v47, vcc
	v_fma_f32 v28, -v55, v56, 1.0
	v_fmac_f32_e32 v56, v28, v56
	v_add_co_u32_e64 v28, s[6:7], s6, v39
	v_addc_co_u32_e64 v29, s[6:7], 0, v40, s[6:7]
	global_load_dwordx2 v[48:49], v[28:29], off
	v_cvt_f32_f16_sdwa v47, v54 dst_sel:DWORD dst_unused:UNUSED_PAD src0_sel:WORD_1
	v_div_scale_f32 v54, vcc, v50, v52, v50
	v_mul_f32_e32 v28, v54, v56
	v_fma_f32 v29, -v55, v28, v54
	v_fmac_f32_e32 v28, v29, v56
	v_fma_f32 v29, -v55, v28, v54
	v_div_scale_f32 v54, s[6:7], v47, v47, v51
	v_rcp_f32_e32 v55, v54
	v_div_fmas_f32 v28, v29, v56, v28
	v_div_fixup_f32 v28, v28, v52, v50
	v_fma_f32 v29, -v54, v55, 1.0
	v_fmac_f32_e32 v55, v29, v55
	v_div_scale_f32 v29, vcc, v51, v47, v51
	v_mul_f32_e32 v50, v29, v55
	v_fma_f32 v52, -v54, v50, v29
	v_fmac_f32_e32 v50, v52, v55
	v_fma_f32 v29, -v54, v50, v29
	v_div_fmas_f32 v29, v29, v55, v50
	v_div_fixup_f32 v29, v29, v47, v51
	v_cvt_f32_f16_e32 v47, v46
	v_cmp_ngt_f32_e32 vcc, s23, v29
	global_load_dword v52, v41, s[8:9]
	v_cndmask_b32_e32 v29, v37, v29, vcc
	v_div_scale_f32 v50, s[6:7], v47, v47, v26
	v_rcp_f32_e32 v51, v50
	v_cmp_ngt_f32_e32 vcc, s23, v28
	v_cndmask_b32_e32 v28, v37, v28, vcc
	v_cmp_nlt_f32_e32 vcc, s24, v28
	v_cndmask_b32_e32 v28, v38, v28, vcc
	v_cmp_nlt_f32_e32 vcc, s24, v29
	v_cvt_f32_f16_sdwa v41, v46 dst_sel:DWORD dst_unused:UNUSED_PAD src0_sel:WORD_1
	v_fma_f32 v46, -v50, v51, 1.0
	v_cndmask_b32_e32 v29, v38, v29, vcc
	v_fmac_f32_e32 v51, v46, v51
	v_div_scale_f32 v46, vcc, v26, v47, v26
	v_mul_f32_e32 v54, v46, v51
	v_fma_f32 v55, -v50, v54, v46
	v_fmac_f32_e32 v54, v55, v51
	v_fma_f32 v46, -v50, v54, v46
	v_div_scale_f32 v50, s[6:7], v41, v41, v27
	v_rcp_f32_e32 v55, v50
	v_div_fmas_f32 v46, v46, v51, v54
	v_div_fixup_f32 v26, v46, v47, v26
	s_mov_b32 s6, 0xf000
	v_fma_f32 v46, -v50, v55, 1.0
	v_fmac_f32_e32 v55, v46, v55
	v_div_scale_f32 v46, vcc, v27, v41, v27
	v_mul_f32_e32 v47, v46, v55
	v_fma_f32 v51, -v50, v47, v46
	v_fmac_f32_e32 v47, v51, v55
	v_fma_f32 v46, -v50, v47, v46
	v_div_fmas_f32 v46, v46, v55, v47
	v_div_fixup_f32 v27, v46, v41, v27
	v_cmp_ngt_f32_e32 vcc, s23, v27
	v_cndmask_b32_e32 v41, v37, v27, vcc
	v_cmp_ngt_f32_e32 vcc, s23, v26
	v_cndmask_b32_e32 v46, v37, v26, vcc
	v_add_co_u32_e32 v26, vcc, s27, v44
	v_addc_co_u32_e32 v27, vcc, 0, v45, vcc
	global_load_dword v50, v[26:27], off offset:2048
	v_add_co_u32_e32 v26, vcc, s6, v39
	v_addc_co_u32_e32 v27, vcc, 0, v40, vcc
	global_load_dwordx2 v[26:27], v[26:27], off
	s_waitcnt vmcnt(4)
	v_cvt_f32_f16_e32 v47, v53
	v_cmp_nlt_f32_e32 vcc, s24, v46
	v_cndmask_b32_e32 v40, v38, v46, vcc
	v_cmp_nlt_f32_e32 vcc, s24, v41
	s_waitcnt vmcnt(3)
	v_div_scale_f32 v39, s[6:7], v47, v47, v48
	v_rcp_f32_e32 v44, v39
	v_cndmask_b32_e32 v41, v38, v41, vcc
	v_cvt_f32_f16_sdwa v45, v53 dst_sel:DWORD dst_unused:UNUSED_PAD src0_sel:WORD_1
	global_store_dwordx2 v30, v[2:3], s[14:15]
	v_fma_f32 v46, -v39, v44, 1.0
	v_fmac_f32_e32 v44, v46, v44
	v_div_scale_f32 v46, vcc, v48, v47, v48
	v_mul_f32_e32 v51, v46, v44
	v_fma_f32 v53, -v39, v51, v46
	v_fmac_f32_e32 v51, v53, v44
	v_fma_f32 v39, -v39, v51, v46
	v_div_scale_f32 v46, s[6:7], v45, v45, v49
	v_rcp_f32_e32 v53, v46
	v_div_fmas_f32 v39, v39, v44, v51
	v_div_fixup_f32 v39, v39, v47, v48
	v_fma_f32 v44, -v46, v53, 1.0
	v_fmac_f32_e32 v53, v44, v53
	v_div_scale_f32 v44, vcc, v49, v45, v49
	v_mul_f32_e32 v47, v44, v53
	v_fma_f32 v48, -v46, v47, v44
	v_fmac_f32_e32 v47, v48, v53
	v_fma_f32 v44, -v46, v47, v44
	v_div_fmas_f32 v44, v44, v53, v47
	v_div_fixup_f32 v44, v44, v45, v49
	v_cmp_ngt_f32_e32 vcc, s23, v44
	s_waitcnt vmcnt(3)
	v_cvt_f32_f16_e32 v46, v52
	v_cndmask_b32_e32 v45, v37, v44, vcc
	v_cmp_ngt_f32_e32 vcc, s23, v39
	v_cndmask_b32_e32 v39, v37, v39, vcc
	v_cmp_nlt_f32_e32 vcc, s24, v39
	v_cndmask_b32_e32 v44, v38, v39, vcc
	v_div_scale_f32 v39, s[6:7], v46, v46, v22
	v_rcp_f32_e32 v47, v39
	v_cmp_nlt_f32_e32 vcc, s24, v45
	v_cndmask_b32_e32 v45, v38, v45, vcc
	v_cvt_f32_f16_sdwa v48, v52 dst_sel:DWORD dst_unused:UNUSED_PAD src0_sel:WORD_1
	v_fma_f32 v49, -v39, v47, 1.0
	v_fmac_f32_e32 v47, v49, v47
	v_div_scale_f32 v49, vcc, v22, v46, v22
	v_mul_f32_e32 v51, v49, v47
	v_fma_f32 v52, -v39, v51, v49
	v_fmac_f32_e32 v51, v52, v47
	v_fma_f32 v39, -v39, v51, v49
	v_div_scale_f32 v49, s[6:7], v48, v48, v23
	v_rcp_f32_e32 v52, v49
	v_div_fmas_f32 v39, v39, v47, v51
	v_div_fixup_f32 v22, v39, v46, v22
	v_fma_f32 v39, -v49, v52, 1.0
	v_fmac_f32_e32 v52, v39, v52
	v_div_scale_f32 v39, vcc, v23, v48, v23
	v_mul_f32_e32 v46, v39, v52
	v_fma_f32 v47, -v49, v46, v39
	v_fmac_f32_e32 v46, v47, v52
	v_fma_f32 v39, -v49, v46, v39
	v_div_fmas_f32 v39, v39, v52, v46
	v_div_fixup_f32 v23, v39, v48, v23
	v_cmp_ngt_f32_e32 vcc, s23, v23
	v_cndmask_b32_e32 v23, v37, v23, vcc
	v_cmp_ngt_f32_e32 vcc, s23, v22
	s_waitcnt vmcnt(2)
	v_cvt_f32_f16_e32 v39, v50
	v_cndmask_b32_e32 v22, v37, v22, vcc
	v_cmp_nlt_f32_e32 vcc, s24, v22
	v_cndmask_b32_e32 v22, v38, v22, vcc
	v_cmp_nlt_f32_e32 vcc, s24, v23
	s_waitcnt vmcnt(1)
	v_div_scale_f32 v46, s[6:7], v39, v39, v26
	v_rcp_f32_e32 v47, v46
	v_cndmask_b32_e32 v23, v38, v23, vcc
	v_cvt_f32_f16_sdwa v48, v50 dst_sel:DWORD dst_unused:UNUSED_PAD src0_sel:WORD_1
	v_fma_f32 v49, -v46, v47, 1.0
	v_fmac_f32_e32 v47, v49, v47
	v_div_scale_f32 v49, vcc, v26, v39, v26
	v_mul_f32_e32 v50, v49, v47
	v_fma_f32 v51, -v46, v50, v49
	v_fmac_f32_e32 v50, v51, v47
	v_fma_f32 v46, -v46, v50, v49
	v_div_scale_f32 v49, s[6:7], v48, v48, v27
	v_rcp_f32_e32 v51, v49
	v_div_fmas_f32 v46, v46, v47, v50
	v_div_fixup_f32 v26, v46, v39, v26
	v_fma_f32 v39, -v49, v51, 1.0
	v_fmac_f32_e32 v51, v39, v51
	v_div_scale_f32 v39, vcc, v27, v48, v27
	v_mul_f32_e32 v46, v39, v51
	v_fma_f32 v47, -v49, v46, v39
	v_fmac_f32_e32 v46, v47, v51
	v_fma_f32 v39, -v49, v46, v39
	v_div_fmas_f32 v39, v39, v51, v46
	v_div_fixup_f32 v27, v39, v48, v27
	v_cmp_ngt_f32_e32 vcc, s23, v27
	v_cndmask_b32_e32 v27, v37, v27, vcc
	v_cmp_ngt_f32_e32 vcc, s23, v26
	v_cndmask_b32_e32 v26, v37, v26, vcc
	v_cmp_nlt_f32_e32 vcc, s24, v26
	v_cndmask_b32_e32 v26, v38, v26, vcc
	v_cmp_nlt_f32_e32 vcc, s24, v27
	v_cndmask_b32_e32 v27, v38, v27, vcc
	v_add_co_u32_e32 v2, vcc, s22, v43
	v_addc_co_u32_e32 v3, vcc, 0, v42, vcc
	global_store_dwordx2 v[2:3], v[4:5], off
	global_store_dwordx2 v36, v[6:7], s[14:15]
	v_add_co_u32_e32 v2, vcc, s25, v43
	v_addc_co_u32_e32 v3, vcc, 0, v42, vcc
	global_store_dwordx2 v[2:3], v[8:9], off
	global_store_dwordx2 v34, v[10:11], s[14:15]
	;; [unrolled: 4-line block ×7, first 2 shown]
	v_add_co_u32_e32 v2, vcc, 0xf000, v43
	v_addc_co_u32_e32 v3, vcc, 0, v42, vcc
	global_store_dwordx2 v[2:3], v[26:27], off
	s_cbranch_execnz .LBB26_2
.LBB26_4:
	s_load_dword s6, s[4:5], 0x24
	s_load_dwordx4 s[20:23], s[4:5], 0x28
	s_add_u32 s8, s4, 56
	s_addc_u32 s9, s5, 0
	v_mov_b32_e32 v31, v0
	s_waitcnt lgkmcnt(0)
	v_lshrrev_b16_e64 v8, 8, s6
	v_mov_b32_e32 v0, s16
	v_mov_b32_e32 v1, s17
	;; [unrolled: 1-line block ×12, first 2 shown]
	s_getpc_b64 s[4:5]
	s_add_u32 s4, s4, _ZN2at6native25elementwise_kernel_helperILb1EZZZNS0_23launch_dirichlet_kernelERNS_18TensorIteratorBaseEENKUlvE_clEvENKUlvE0_clEvEUlffE_NS0_6memory8policies11unroll_baseILi512ESt5arrayIPcLm3EE23TrivialOffsetCalculatorILi2EjESD_ILi1EjENS7_12LoadWithCastILi2EEENS7_13StoreWithCastILi1EEELi32ELi1EEEEEvT0_T1_@rel32@lo+4
	s_addc_u32 s5, s5, _ZN2at6native25elementwise_kernel_helperILb1EZZZNS0_23launch_dirichlet_kernelERNS_18TensorIteratorBaseEENKUlvE_clEvENKUlvE0_clEvEUlffE_NS0_6memory8policies11unroll_baseILi512ESt5arrayIPcLm3EE23TrivialOffsetCalculatorILi2EjESD_ILi1EjENS7_12LoadWithCastILi2EEENS7_13StoreWithCastILi1EEELi32ELi1EEEEEvT0_T1_@rel32@hi+12
	s_swappc_b64 s[30:31], s[4:5]
	s_endpgm
	.section	.rodata,"a",@progbits
	.p2align	6, 0x0
	.amdhsa_kernel _ZN2at6native39vectorized_templated_elementwise_kernelILi2EZZZNS0_23launch_dirichlet_kernelERNS_18TensorIteratorBaseEENKUlvE_clEvENKUlvE0_clEvEUlffE_St5arrayIPcLm3EE23TrivialOffsetCalculatorILi2EjESA_ILi1EjENS0_6memory12LoadWithCastILi2EEENSD_13StoreWithCastILi1EEEfJfN3c104HalfEEEEviT0_T1_T2_T3_T4_T5_
		.amdhsa_group_segment_fixed_size 0
		.amdhsa_private_segment_fixed_size 288
		.amdhsa_kernarg_size 312
		.amdhsa_user_sgpr_count 8
		.amdhsa_user_sgpr_private_segment_buffer 1
		.amdhsa_user_sgpr_dispatch_ptr 0
		.amdhsa_user_sgpr_queue_ptr 0
		.amdhsa_user_sgpr_kernarg_segment_ptr 1
		.amdhsa_user_sgpr_dispatch_id 0
		.amdhsa_user_sgpr_flat_scratch_init 1
		.amdhsa_user_sgpr_kernarg_preload_length 0
		.amdhsa_user_sgpr_kernarg_preload_offset 0
		.amdhsa_user_sgpr_private_segment_size 0
		.amdhsa_uses_dynamic_stack 0
		.amdhsa_system_sgpr_private_segment_wavefront_offset 1
		.amdhsa_system_sgpr_workgroup_id_x 1
		.amdhsa_system_sgpr_workgroup_id_y 0
		.amdhsa_system_sgpr_workgroup_id_z 0
		.amdhsa_system_sgpr_workgroup_info 0
		.amdhsa_system_vgpr_workitem_id 0
		.amdhsa_next_free_vgpr 118
		.amdhsa_next_free_sgpr 98
		.amdhsa_accum_offset 120
		.amdhsa_reserve_vcc 1
		.amdhsa_reserve_flat_scratch 1
		.amdhsa_float_round_mode_32 0
		.amdhsa_float_round_mode_16_64 0
		.amdhsa_float_denorm_mode_32 3
		.amdhsa_float_denorm_mode_16_64 3
		.amdhsa_dx10_clamp 1
		.amdhsa_ieee_mode 1
		.amdhsa_fp16_overflow 0
		.amdhsa_tg_split 0
		.amdhsa_exception_fp_ieee_invalid_op 0
		.amdhsa_exception_fp_denorm_src 0
		.amdhsa_exception_fp_ieee_div_zero 0
		.amdhsa_exception_fp_ieee_overflow 0
		.amdhsa_exception_fp_ieee_underflow 0
		.amdhsa_exception_fp_ieee_inexact 0
		.amdhsa_exception_int_div_zero 0
	.end_amdhsa_kernel
	.section	.text._ZN2at6native39vectorized_templated_elementwise_kernelILi2EZZZNS0_23launch_dirichlet_kernelERNS_18TensorIteratorBaseEENKUlvE_clEvENKUlvE0_clEvEUlffE_St5arrayIPcLm3EE23TrivialOffsetCalculatorILi2EjESA_ILi1EjENS0_6memory12LoadWithCastILi2EEENSD_13StoreWithCastILi1EEEfJfN3c104HalfEEEEviT0_T1_T2_T3_T4_T5_,"axG",@progbits,_ZN2at6native39vectorized_templated_elementwise_kernelILi2EZZZNS0_23launch_dirichlet_kernelERNS_18TensorIteratorBaseEENKUlvE_clEvENKUlvE0_clEvEUlffE_St5arrayIPcLm3EE23TrivialOffsetCalculatorILi2EjESA_ILi1EjENS0_6memory12LoadWithCastILi2EEENSD_13StoreWithCastILi1EEEfJfN3c104HalfEEEEviT0_T1_T2_T3_T4_T5_,comdat
.Lfunc_end26:
	.size	_ZN2at6native39vectorized_templated_elementwise_kernelILi2EZZZNS0_23launch_dirichlet_kernelERNS_18TensorIteratorBaseEENKUlvE_clEvENKUlvE0_clEvEUlffE_St5arrayIPcLm3EE23TrivialOffsetCalculatorILi2EjESA_ILi1EjENS0_6memory12LoadWithCastILi2EEENSD_13StoreWithCastILi1EEEfJfN3c104HalfEEEEviT0_T1_T2_T3_T4_T5_, .Lfunc_end26-_ZN2at6native39vectorized_templated_elementwise_kernelILi2EZZZNS0_23launch_dirichlet_kernelERNS_18TensorIteratorBaseEENKUlvE_clEvENKUlvE0_clEvEUlffE_St5arrayIPcLm3EE23TrivialOffsetCalculatorILi2EjESA_ILi1EjENS0_6memory12LoadWithCastILi2EEENSD_13StoreWithCastILi1EEEfJfN3c104HalfEEEEviT0_T1_T2_T3_T4_T5_
                                        ; -- End function
	.section	.AMDGPU.csdata,"",@progbits
; Kernel info:
; codeLenInByte = 4184
; NumSgprs: 104
; NumVgprs: 118
; NumAgprs: 0
; TotalNumVgprs: 118
; ScratchSize: 288
; MemoryBound: 0
; FloatMode: 240
; IeeeMode: 1
; LDSByteSize: 0 bytes/workgroup (compile time only)
; SGPRBlocks: 12
; VGPRBlocks: 14
; NumSGPRsForWavesPerEU: 104
; NumVGPRsForWavesPerEU: 118
; AccumOffset: 120
; Occupancy: 4
; WaveLimiterHint : 0
; COMPUTE_PGM_RSRC2:SCRATCH_EN: 1
; COMPUTE_PGM_RSRC2:USER_SGPR: 8
; COMPUTE_PGM_RSRC2:TRAP_HANDLER: 0
; COMPUTE_PGM_RSRC2:TGID_X_EN: 1
; COMPUTE_PGM_RSRC2:TGID_Y_EN: 0
; COMPUTE_PGM_RSRC2:TGID_Z_EN: 0
; COMPUTE_PGM_RSRC2:TIDIG_COMP_CNT: 0
; COMPUTE_PGM_RSRC3_GFX90A:ACCUM_OFFSET: 29
; COMPUTE_PGM_RSRC3_GFX90A:TG_SPLIT: 0
	.section	.text._ZN2at6native39vectorized_templated_elementwise_kernelILi8EZZZNS0_23launch_dirichlet_kernelERNS_18TensorIteratorBaseEENKUlvE_clEvENKUlvE0_clEvEUlffE_St5arrayIPcLm3EE23TrivialOffsetCalculatorILi2EjESA_ILi1EjENS0_6memory12LoadWithCastILi2EEENSD_13StoreWithCastILi1EEEfJN3c104HalfEfEEEviT0_T1_T2_T3_T4_T5_,"axG",@progbits,_ZN2at6native39vectorized_templated_elementwise_kernelILi8EZZZNS0_23launch_dirichlet_kernelERNS_18TensorIteratorBaseEENKUlvE_clEvENKUlvE0_clEvEUlffE_St5arrayIPcLm3EE23TrivialOffsetCalculatorILi2EjESA_ILi1EjENS0_6memory12LoadWithCastILi2EEENSD_13StoreWithCastILi1EEEfJN3c104HalfEfEEEviT0_T1_T2_T3_T4_T5_,comdat
	.globl	_ZN2at6native39vectorized_templated_elementwise_kernelILi8EZZZNS0_23launch_dirichlet_kernelERNS_18TensorIteratorBaseEENKUlvE_clEvENKUlvE0_clEvEUlffE_St5arrayIPcLm3EE23TrivialOffsetCalculatorILi2EjESA_ILi1EjENS0_6memory12LoadWithCastILi2EEENSD_13StoreWithCastILi1EEEfJN3c104HalfEfEEEviT0_T1_T2_T3_T4_T5_ ; -- Begin function _ZN2at6native39vectorized_templated_elementwise_kernelILi8EZZZNS0_23launch_dirichlet_kernelERNS_18TensorIteratorBaseEENKUlvE_clEvENKUlvE0_clEvEUlffE_St5arrayIPcLm3EE23TrivialOffsetCalculatorILi2EjESA_ILi1EjENS0_6memory12LoadWithCastILi2EEENSD_13StoreWithCastILi1EEEfJN3c104HalfEfEEEviT0_T1_T2_T3_T4_T5_
	.p2align	8
	.type	_ZN2at6native39vectorized_templated_elementwise_kernelILi8EZZZNS0_23launch_dirichlet_kernelERNS_18TensorIteratorBaseEENKUlvE_clEvENKUlvE0_clEvEUlffE_St5arrayIPcLm3EE23TrivialOffsetCalculatorILi2EjESA_ILi1EjENS0_6memory12LoadWithCastILi2EEENSD_13StoreWithCastILi1EEEfJN3c104HalfEfEEEviT0_T1_T2_T3_T4_T5_,@function
_ZN2at6native39vectorized_templated_elementwise_kernelILi8EZZZNS0_23launch_dirichlet_kernelERNS_18TensorIteratorBaseEENKUlvE_clEvENKUlvE0_clEvEUlffE_St5arrayIPcLm3EE23TrivialOffsetCalculatorILi2EjESA_ILi1EjENS0_6memory12LoadWithCastILi2EEENSD_13StoreWithCastILi1EEEfJN3c104HalfEfEEEviT0_T1_T2_T3_T4_T5_: ; @_ZN2at6native39vectorized_templated_elementwise_kernelILi8EZZZNS0_23launch_dirichlet_kernelERNS_18TensorIteratorBaseEENKUlvE_clEvENKUlvE0_clEvEUlffE_St5arrayIPcLm3EE23TrivialOffsetCalculatorILi2EjESA_ILi1EjENS0_6memory12LoadWithCastILi2EEENSD_13StoreWithCastILi1EEEfJN3c104HalfEfEEEviT0_T1_T2_T3_T4_T5_
; %bb.0:
	s_add_u32 flat_scratch_lo, s6, s9
	s_addc_u32 flat_scratch_hi, s7, 0
	s_add_u32 s0, s0, s9
	s_load_dword s6, s[4:5], 0x38
	s_load_dwordx2 s[10:11], s[4:5], 0x18
	s_load_dword s7, s[4:5], 0x0
	s_load_dwordx4 s[16:19], s[4:5], 0x8
	s_addc_u32 s1, s1, 0
	s_mov_b32 s12, s8
	s_not_b32 s8, s8
	s_waitcnt lgkmcnt(0)
	s_add_i32 s6, s6, s8
	s_lshl_b32 s8, s6, 14
	s_sub_i32 s13, s7, s8
	s_cmpk_gt_i32 s13, 0x3fff
	s_mov_b64 s[6:7], -1
	s_mov_b32 s32, 0
	s_cbranch_scc1 .LBB27_3
; %bb.1:
	s_andn2_b64 vcc, exec, s[6:7]
	s_cbranch_vccz .LBB27_4
.LBB27_2:
	s_endpgm
.LBB27_3:
	s_ashr_i32 s9, s8, 31
	s_lshl_b64 s[6:7], s[8:9], 1
	s_add_u32 s6, s18, s6
	s_addc_u32 s7, s19, s7
	v_lshlrev_b32_e32 v18, 4, v0
	global_load_dwordx4 v[14:17], v18, s[6:7]
	s_lshl_b64 s[8:9], s[8:9], 2
	s_add_u32 s20, s10, s8
	s_addc_u32 s21, s11, s9
	v_lshlrev_b32_e32 v1, 5, v0
	global_load_dwordx4 v[2:5], v1, s[20:21]
	global_load_dwordx4 v[6:9], v1, s[20:21] offset:16
	v_mov_b32_e32 v19, s7
	v_add_co_u32_e32 v18, vcc, s6, v18
	v_addc_co_u32_e32 v19, vcc, 0, v19, vcc
	v_mov_b32_e32 v20, s21
	v_add_co_u32_e32 v21, vcc, s20, v1
	s_movk_i32 s22, 0x4000
	v_addc_co_u32_e32 v20, vcc, 0, v20, vcc
	v_add_co_u32_e32 v32, vcc, s22, v21
	s_mov_b32 s25, 0xc000
	v_addc_co_u32_e32 v33, vcc, 0, v20, vcc
	s_add_u32 s14, s16, s8
	v_add_co_u32_e32 v30, vcc, s25, v21
	s_addc_u32 s15, s17, s9
	v_addc_co_u32_e32 v31, vcc, 0, v20, vcc
	v_mov_b32_e32 v20, s15
	v_add_co_u32_e32 v38, vcc, s14, v1
	v_addc_co_u32_e32 v37, vcc, 0, v20, vcc
	v_or_b32_e32 v10, 0x400, v0
	v_lshlrev_b32_e32 v11, 4, v10
	v_lshlrev_b32_e32 v34, 5, v10
	global_load_dwordx4 v[10:13], v11, s[6:7]
	s_mov_b32 s23, 0x800000
	v_mov_b32_e32 v35, 0x800000
	s_mov_b32 s24, 0x3f7ffffe
	v_mov_b32_e32 v36, 0x3f7ffffe
	s_waitcnt vmcnt(3)
	v_cvt_f32_f16_sdwa v20, v14 dst_sel:DWORD dst_unused:UNUSED_PAD src0_sel:WORD_1
	v_cvt_f32_f16_e32 v14, v14
	v_cvt_f32_f16_sdwa v21, v15 dst_sel:DWORD dst_unused:UNUSED_PAD src0_sel:WORD_1
	v_cvt_f32_f16_e32 v15, v15
	s_waitcnt vmcnt(2)
	v_div_scale_f32 v24, s[6:7], v3, v3, v20
	v_div_scale_f32 v22, s[6:7], v2, v2, v14
	v_rcp_f32_e32 v29, v22
	v_rcp_f32_e32 v39, v24
	v_div_scale_f32 v26, s[8:9], v4, v4, v15
	v_rcp_f32_e32 v40, v26
	v_fma_f32 v42, -v22, v29, 1.0
	v_div_scale_f32 v23, vcc, v14, v2, v14
	v_fmac_f32_e32 v29, v42, v29
	v_fma_f32 v43, -v24, v39, 1.0
	v_mul_f32_e32 v42, v23, v29
	v_div_scale_f32 v25, s[6:7], v20, v3, v20
	v_fmac_f32_e32 v39, v43, v39
	v_fma_f32 v45, -v22, v42, v23
	v_fma_f32 v44, -v26, v40, 1.0
	v_mul_f32_e32 v43, v25, v39
	v_fmac_f32_e32 v42, v45, v29
	v_div_scale_f32 v27, s[8:9], v15, v4, v15
	v_fmac_f32_e32 v40, v44, v40
	v_fma_f32 v46, -v24, v43, v25
	v_fma_f32 v22, -v22, v42, v23
	v_mul_f32_e32 v44, v27, v40
	v_fmac_f32_e32 v43, v46, v39
	v_div_fmas_f32 v22, v22, v29, v42
	v_div_scale_f32 v28, s[26:27], v5, v5, v21
	v_fma_f32 v47, -v26, v44, v27
	v_fma_f32 v23, -v24, v43, v25
	v_div_fixup_f32 v2, v22, v2, v14
	s_mov_b64 vcc, s[6:7]
	v_rcp_f32_e32 v41, v28
	v_fmac_f32_e32 v44, v47, v40
	v_div_fmas_f32 v14, v23, v39, v43
	v_cmp_ngt_f32_e32 vcc, s23, v2
	v_fma_f32 v24, -v26, v44, v27
	v_div_fixup_f32 v3, v14, v3, v20
	v_cndmask_b32_e32 v2, v35, v2, vcc
	s_mov_b64 vcc, s[8:9]
	v_div_fmas_f32 v14, v24, v40, v44
	v_cmp_ngt_f32_e32 vcc, s23, v3
	v_cndmask_b32_e32 v3, v35, v3, vcc
	v_cmp_nlt_f32_e32 vcc, s24, v2
	v_cndmask_b32_e32 v2, v36, v2, vcc
	v_div_fixup_f32 v4, v14, v4, v15
	v_cmp_nlt_f32_e32 vcc, s24, v3
	v_fma_f32 v14, -v28, v41, 1.0
	v_cndmask_b32_e32 v3, v36, v3, vcc
	v_fmac_f32_e32 v41, v14, v41
	v_div_scale_f32 v14, vcc, v21, v5, v21
	v_mul_f32_e32 v15, v14, v41
	v_fma_f32 v20, -v28, v15, v14
	v_fmac_f32_e32 v15, v20, v41
	v_fma_f32 v14, -v28, v15, v14
	v_div_fmas_f32 v14, v14, v41, v15
	v_div_fixup_f32 v5, v14, v5, v21
	v_cmp_ngt_f32_e32 vcc, s23, v5
	v_cndmask_b32_e32 v5, v35, v5, vcc
	v_cmp_ngt_f32_e32 vcc, s23, v4
	v_cndmask_b32_e32 v4, v35, v4, vcc
	v_cmp_nlt_f32_e32 vcc, s24, v4
	s_movk_i32 s6, 0x2000
	v_cndmask_b32_e32 v4, v36, v4, vcc
	v_add_co_u32_e32 v14, vcc, s6, v18
	v_addc_co_u32_e32 v15, vcc, 0, v19, vcc
	global_load_dwordx4 v[22:25], v[14:15], off
	global_load_dwordx4 v[26:29], v[32:33], off
	v_cvt_f32_f16_e32 v20, v16
	v_cmp_nlt_f32_e32 vcc, s24, v5
	v_cndmask_b32_e32 v5, v36, v5, vcc
	v_cvt_f32_f16_sdwa v16, v16 dst_sel:DWORD dst_unused:UNUSED_PAD src0_sel:WORD_1
	s_waitcnt vmcnt(3)
	v_div_scale_f32 v14, s[6:7], v6, v6, v20
	v_rcp_f32_e32 v15, v14
	v_fma_f32 v21, -v14, v15, 1.0
	v_fmac_f32_e32 v15, v21, v15
	v_div_scale_f32 v21, vcc, v20, v6, v20
	v_mul_f32_e32 v39, v21, v15
	v_fma_f32 v40, -v14, v39, v21
	v_fmac_f32_e32 v39, v40, v15
	v_fma_f32 v14, -v14, v39, v21
	v_div_scale_f32 v21, s[6:7], v7, v7, v16
	v_rcp_f32_e32 v40, v21
	v_div_fmas_f32 v14, v14, v15, v39
	v_div_fixup_f32 v6, v14, v6, v20
	v_fma_f32 v14, -v21, v40, 1.0
	v_fmac_f32_e32 v40, v14, v40
	v_div_scale_f32 v14, vcc, v16, v7, v16
	v_mul_f32_e32 v15, v14, v40
	v_fma_f32 v20, -v21, v15, v14
	v_fmac_f32_e32 v15, v20, v40
	v_fma_f32 v14, -v21, v15, v14
	v_div_fmas_f32 v14, v14, v40, v15
	global_load_dwordx4 v[40:43], v[32:33], off offset:16
	v_div_fixup_f32 v7, v14, v7, v16
	v_cvt_f32_f16_e32 v14, v17
	v_cmp_ngt_f32_e32 vcc, s23, v7
	v_cndmask_b32_e32 v7, v35, v7, vcc
	v_cmp_ngt_f32_e32 vcc, s23, v6
	v_div_scale_f32 v15, s[6:7], v8, v8, v14
	v_rcp_f32_e32 v16, v15
	v_cndmask_b32_e32 v6, v35, v6, vcc
	v_cmp_nlt_f32_e32 vcc, s24, v6
	v_cndmask_b32_e32 v6, v36, v6, vcc
	v_cmp_nlt_f32_e32 vcc, s24, v7
	v_fma_f32 v20, -v15, v16, 1.0
	v_cndmask_b32_e32 v7, v36, v7, vcc
	v_cvt_f32_f16_sdwa v17, v17 dst_sel:DWORD dst_unused:UNUSED_PAD src0_sel:WORD_1
	v_fmac_f32_e32 v16, v20, v16
	v_div_scale_f32 v20, vcc, v14, v8, v14
	v_mul_f32_e32 v21, v20, v16
	v_fma_f32 v39, -v15, v21, v20
	v_fmac_f32_e32 v21, v39, v16
	v_fma_f32 v15, -v15, v21, v20
	v_div_scale_f32 v20, s[6:7], v9, v9, v17
	v_rcp_f32_e32 v39, v20
	v_div_fmas_f32 v15, v15, v16, v21
	v_div_fixup_f32 v8, v15, v8, v14
	s_movk_i32 s6, 0x6000
	v_fma_f32 v14, -v20, v39, 1.0
	v_fmac_f32_e32 v39, v14, v39
	v_div_scale_f32 v14, vcc, v17, v9, v17
	v_mul_f32_e32 v15, v14, v39
	v_fma_f32 v16, -v20, v15, v14
	v_fmac_f32_e32 v15, v16, v39
	v_fma_f32 v14, -v20, v15, v14
	v_div_fmas_f32 v14, v14, v39, v15
	v_div_fixup_f32 v9, v14, v9, v17
	v_cmp_ngt_f32_e32 vcc, s23, v9
	v_cndmask_b32_e32 v14, v35, v9, vcc
	v_cmp_ngt_f32_e32 vcc, s23, v8
	v_cndmask_b32_e32 v15, v35, v8, vcc
	v_add_co_u32_e32 v8, vcc, s6, v18
	s_waitcnt vmcnt(2)
	v_cvt_f32_f16_e32 v16, v22
	v_addc_co_u32_e32 v9, vcc, 0, v19, vcc
	v_cmp_nlt_f32_e32 vcc, s24, v15
	global_load_dwordx4 v[18:21], v[8:9], off
	v_cndmask_b32_e32 v8, v36, v15, vcc
	s_waitcnt vmcnt(2)
	v_div_scale_f32 v15, s[6:7], v26, v26, v16
	v_rcp_f32_e32 v17, v15
	v_cmp_nlt_f32_e32 vcc, s24, v14
	v_cndmask_b32_e32 v9, v36, v14, vcc
	v_cvt_f32_f16_sdwa v14, v22 dst_sel:DWORD dst_unused:UNUSED_PAD src0_sel:WORD_1
	v_fma_f32 v22, -v15, v17, 1.0
	v_fmac_f32_e32 v17, v22, v17
	v_div_scale_f32 v22, vcc, v16, v26, v16
	v_mul_f32_e32 v32, v22, v17
	v_fma_f32 v33, -v15, v32, v22
	v_fmac_f32_e32 v32, v33, v17
	v_fma_f32 v15, -v15, v32, v22
	v_div_scale_f32 v22, s[6:7], v27, v27, v14
	v_rcp_f32_e32 v33, v22
	v_div_fmas_f32 v15, v15, v17, v32
	v_div_fixup_f32 v15, v15, v26, v16
	v_fma_f32 v16, -v22, v33, 1.0
	v_fmac_f32_e32 v33, v16, v33
	v_div_scale_f32 v16, vcc, v14, v27, v14
	v_mul_f32_e32 v17, v16, v33
	v_fma_f32 v26, -v22, v17, v16
	v_fmac_f32_e32 v17, v26, v33
	v_fma_f32 v16, -v22, v17, v16
	v_div_fmas_f32 v16, v16, v33, v17
	v_cvt_f32_f16_e32 v17, v23
	v_div_fixup_f32 v14, v16, v27, v14
	v_cmp_ngt_f32_e32 vcc, s23, v14
	v_cndmask_b32_e32 v16, v35, v14, vcc
	v_div_scale_f32 v22, s[6:7], v28, v28, v17
	v_cmp_ngt_f32_e32 vcc, s23, v15
	v_rcp_f32_e32 v26, v22
	v_cndmask_b32_e32 v14, v35, v15, vcc
	v_cmp_nlt_f32_e32 vcc, s24, v14
	v_cndmask_b32_e32 v14, v36, v14, vcc
	v_cmp_nlt_f32_e32 vcc, s24, v16
	v_cndmask_b32_e32 v15, v36, v16, vcc
	v_cvt_f32_f16_sdwa v16, v23 dst_sel:DWORD dst_unused:UNUSED_PAD src0_sel:WORD_1
	v_fma_f32 v23, -v22, v26, 1.0
	v_fmac_f32_e32 v26, v23, v26
	v_div_scale_f32 v23, vcc, v17, v28, v17
	v_mul_f32_e32 v27, v23, v26
	v_fma_f32 v32, -v22, v27, v23
	v_fmac_f32_e32 v27, v32, v26
	v_fma_f32 v22, -v22, v27, v23
	v_div_scale_f32 v23, s[6:7], v29, v29, v16
	v_rcp_f32_e32 v32, v23
	v_div_fmas_f32 v22, v22, v26, v27
	v_div_fixup_f32 v17, v22, v28, v17
	v_fma_f32 v22, -v23, v32, 1.0
	v_fmac_f32_e32 v32, v22, v32
	v_div_scale_f32 v22, vcc, v16, v29, v16
	v_mul_f32_e32 v26, v22, v32
	v_fma_f32 v27, -v23, v26, v22
	v_fmac_f32_e32 v26, v27, v32
	v_fma_f32 v22, -v23, v26, v22
	v_div_fmas_f32 v22, v22, v32, v26
	v_div_fixup_f32 v16, v22, v29, v16
	global_load_dwordx4 v[44:47], v34, s[20:21] offset:16
	global_load_dwordx4 v[26:29], v34, s[20:21]
	v_cvt_f32_f16_e32 v23, v24
	v_cmp_ngt_f32_e32 vcc, s23, v16
	v_cndmask_b32_e32 v22, v35, v16, vcc
	v_cmp_ngt_f32_e32 vcc, s23, v17
	s_waitcnt vmcnt(3)
	v_div_scale_f32 v32, s[6:7], v40, v40, v23
	v_rcp_f32_e32 v33, v32
	v_cndmask_b32_e32 v16, v35, v17, vcc
	v_cmp_nlt_f32_e32 vcc, s24, v16
	v_cndmask_b32_e32 v16, v36, v16, vcc
	v_cmp_nlt_f32_e32 vcc, s24, v22
	v_cndmask_b32_e32 v17, v36, v22, vcc
	v_cvt_f32_f16_sdwa v22, v24 dst_sel:DWORD dst_unused:UNUSED_PAD src0_sel:WORD_1
	v_fma_f32 v24, -v32, v33, 1.0
	v_fmac_f32_e32 v33, v24, v33
	v_div_scale_f32 v24, vcc, v23, v40, v23
	v_mul_f32_e32 v39, v24, v33
	v_fma_f32 v48, -v32, v39, v24
	v_fmac_f32_e32 v39, v48, v33
	v_fma_f32 v24, -v32, v39, v24
	v_div_scale_f32 v32, s[6:7], v41, v41, v22
	v_rcp_f32_e32 v48, v32
	v_div_fmas_f32 v24, v24, v33, v39
	v_div_fixup_f32 v23, v24, v40, v23
	v_fma_f32 v24, -v32, v48, 1.0
	v_fmac_f32_e32 v48, v24, v48
	v_div_scale_f32 v24, vcc, v22, v41, v22
	v_mul_f32_e32 v33, v24, v48
	v_fma_f32 v39, -v32, v33, v24
	v_fmac_f32_e32 v33, v39, v48
	v_fma_f32 v24, -v32, v33, v24
	v_cvt_f32_f16_e32 v32, v25
	v_div_fmas_f32 v24, v24, v48, v33
	v_div_fixup_f32 v22, v24, v41, v22
	v_cmp_ngt_f32_e32 vcc, s23, v22
	v_div_scale_f32 v33, s[6:7], v42, v42, v32
	v_cndmask_b32_e32 v24, v35, v22, vcc
	v_cmp_ngt_f32_e32 vcc, s23, v23
	v_rcp_f32_e32 v39, v33
	v_cndmask_b32_e32 v22, v35, v23, vcc
	v_cmp_nlt_f32_e32 vcc, s24, v22
	v_cndmask_b32_e32 v22, v36, v22, vcc
	v_cmp_nlt_f32_e32 vcc, s24, v24
	v_cndmask_b32_e32 v23, v36, v24, vcc
	v_cvt_f32_f16_sdwa v24, v25 dst_sel:DWORD dst_unused:UNUSED_PAD src0_sel:WORD_1
	v_fma_f32 v25, -v33, v39, 1.0
	v_fmac_f32_e32 v39, v25, v39
	v_div_scale_f32 v25, vcc, v32, v42, v32
	v_mul_f32_e32 v40, v25, v39
	v_fma_f32 v41, -v33, v40, v25
	v_fmac_f32_e32 v40, v41, v39
	v_fma_f32 v25, -v33, v40, v25
	v_div_scale_f32 v33, s[6:7], v43, v43, v24
	v_rcp_f32_e32 v41, v33
	v_div_fmas_f32 v25, v25, v39, v40
	v_div_fixup_f32 v25, v25, v42, v32
	v_fma_f32 v32, -v33, v41, 1.0
	v_fmac_f32_e32 v41, v32, v41
	v_div_scale_f32 v32, vcc, v24, v43, v24
	v_mul_f32_e32 v39, v32, v41
	v_fma_f32 v40, -v33, v39, v32
	v_fmac_f32_e32 v39, v40, v41
	v_fma_f32 v32, -v33, v39, v32
	v_cvt_f32_f16_e32 v33, v10
	v_div_fmas_f32 v32, v32, v41, v39
	v_div_fixup_f32 v24, v32, v43, v24
	v_cmp_ngt_f32_e32 vcc, s23, v24
	v_cndmask_b32_e32 v32, v35, v24, vcc
	v_cmp_ngt_f32_e32 vcc, s23, v25
	v_cndmask_b32_e32 v24, v35, v25, vcc
	s_waitcnt vmcnt(0)
	v_div_scale_f32 v39, s[6:7], v26, v26, v33
	v_rcp_f32_e32 v40, v39
	v_cmp_nlt_f32_e32 vcc, s24, v24
	v_cndmask_b32_e32 v24, v36, v24, vcc
	v_cmp_nlt_f32_e32 vcc, s24, v32
	v_cndmask_b32_e32 v25, v36, v32, vcc
	v_fma_f32 v32, -v39, v40, 1.0
	v_cvt_f32_f16_sdwa v10, v10 dst_sel:DWORD dst_unused:UNUSED_PAD src0_sel:WORD_1
	v_fmac_f32_e32 v40, v32, v40
	v_div_scale_f32 v32, vcc, v33, v26, v33
	v_mul_f32_e32 v41, v32, v40
	v_fma_f32 v42, -v39, v41, v32
	v_fmac_f32_e32 v41, v42, v40
	v_fma_f32 v32, -v39, v41, v32
	v_div_scale_f32 v39, s[6:7], v27, v27, v10
	v_rcp_f32_e32 v42, v39
	v_div_fmas_f32 v32, v32, v40, v41
	v_div_fixup_f32 v26, v32, v26, v33
	v_fma_f32 v32, -v39, v42, 1.0
	v_fmac_f32_e32 v42, v32, v42
	v_div_scale_f32 v32, vcc, v10, v27, v10
	v_mul_f32_e32 v33, v32, v42
	v_fma_f32 v40, -v39, v33, v32
	v_fmac_f32_e32 v33, v40, v42
	v_fma_f32 v32, -v39, v33, v32
	v_div_fmas_f32 v32, v32, v42, v33
	v_div_fixup_f32 v10, v32, v27, v10
	v_cvt_f32_f16_e32 v32, v11
	v_cmp_ngt_f32_e32 vcc, s23, v10
	v_cndmask_b32_e32 v10, v35, v10, vcc
	v_cmp_ngt_f32_e32 vcc, s23, v26
	v_div_scale_f32 v33, s[6:7], v28, v28, v32
	v_rcp_f32_e32 v39, v33
	v_cndmask_b32_e32 v26, v35, v26, vcc
	v_cmp_nlt_f32_e32 vcc, s24, v26
	v_cndmask_b32_e32 v26, v36, v26, vcc
	v_cmp_nlt_f32_e32 vcc, s24, v10
	v_cndmask_b32_e32 v27, v36, v10, vcc
	v_cvt_f32_f16_sdwa v10, v11 dst_sel:DWORD dst_unused:UNUSED_PAD src0_sel:WORD_1
	v_fma_f32 v11, -v33, v39, 1.0
	v_fmac_f32_e32 v39, v11, v39
	v_div_scale_f32 v11, vcc, v32, v28, v32
	v_mul_f32_e32 v40, v11, v39
	v_fma_f32 v41, -v33, v40, v11
	v_fmac_f32_e32 v40, v41, v39
	v_fma_f32 v11, -v33, v40, v11
	v_div_scale_f32 v33, s[6:7], v29, v29, v10
	v_rcp_f32_e32 v41, v33
	v_div_fmas_f32 v11, v11, v39, v40
	v_div_fixup_f32 v11, v11, v28, v32
	v_fma_f32 v28, -v33, v41, 1.0
	v_fmac_f32_e32 v41, v28, v41
	v_div_scale_f32 v28, vcc, v10, v29, v10
	v_mul_f32_e32 v32, v28, v41
	v_fma_f32 v39, -v33, v32, v28
	v_fmac_f32_e32 v32, v39, v41
	v_fma_f32 v28, -v33, v32, v28
	v_div_fmas_f32 v28, v28, v41, v32
	global_load_dwordx4 v[40:43], v[30:31], off
	v_div_fixup_f32 v10, v28, v29, v10
	v_cmp_ngt_f32_e32 vcc, s23, v10
	v_cvt_f32_f16_e32 v32, v12
	v_cndmask_b32_e32 v10, v35, v10, vcc
	v_cmp_ngt_f32_e32 vcc, s23, v11
	v_cndmask_b32_e32 v11, v35, v11, vcc
	v_cmp_nlt_f32_e32 vcc, s24, v11
	v_cndmask_b32_e32 v28, v36, v11, vcc
	v_div_scale_f32 v11, s[6:7], v44, v44, v32
	v_rcp_f32_e32 v33, v11
	v_cmp_nlt_f32_e32 vcc, s24, v10
	v_cndmask_b32_e32 v29, v36, v10, vcc
	v_cvt_f32_f16_sdwa v10, v12 dst_sel:DWORD dst_unused:UNUSED_PAD src0_sel:WORD_1
	v_fma_f32 v12, -v11, v33, 1.0
	v_fmac_f32_e32 v33, v12, v33
	v_div_scale_f32 v12, vcc, v32, v44, v32
	v_mul_f32_e32 v39, v12, v33
	v_fma_f32 v48, -v11, v39, v12
	v_fmac_f32_e32 v39, v48, v33
	v_fma_f32 v11, -v11, v39, v12
	v_div_scale_f32 v12, s[6:7], v45, v45, v10
	v_rcp_f32_e32 v48, v12
	v_div_fmas_f32 v11, v11, v33, v39
	v_div_fixup_f32 v11, v11, v44, v32
	v_fma_f32 v32, -v12, v48, 1.0
	v_fmac_f32_e32 v48, v32, v48
	v_div_scale_f32 v32, vcc, v10, v45, v10
	v_mul_f32_e32 v33, v32, v48
	v_fma_f32 v39, -v12, v33, v32
	v_fmac_f32_e32 v33, v39, v48
	v_fma_f32 v12, -v12, v33, v32
	v_cvt_f32_f16_e32 v32, v13
	v_div_fmas_f32 v12, v12, v48, v33
	v_div_fixup_f32 v10, v12, v45, v10
	v_cmp_ngt_f32_e32 vcc, s23, v10
	v_div_scale_f32 v33, s[6:7], v46, v46, v32
	v_cndmask_b32_e32 v12, v35, v10, vcc
	v_cmp_ngt_f32_e32 vcc, s23, v11
	v_rcp_f32_e32 v39, v33
	v_cndmask_b32_e32 v10, v35, v11, vcc
	v_cmp_nlt_f32_e32 vcc, s24, v10
	v_cndmask_b32_e32 v10, v36, v10, vcc
	v_cmp_nlt_f32_e32 vcc, s24, v12
	v_cndmask_b32_e32 v11, v36, v12, vcc
	v_cvt_f32_f16_sdwa v12, v13 dst_sel:DWORD dst_unused:UNUSED_PAD src0_sel:WORD_1
	v_fma_f32 v13, -v33, v39, 1.0
	v_fmac_f32_e32 v39, v13, v39
	v_div_scale_f32 v13, vcc, v32, v46, v32
	v_mul_f32_e32 v44, v13, v39
	v_fma_f32 v45, -v33, v44, v13
	v_fmac_f32_e32 v44, v45, v39
	v_fma_f32 v13, -v33, v44, v13
	v_div_scale_f32 v33, s[6:7], v47, v47, v12
	v_rcp_f32_e32 v45, v33
	v_div_fmas_f32 v13, v13, v39, v44
	v_div_fixup_f32 v13, v13, v46, v32
	v_fma_f32 v32, -v33, v45, 1.0
	v_fmac_f32_e32 v45, v32, v45
	v_div_scale_f32 v32, vcc, v12, v47, v12
	v_mul_f32_e32 v39, v32, v45
	v_fma_f32 v44, -v33, v39, v32
	v_fmac_f32_e32 v39, v44, v45
	v_fma_f32 v32, -v33, v39, v32
	v_div_fmas_f32 v32, v32, v45, v39
	v_div_fixup_f32 v12, v32, v47, v12
	global_load_dwordx4 v[30:33], v[30:31], off offset:16
	v_cvt_f32_f16_e32 v44, v18
	v_cmp_ngt_f32_e32 vcc, s23, v12
	v_cndmask_b32_e32 v39, v35, v12, vcc
	v_cmp_ngt_f32_e32 vcc, s23, v13
	s_waitcnt vmcnt(1)
	v_div_scale_f32 v45, s[6:7], v40, v40, v44
	v_rcp_f32_e32 v46, v45
	v_cndmask_b32_e32 v12, v35, v13, vcc
	v_cmp_nlt_f32_e32 vcc, s24, v12
	v_cndmask_b32_e32 v12, v36, v12, vcc
	v_cmp_nlt_f32_e32 vcc, s24, v39
	v_cndmask_b32_e32 v13, v36, v39, vcc
	v_fma_f32 v39, -v45, v46, 1.0
	v_cvt_f32_f16_sdwa v18, v18 dst_sel:DWORD dst_unused:UNUSED_PAD src0_sel:WORD_1
	v_fmac_f32_e32 v46, v39, v46
	v_div_scale_f32 v39, vcc, v44, v40, v44
	v_mul_f32_e32 v47, v39, v46
	v_fma_f32 v48, -v45, v47, v39
	v_fmac_f32_e32 v47, v48, v46
	v_fma_f32 v39, -v45, v47, v39
	v_div_scale_f32 v45, s[6:7], v41, v41, v18
	v_rcp_f32_e32 v48, v45
	v_div_fmas_f32 v39, v39, v46, v47
	v_div_fixup_f32 v39, v39, v40, v44
	global_store_dwordx4 v1, v[2:5], s[14:15]
	global_store_dwordx4 v1, v[6:9], s[14:15] offset:16
	v_fma_f32 v40, -v45, v48, 1.0
	v_fmac_f32_e32 v48, v40, v48
	v_div_scale_f32 v40, vcc, v18, v41, v18
	v_mul_f32_e32 v44, v40, v48
	v_fma_f32 v46, -v45, v44, v40
	v_fmac_f32_e32 v44, v46, v48
	v_fma_f32 v40, -v45, v44, v40
	v_div_fmas_f32 v40, v40, v48, v44
	v_div_fixup_f32 v18, v40, v41, v18
	v_cmp_ngt_f32_e32 vcc, s23, v18
	v_cvt_f32_f16_e32 v44, v19
	v_cndmask_b32_e32 v18, v35, v18, vcc
	v_cmp_ngt_f32_e32 vcc, s23, v39
	v_cndmask_b32_e32 v39, v35, v39, vcc
	v_cmp_nlt_f32_e32 vcc, s24, v39
	v_cndmask_b32_e32 v40, v36, v39, vcc
	v_div_scale_f32 v39, s[6:7], v42, v42, v44
	v_rcp_f32_e32 v45, v39
	v_cmp_nlt_f32_e32 vcc, s24, v18
	v_cndmask_b32_e32 v41, v36, v18, vcc
	v_cvt_f32_f16_sdwa v18, v19 dst_sel:DWORD dst_unused:UNUSED_PAD src0_sel:WORD_1
	v_fma_f32 v19, -v39, v45, 1.0
	v_fmac_f32_e32 v45, v19, v45
	v_div_scale_f32 v19, vcc, v44, v42, v44
	v_mul_f32_e32 v46, v19, v45
	v_fma_f32 v47, -v39, v46, v19
	v_fmac_f32_e32 v46, v47, v45
	v_fma_f32 v19, -v39, v46, v19
	v_div_scale_f32 v39, s[6:7], v43, v43, v18
	v_rcp_f32_e32 v47, v39
	v_div_fmas_f32 v19, v19, v45, v46
	v_div_fixup_f32 v19, v19, v42, v44
	v_fma_f32 v42, -v39, v47, 1.0
	v_fmac_f32_e32 v47, v42, v47
	v_div_scale_f32 v42, vcc, v18, v43, v18
	v_mul_f32_e32 v44, v42, v47
	v_fma_f32 v45, -v39, v44, v42
	v_fmac_f32_e32 v44, v45, v47
	v_fma_f32 v39, -v39, v44, v42
	v_div_fmas_f32 v39, v39, v47, v44
	v_div_fixup_f32 v18, v39, v43, v18
	v_cmp_ngt_f32_e32 vcc, s23, v18
	v_cvt_f32_f16_e32 v39, v20
	v_cndmask_b32_e32 v18, v35, v18, vcc
	v_cmp_ngt_f32_e32 vcc, s23, v19
	v_cndmask_b32_e32 v19, v35, v19, vcc
	v_cmp_nlt_f32_e32 vcc, s24, v19
	v_cndmask_b32_e32 v42, v36, v19, vcc
	s_waitcnt vmcnt(2)
	v_div_scale_f32 v19, s[6:7], v30, v30, v39
	v_rcp_f32_e32 v44, v19
	v_cmp_nlt_f32_e32 vcc, s24, v18
	v_cndmask_b32_e32 v43, v36, v18, vcc
	v_cvt_f32_f16_sdwa v18, v20 dst_sel:DWORD dst_unused:UNUSED_PAD src0_sel:WORD_1
	v_fma_f32 v20, -v19, v44, 1.0
	v_fmac_f32_e32 v44, v20, v44
	v_div_scale_f32 v20, vcc, v39, v30, v39
	v_mul_f32_e32 v45, v20, v44
	v_fma_f32 v46, -v19, v45, v20
	v_fmac_f32_e32 v45, v46, v44
	v_fma_f32 v19, -v19, v45, v20
	v_div_scale_f32 v20, s[6:7], v31, v31, v18
	v_rcp_f32_e32 v46, v20
	v_div_fmas_f32 v19, v19, v44, v45
	v_div_fixup_f32 v19, v19, v30, v39
	v_fma_f32 v30, -v20, v46, 1.0
	v_fmac_f32_e32 v46, v30, v46
	v_div_scale_f32 v30, vcc, v18, v31, v18
	v_mul_f32_e32 v39, v30, v46
	v_fma_f32 v44, -v20, v39, v30
	v_fmac_f32_e32 v39, v44, v46
	v_fma_f32 v20, -v20, v39, v30
	v_cvt_f32_f16_e32 v30, v21
	v_div_fmas_f32 v20, v20, v46, v39
	v_div_fixup_f32 v18, v20, v31, v18
	v_cmp_ngt_f32_e32 vcc, s23, v18
	v_div_scale_f32 v31, s[6:7], v32, v32, v30
	v_cndmask_b32_e32 v20, v35, v18, vcc
	v_cmp_ngt_f32_e32 vcc, s23, v19
	v_rcp_f32_e32 v39, v31
	v_cndmask_b32_e32 v18, v35, v19, vcc
	v_cmp_nlt_f32_e32 vcc, s24, v18
	v_cndmask_b32_e32 v18, v36, v18, vcc
	v_cmp_nlt_f32_e32 vcc, s24, v20
	v_cndmask_b32_e32 v19, v36, v20, vcc
	v_cvt_f32_f16_sdwa v20, v21 dst_sel:DWORD dst_unused:UNUSED_PAD src0_sel:WORD_1
	v_fma_f32 v21, -v31, v39, 1.0
	v_fmac_f32_e32 v39, v21, v39
	v_div_scale_f32 v21, vcc, v30, v32, v30
	v_mul_f32_e32 v44, v21, v39
	v_fma_f32 v45, -v31, v44, v21
	v_fmac_f32_e32 v44, v45, v39
	v_fma_f32 v21, -v31, v44, v21
	v_div_scale_f32 v31, s[6:7], v33, v33, v20
	v_rcp_f32_e32 v45, v31
	v_div_fmas_f32 v21, v21, v39, v44
	v_div_fixup_f32 v21, v21, v32, v30
	v_fma_f32 v30, -v31, v45, 1.0
	v_fmac_f32_e32 v45, v30, v45
	v_div_scale_f32 v30, vcc, v20, v33, v20
	v_mul_f32_e32 v32, v30, v45
	v_fma_f32 v39, -v31, v32, v30
	v_fmac_f32_e32 v32, v39, v45
	v_fma_f32 v30, -v31, v32, v30
	v_div_fmas_f32 v30, v30, v45, v32
	v_div_fixup_f32 v20, v30, v33, v20
	v_cmp_ngt_f32_e32 vcc, s23, v20
	v_cndmask_b32_e32 v30, v35, v20, vcc
	v_cmp_ngt_f32_e32 vcc, s23, v21
	v_cndmask_b32_e32 v20, v35, v21, vcc
	v_cmp_nlt_f32_e32 vcc, s24, v20
	v_cndmask_b32_e32 v20, v36, v20, vcc
	v_cmp_nlt_f32_e32 vcc, s24, v30
	v_cndmask_b32_e32 v21, v36, v30, vcc
	v_add_co_u32_e32 v2, vcc, s22, v38
	v_addc_co_u32_e32 v3, vcc, 0, v37, vcc
	global_store_dwordx4 v[2:3], v[14:17], off
	global_store_dwordx4 v[2:3], v[22:25], off offset:16
	global_store_dwordx4 v34, v[26:29], s[14:15]
	global_store_dwordx4 v34, v[10:13], s[14:15] offset:16
	v_add_co_u32_e32 v2, vcc, 0xc000, v38
	v_addc_co_u32_e32 v3, vcc, 0, v37, vcc
	global_store_dwordx4 v[2:3], v[40:43], off
	global_store_dwordx4 v[2:3], v[18:21], off offset:16
	s_cbranch_execnz .LBB27_2
.LBB27_4:
	s_load_dword s6, s[4:5], 0x24
	s_load_dwordx4 s[20:23], s[4:5], 0x28
	s_add_u32 s8, s4, 56
	s_addc_u32 s9, s5, 0
	v_mov_b32_e32 v31, v0
	s_waitcnt lgkmcnt(0)
	v_lshrrev_b16_e64 v8, 8, s6
	v_mov_b32_e32 v0, s16
	v_mov_b32_e32 v1, s17
	;; [unrolled: 1-line block ×12, first 2 shown]
	s_getpc_b64 s[4:5]
	s_add_u32 s4, s4, _ZN2at6native25elementwise_kernel_helperILb1EZZZNS0_23launch_dirichlet_kernelERNS_18TensorIteratorBaseEENKUlvE_clEvENKUlvE0_clEvEUlffE_NS0_6memory8policies11unroll_baseILi512ESt5arrayIPcLm3EE23TrivialOffsetCalculatorILi2EjESD_ILi1EjENS7_12LoadWithCastILi2EEENS7_13StoreWithCastILi1EEELi32ELi1EEEEEvT0_T1_@rel32@lo+4
	s_addc_u32 s5, s5, _ZN2at6native25elementwise_kernel_helperILb1EZZZNS0_23launch_dirichlet_kernelERNS_18TensorIteratorBaseEENKUlvE_clEvENKUlvE0_clEvEUlffE_NS0_6memory8policies11unroll_baseILi512ESt5arrayIPcLm3EE23TrivialOffsetCalculatorILi2EjESD_ILi1EjENS7_12LoadWithCastILi2EEENS7_13StoreWithCastILi1EEELi32ELi1EEEEEvT0_T1_@rel32@hi+12
	s_swappc_b64 s[30:31], s[4:5]
	s_endpgm
	.section	.rodata,"a",@progbits
	.p2align	6, 0x0
	.amdhsa_kernel _ZN2at6native39vectorized_templated_elementwise_kernelILi8EZZZNS0_23launch_dirichlet_kernelERNS_18TensorIteratorBaseEENKUlvE_clEvENKUlvE0_clEvEUlffE_St5arrayIPcLm3EE23TrivialOffsetCalculatorILi2EjESA_ILi1EjENS0_6memory12LoadWithCastILi2EEENSD_13StoreWithCastILi1EEEfJN3c104HalfEfEEEviT0_T1_T2_T3_T4_T5_
		.amdhsa_group_segment_fixed_size 0
		.amdhsa_private_segment_fixed_size 288
		.amdhsa_kernarg_size 312
		.amdhsa_user_sgpr_count 8
		.amdhsa_user_sgpr_private_segment_buffer 1
		.amdhsa_user_sgpr_dispatch_ptr 0
		.amdhsa_user_sgpr_queue_ptr 0
		.amdhsa_user_sgpr_kernarg_segment_ptr 1
		.amdhsa_user_sgpr_dispatch_id 0
		.amdhsa_user_sgpr_flat_scratch_init 1
		.amdhsa_user_sgpr_kernarg_preload_length 0
		.amdhsa_user_sgpr_kernarg_preload_offset 0
		.amdhsa_user_sgpr_private_segment_size 0
		.amdhsa_uses_dynamic_stack 0
		.amdhsa_system_sgpr_private_segment_wavefront_offset 1
		.amdhsa_system_sgpr_workgroup_id_x 1
		.amdhsa_system_sgpr_workgroup_id_y 0
		.amdhsa_system_sgpr_workgroup_id_z 0
		.amdhsa_system_sgpr_workgroup_info 0
		.amdhsa_system_vgpr_workitem_id 0
		.amdhsa_next_free_vgpr 118
		.amdhsa_next_free_sgpr 98
		.amdhsa_accum_offset 120
		.amdhsa_reserve_vcc 1
		.amdhsa_reserve_flat_scratch 1
		.amdhsa_float_round_mode_32 0
		.amdhsa_float_round_mode_16_64 0
		.amdhsa_float_denorm_mode_32 3
		.amdhsa_float_denorm_mode_16_64 3
		.amdhsa_dx10_clamp 1
		.amdhsa_ieee_mode 1
		.amdhsa_fp16_overflow 0
		.amdhsa_tg_split 0
		.amdhsa_exception_fp_ieee_invalid_op 0
		.amdhsa_exception_fp_denorm_src 0
		.amdhsa_exception_fp_ieee_div_zero 0
		.amdhsa_exception_fp_ieee_overflow 0
		.amdhsa_exception_fp_ieee_underflow 0
		.amdhsa_exception_fp_ieee_inexact 0
		.amdhsa_exception_int_div_zero 0
	.end_amdhsa_kernel
	.section	.text._ZN2at6native39vectorized_templated_elementwise_kernelILi8EZZZNS0_23launch_dirichlet_kernelERNS_18TensorIteratorBaseEENKUlvE_clEvENKUlvE0_clEvEUlffE_St5arrayIPcLm3EE23TrivialOffsetCalculatorILi2EjESA_ILi1EjENS0_6memory12LoadWithCastILi2EEENSD_13StoreWithCastILi1EEEfJN3c104HalfEfEEEviT0_T1_T2_T3_T4_T5_,"axG",@progbits,_ZN2at6native39vectorized_templated_elementwise_kernelILi8EZZZNS0_23launch_dirichlet_kernelERNS_18TensorIteratorBaseEENKUlvE_clEvENKUlvE0_clEvEUlffE_St5arrayIPcLm3EE23TrivialOffsetCalculatorILi2EjESA_ILi1EjENS0_6memory12LoadWithCastILi2EEENSD_13StoreWithCastILi1EEEfJN3c104HalfEfEEEviT0_T1_T2_T3_T4_T5_,comdat
.Lfunc_end27:
	.size	_ZN2at6native39vectorized_templated_elementwise_kernelILi8EZZZNS0_23launch_dirichlet_kernelERNS_18TensorIteratorBaseEENKUlvE_clEvENKUlvE0_clEvEUlffE_St5arrayIPcLm3EE23TrivialOffsetCalculatorILi2EjESA_ILi1EjENS0_6memory12LoadWithCastILi2EEENSD_13StoreWithCastILi1EEEfJN3c104HalfEfEEEviT0_T1_T2_T3_T4_T5_, .Lfunc_end27-_ZN2at6native39vectorized_templated_elementwise_kernelILi8EZZZNS0_23launch_dirichlet_kernelERNS_18TensorIteratorBaseEENKUlvE_clEvENKUlvE0_clEvEUlffE_St5arrayIPcLm3EE23TrivialOffsetCalculatorILi2EjESA_ILi1EjENS0_6memory12LoadWithCastILi2EEENSD_13StoreWithCastILi1EEEfJN3c104HalfEfEEEviT0_T1_T2_T3_T4_T5_
                                        ; -- End function
	.section	.AMDGPU.csdata,"",@progbits
; Kernel info:
; codeLenInByte = 3632
; NumSgprs: 104
; NumVgprs: 118
; NumAgprs: 0
; TotalNumVgprs: 118
; ScratchSize: 288
; MemoryBound: 0
; FloatMode: 240
; IeeeMode: 1
; LDSByteSize: 0 bytes/workgroup (compile time only)
; SGPRBlocks: 12
; VGPRBlocks: 14
; NumSGPRsForWavesPerEU: 104
; NumVGPRsForWavesPerEU: 118
; AccumOffset: 120
; Occupancy: 4
; WaveLimiterHint : 0
; COMPUTE_PGM_RSRC2:SCRATCH_EN: 1
; COMPUTE_PGM_RSRC2:USER_SGPR: 8
; COMPUTE_PGM_RSRC2:TRAP_HANDLER: 0
; COMPUTE_PGM_RSRC2:TGID_X_EN: 1
; COMPUTE_PGM_RSRC2:TGID_Y_EN: 0
; COMPUTE_PGM_RSRC2:TGID_Z_EN: 0
; COMPUTE_PGM_RSRC2:TIDIG_COMP_CNT: 0
; COMPUTE_PGM_RSRC3_GFX90A:ACCUM_OFFSET: 29
; COMPUTE_PGM_RSRC3_GFX90A:TG_SPLIT: 0
	.section	.text._ZN2at6native39vectorized_templated_elementwise_kernelILi4EZZZNS0_23launch_dirichlet_kernelERNS_18TensorIteratorBaseEENKUlvE_clEvENKUlvE0_clEvEUlffE_St5arrayIPcLm3EE23TrivialOffsetCalculatorILi2EjESA_ILi1EjENS0_6memory12LoadWithCastILi2EEENSD_13StoreWithCastILi1EEEfJN3c104HalfEfEEEviT0_T1_T2_T3_T4_T5_,"axG",@progbits,_ZN2at6native39vectorized_templated_elementwise_kernelILi4EZZZNS0_23launch_dirichlet_kernelERNS_18TensorIteratorBaseEENKUlvE_clEvENKUlvE0_clEvEUlffE_St5arrayIPcLm3EE23TrivialOffsetCalculatorILi2EjESA_ILi1EjENS0_6memory12LoadWithCastILi2EEENSD_13StoreWithCastILi1EEEfJN3c104HalfEfEEEviT0_T1_T2_T3_T4_T5_,comdat
	.globl	_ZN2at6native39vectorized_templated_elementwise_kernelILi4EZZZNS0_23launch_dirichlet_kernelERNS_18TensorIteratorBaseEENKUlvE_clEvENKUlvE0_clEvEUlffE_St5arrayIPcLm3EE23TrivialOffsetCalculatorILi2EjESA_ILi1EjENS0_6memory12LoadWithCastILi2EEENSD_13StoreWithCastILi1EEEfJN3c104HalfEfEEEviT0_T1_T2_T3_T4_T5_ ; -- Begin function _ZN2at6native39vectorized_templated_elementwise_kernelILi4EZZZNS0_23launch_dirichlet_kernelERNS_18TensorIteratorBaseEENKUlvE_clEvENKUlvE0_clEvEUlffE_St5arrayIPcLm3EE23TrivialOffsetCalculatorILi2EjESA_ILi1EjENS0_6memory12LoadWithCastILi2EEENSD_13StoreWithCastILi1EEEfJN3c104HalfEfEEEviT0_T1_T2_T3_T4_T5_
	.p2align	8
	.type	_ZN2at6native39vectorized_templated_elementwise_kernelILi4EZZZNS0_23launch_dirichlet_kernelERNS_18TensorIteratorBaseEENKUlvE_clEvENKUlvE0_clEvEUlffE_St5arrayIPcLm3EE23TrivialOffsetCalculatorILi2EjESA_ILi1EjENS0_6memory12LoadWithCastILi2EEENSD_13StoreWithCastILi1EEEfJN3c104HalfEfEEEviT0_T1_T2_T3_T4_T5_,@function
_ZN2at6native39vectorized_templated_elementwise_kernelILi4EZZZNS0_23launch_dirichlet_kernelERNS_18TensorIteratorBaseEENKUlvE_clEvENKUlvE0_clEvEUlffE_St5arrayIPcLm3EE23TrivialOffsetCalculatorILi2EjESA_ILi1EjENS0_6memory12LoadWithCastILi2EEENSD_13StoreWithCastILi1EEEfJN3c104HalfEfEEEviT0_T1_T2_T3_T4_T5_: ; @_ZN2at6native39vectorized_templated_elementwise_kernelILi4EZZZNS0_23launch_dirichlet_kernelERNS_18TensorIteratorBaseEENKUlvE_clEvENKUlvE0_clEvEUlffE_St5arrayIPcLm3EE23TrivialOffsetCalculatorILi2EjESA_ILi1EjENS0_6memory12LoadWithCastILi2EEENSD_13StoreWithCastILi1EEEfJN3c104HalfEfEEEviT0_T1_T2_T3_T4_T5_
; %bb.0:
	s_add_u32 flat_scratch_lo, s6, s9
	s_addc_u32 flat_scratch_hi, s7, 0
	s_add_u32 s0, s0, s9
	s_load_dword s6, s[4:5], 0x38
	s_load_dwordx2 s[24:25], s[4:5], 0x18
	s_load_dword s7, s[4:5], 0x0
	s_load_dwordx4 s[20:23], s[4:5], 0x8
	s_addc_u32 s1, s1, 0
	s_mov_b32 s12, s8
	s_not_b32 s8, s8
	s_waitcnt lgkmcnt(0)
	s_add_i32 s6, s6, s8
	s_lshl_b32 s8, s6, 14
	s_sub_i32 s13, s7, s8
	s_cmpk_gt_i32 s13, 0x3fff
	s_mov_b64 s[6:7], -1
	s_mov_b32 s32, 0
	s_cbranch_scc1 .LBB28_3
; %bb.1:
	s_andn2_b64 vcc, exec, s[6:7]
	s_cbranch_vccz .LBB28_4
.LBB28_2:
	s_endpgm
.LBB28_3:
	s_ashr_i32 s9, s8, 31
	s_lshl_b64 s[6:7], s[8:9], 1
	s_add_u32 s6, s22, s6
	s_addc_u32 s7, s23, s7
	v_lshlrev_b32_e32 v12, 3, v0
	global_load_dwordx2 v[6:7], v12, s[6:7]
	s_lshl_b64 s[26:27], s[8:9], 2
	s_add_u32 s28, s24, s26
	s_addc_u32 s29, s25, s27
	v_lshlrev_b32_e32 v1, 4, v0
	global_load_dwordx4 v[2:5], v1, s[28:29]
	v_mov_b32_e32 v16, s7
	v_add_co_u32_e32 v25, vcc, s6, v12
	s_movk_i32 s8, 0x1000
	v_addc_co_u32_e32 v38, vcc, 0, v16, vcc
	v_or_b32_e32 v8, 0x400, v0
	v_add_co_u32_e32 v16, vcc, s8, v25
	v_or_b32_e32 v10, 0x800, v0
	v_or_b32_e32 v11, 0xc00, v0
	v_lshlrev_b32_e32 v13, 3, v8
	v_addc_co_u32_e32 v17, vcc, 0, v38, vcc
	v_lshlrev_b32_e32 v14, 3, v10
	v_lshlrev_b32_e32 v15, 3, v11
	;; [unrolled: 1-line block ×3, first 2 shown]
	global_load_dwordx2 v[8:9], v13, s[6:7]
	global_load_dwordx2 v[18:19], v14, s[6:7]
	global_load_dwordx2 v[20:21], v15, s[6:7]
	v_mov_b32_e32 v23, s29
	v_add_co_u32_e32 v40, vcc, s28, v1
	v_addc_co_u32_e32 v41, vcc, 0, v23, vcc
	global_load_dwordx4 v[12:15], v22, s[28:29]
	s_movk_i32 s30, 0x2000
	global_load_dwordx2 v[16:17], v[16:17], off
	s_waitcnt vmcnt(6)
	v_cvt_f32_f16_e32 v35, v6
	v_cvt_f32_f16_sdwa v34, v6 dst_sel:DWORD dst_unused:UNUSED_PAD src0_sel:WORD_1
	v_cvt_f32_f16_e32 v37, v7
	v_cvt_f32_f16_sdwa v36, v7 dst_sel:DWORD dst_unused:UNUSED_PAD src0_sel:WORD_1
	s_waitcnt vmcnt(5)
	v_div_scale_f32 v6, s[6:7], v2, v2, v35
	v_div_scale_f32 v23, s[6:7], v3, v3, v34
	v_rcp_f32_e32 v30, v6
	v_div_scale_f32 v26, s[8:9], v4, v4, v37
	v_rcp_f32_e32 v31, v23
	;; [unrolled: 2-line block ×3, first 2 shown]
	v_rcp_f32_e32 v33, v28
	v_fma_f32 v39, -v6, v30, 1.0
	v_div_scale_f32 v7, vcc, v35, v2, v35
	v_fma_f32 v42, -v23, v31, 1.0
	v_fmac_f32_e32 v30, v39, v30
	v_div_scale_f32 v24, s[6:7], v34, v3, v34
	v_fma_f32 v43, -v26, v32, 1.0
	v_fmac_f32_e32 v31, v42, v31
	v_mul_f32_e32 v39, v7, v30
	v_div_scale_f32 v27, s[8:9], v37, v4, v37
	v_fma_f32 v44, -v28, v33, 1.0
	v_fmac_f32_e32 v32, v43, v32
	v_mul_f32_e32 v42, v24, v31
	v_fma_f32 v45, -v6, v39, v7
	v_div_scale_f32 v29, s[10:11], v36, v5, v36
	v_fmac_f32_e32 v33, v44, v33
	v_mul_f32_e32 v43, v27, v32
	v_fma_f32 v46, -v23, v42, v24
	v_fmac_f32_e32 v39, v45, v30
	v_mul_f32_e32 v44, v29, v33
	v_fma_f32 v47, -v26, v43, v27
	v_fmac_f32_e32 v42, v46, v31
	v_fma_f32 v6, -v6, v39, v7
	v_fma_f32 v48, -v28, v44, v29
	v_fmac_f32_e32 v43, v47, v32
	v_fma_f32 v7, -v23, v42, v24
	v_div_fmas_f32 v39, v6, v30, v39
	s_mov_b64 vcc, s[6:7]
	v_fmac_f32_e32 v44, v48, v33
	v_fma_f32 v23, -v26, v43, v27
	v_div_fmas_f32 v42, v7, v31, v42
	s_mov_b64 vcc, s[8:9]
	v_fma_f32 v24, -v28, v44, v29
	v_div_fmas_f32 v43, v23, v32, v43
	s_mov_b64 vcc, s[10:11]
	v_div_fmas_f32 v44, v24, v33, v44
	v_add_co_u32_e32 v6, vcc, s30, v40
	v_addc_co_u32_e32 v7, vcc, 0, v41, vcc
	global_load_dwordx4 v[26:29], v[6:7], off
	s_waitcnt vmcnt(5)
	v_cvt_f32_f16_sdwa v45, v8 dst_sel:DWORD dst_unused:UNUSED_PAD src0_sel:WORD_1
	v_cvt_f32_f16_e32 v46, v8
	v_cvt_f32_f16_e32 v48, v9
	v_cvt_f32_f16_sdwa v47, v9 dst_sel:DWORD dst_unused:UNUSED_PAD src0_sel:WORD_1
	s_waitcnt vmcnt(1)
	v_cvt_f32_f16_sdwa v8, v16 dst_sel:DWORD dst_unused:UNUSED_PAD src0_sel:WORD_1
	v_cvt_f32_f16_e32 v9, v16
	v_div_scale_f32 v6, s[6:7], v12, v12, v46
	v_div_scale_f32 v16, s[8:9], v13, v13, v45
	;; [unrolled: 1-line block ×3, first 2 shown]
	v_rcp_f32_e32 v24, v6
	v_rcp_f32_e32 v30, v16
	;; [unrolled: 1-line block ×3, first 2 shown]
	v_cvt_f32_f16_sdwa v49, v17 dst_sel:DWORD dst_unused:UNUSED_PAD src0_sel:WORD_1
	v_fma_f32 v33, -v6, v24, 1.0
	v_fma_f32 v51, -v16, v30, 1.0
	v_cvt_f32_f16_e32 v50, v17
	v_div_scale_f32 v7, s[6:7], v46, v12, v46
	v_div_scale_f32 v17, s[8:9], v45, v13, v45
	v_fma_f32 v52, -v23, v31, 1.0
	v_fmac_f32_e32 v24, v33, v24
	v_fmac_f32_e32 v30, v51, v30
	v_div_scale_f32 v32, s[10:11], v48, v14, v48
	v_fmac_f32_e32 v31, v52, v31
	v_mul_f32_e32 v33, v7, v24
	v_mul_f32_e32 v51, v17, v30
	;; [unrolled: 1-line block ×3, first 2 shown]
	v_fma_f32 v53, -v6, v33, v7
	v_fma_f32 v54, -v16, v51, v17
	;; [unrolled: 1-line block ×3, first 2 shown]
	v_fmac_f32_e32 v33, v53, v24
	v_fmac_f32_e32 v51, v54, v30
	v_fmac_f32_e32 v52, v55, v31
	v_fma_f32 v6, -v6, v33, v7
	v_fma_f32 v7, -v16, v51, v17
	;; [unrolled: 1-line block ×3, first 2 shown]
	v_div_fixup_f32 v3, v42, v3, v34
	v_div_fixup_f32 v2, v39, v2, v35
	v_mov_b32_e32 v42, 0x800000
	v_div_fixup_f32 v5, v44, v5, v36
	v_div_fixup_f32 v4, v43, v4, v37
	v_cvt_f32_f16_sdwa v61, v21 dst_sel:DWORD dst_unused:UNUSED_PAD src0_sel:WORD_1
	s_waitcnt vmcnt(0)
	v_div_scale_f32 v17, s[14:15], v26, v26, v9
	v_div_scale_f32 v32, s[14:15], v27, v27, v8
	v_rcp_f32_e32 v55, v17
	v_div_scale_f32 v53, s[14:15], v28, v28, v50
	v_rcp_f32_e32 v56, v32
	;; [unrolled: 2-line block ×3, first 2 shown]
	v_rcp_f32_e32 v58, v54
	v_fma_f32 v59, -v17, v55, 1.0
	v_fmac_f32_e32 v55, v59, v55
	v_fma_f32 v59, -v32, v56, 1.0
	v_fmac_f32_e32 v56, v59, v56
	v_fma_f32 v59, -v53, v57, 1.0
	v_div_scale_f32 v23, vcc, v9, v26, v9
	v_fmac_f32_e32 v57, v59, v57
	v_fma_f32 v59, -v54, v58, 1.0
	v_fmac_f32_e32 v58, v59, v58
	v_mul_f32_e32 v59, v23, v55
	v_fma_f32 v60, -v17, v59, v23
	v_fmac_f32_e32 v59, v60, v55
	v_fma_f32 v17, -v17, v59, v23
	v_div_scale_f32 v23, s[14:15], v8, v27, v8
	v_div_fmas_f32 v55, v17, v55, v59
	v_mul_f32_e32 v17, v23, v56
	v_fma_f32 v59, -v32, v17, v23
	v_fmac_f32_e32 v17, v59, v56
	v_div_scale_f32 v59, s[16:17], v50, v28, v50
	v_fma_f32 v23, -v32, v17, v23
	s_mov_b64 vcc, s[14:15]
	v_div_fmas_f32 v56, v23, v56, v17
	v_mul_f32_e32 v17, v59, v57
	v_div_scale_f32 v32, s[18:19], v49, v29, v49
	v_fma_f32 v23, -v53, v17, v59
	v_fmac_f32_e32 v17, v23, v57
	v_mul_f32_e32 v23, v32, v58
	v_fma_f32 v60, -v54, v23, v32
	v_fmac_f32_e32 v23, v60, v58
	v_fma_f32 v53, -v53, v17, v59
	v_div_scale_f32 v59, s[14:15], v15, v15, v47
	v_fma_f32 v32, -v54, v23, v32
	v_rcp_f32_e32 v54, v59
	s_mov_b64 vcc, s[16:17]
	v_div_fmas_f32 v53, v53, v57, v17
	s_mov_b64 vcc, s[18:19]
	v_div_fmas_f32 v57, v32, v58, v23
	;; [unrolled: 2-line block ×4, first 2 shown]
	s_mov_b64 vcc, s[10:11]
	v_fma_f32 v6, -v59, v54, 1.0
	v_div_fmas_f32 v52, v16, v31, v52
	v_fmac_f32_e32 v54, v6, v54
	v_div_scale_f32 v6, vcc, v47, v15, v47
	v_mul_f32_e32 v7, v6, v54
	v_fma_f32 v16, -v59, v7, v6
	v_fmac_f32_e32 v7, v16, v54
	v_fma_f32 v6, -v59, v7, v6
	s_movk_i32 s6, 0x3000
	v_div_fmas_f32 v54, v6, v54, v7
	v_add_co_u32_e32 v6, vcc, s6, v25
	v_addc_co_u32_e32 v7, vcc, 0, v38, vcc
	global_load_dwordx2 v[16:17], v[6:7], off
	s_movk_i32 s8, 0x6000
	v_add_co_u32_e32 v6, vcc, s8, v40
	v_addc_co_u32_e32 v7, vcc, 0, v41, vcc
	global_load_dwordx4 v[30:33], v[6:7], off
	v_lshlrev_b32_e32 v24, 4, v10
	v_div_fixup_f32 v6, v55, v26, v9
	v_div_fixup_f32 v7, v56, v27, v8
	v_div_fixup_f32 v8, v53, v28, v50
	v_div_fixup_f32 v9, v57, v29, v49
	global_load_dwordx4 v[26:29], v24, s[28:29]
	s_mov_b32 s9, 0x800000
	v_cmp_ngt_f32_e32 vcc, s9, v3
	v_cndmask_b32_e32 v3, v42, v3, vcc
	v_cmp_ngt_f32_e32 vcc, s9, v2
	v_cndmask_b32_e32 v2, v42, v2, vcc
	s_mov_b32 s10, 0x3f7ffffe
	v_mov_b32_e32 v59, 0x3f7ffffe
	v_cmp_nlt_f32_e32 vcc, s10, v2
	v_cndmask_b32_e32 v2, v59, v2, vcc
	v_cmp_nlt_f32_e32 vcc, s10, v3
	v_cndmask_b32_e32 v3, v59, v3, vcc
	v_cmp_ngt_f32_e32 vcc, s9, v5
	v_cndmask_b32_e32 v5, v42, v5, vcc
	v_cmp_ngt_f32_e32 vcc, s9, v4
	v_cndmask_b32_e32 v4, v42, v4, vcc
	v_cmp_nlt_f32_e32 vcc, s10, v4
	v_cndmask_b32_e32 v4, v59, v4, vcc
	v_cmp_nlt_f32_e32 vcc, s10, v5
	v_cndmask_b32_e32 v5, v59, v5, vcc
	v_cmp_ngt_f32_e32 vcc, s9, v7
	v_cndmask_b32_e32 v7, v42, v7, vcc
	v_cmp_ngt_f32_e32 vcc, s9, v6
	v_cndmask_b32_e32 v6, v42, v6, vcc
	;; [unrolled: 8-line block ×3, first 2 shown]
	v_cmp_nlt_f32_e32 vcc, s10, v8
	v_lshlrev_b32_e32 v23, 4, v11
	v_cndmask_b32_e32 v8, v59, v8, vcc
	v_cmp_nlt_f32_e32 vcc, s10, v9
	v_div_fixup_f32 v11, v51, v13, v45
	v_cndmask_b32_e32 v9, v59, v9, vcc
	v_div_fixup_f32 v10, v58, v12, v46
	v_cmp_ngt_f32_e32 vcc, s9, v11
	v_cndmask_b32_e32 v11, v42, v11, vcc
	v_cmp_ngt_f32_e32 vcc, s9, v10
	v_cndmask_b32_e32 v10, v42, v10, vcc
	v_div_fixup_f32 v12, v52, v14, v48
	v_cmp_nlt_f32_e32 vcc, s10, v10
	v_div_fixup_f32 v13, v54, v15, v47
	v_cndmask_b32_e32 v10, v59, v10, vcc
	v_cmp_nlt_f32_e32 vcc, s10, v11
	v_cndmask_b32_e32 v11, v59, v11, vcc
	v_cmp_ngt_f32_e32 vcc, s9, v12
	v_cndmask_b32_e32 v12, v42, v12, vcc
	v_cmp_nlt_f32_e32 vcc, s10, v12
	v_cndmask_b32_e32 v12, v59, v12, vcc
	v_cvt_f32_f16_e32 v49, v18
	v_cvt_f32_f16_sdwa v52, v18 dst_sel:DWORD dst_unused:UNUSED_PAD src0_sel:WORD_1
	v_cvt_f32_f16_e32 v53, v19
	v_cvt_f32_f16_sdwa v55, v19 dst_sel:DWORD dst_unused:UNUSED_PAD src0_sel:WORD_1
	v_cvt_f32_f16_e32 v58, v21
	s_movk_i32 s11, 0x7000
	s_waitcnt vmcnt(2)
	v_cvt_f32_f16_e32 v39, v16
	v_cvt_f32_f16_sdwa v43, v16 dst_sel:DWORD dst_unused:UNUSED_PAD src0_sel:WORD_1
	v_cvt_f32_f16_e32 v45, v17
	v_cvt_f32_f16_sdwa v47, v17 dst_sel:DWORD dst_unused:UNUSED_PAD src0_sel:WORD_1
	s_waitcnt vmcnt(1)
	v_div_scale_f32 v14, s[6:7], v30, v30, v39
	v_rcp_f32_e32 v15, v14
	v_fma_f32 v16, -v14, v15, 1.0
	v_fmac_f32_e32 v15, v16, v15
	v_div_scale_f32 v16, vcc, v39, v30, v39
	v_mul_f32_e32 v34, v16, v15
	v_fma_f32 v35, -v14, v34, v16
	v_fmac_f32_e32 v34, v35, v15
	v_div_scale_f32 v35, s[6:7], v31, v31, v43
	v_rcp_f32_e32 v36, v35
	v_fma_f32 v14, -v14, v34, v16
	v_div_fmas_f32 v44, v14, v15, v34
	v_div_fixup_f32 v30, v44, v30, v39
	v_fma_f32 v14, -v35, v36, 1.0
	v_fmac_f32_e32 v36, v14, v36
	v_div_scale_f32 v14, vcc, v43, v31, v43
	v_mul_f32_e32 v15, v14, v36
	v_fma_f32 v16, -v35, v15, v14
	v_fmac_f32_e32 v15, v16, v36
	v_div_scale_f32 v16, s[6:7], v32, v32, v45
	v_rcp_f32_e32 v34, v16
	v_fma_f32 v14, -v35, v15, v14
	v_div_fmas_f32 v46, v14, v36, v15
	v_div_fixup_f32 v31, v46, v31, v43
	;; [unrolled: 11-line block ×3, first 2 shown]
	v_fma_f32 v14, -v17, v35, 1.0
	v_fmac_f32_e32 v35, v14, v35
	v_div_scale_f32 v14, vcc, v47, v33, v47
	v_mul_f32_e32 v34, v14, v35
	v_fma_f32 v15, -v17, v34, v14
	v_fmac_f32_e32 v34, v15, v35
	v_fma_f32 v36, -v17, v34, v14
	global_load_dwordx4 v[14:17], v23, s[28:29]
	s_waitcnt vmcnt(1)
	v_div_scale_f32 v37, s[6:7], v26, v26, v49
	v_rcp_f32_e32 v50, v37
	v_div_fmas_f32 v51, v36, v35, v34
	v_div_fixup_f32 v33, v51, v33, v47
	v_fma_f32 v18, -v37, v50, 1.0
	v_fmac_f32_e32 v50, v18, v50
	v_div_scale_f32 v18, vcc, v49, v26, v49
	v_mul_f32_e32 v34, v18, v50
	v_fma_f32 v35, -v37, v34, v18
	v_fmac_f32_e32 v34, v35, v50
	v_div_scale_f32 v35, s[6:7], v27, v27, v52
	v_rcp_f32_e32 v36, v35
	v_fma_f32 v18, -v37, v34, v18
	v_div_fmas_f32 v50, v18, v50, v34
	v_div_fixup_f32 v44, v50, v26, v49
	v_fma_f32 v18, -v35, v36, 1.0
	v_fmac_f32_e32 v36, v18, v36
	v_div_scale_f32 v18, vcc, v52, v27, v52
	v_mul_f32_e32 v34, v18, v36
	v_fma_f32 v37, -v35, v34, v18
	v_fmac_f32_e32 v34, v37, v36
	v_fma_f32 v18, -v35, v34, v18
	v_div_scale_f32 v35, s[6:7], v28, v28, v53
	v_rcp_f32_e32 v37, v35
	v_div_fmas_f32 v54, v18, v36, v34
	v_div_fixup_f32 v45, v54, v27, v52
	v_cvt_f32_f16_e32 v54, v20
	v_fma_f32 v18, -v35, v37, 1.0
	v_fmac_f32_e32 v37, v18, v37
	v_div_scale_f32 v18, vcc, v53, v28, v53
	v_mul_f32_e32 v19, v18, v37
	v_fma_f32 v34, -v35, v19, v18
	v_fmac_f32_e32 v19, v34, v37
	v_div_scale_f32 v34, s[6:7], v29, v29, v55
	v_rcp_f32_e32 v36, v34
	v_fma_f32 v18, -v35, v19, v18
	v_div_fmas_f32 v56, v18, v37, v19
	s_movk_i32 s6, 0x5000
	v_fma_f32 v18, -v34, v36, 1.0
	v_fmac_f32_e32 v36, v18, v36
	v_div_scale_f32 v18, vcc, v55, v29, v55
	v_mul_f32_e32 v19, v18, v36
	v_fma_f32 v35, -v34, v19, v18
	v_fmac_f32_e32 v19, v35, v36
	v_fma_f32 v18, -v34, v19, v18
	v_div_fmas_f32 v57, v18, v36, v19
	v_add_co_u32_e32 v18, vcc, s6, v25
	v_addc_co_u32_e32 v19, vcc, 0, v38, vcc
	global_load_dwordx2 v[18:19], v[18:19], off
	s_mov_b32 s6, 0xa000
	v_add_co_u32_e32 v34, vcc, s6, v40
	v_addc_co_u32_e32 v35, vcc, 0, v41, vcc
	global_load_dwordx4 v[34:37], v[34:35], off
	v_cmp_ngt_f32_e32 vcc, s9, v13
	v_cndmask_b32_e32 v13, v42, v13, vcc
	v_div_fixup_f32 v46, v56, v28, v53
	v_div_fixup_f32 v47, v57, v29, v55
	v_cvt_f32_f16_sdwa v56, v20 dst_sel:DWORD dst_unused:UNUSED_PAD src0_sel:WORD_1
	s_add_u32 s6, s20, s26
	s_addc_u32 s7, s21, s27
	s_waitcnt vmcnt(1)
	v_cvt_f32_f16_e32 v43, v18
	v_cvt_f32_f16_sdwa v48, v18 dst_sel:DWORD dst_unused:UNUSED_PAD src0_sel:WORD_1
	v_cvt_f32_f16_e32 v50, v19
	v_cvt_f32_f16_sdwa v52, v19 dst_sel:DWORD dst_unused:UNUSED_PAD src0_sel:WORD_1
	s_waitcnt vmcnt(0)
	v_div_scale_f32 v26, s[14:15], v34, v34, v43
	v_rcp_f32_e32 v27, v26
	v_fma_f32 v18, -v26, v27, 1.0
	v_fmac_f32_e32 v27, v18, v27
	v_div_scale_f32 v18, vcc, v43, v34, v43
	v_mul_f32_e32 v28, v18, v27
	v_fma_f32 v29, -v26, v28, v18
	v_fmac_f32_e32 v28, v29, v27
	v_div_scale_f32 v29, s[14:15], v35, v35, v48
	v_rcp_f32_e32 v39, v29
	v_fma_f32 v18, -v26, v28, v18
	v_div_fmas_f32 v49, v18, v27, v28
	v_div_fixup_f32 v34, v49, v34, v43
	v_fma_f32 v18, -v29, v39, 1.0
	v_fmac_f32_e32 v39, v18, v39
	v_div_scale_f32 v18, vcc, v48, v35, v48
	v_mul_f32_e32 v26, v18, v39
	v_fma_f32 v27, -v29, v26, v18
	v_fmac_f32_e32 v26, v27, v39
	v_div_scale_f32 v27, s[14:15], v36, v36, v50
	v_rcp_f32_e32 v28, v27
	v_fma_f32 v18, -v29, v26, v18
	v_div_fmas_f32 v51, v18, v39, v26
	v_div_fixup_f32 v35, v51, v35, v48
	;; [unrolled: 11-line block ×3, first 2 shown]
	v_fma_f32 v18, -v26, v29, 1.0
	v_fmac_f32_e32 v29, v18, v29
	v_div_scale_f32 v18, vcc, v52, v37, v52
	v_mul_f32_e32 v19, v18, v29
	v_fma_f32 v27, -v26, v19, v18
	v_fmac_f32_e32 v19, v27, v29
	v_fma_f32 v18, -v26, v19, v18
	v_div_scale_f32 v26, s[14:15], v14, v14, v54
	v_rcp_f32_e32 v27, v26
	v_div_fmas_f32 v55, v18, v29, v19
	v_div_fixup_f32 v37, v55, v37, v52
	v_fma_f32 v18, -v26, v27, 1.0
	v_fmac_f32_e32 v27, v18, v27
	v_div_scale_f32 v18, vcc, v54, v14, v54
	v_mul_f32_e32 v19, v18, v27
	v_fma_f32 v20, -v26, v19, v18
	v_fmac_f32_e32 v19, v20, v27
	v_div_scale_f32 v20, s[14:15], v15, v15, v56
	v_rcp_f32_e32 v28, v20
	v_fma_f32 v18, -v26, v19, v18
	v_div_fmas_f32 v57, v18, v27, v19
	v_div_fixup_f32 v14, v57, v14, v54
	v_fma_f32 v18, -v20, v28, 1.0
	v_fmac_f32_e32 v28, v18, v28
	v_div_scale_f32 v18, vcc, v56, v15, v56
	v_mul_f32_e32 v19, v18, v28
	v_fma_f32 v26, -v20, v19, v18
	v_fmac_f32_e32 v19, v26, v28
	v_fma_f32 v18, -v20, v19, v18
	v_div_scale_f32 v20, s[14:15], v16, v16, v58
	v_rcp_f32_e32 v26, v20
	v_div_fmas_f32 v60, v18, v28, v19
	v_div_fixup_f32 v15, v60, v15, v56
	v_fma_f32 v18, -v20, v26, 1.0
	v_fmac_f32_e32 v26, v18, v26
	v_div_scale_f32 v18, vcc, v58, v16, v58
	v_mul_f32_e32 v19, v18, v26
	v_fma_f32 v21, -v20, v19, v18
	v_fmac_f32_e32 v19, v21, v26
	v_div_scale_f32 v21, s[14:15], v17, v17, v61
	v_rcp_f32_e32 v27, v21
	v_fma_f32 v18, -v20, v19, v18
	v_div_fmas_f32 v62, v18, v26, v19
	v_div_fixup_f32 v16, v62, v16, v58
	v_fma_f32 v18, -v21, v27, 1.0
	v_fmac_f32_e32 v27, v18, v27
	v_div_scale_f32 v18, vcc, v61, v17, v61
	v_mul_f32_e32 v19, v18, v27
	v_fma_f32 v20, -v21, v19, v18
	v_fmac_f32_e32 v19, v20, v27
	v_fma_f32 v18, -v21, v19, v18
	v_div_fmas_f32 v63, v18, v27, v19
	v_add_co_u32_e32 v18, vcc, s11, v25
	v_addc_co_u32_e32 v19, vcc, 0, v38, vcc
	global_load_dwordx2 v[38:39], v[18:19], off
	s_mov_b32 s11, 0xe000
	v_add_co_u32_e32 v18, vcc, s11, v40
	v_addc_co_u32_e32 v19, vcc, 0, v41, vcc
	global_load_dwordx4 v[18:21], v[18:19], off
	v_cmp_nlt_f32_e32 vcc, s10, v13
	v_cndmask_b32_e32 v13, v59, v13, vcc
	v_cmp_ngt_f32_e32 vcc, s9, v31
	v_cndmask_b32_e32 v25, v42, v31, vcc
	v_cmp_ngt_f32_e32 vcc, s9, v30
	v_cndmask_b32_e32 v26, v42, v30, vcc
	v_cmp_nlt_f32_e32 vcc, s10, v26
	v_cndmask_b32_e32 v26, v59, v26, vcc
	v_cmp_nlt_f32_e32 vcc, s10, v25
	v_cndmask_b32_e32 v27, v59, v25, vcc
	v_cmp_ngt_f32_e32 vcc, s9, v33
	v_cndmask_b32_e32 v25, v42, v33, vcc
	v_cmp_ngt_f32_e32 vcc, s9, v32
	v_cndmask_b32_e32 v28, v42, v32, vcc
	v_cmp_nlt_f32_e32 vcc, s10, v28
	v_cndmask_b32_e32 v28, v59, v28, vcc
	;; [unrolled: 8-line block ×3, first 2 shown]
	v_cmp_nlt_f32_e32 vcc, s10, v25
	v_cndmask_b32_e32 v31, v59, v25, vcc
	v_cmp_ngt_f32_e32 vcc, s9, v46
	v_cndmask_b32_e32 v32, v42, v46, vcc
	v_cmp_nlt_f32_e32 vcc, s10, v32
	v_mov_b32_e32 v25, s7
	v_cndmask_b32_e32 v32, v59, v32, vcc
	v_add_co_u32_e32 v40, vcc, s6, v1
	v_addc_co_u32_e32 v25, vcc, 0, v25, vcc
	v_cmp_ngt_f32_e32 vcc, s9, v47
	v_cndmask_b32_e32 v33, v42, v47, vcc
	v_cmp_nlt_f32_e32 vcc, s10, v33
	v_cndmask_b32_e32 v33, v59, v33, vcc
	v_cmp_ngt_f32_e32 vcc, s9, v35
	v_cndmask_b32_e32 v35, v42, v35, vcc
	v_cmp_ngt_f32_e32 vcc, s9, v34
	v_cndmask_b32_e32 v34, v42, v34, vcc
	v_cmp_nlt_f32_e32 vcc, s10, v34
	v_cndmask_b32_e32 v34, v59, v34, vcc
	v_cmp_nlt_f32_e32 vcc, s10, v35
	v_cndmask_b32_e32 v35, v59, v35, vcc
	v_cmp_ngt_f32_e32 vcc, s9, v37
	v_cndmask_b32_e32 v37, v42, v37, vcc
	v_cmp_ngt_f32_e32 vcc, s9, v36
	v_cndmask_b32_e32 v36, v42, v36, vcc
	v_cmp_nlt_f32_e32 vcc, s10, v36
	;; [unrolled: 8-line block ×3, first 2 shown]
	v_cndmask_b32_e32 v14, v59, v14, vcc
	v_cmp_nlt_f32_e32 vcc, s10, v15
	v_div_fixup_f32 v17, v63, v17, v61
	v_cndmask_b32_e32 v15, v59, v15, vcc
	v_cmp_ngt_f32_e32 vcc, s9, v17
	v_cndmask_b32_e32 v17, v42, v17, vcc
	v_cmp_ngt_f32_e32 vcc, s9, v16
	v_cndmask_b32_e32 v16, v42, v16, vcc
	v_cmp_nlt_f32_e32 vcc, s10, v16
	v_cndmask_b32_e32 v16, v59, v16, vcc
	v_cmp_nlt_f32_e32 vcc, s10, v17
	v_cndmask_b32_e32 v17, v59, v17, vcc
	global_store_dwordx4 v1, v[2:5], s[6:7]
	s_waitcnt vmcnt(2)
	v_cvt_f32_f16_e32 v41, v38
	v_cvt_f32_f16_sdwa v38, v38 dst_sel:DWORD dst_unused:UNUSED_PAD src0_sel:WORD_1
	s_waitcnt vmcnt(1)
	v_div_scale_f32 v43, s[14:15], v18, v18, v41
	v_rcp_f32_e32 v44, v43
	v_fma_f32 v45, -v43, v44, 1.0
	v_fmac_f32_e32 v44, v45, v44
	v_div_scale_f32 v45, vcc, v41, v18, v41
	v_mul_f32_e32 v46, v45, v44
	v_fma_f32 v47, -v43, v46, v45
	v_fmac_f32_e32 v46, v47, v44
	v_fma_f32 v43, -v43, v46, v45
	v_div_scale_f32 v45, s[14:15], v19, v19, v38
	v_rcp_f32_e32 v47, v45
	v_div_fmas_f32 v43, v43, v44, v46
	v_div_fixup_f32 v18, v43, v18, v41
	v_fma_f32 v41, -v45, v47, 1.0
	v_fmac_f32_e32 v47, v41, v47
	v_div_scale_f32 v41, vcc, v38, v19, v38
	v_mul_f32_e32 v43, v41, v47
	v_fma_f32 v44, -v45, v43, v41
	v_fmac_f32_e32 v43, v44, v47
	v_fma_f32 v41, -v45, v43, v41
	v_div_fmas_f32 v41, v41, v47, v43
	v_div_fixup_f32 v19, v41, v19, v38
	v_cvt_f32_f16_e32 v38, v39
	v_cmp_ngt_f32_e32 vcc, s9, v19
	v_cndmask_b32_e32 v19, v42, v19, vcc
	v_cmp_ngt_f32_e32 vcc, s9, v18
	v_div_scale_f32 v41, s[14:15], v20, v20, v38
	v_rcp_f32_e32 v43, v41
	v_cndmask_b32_e32 v18, v42, v18, vcc
	v_cmp_nlt_f32_e32 vcc, s10, v18
	v_cndmask_b32_e32 v18, v59, v18, vcc
	v_cmp_nlt_f32_e32 vcc, s10, v19
	v_fma_f32 v44, -v41, v43, 1.0
	v_cndmask_b32_e32 v19, v59, v19, vcc
	v_cvt_f32_f16_sdwa v39, v39 dst_sel:DWORD dst_unused:UNUSED_PAD src0_sel:WORD_1
	v_fmac_f32_e32 v43, v44, v43
	v_div_scale_f32 v44, vcc, v38, v20, v38
	v_mul_f32_e32 v45, v44, v43
	v_fma_f32 v46, -v41, v45, v44
	v_fmac_f32_e32 v45, v46, v43
	v_fma_f32 v41, -v41, v45, v44
	v_div_scale_f32 v44, s[14:15], v21, v21, v39
	v_rcp_f32_e32 v46, v44
	v_div_fmas_f32 v41, v41, v43, v45
	v_div_fixup_f32 v20, v41, v20, v38
	v_fma_f32 v38, -v44, v46, 1.0
	v_fmac_f32_e32 v46, v38, v46
	v_div_scale_f32 v38, vcc, v39, v21, v39
	v_mul_f32_e32 v41, v38, v46
	v_fma_f32 v43, -v44, v41, v38
	v_fmac_f32_e32 v41, v43, v46
	v_fma_f32 v38, -v44, v41, v38
	v_div_fmas_f32 v38, v38, v46, v41
	v_div_fixup_f32 v21, v38, v21, v39
	v_cmp_ngt_f32_e32 vcc, s9, v21
	v_cndmask_b32_e32 v21, v42, v21, vcc
	v_cmp_ngt_f32_e32 vcc, s9, v20
	v_cndmask_b32_e32 v20, v42, v20, vcc
	v_cmp_nlt_f32_e32 vcc, s10, v20
	v_cndmask_b32_e32 v20, v59, v20, vcc
	v_cmp_nlt_f32_e32 vcc, s10, v21
	v_cndmask_b32_e32 v21, v59, v21, vcc
	v_add_co_u32_e32 v2, vcc, s30, v40
	v_addc_co_u32_e32 v3, vcc, 0, v25, vcc
	global_store_dwordx4 v[2:3], v[6:9], off
	global_store_dwordx4 v22, v[10:13], s[6:7]
	v_add_co_u32_e32 v2, vcc, s8, v40
	v_addc_co_u32_e32 v3, vcc, 0, v25, vcc
	global_store_dwordx4 v[2:3], v[26:29], off
	global_store_dwordx4 v24, v[30:33], s[6:7]
	;; [unrolled: 4-line block ×3, first 2 shown]
	v_add_co_u32_e32 v2, vcc, 0xe000, v40
	v_addc_co_u32_e32 v3, vcc, 0, v25, vcc
	global_store_dwordx4 v[2:3], v[18:21], off
	s_cbranch_execnz .LBB28_2
.LBB28_4:
	s_load_dword s6, s[4:5], 0x24
	s_load_dwordx4 s[16:19], s[4:5], 0x28
	s_add_u32 s8, s4, 56
	s_addc_u32 s9, s5, 0
	v_mov_b32_e32 v31, v0
	s_waitcnt lgkmcnt(0)
	v_lshrrev_b16_e64 v8, 8, s6
	v_mov_b32_e32 v0, s20
	v_mov_b32_e32 v1, s21
	;; [unrolled: 1-line block ×12, first 2 shown]
	s_getpc_b64 s[4:5]
	s_add_u32 s4, s4, _ZN2at6native25elementwise_kernel_helperILb1EZZZNS0_23launch_dirichlet_kernelERNS_18TensorIteratorBaseEENKUlvE_clEvENKUlvE0_clEvEUlffE_NS0_6memory8policies11unroll_baseILi512ESt5arrayIPcLm3EE23TrivialOffsetCalculatorILi2EjESD_ILi1EjENS7_12LoadWithCastILi2EEENS7_13StoreWithCastILi1EEELi32ELi1EEEEEvT0_T1_@rel32@lo+4
	s_addc_u32 s5, s5, _ZN2at6native25elementwise_kernel_helperILb1EZZZNS0_23launch_dirichlet_kernelERNS_18TensorIteratorBaseEENKUlvE_clEvENKUlvE0_clEvEUlffE_NS0_6memory8policies11unroll_baseILi512ESt5arrayIPcLm3EE23TrivialOffsetCalculatorILi2EjESD_ILi1EjENS7_12LoadWithCastILi2EEENS7_13StoreWithCastILi1EEELi32ELi1EEEEEvT0_T1_@rel32@hi+12
	s_swappc_b64 s[30:31], s[4:5]
	s_endpgm
	.section	.rodata,"a",@progbits
	.p2align	6, 0x0
	.amdhsa_kernel _ZN2at6native39vectorized_templated_elementwise_kernelILi4EZZZNS0_23launch_dirichlet_kernelERNS_18TensorIteratorBaseEENKUlvE_clEvENKUlvE0_clEvEUlffE_St5arrayIPcLm3EE23TrivialOffsetCalculatorILi2EjESA_ILi1EjENS0_6memory12LoadWithCastILi2EEENSD_13StoreWithCastILi1EEEfJN3c104HalfEfEEEviT0_T1_T2_T3_T4_T5_
		.amdhsa_group_segment_fixed_size 0
		.amdhsa_private_segment_fixed_size 288
		.amdhsa_kernarg_size 312
		.amdhsa_user_sgpr_count 8
		.amdhsa_user_sgpr_private_segment_buffer 1
		.amdhsa_user_sgpr_dispatch_ptr 0
		.amdhsa_user_sgpr_queue_ptr 0
		.amdhsa_user_sgpr_kernarg_segment_ptr 1
		.amdhsa_user_sgpr_dispatch_id 0
		.amdhsa_user_sgpr_flat_scratch_init 1
		.amdhsa_user_sgpr_kernarg_preload_length 0
		.amdhsa_user_sgpr_kernarg_preload_offset 0
		.amdhsa_user_sgpr_private_segment_size 0
		.amdhsa_uses_dynamic_stack 0
		.amdhsa_system_sgpr_private_segment_wavefront_offset 1
		.amdhsa_system_sgpr_workgroup_id_x 1
		.amdhsa_system_sgpr_workgroup_id_y 0
		.amdhsa_system_sgpr_workgroup_id_z 0
		.amdhsa_system_sgpr_workgroup_info 0
		.amdhsa_system_vgpr_workitem_id 0
		.amdhsa_next_free_vgpr 118
		.amdhsa_next_free_sgpr 98
		.amdhsa_accum_offset 120
		.amdhsa_reserve_vcc 1
		.amdhsa_reserve_flat_scratch 1
		.amdhsa_float_round_mode_32 0
		.amdhsa_float_round_mode_16_64 0
		.amdhsa_float_denorm_mode_32 3
		.amdhsa_float_denorm_mode_16_64 3
		.amdhsa_dx10_clamp 1
		.amdhsa_ieee_mode 1
		.amdhsa_fp16_overflow 0
		.amdhsa_tg_split 0
		.amdhsa_exception_fp_ieee_invalid_op 0
		.amdhsa_exception_fp_denorm_src 0
		.amdhsa_exception_fp_ieee_div_zero 0
		.amdhsa_exception_fp_ieee_overflow 0
		.amdhsa_exception_fp_ieee_underflow 0
		.amdhsa_exception_fp_ieee_inexact 0
		.amdhsa_exception_int_div_zero 0
	.end_amdhsa_kernel
	.section	.text._ZN2at6native39vectorized_templated_elementwise_kernelILi4EZZZNS0_23launch_dirichlet_kernelERNS_18TensorIteratorBaseEENKUlvE_clEvENKUlvE0_clEvEUlffE_St5arrayIPcLm3EE23TrivialOffsetCalculatorILi2EjESA_ILi1EjENS0_6memory12LoadWithCastILi2EEENSD_13StoreWithCastILi1EEEfJN3c104HalfEfEEEviT0_T1_T2_T3_T4_T5_,"axG",@progbits,_ZN2at6native39vectorized_templated_elementwise_kernelILi4EZZZNS0_23launch_dirichlet_kernelERNS_18TensorIteratorBaseEENKUlvE_clEvENKUlvE0_clEvEUlffE_St5arrayIPcLm3EE23TrivialOffsetCalculatorILi2EjESA_ILi1EjENS0_6memory12LoadWithCastILi2EEENSD_13StoreWithCastILi1EEEfJN3c104HalfEfEEEviT0_T1_T2_T3_T4_T5_,comdat
.Lfunc_end28:
	.size	_ZN2at6native39vectorized_templated_elementwise_kernelILi4EZZZNS0_23launch_dirichlet_kernelERNS_18TensorIteratorBaseEENKUlvE_clEvENKUlvE0_clEvEUlffE_St5arrayIPcLm3EE23TrivialOffsetCalculatorILi2EjESA_ILi1EjENS0_6memory12LoadWithCastILi2EEENSD_13StoreWithCastILi1EEEfJN3c104HalfEfEEEviT0_T1_T2_T3_T4_T5_, .Lfunc_end28-_ZN2at6native39vectorized_templated_elementwise_kernelILi4EZZZNS0_23launch_dirichlet_kernelERNS_18TensorIteratorBaseEENKUlvE_clEvENKUlvE0_clEvEUlffE_St5arrayIPcLm3EE23TrivialOffsetCalculatorILi2EjESA_ILi1EjENS0_6memory12LoadWithCastILi2EEENSD_13StoreWithCastILi1EEEfJN3c104HalfEfEEEviT0_T1_T2_T3_T4_T5_
                                        ; -- End function
	.section	.AMDGPU.csdata,"",@progbits
; Kernel info:
; codeLenInByte = 3808
; NumSgprs: 104
; NumVgprs: 118
; NumAgprs: 0
; TotalNumVgprs: 118
; ScratchSize: 288
; MemoryBound: 0
; FloatMode: 240
; IeeeMode: 1
; LDSByteSize: 0 bytes/workgroup (compile time only)
; SGPRBlocks: 12
; VGPRBlocks: 14
; NumSGPRsForWavesPerEU: 104
; NumVGPRsForWavesPerEU: 118
; AccumOffset: 120
; Occupancy: 4
; WaveLimiterHint : 0
; COMPUTE_PGM_RSRC2:SCRATCH_EN: 1
; COMPUTE_PGM_RSRC2:USER_SGPR: 8
; COMPUTE_PGM_RSRC2:TRAP_HANDLER: 0
; COMPUTE_PGM_RSRC2:TGID_X_EN: 1
; COMPUTE_PGM_RSRC2:TGID_Y_EN: 0
; COMPUTE_PGM_RSRC2:TGID_Z_EN: 0
; COMPUTE_PGM_RSRC2:TIDIG_COMP_CNT: 0
; COMPUTE_PGM_RSRC3_GFX90A:ACCUM_OFFSET: 29
; COMPUTE_PGM_RSRC3_GFX90A:TG_SPLIT: 0
	.section	.text._ZN2at6native39vectorized_templated_elementwise_kernelILi2EZZZNS0_23launch_dirichlet_kernelERNS_18TensorIteratorBaseEENKUlvE_clEvENKUlvE0_clEvEUlffE_St5arrayIPcLm3EE23TrivialOffsetCalculatorILi2EjESA_ILi1EjENS0_6memory12LoadWithCastILi2EEENSD_13StoreWithCastILi1EEEfJN3c104HalfEfEEEviT0_T1_T2_T3_T4_T5_,"axG",@progbits,_ZN2at6native39vectorized_templated_elementwise_kernelILi2EZZZNS0_23launch_dirichlet_kernelERNS_18TensorIteratorBaseEENKUlvE_clEvENKUlvE0_clEvEUlffE_St5arrayIPcLm3EE23TrivialOffsetCalculatorILi2EjESA_ILi1EjENS0_6memory12LoadWithCastILi2EEENSD_13StoreWithCastILi1EEEfJN3c104HalfEfEEEviT0_T1_T2_T3_T4_T5_,comdat
	.globl	_ZN2at6native39vectorized_templated_elementwise_kernelILi2EZZZNS0_23launch_dirichlet_kernelERNS_18TensorIteratorBaseEENKUlvE_clEvENKUlvE0_clEvEUlffE_St5arrayIPcLm3EE23TrivialOffsetCalculatorILi2EjESA_ILi1EjENS0_6memory12LoadWithCastILi2EEENSD_13StoreWithCastILi1EEEfJN3c104HalfEfEEEviT0_T1_T2_T3_T4_T5_ ; -- Begin function _ZN2at6native39vectorized_templated_elementwise_kernelILi2EZZZNS0_23launch_dirichlet_kernelERNS_18TensorIteratorBaseEENKUlvE_clEvENKUlvE0_clEvEUlffE_St5arrayIPcLm3EE23TrivialOffsetCalculatorILi2EjESA_ILi1EjENS0_6memory12LoadWithCastILi2EEENSD_13StoreWithCastILi1EEEfJN3c104HalfEfEEEviT0_T1_T2_T3_T4_T5_
	.p2align	8
	.type	_ZN2at6native39vectorized_templated_elementwise_kernelILi2EZZZNS0_23launch_dirichlet_kernelERNS_18TensorIteratorBaseEENKUlvE_clEvENKUlvE0_clEvEUlffE_St5arrayIPcLm3EE23TrivialOffsetCalculatorILi2EjESA_ILi1EjENS0_6memory12LoadWithCastILi2EEENSD_13StoreWithCastILi1EEEfJN3c104HalfEfEEEviT0_T1_T2_T3_T4_T5_,@function
_ZN2at6native39vectorized_templated_elementwise_kernelILi2EZZZNS0_23launch_dirichlet_kernelERNS_18TensorIteratorBaseEENKUlvE_clEvENKUlvE0_clEvEUlffE_St5arrayIPcLm3EE23TrivialOffsetCalculatorILi2EjESA_ILi1EjENS0_6memory12LoadWithCastILi2EEENSD_13StoreWithCastILi1EEEfJN3c104HalfEfEEEviT0_T1_T2_T3_T4_T5_: ; @_ZN2at6native39vectorized_templated_elementwise_kernelILi2EZZZNS0_23launch_dirichlet_kernelERNS_18TensorIteratorBaseEENKUlvE_clEvENKUlvE0_clEvEUlffE_St5arrayIPcLm3EE23TrivialOffsetCalculatorILi2EjESA_ILi1EjENS0_6memory12LoadWithCastILi2EEENSD_13StoreWithCastILi1EEEfJN3c104HalfEfEEEviT0_T1_T2_T3_T4_T5_
; %bb.0:
	s_add_u32 flat_scratch_lo, s6, s9
	s_addc_u32 flat_scratch_hi, s7, 0
	s_add_u32 s0, s0, s9
	s_load_dword s6, s[4:5], 0x38
	s_load_dwordx2 s[14:15], s[4:5], 0x18
	s_load_dword s7, s[4:5], 0x0
	s_load_dwordx4 s[16:19], s[4:5], 0x8
	s_addc_u32 s1, s1, 0
	s_mov_b32 s12, s8
	s_not_b32 s8, s8
	s_waitcnt lgkmcnt(0)
	s_add_i32 s6, s6, s8
	s_lshl_b32 s6, s6, 14
	s_sub_i32 s13, s7, s6
	s_cmpk_gt_i32 s13, 0x3fff
	s_mov_b64 s[8:9], -1
	s_mov_b32 s32, 0
	s_cbranch_scc1 .LBB29_3
; %bb.1:
	s_andn2_b64 vcc, exec, s[8:9]
	s_cbranch_vccz .LBB29_4
.LBB29_2:
	s_endpgm
.LBB29_3:
	s_ashr_i32 s7, s6, 31
	s_lshl_b64 s[8:9], s[6:7], 1
	s_add_u32 s20, s18, s8
	s_addc_u32 s21, s19, s9
	v_lshlrev_b32_e32 v11, 2, v0
	global_load_dword v17, v11, s[20:21]
	s_lshl_b64 s[22:23], s[6:7], 2
	s_add_u32 s24, s14, s22
	v_lshlrev_b32_e32 v1, 3, v0
	s_addc_u32 s25, s15, s23
	global_load_dwordx2 v[2:3], v1, s[24:25]
	v_or_b32_e32 v8, 0x1400, v0
	v_or_b32_e32 v9, 0x1800, v0
	;; [unrolled: 1-line block ×6, first 2 shown]
	v_lshlrev_b32_e32 v16, 2, v8
	v_lshlrev_b32_e32 v15, 2, v9
	;; [unrolled: 1-line block ×6, first 2 shown]
	global_load_dword v19, v11, s[20:21] offset:2048
	global_load_dword v22, v4, s[20:21]
	global_load_dword v24, v7, s[20:21]
	;; [unrolled: 1-line block ×6, first 2 shown]
	v_mov_b32_e32 v15, s25
	v_add_co_u32_e32 v16, vcc, s24, v1
	v_lshlrev_b32_e32 v14, 3, v12
	v_addc_co_u32_e32 v15, vcc, 0, v15, vcc
	v_lshlrev_b32_e32 v13, 3, v13
	v_lshlrev_b32_e32 v12, 3, v18
	global_load_dwordx2 v[26:27], v14, s[24:25]
	global_load_dwordx2 v[6:7], v13, s[24:25]
	;; [unrolled: 1-line block ×3, first 2 shown]
	s_movk_i32 s26, 0x1000
	s_movk_i32 s27, 0x2000
	;; [unrolled: 1-line block ×4, first 2 shown]
	s_waitcnt vmcnt(11)
	v_cvt_f32_f16_e32 v34, v17
	v_cvt_f32_f16_sdwa v35, v17 dst_sel:DWORD dst_unused:UNUSED_PAD src0_sel:WORD_1
	s_waitcnt vmcnt(10)
	v_div_scale_f32 v17, s[6:7], v2, v2, v34
	v_div_scale_f32 v20, s[6:7], v3, v3, v35
	v_rcp_f32_e32 v21, v17
	v_rcp_f32_e32 v23, v20
	v_div_scale_f32 v18, vcc, v34, v2, v34
	v_fma_f32 v29, -v17, v21, 1.0
	v_fma_f32 v30, -v20, v23, 1.0
	v_fmac_f32_e32 v21, v29, v21
	v_div_scale_f32 v28, s[6:7], v35, v3, v35
	v_fmac_f32_e32 v23, v30, v23
	v_mul_f32_e32 v29, v18, v21
	v_mul_f32_e32 v30, v28, v23
	v_fma_f32 v31, -v17, v29, v18
	v_fma_f32 v32, -v20, v30, v28
	v_fmac_f32_e32 v29, v31, v21
	v_fmac_f32_e32 v30, v32, v23
	v_fma_f32 v17, -v17, v29, v18
	v_fma_f32 v18, -v20, v30, v28
	v_div_fmas_f32 v36, v17, v21, v29
	s_mov_b64 vcc, s[6:7]
	v_div_fmas_f32 v37, v18, v23, v30
	v_add_co_u32_e32 v20, vcc, s26, v16
	v_addc_co_u32_e32 v21, vcc, 0, v15, vcc
	global_load_dwordx2 v[28:29], v[20:21], off
	s_waitcnt vmcnt(9)
	v_cvt_f32_f16_e32 v42, v22
	v_cvt_f32_f16_sdwa v44, v22 dst_sel:DWORD dst_unused:UNUSED_PAD src0_sel:WORD_1
	v_add_co_u32_e32 v18, vcc, s20, v11
	s_waitcnt vmcnt(3)
	v_div_scale_f32 v11, s[6:7], v26, v26, v42
	v_div_scale_f32 v20, s[8:9], v27, v27, v44
	v_rcp_f32_e32 v21, v11
	v_rcp_f32_e32 v22, v20
	v_cvt_f32_f16_e32 v41, v19
	v_cvt_f32_f16_sdwa v43, v19 dst_sel:DWORD dst_unused:UNUSED_PAD src0_sel:WORD_1
	v_fma_f32 v30, -v11, v21, 1.0
	v_fma_f32 v31, -v20, v22, 1.0
	v_div_scale_f32 v19, s[6:7], v42, v26, v42
	v_div_scale_f32 v23, s[8:9], v44, v27, v44
	v_fmac_f32_e32 v21, v30, v21
	v_fmac_f32_e32 v22, v31, v22
	v_mul_f32_e32 v30, v19, v21
	v_mul_f32_e32 v31, v23, v22
	v_fma_f32 v32, -v11, v30, v19
	v_fma_f32 v33, -v20, v31, v23
	v_fmac_f32_e32 v30, v32, v21
	v_fmac_f32_e32 v31, v33, v22
	v_fma_f32 v11, -v11, v30, v19
	v_fma_f32 v19, -v20, v31, v23
	v_mov_b32_e32 v17, s21
	v_addc_co_u32_e32 v17, vcc, 0, v17, vcc
	s_waitcnt vmcnt(0)
	v_div_scale_f32 v20, s[10:11], v29, v29, v43
	v_div_scale_f32 v32, s[10:11], v28, v28, v41
	v_rcp_f32_e32 v33, v20
	v_rcp_f32_e32 v45, v32
	v_div_scale_f32 v23, vcc, v43, v29, v43
	v_fma_f32 v47, -v20, v33, 1.0
	v_fma_f32 v48, -v32, v45, 1.0
	v_fmac_f32_e32 v33, v47, v33
	v_div_scale_f32 v46, s[10:11], v41, v28, v41
	v_fmac_f32_e32 v45, v48, v45
	v_mul_f32_e32 v47, v23, v33
	v_mul_f32_e32 v48, v46, v45
	v_fma_f32 v49, -v20, v47, v23
	v_fma_f32 v50, -v32, v48, v46
	v_fmac_f32_e32 v47, v49, v33
	v_fmac_f32_e32 v48, v50, v45
	v_fma_f32 v20, -v20, v47, v23
	v_fma_f32 v23, -v32, v48, v46
	v_div_fmas_f32 v46, v20, v33, v47
	s_mov_b64 vcc, s[10:11]
	v_div_fmas_f32 v45, v23, v45, v48
	s_mov_b64 vcc, s[6:7]
	;; [unrolled: 2-line block ×3, first 2 shown]
	v_div_fmas_f32 v48, v19, v22, v31
	v_add_co_u32_e32 v20, vcc, s26, v18
	v_addc_co_u32_e32 v21, vcc, 0, v17, vcc
	global_load_dword v11, v[20:21], off offset:2048
	v_add_co_u32_e32 v22, vcc, 0x3000, v16
	v_addc_co_u32_e32 v23, vcc, 0, v15, vcc
	global_load_dwordx2 v[30:31], v[22:23], off
	v_cvt_f32_f16_e32 v49, v24
	v_cvt_f32_f16_sdwa v50, v24 dst_sel:DWORD dst_unused:UNUSED_PAD src0_sel:WORD_1
	v_div_fixup_f32 v28, v45, v28, v41
	v_div_fixup_f32 v41, v47, v26, v42
	v_div_scale_f32 v19, s[6:7], v6, v6, v49
	v_div_scale_f32 v21, s[8:9], v7, v7, v50
	v_rcp_f32_e32 v22, v19
	v_rcp_f32_e32 v23, v21
	v_div_scale_f32 v20, s[6:7], v49, v6, v49
	v_fma_f32 v32, -v19, v22, 1.0
	v_fma_f32 v33, -v21, v23, 1.0
	v_fmac_f32_e32 v22, v32, v22
	v_div_scale_f32 v24, s[8:9], v50, v7, v50
	v_fmac_f32_e32 v23, v33, v23
	v_mul_f32_e32 v32, v20, v22
	v_mul_f32_e32 v33, v24, v23
	v_fma_f32 v51, -v19, v32, v20
	v_fma_f32 v52, -v21, v33, v24
	v_fmac_f32_e32 v32, v51, v22
	v_fmac_f32_e32 v33, v52, v23
	v_fma_f32 v19, -v19, v32, v20
	v_fma_f32 v20, -v21, v33, v24
	v_div_fixup_f32 v42, v48, v27, v44
	v_div_fixup_f32 v29, v46, v29, v43
	v_cvt_f32_f16_e32 v43, v38
	v_cvt_f32_f16_sdwa v38, v38 dst_sel:DWORD dst_unused:UNUSED_PAD src0_sel:WORD_1
	s_waitcnt vmcnt(1)
	v_cvt_f32_f16_e32 v51, v11
	v_cvt_f32_f16_sdwa v52, v11 dst_sel:DWORD dst_unused:UNUSED_PAD src0_sel:WORD_1
	s_waitcnt vmcnt(0)
	v_div_scale_f32 v11, s[10:11], v30, v30, v51
	v_div_scale_f32 v24, s[10:11], v31, v31, v52
	v_rcp_f32_e32 v53, v11
	v_rcp_f32_e32 v54, v24
	v_div_scale_f32 v21, vcc, v51, v30, v51
	v_fma_f32 v56, -v11, v53, 1.0
	v_fma_f32 v57, -v24, v54, 1.0
	v_fmac_f32_e32 v53, v56, v53
	v_div_scale_f32 v55, s[10:11], v52, v31, v52
	v_fmac_f32_e32 v54, v57, v54
	v_mul_f32_e32 v56, v21, v53
	v_mul_f32_e32 v57, v55, v54
	v_fma_f32 v58, -v11, v56, v21
	v_fma_f32 v59, -v24, v57, v55
	v_fmac_f32_e32 v56, v58, v53
	v_fmac_f32_e32 v57, v59, v54
	v_fma_f32 v11, -v11, v56, v21
	v_fma_f32 v21, -v24, v57, v55
	v_div_fmas_f32 v53, v11, v53, v56
	s_mov_b64 vcc, s[10:11]
	v_div_fmas_f32 v54, v21, v54, v57
	s_mov_b64 vcc, s[6:7]
	;; [unrolled: 2-line block ×3, first 2 shown]
	v_div_fmas_f32 v56, v20, v23, v33
	v_add_co_u32_e32 v20, vcc, s27, v18
	v_addc_co_u32_e32 v21, vcc, 0, v17, vcc
	global_load_dword v11, v[20:21], off offset:2048
	v_add_co_u32_e32 v22, vcc, 0x5000, v16
	v_addc_co_u32_e32 v23, vcc, 0, v15, vcc
	global_load_dwordx2 v[32:33], v[22:23], off
	v_cvt_f32_f16_e32 v57, v25
	v_cvt_f32_f16_sdwa v25, v25 dst_sel:DWORD dst_unused:UNUSED_PAD src0_sel:WORD_1
	v_div_fixup_f32 v24, v37, v3, v35
	s_movk_i32 s27, 0x3000
	v_div_scale_f32 v19, s[6:7], v4, v4, v57
	v_div_scale_f32 v22, s[8:9], v5, v5, v25
	v_rcp_f32_e32 v58, v19
	v_rcp_f32_e32 v59, v22
	v_div_scale_f32 v20, s[6:7], v57, v4, v57
	v_fma_f32 v21, -v19, v58, 1.0
	v_fma_f32 v23, -v22, v59, 1.0
	v_fmac_f32_e32 v58, v21, v58
	v_div_scale_f32 v60, s[8:9], v25, v5, v25
	v_fmac_f32_e32 v59, v23, v59
	v_mul_f32_e32 v61, v20, v58
	v_mul_f32_e32 v62, v60, v59
	v_div_fixup_f32 v23, v36, v2, v34
	v_fma_f32 v2, -v19, v61, v20
	v_fmac_f32_e32 v61, v2, v58
	v_fma_f32 v2, -v22, v62, v60
	v_fmac_f32_e32 v62, v2, v59
	v_div_fixup_f32 v44, v55, v6, v49
	v_div_fixup_f32 v46, v56, v7, v50
	;; [unrolled: 1-line block ×4, first 2 shown]
	s_waitcnt vmcnt(1)
	v_cvt_f32_f16_e32 v63, v11
	v_cvt_f32_f16_sdwa v64, v11 dst_sel:DWORD dst_unused:UNUSED_PAD src0_sel:WORD_1
	v_fma_f32 v11, -v19, v61, v20
	s_waitcnt vmcnt(0)
	v_div_scale_f32 v3, s[10:11], v32, v32, v63
	v_rcp_f32_e32 v21, v3
	v_fma_f32 v2, -v3, v21, 1.0
	v_fmac_f32_e32 v21, v2, v21
	v_div_scale_f32 v2, vcc, v63, v32, v63
	v_mul_f32_e32 v34, v2, v21
	v_fma_f32 v35, -v3, v34, v2
	v_fmac_f32_e32 v34, v35, v21
	v_fma_f32 v2, -v3, v34, v2
	v_div_fmas_f32 v65, v2, v21, v34
	v_div_scale_f32 v2, s[10:11], v33, v33, v64
	v_rcp_f32_e32 v3, v2
	s_add_u32 s10, s16, s22
	s_addc_u32 s11, s17, s23
	v_fma_f32 v19, -v2, v3, 1.0
	v_fmac_f32_e32 v3, v19, v3
	v_div_scale_f32 v19, vcc, v64, v33, v64
	v_mul_f32_e32 v20, v19, v3
	v_fma_f32 v21, -v2, v20, v19
	v_fmac_f32_e32 v20, v21, v3
	v_fma_f32 v2, -v2, v20, v19
	v_div_fmas_f32 v66, v2, v3, v20
	s_mov_b64 vcc, s[6:7]
	v_fma_f32 v2, -v22, v62, v60
	v_div_fmas_f32 v58, v11, v58, v61
	s_mov_b64 vcc, s[8:9]
	v_div_fmas_f32 v59, v2, v59, v62
	v_add_co_u32_e32 v2, vcc, s27, v18
	v_addc_co_u32_e32 v3, vcc, 0, v17, vcc
	global_load_dword v60, v[2:3], off offset:2048
	v_lshlrev_b32_e32 v21, 3, v10
	v_add_co_u32_e32 v10, vcc, 0x7000, v16
	v_addc_co_u32_e32 v11, vcc, 0, v15, vcc
	global_load_dwordx2 v[36:37], v[10:11], off
	global_load_dwordx2 v[34:35], v21, s[24:25]
	v_or_b32_e32 v61, 0x1c00, v0
	v_lshlrev_b32_e32 v22, 3, v8
	v_lshlrev_b32_e32 v20, 3, v9
	;; [unrolled: 1-line block ×3, first 2 shown]
	global_load_dwordx2 v[10:11], v22, s[24:25]
	global_load_dwordx2 v[8:9], v20, s[24:25]
	;; [unrolled: 1-line block ×3, first 2 shown]
	s_movk_i32 s8, 0x4000
	v_div_fixup_f32 v56, v58, v4, v57
	v_div_fixup_f32 v57, v59, v5, v25
	;; [unrolled: 1-line block ×3, first 2 shown]
	s_mov_b32 s25, 0x9000
	s_mov_b32 s24, 0xb000
	s_waitcnt vmcnt(5)
	v_cvt_f32_f16_e32 v45, v60
	v_cvt_f32_f16_sdwa v47, v60 dst_sel:DWORD dst_unused:UNUSED_PAD src0_sel:WORD_1
	s_waitcnt vmcnt(4)
	v_div_scale_f32 v6, s[6:7], v36, v36, v45
	v_rcp_f32_e32 v27, v6
	v_div_scale_f32 v7, s[6:7], v37, v37, v47
	v_rcp_f32_e32 v48, v7
	v_fma_f32 v50, -v6, v27, 1.0
	v_div_scale_f32 v49, vcc, v45, v36, v45
	v_fmac_f32_e32 v27, v50, v27
	v_fma_f32 v51, -v7, v48, 1.0
	v_mul_f32_e32 v50, v49, v27
	v_fmac_f32_e32 v48, v51, v48
	v_fma_f32 v51, -v6, v50, v49
	s_waitcnt vmcnt(3)
	v_div_scale_f32 v26, s[6:7], v34, v34, v43
	v_fmac_f32_e32 v50, v51, v27
	v_div_scale_f32 v51, s[6:7], v35, v35, v38
	v_fma_f32 v6, -v6, v50, v49
	v_div_scale_f32 v49, s[6:7], v47, v37, v47
	v_div_fmas_f32 v50, v6, v27, v50
	v_mul_f32_e32 v6, v49, v48
	v_fma_f32 v27, -v7, v6, v49
	v_fmac_f32_e32 v6, v27, v48
	v_rcp_f32_e32 v27, v26
	v_fma_f32 v7, -v7, v6, v49
	v_rcp_f32_e32 v49, v51
	s_mov_b64 vcc, s[6:7]
	v_div_fmas_f32 v48, v7, v48, v6
	v_fma_f32 v7, -v26, v27, 1.0
	v_div_scale_f32 v6, vcc, v43, v34, v43
	v_fmac_f32_e32 v27, v7, v27
	v_fma_f32 v7, -v51, v49, 1.0
	v_fmac_f32_e32 v49, v7, v49
	v_mul_f32_e32 v7, v6, v27
	v_fma_f32 v52, -v26, v7, v6
	v_fmac_f32_e32 v7, v52, v27
	v_div_scale_f32 v52, s[6:7], v38, v35, v38
	v_mul_f32_e32 v53, v52, v49
	v_fma_f32 v54, -v51, v53, v52
	v_fmac_f32_e32 v53, v54, v49
	v_fma_f32 v6, -v26, v7, v6
	v_fma_f32 v26, -v51, v53, v52
	v_div_fmas_f32 v51, v6, v27, v7
	s_mov_b64 vcc, s[6:7]
	v_div_fmas_f32 v49, v26, v49, v53
	v_add_co_u32_e32 v6, vcc, s8, v18
	v_addc_co_u32_e32 v7, vcc, 0, v17, vcc
	global_load_dword v52, v[6:7], off offset:2048
	v_add_co_u32_e32 v26, vcc, 0x9000, v16
	v_addc_co_u32_e32 v27, vcc, 0, v15, vcc
	global_load_dwordx2 v[6:7], v[26:27], off
	v_cvt_f32_f16_e32 v53, v39
	v_div_fixup_f32 v54, v65, v32, v63
	v_cvt_f32_f16_sdwa v39, v39 dst_sel:DWORD dst_unused:UNUSED_PAD src0_sel:WORD_1
	v_div_fixup_f32 v43, v51, v34, v43
	s_waitcnt vmcnt(4)
	v_div_scale_f32 v26, s[6:7], v10, v10, v53
	v_rcp_f32_e32 v27, v26
	v_div_fixup_f32 v47, v48, v37, v47
	v_div_fixup_f32 v48, v49, v35, v38
	v_div_fixup_f32 v45, v50, v36, v45
	v_fma_f32 v32, -v26, v27, 1.0
	v_fmac_f32_e32 v27, v32, v27
	s_waitcnt vmcnt(1)
	v_cvt_f32_f16_e32 v32, v52
	v_cvt_f32_f16_sdwa v25, v52 dst_sel:DWORD dst_unused:UNUSED_PAD src0_sel:WORD_1
	s_waitcnt vmcnt(0)
	v_div_scale_f32 v4, s[6:7], v6, v6, v32
	v_rcp_f32_e32 v5, v4
	v_div_scale_f32 v33, vcc, v32, v6, v32
	v_fma_f32 v52, -v4, v5, 1.0
	v_fmac_f32_e32 v5, v52, v5
	v_mul_f32_e32 v52, v33, v5
	v_fma_f32 v58, -v4, v52, v33
	v_fmac_f32_e32 v52, v58, v5
	v_div_scale_f32 v58, s[6:7], v7, v7, v25
	v_fma_f32 v4, -v4, v52, v33
	v_rcp_f32_e32 v33, v58
	v_div_fmas_f32 v52, v4, v5, v52
	v_div_scale_f32 v4, vcc, v25, v7, v25
	v_fma_f32 v5, -v58, v33, 1.0
	v_fmac_f32_e32 v33, v5, v33
	v_mul_f32_e32 v5, v4, v33
	v_fma_f32 v59, -v58, v5, v4
	v_fmac_f32_e32 v5, v59, v33
	v_fma_f32 v4, -v58, v5, v4
	v_div_scale_f32 v58, s[6:7], v53, v10, v53
	v_div_fmas_f32 v33, v4, v33, v5
	v_mul_f32_e32 v4, v58, v27
	v_fma_f32 v5, -v26, v4, v58
	v_fmac_f32_e32 v4, v5, v27
	v_div_scale_f32 v5, s[8:9], v11, v11, v39
	v_fma_f32 v26, -v26, v4, v58
	v_rcp_f32_e32 v58, v5
	s_mov_b64 vcc, s[6:7]
	v_div_fmas_f32 v59, v26, v27, v4
	v_div_scale_f32 v4, vcc, v39, v11, v39
	v_fma_f32 v26, -v5, v58, 1.0
	v_fmac_f32_e32 v58, v26, v58
	v_mul_f32_e32 v26, v4, v58
	v_fma_f32 v27, -v5, v26, v4
	v_fmac_f32_e32 v26, v27, v58
	v_fma_f32 v4, -v5, v26, v4
	v_div_fmas_f32 v58, v4, v58, v26
	v_add_co_u32_e32 v4, vcc, s28, v18
	v_addc_co_u32_e32 v5, vcc, 0, v17, vcc
	global_load_dword v26, v[4:5], off offset:2048
	v_add_co_u32_e32 v4, vcc, 0xb000, v16
	v_addc_co_u32_e32 v5, vcc, 0, v15, vcc
	global_load_dwordx2 v[4:5], v[4:5], off
	v_div_fixup_f32 v52, v52, v6, v32
	v_div_fixup_f32 v53, v59, v10, v53
	;; [unrolled: 1-line block ×3, first 2 shown]
	s_waitcnt vmcnt(1)
	v_cvt_f32_f16_e32 v34, v26
	v_cvt_f32_f16_sdwa v35, v26 dst_sel:DWORD dst_unused:UNUSED_PAD src0_sel:WORD_1
	s_waitcnt vmcnt(0)
	v_div_scale_f32 v26, s[6:7], v4, v4, v34
	v_rcp_f32_e32 v36, v26
	v_div_scale_f32 v27, s[6:7], v5, v5, v35
	v_rcp_f32_e32 v37, v27
	v_fma_f32 v49, -v26, v36, 1.0
	v_div_scale_f32 v38, vcc, v34, v4, v34
	v_fmac_f32_e32 v36, v49, v36
	v_fma_f32 v50, -v27, v37, 1.0
	v_mul_f32_e32 v49, v38, v36
	v_fmac_f32_e32 v37, v50, v37
	v_fma_f32 v50, -v26, v49, v38
	v_fmac_f32_e32 v49, v50, v36
	v_cvt_f32_f16_e32 v50, v40
	v_fma_f32 v26, -v26, v49, v38
	v_div_scale_f32 v38, s[6:7], v35, v5, v35
	v_div_fmas_f32 v36, v26, v36, v49
	v_mul_f32_e32 v26, v38, v37
	v_fma_f32 v49, -v27, v26, v38
	v_fmac_f32_e32 v26, v49, v37
	v_div_scale_f32 v49, s[8:9], v8, v8, v50
	v_fma_f32 v27, -v27, v26, v38
	v_rcp_f32_e32 v38, v49
	s_mov_b64 vcc, s[6:7]
	v_div_fmas_f32 v37, v27, v37, v26
	v_div_scale_f32 v26, vcc, v50, v8, v50
	v_fma_f32 v27, -v49, v38, 1.0
	v_fmac_f32_e32 v38, v27, v38
	v_cvt_f32_f16_sdwa v40, v40 dst_sel:DWORD dst_unused:UNUSED_PAD src0_sel:WORD_1
	v_mul_f32_e32 v27, v26, v38
	v_fma_f32 v51, -v49, v27, v26
	v_fmac_f32_e32 v27, v51, v38
	v_fma_f32 v26, -v49, v27, v26
	v_div_scale_f32 v49, s[6:7], v9, v9, v40
	v_div_fmas_f32 v38, v26, v38, v27
	v_rcp_f32_e32 v26, v49
	s_movk_i32 s6, 0x6000
	v_div_fixup_f32 v50, v38, v8, v50
	v_div_fixup_f32 v65, v37, v5, v35
	v_fma_f32 v27, -v49, v26, 1.0
	v_fmac_f32_e32 v26, v27, v26
	v_div_scale_f32 v27, vcc, v40, v9, v40
	v_mul_f32_e32 v51, v27, v26
	v_fma_f32 v60, -v49, v51, v27
	v_fmac_f32_e32 v51, v60, v26
	v_fma_f32 v27, -v49, v51, v27
	v_div_fmas_f32 v6, v27, v26, v51
	v_add_co_u32_e32 v26, vcc, s6, v18
	v_addc_co_u32_e32 v27, vcc, 0, v17, vcc
	global_load_dword v32, v[26:27], off offset:2048
	v_add_co_u32_e32 v26, vcc, 0xd000, v16
	v_lshlrev_b32_e32 v49, 2, v61
	v_addc_co_u32_e32 v27, vcc, 0, v15, vcc
	global_load_dword v49, v49, s[20:21]
	v_div_fixup_f32 v66, v6, v9, v40
	global_load_dwordx2 v[26:27], v[26:27], off
	v_div_fixup_f32 v51, v33, v7, v25
	v_mov_b32_e32 v7, s11
	v_add_co_u32_e32 v62, vcc, s10, v1
	v_addc_co_u32_e32 v63, vcc, 0, v7, vcc
	s_mov_b32 s21, 0x800000
	v_mov_b32_e32 v60, 0x800000
	s_mov_b32 s20, 0x3f7ffffe
	v_mov_b32_e32 v61, 0x3f7ffffe
	s_waitcnt vmcnt(2)
	v_cvt_f32_f16_e32 v8, v32
	v_cvt_f32_f16_sdwa v6, v32 dst_sel:DWORD dst_unused:UNUSED_PAD src0_sel:WORD_1
	s_waitcnt vmcnt(1)
	v_cvt_f32_f16_e32 v59, v49
	v_cvt_f32_f16_sdwa v64, v49 dst_sel:DWORD dst_unused:UNUSED_PAD src0_sel:WORD_1
	v_div_fixup_f32 v49, v36, v4, v34
	s_waitcnt vmcnt(0)
	v_div_scale_f32 v4, s[6:7], v26, v26, v8
	v_rcp_f32_e32 v9, v4
	v_div_scale_f32 v5, s[6:7], v27, v27, v6
	v_rcp_f32_e32 v11, v5
	v_fma_f32 v32, -v4, v9, 1.0
	v_div_scale_f32 v25, vcc, v8, v26, v8
	v_fmac_f32_e32 v9, v32, v9
	v_fma_f32 v33, -v5, v11, 1.0
	v_mul_f32_e32 v32, v25, v9
	v_fmac_f32_e32 v11, v33, v11
	v_fma_f32 v33, -v4, v32, v25
	v_div_scale_f32 v7, s[6:7], v2, v2, v59
	v_div_scale_f32 v10, s[6:7], v3, v3, v64
	v_fmac_f32_e32 v32, v33, v9
	v_fma_f32 v4, -v4, v32, v25
	v_div_scale_f32 v25, s[6:7], v6, v27, v6
	v_div_fmas_f32 v9, v4, v9, v32
	v_mul_f32_e32 v4, v25, v11
	v_rcp_f32_e32 v33, v7
	v_fma_f32 v32, -v5, v4, v25
	v_fmac_f32_e32 v4, v32, v11
	v_rcp_f32_e32 v32, v10
	v_fma_f32 v5, -v5, v4, v25
	s_mov_b64 vcc, s[6:7]
	v_div_fmas_f32 v11, v5, v11, v4
	v_add_co_u32_e32 v4, vcc, s26, v62
	v_fma_f32 v25, -v7, v33, 1.0
	v_addc_co_u32_e32 v5, vcc, 0, v63, vcc
	v_fmac_f32_e32 v33, v25, v33
	v_fma_f32 v25, -v10, v32, 1.0
	v_fmac_f32_e32 v32, v25, v32
	v_div_scale_f32 v25, vcc, v59, v2, v59
	v_div_fixup_f32 v67, v9, v26, v8
	v_mul_f32_e32 v8, v25, v33
	v_div_fixup_f32 v68, v11, v27, v6
	v_fma_f32 v6, -v7, v8, v25
	v_div_scale_f32 v26, s[6:7], v64, v3, v64
	v_fmac_f32_e32 v8, v6, v33
	v_mul_f32_e32 v11, v26, v32
	v_fma_f32 v9, -v7, v8, v25
	v_fma_f32 v6, -v10, v11, v26
	v_div_fmas_f32 v69, v9, v33, v8
	v_add_co_u32_e32 v8, vcc, s28, v62
	v_fmac_f32_e32 v11, v6, v32
	v_addc_co_u32_e32 v9, vcc, 0, v63, vcc
	v_fma_f32 v10, -v10, v11, v26
	s_mov_b64 vcc, s[6:7]
	v_div_fixup_f32 v2, v69, v2, v59
	s_nop 0
	v_div_fmas_f32 v70, v10, v32, v11
	v_add_co_u32_e32 v10, vcc, s29, v62
	v_addc_co_u32_e32 v11, vcc, 0, v63, vcc
	v_cmp_ngt_f32_e32 vcc, s21, v23
	v_cndmask_b32_e32 v23, v60, v23, vcc
	v_cmp_ngt_f32_e32 vcc, s21, v24
	v_cndmask_b32_e32 v25, v60, v24, vcc
	v_cmp_nlt_f32_e32 vcc, s20, v23
	v_cndmask_b32_e32 v24, v61, v23, vcc
	v_cmp_nlt_f32_e32 vcc, s20, v25
	v_cndmask_b32_e32 v25, v61, v25, vcc
	v_cmp_ngt_f32_e32 vcc, s21, v29
	v_cndmask_b32_e32 v23, v60, v29, vcc
	v_cmp_ngt_f32_e32 vcc, s21, v28
	v_cndmask_b32_e32 v26, v60, v28, vcc
	v_cmp_nlt_f32_e32 vcc, s20, v23
	v_cndmask_b32_e32 v27, v61, v23, vcc
	v_cmp_nlt_f32_e32 vcc, s20, v26
	v_cndmask_b32_e32 v26, v61, v26, vcc
	;; [unrolled: 8-line block ×7, first 2 shown]
	v_cmp_ngt_f32_e32 vcc, s21, v45
	v_cndmask_b32_e32 v23, v60, v45, vcc
	v_add_co_u32_e32 v38, vcc, s29, v18
	v_addc_co_u32_e32 v39, vcc, 0, v17, vcc
	global_load_dword v18, v[38:39], off offset:2048
	v_add_co_u32_e32 v16, vcc, 0xf000, v16
	v_addc_co_u32_e32 v17, vcc, 0, v15, vcc
	global_load_dwordx2 v[16:17], v[16:17], off
	v_cmp_ngt_f32_e32 vcc, s21, v47
	v_cndmask_b32_e32 v15, v60, v47, vcc
	v_cmp_nlt_f32_e32 vcc, s20, v23
	v_cndmask_b32_e32 v38, v61, v23, vcc
	v_cmp_nlt_f32_e32 vcc, s20, v15
	v_cndmask_b32_e32 v39, v61, v15, vcc
	v_cmp_ngt_f32_e32 vcc, s21, v43
	v_cndmask_b32_e32 v15, v60, v43, vcc
	v_cmp_ngt_f32_e32 vcc, s21, v48
	v_cndmask_b32_e32 v23, v60, v48, vcc
	v_cmp_nlt_f32_e32 vcc, s20, v15
	v_cndmask_b32_e32 v40, v61, v15, vcc
	v_cmp_nlt_f32_e32 vcc, s20, v23
	v_cndmask_b32_e32 v41, v61, v23, vcc
	v_cmp_ngt_f32_e32 vcc, s21, v52
	v_cndmask_b32_e32 v15, v60, v52, vcc
	;; [unrolled: 8-line block ×6, first 2 shown]
	v_cmp_ngt_f32_e32 vcc, s21, v68
	v_cndmask_b32_e32 v23, v60, v68, vcc
	v_cmp_nlt_f32_e32 vcc, s20, v15
	v_cndmask_b32_e32 v50, v61, v15, vcc
	v_cmp_nlt_f32_e32 vcc, s20, v23
	v_cndmask_b32_e32 v51, v61, v23, vcc
	v_div_fixup_f32 v3, v70, v3, v64
	v_cmp_ngt_f32_e32 vcc, s21, v2
	v_cndmask_b32_e32 v2, v60, v2, vcc
	v_cmp_ngt_f32_e32 vcc, s21, v3
	v_cndmask_b32_e32 v3, v60, v3, vcc
	v_cmp_nlt_f32_e32 vcc, s20, v2
	v_add_co_u32_e64 v6, s[8:9], s27, v62
	v_cndmask_b32_e32 v2, v61, v2, vcc
	v_cmp_nlt_f32_e32 vcc, s20, v3
	v_addc_co_u32_e64 v7, s[8:9], 0, v63, s[8:9]
	v_cndmask_b32_e32 v3, v61, v3, vcc
	global_store_dwordx2 v1, v[24:25], s[10:11]
	global_store_dwordx2 v[4:5], v[26:27], off
	global_store_dwordx2 v14, v[28:29], s[10:11]
	global_store_dwordx2 v[6:7], v[30:31], off
	;; [unrolled: 2-line block ×4, first 2 shown]
	global_store_dwordx2 v21, v[40:41], s[10:11]
	global_store_dwordx2 v22, v[44:45], s[10:11]
	;; [unrolled: 1-line block ×4, first 2 shown]
	s_waitcnt vmcnt(13)
	v_cvt_f32_f16_e32 v1, v18
	v_cvt_f32_f16_sdwa v3, v18 dst_sel:DWORD dst_unused:UNUSED_PAD src0_sel:WORD_1
	s_waitcnt vmcnt(12)
	v_div_scale_f32 v2, s[6:7], v16, v16, v1
	v_div_scale_f32 v5, s[6:7], v17, v17, v3
	v_rcp_f32_e32 v6, v2
	v_rcp_f32_e32 v7, v5
	v_div_scale_f32 v4, vcc, v1, v16, v1
	v_fma_f32 v9, -v2, v6, 1.0
	v_fma_f32 v10, -v5, v7, 1.0
	v_fmac_f32_e32 v6, v9, v6
	v_div_scale_f32 v8, s[6:7], v3, v17, v3
	v_fmac_f32_e32 v7, v10, v7
	v_mul_f32_e32 v9, v4, v6
	v_mul_f32_e32 v10, v8, v7
	v_fma_f32 v11, -v2, v9, v4
	v_fma_f32 v12, -v5, v10, v8
	v_fmac_f32_e32 v9, v11, v6
	v_fmac_f32_e32 v10, v12, v7
	v_fma_f32 v2, -v2, v9, v4
	v_fma_f32 v4, -v5, v10, v8
	v_div_fmas_f32 v2, v2, v6, v9
	s_mov_b64 vcc, s[6:7]
	v_div_fixup_f32 v1, v2, v16, v1
	v_div_fmas_f32 v4, v4, v7, v10
	v_add_co_u32_e32 v2, vcc, s25, v62
	v_div_fixup_f32 v5, v4, v17, v3
	v_cmp_ngt_f32_e64 s[6:7], s21, v1
	v_addc_co_u32_e32 v3, vcc, 0, v63, vcc
	v_cndmask_b32_e64 v1, v60, v1, s[6:7]
	v_add_co_u32_e32 v4, vcc, s24, v62
	v_cmp_ngt_f32_e64 s[6:7], s21, v5
	v_cndmask_b32_e64 v7, v60, v5, s[6:7]
	v_addc_co_u32_e32 v5, vcc, 0, v63, vcc
	global_store_dwordx2 v[2:3], v[42:43], off
	v_add_co_u32_e32 v2, vcc, 0xd000, v62
	v_cmp_nlt_f32_e64 s[6:7], s20, v1
	v_addc_co_u32_e32 v3, vcc, 0, v63, vcc
	v_cndmask_b32_e64 v6, v61, v1, s[6:7]
	v_cmp_nlt_f32_e64 s[6:7], s20, v7
	global_store_dwordx2 v[4:5], v[46:47], off
	v_add_co_u32_e32 v4, vcc, 0xf000, v62
	v_cndmask_b32_e64 v7, v61, v7, s[6:7]
	v_addc_co_u32_e32 v5, vcc, 0, v63, vcc
	global_store_dwordx2 v[2:3], v[50:51], off
	global_store_dwordx2 v[4:5], v[6:7], off
	s_cbranch_execnz .LBB29_2
.LBB29_4:
	s_load_dword s6, s[4:5], 0x24
	s_load_dwordx4 s[20:23], s[4:5], 0x28
	s_add_u32 s8, s4, 56
	s_addc_u32 s9, s5, 0
	v_mov_b32_e32 v31, v0
	s_waitcnt lgkmcnt(0)
	v_lshrrev_b16_e64 v8, 8, s6
	v_mov_b32_e32 v0, s16
	v_mov_b32_e32 v1, s17
	;; [unrolled: 1-line block ×12, first 2 shown]
	s_getpc_b64 s[4:5]
	s_add_u32 s4, s4, _ZN2at6native25elementwise_kernel_helperILb1EZZZNS0_23launch_dirichlet_kernelERNS_18TensorIteratorBaseEENKUlvE_clEvENKUlvE0_clEvEUlffE_NS0_6memory8policies11unroll_baseILi512ESt5arrayIPcLm3EE23TrivialOffsetCalculatorILi2EjESD_ILi1EjENS7_12LoadWithCastILi2EEENS7_13StoreWithCastILi1EEELi32ELi1EEEEEvT0_T1_@rel32@lo+4
	s_addc_u32 s5, s5, _ZN2at6native25elementwise_kernel_helperILb1EZZZNS0_23launch_dirichlet_kernelERNS_18TensorIteratorBaseEENKUlvE_clEvENKUlvE0_clEvEUlffE_NS0_6memory8policies11unroll_baseILi512ESt5arrayIPcLm3EE23TrivialOffsetCalculatorILi2EjESD_ILi1EjENS7_12LoadWithCastILi2EEENS7_13StoreWithCastILi1EEELi32ELi1EEEEEvT0_T1_@rel32@hi+12
	s_swappc_b64 s[30:31], s[4:5]
	s_endpgm
	.section	.rodata,"a",@progbits
	.p2align	6, 0x0
	.amdhsa_kernel _ZN2at6native39vectorized_templated_elementwise_kernelILi2EZZZNS0_23launch_dirichlet_kernelERNS_18TensorIteratorBaseEENKUlvE_clEvENKUlvE0_clEvEUlffE_St5arrayIPcLm3EE23TrivialOffsetCalculatorILi2EjESA_ILi1EjENS0_6memory12LoadWithCastILi2EEENSD_13StoreWithCastILi1EEEfJN3c104HalfEfEEEviT0_T1_T2_T3_T4_T5_
		.amdhsa_group_segment_fixed_size 0
		.amdhsa_private_segment_fixed_size 288
		.amdhsa_kernarg_size 312
		.amdhsa_user_sgpr_count 8
		.amdhsa_user_sgpr_private_segment_buffer 1
		.amdhsa_user_sgpr_dispatch_ptr 0
		.amdhsa_user_sgpr_queue_ptr 0
		.amdhsa_user_sgpr_kernarg_segment_ptr 1
		.amdhsa_user_sgpr_dispatch_id 0
		.amdhsa_user_sgpr_flat_scratch_init 1
		.amdhsa_user_sgpr_kernarg_preload_length 0
		.amdhsa_user_sgpr_kernarg_preload_offset 0
		.amdhsa_user_sgpr_private_segment_size 0
		.amdhsa_uses_dynamic_stack 0
		.amdhsa_system_sgpr_private_segment_wavefront_offset 1
		.amdhsa_system_sgpr_workgroup_id_x 1
		.amdhsa_system_sgpr_workgroup_id_y 0
		.amdhsa_system_sgpr_workgroup_id_z 0
		.amdhsa_system_sgpr_workgroup_info 0
		.amdhsa_system_vgpr_workitem_id 0
		.amdhsa_next_free_vgpr 118
		.amdhsa_next_free_sgpr 98
		.amdhsa_accum_offset 120
		.amdhsa_reserve_vcc 1
		.amdhsa_reserve_flat_scratch 1
		.amdhsa_float_round_mode_32 0
		.amdhsa_float_round_mode_16_64 0
		.amdhsa_float_denorm_mode_32 3
		.amdhsa_float_denorm_mode_16_64 3
		.amdhsa_dx10_clamp 1
		.amdhsa_ieee_mode 1
		.amdhsa_fp16_overflow 0
		.amdhsa_tg_split 0
		.amdhsa_exception_fp_ieee_invalid_op 0
		.amdhsa_exception_fp_denorm_src 0
		.amdhsa_exception_fp_ieee_div_zero 0
		.amdhsa_exception_fp_ieee_overflow 0
		.amdhsa_exception_fp_ieee_underflow 0
		.amdhsa_exception_fp_ieee_inexact 0
		.amdhsa_exception_int_div_zero 0
	.end_amdhsa_kernel
	.section	.text._ZN2at6native39vectorized_templated_elementwise_kernelILi2EZZZNS0_23launch_dirichlet_kernelERNS_18TensorIteratorBaseEENKUlvE_clEvENKUlvE0_clEvEUlffE_St5arrayIPcLm3EE23TrivialOffsetCalculatorILi2EjESA_ILi1EjENS0_6memory12LoadWithCastILi2EEENSD_13StoreWithCastILi1EEEfJN3c104HalfEfEEEviT0_T1_T2_T3_T4_T5_,"axG",@progbits,_ZN2at6native39vectorized_templated_elementwise_kernelILi2EZZZNS0_23launch_dirichlet_kernelERNS_18TensorIteratorBaseEENKUlvE_clEvENKUlvE0_clEvEUlffE_St5arrayIPcLm3EE23TrivialOffsetCalculatorILi2EjESA_ILi1EjENS0_6memory12LoadWithCastILi2EEENSD_13StoreWithCastILi1EEEfJN3c104HalfEfEEEviT0_T1_T2_T3_T4_T5_,comdat
.Lfunc_end29:
	.size	_ZN2at6native39vectorized_templated_elementwise_kernelILi2EZZZNS0_23launch_dirichlet_kernelERNS_18TensorIteratorBaseEENKUlvE_clEvENKUlvE0_clEvEUlffE_St5arrayIPcLm3EE23TrivialOffsetCalculatorILi2EjESA_ILi1EjENS0_6memory12LoadWithCastILi2EEENSD_13StoreWithCastILi1EEEfJN3c104HalfEfEEEviT0_T1_T2_T3_T4_T5_, .Lfunc_end29-_ZN2at6native39vectorized_templated_elementwise_kernelILi2EZZZNS0_23launch_dirichlet_kernelERNS_18TensorIteratorBaseEENKUlvE_clEvENKUlvE0_clEvEUlffE_St5arrayIPcLm3EE23TrivialOffsetCalculatorILi2EjESA_ILi1EjENS0_6memory12LoadWithCastILi2EEENSD_13StoreWithCastILi1EEEfJN3c104HalfEfEEEviT0_T1_T2_T3_T4_T5_
                                        ; -- End function
	.section	.AMDGPU.csdata,"",@progbits
; Kernel info:
; codeLenInByte = 4296
; NumSgprs: 104
; NumVgprs: 118
; NumAgprs: 0
; TotalNumVgprs: 118
; ScratchSize: 288
; MemoryBound: 0
; FloatMode: 240
; IeeeMode: 1
; LDSByteSize: 0 bytes/workgroup (compile time only)
; SGPRBlocks: 12
; VGPRBlocks: 14
; NumSGPRsForWavesPerEU: 104
; NumVGPRsForWavesPerEU: 118
; AccumOffset: 120
; Occupancy: 4
; WaveLimiterHint : 0
; COMPUTE_PGM_RSRC2:SCRATCH_EN: 1
; COMPUTE_PGM_RSRC2:USER_SGPR: 8
; COMPUTE_PGM_RSRC2:TRAP_HANDLER: 0
; COMPUTE_PGM_RSRC2:TGID_X_EN: 1
; COMPUTE_PGM_RSRC2:TGID_Y_EN: 0
; COMPUTE_PGM_RSRC2:TGID_Z_EN: 0
; COMPUTE_PGM_RSRC2:TIDIG_COMP_CNT: 0
; COMPUTE_PGM_RSRC3_GFX90A:ACCUM_OFFSET: 29
; COMPUTE_PGM_RSRC3_GFX90A:TG_SPLIT: 0
	.section	.text._ZN2at6native39vectorized_templated_elementwise_kernelILi8EZZZNS0_23launch_dirichlet_kernelERNS_18TensorIteratorBaseEENKUlvE_clEvENKUlvE0_clEvEUlffE_St5arrayIPcLm3EE23TrivialOffsetCalculatorILi2EjESA_ILi1EjENS0_6memory12LoadWithCastILi2EEENSD_13StoreWithCastILi1EEEN3c104HalfEJSJ_fEEEviT0_T1_T2_T3_T4_T5_,"axG",@progbits,_ZN2at6native39vectorized_templated_elementwise_kernelILi8EZZZNS0_23launch_dirichlet_kernelERNS_18TensorIteratorBaseEENKUlvE_clEvENKUlvE0_clEvEUlffE_St5arrayIPcLm3EE23TrivialOffsetCalculatorILi2EjESA_ILi1EjENS0_6memory12LoadWithCastILi2EEENSD_13StoreWithCastILi1EEEN3c104HalfEJSJ_fEEEviT0_T1_T2_T3_T4_T5_,comdat
	.globl	_ZN2at6native39vectorized_templated_elementwise_kernelILi8EZZZNS0_23launch_dirichlet_kernelERNS_18TensorIteratorBaseEENKUlvE_clEvENKUlvE0_clEvEUlffE_St5arrayIPcLm3EE23TrivialOffsetCalculatorILi2EjESA_ILi1EjENS0_6memory12LoadWithCastILi2EEENSD_13StoreWithCastILi1EEEN3c104HalfEJSJ_fEEEviT0_T1_T2_T3_T4_T5_ ; -- Begin function _ZN2at6native39vectorized_templated_elementwise_kernelILi8EZZZNS0_23launch_dirichlet_kernelERNS_18TensorIteratorBaseEENKUlvE_clEvENKUlvE0_clEvEUlffE_St5arrayIPcLm3EE23TrivialOffsetCalculatorILi2EjESA_ILi1EjENS0_6memory12LoadWithCastILi2EEENSD_13StoreWithCastILi1EEEN3c104HalfEJSJ_fEEEviT0_T1_T2_T3_T4_T5_
	.p2align	8
	.type	_ZN2at6native39vectorized_templated_elementwise_kernelILi8EZZZNS0_23launch_dirichlet_kernelERNS_18TensorIteratorBaseEENKUlvE_clEvENKUlvE0_clEvEUlffE_St5arrayIPcLm3EE23TrivialOffsetCalculatorILi2EjESA_ILi1EjENS0_6memory12LoadWithCastILi2EEENSD_13StoreWithCastILi1EEEN3c104HalfEJSJ_fEEEviT0_T1_T2_T3_T4_T5_,@function
_ZN2at6native39vectorized_templated_elementwise_kernelILi8EZZZNS0_23launch_dirichlet_kernelERNS_18TensorIteratorBaseEENKUlvE_clEvENKUlvE0_clEvEUlffE_St5arrayIPcLm3EE23TrivialOffsetCalculatorILi2EjESA_ILi1EjENS0_6memory12LoadWithCastILi2EEENSD_13StoreWithCastILi1EEEN3c104HalfEJSJ_fEEEviT0_T1_T2_T3_T4_T5_: ; @_ZN2at6native39vectorized_templated_elementwise_kernelILi8EZZZNS0_23launch_dirichlet_kernelERNS_18TensorIteratorBaseEENKUlvE_clEvENKUlvE0_clEvEUlffE_St5arrayIPcLm3EE23TrivialOffsetCalculatorILi2EjESA_ILi1EjENS0_6memory12LoadWithCastILi2EEENSD_13StoreWithCastILi1EEEN3c104HalfEJSJ_fEEEviT0_T1_T2_T3_T4_T5_
; %bb.0:
	s_add_u32 flat_scratch_lo, s6, s9
	s_addc_u32 flat_scratch_hi, s7, 0
	s_add_u32 s0, s0, s9
	s_load_dword s6, s[4:5], 0x38
	s_load_dwordx2 s[10:11], s[4:5], 0x18
	s_load_dword s7, s[4:5], 0x0
	s_load_dwordx4 s[16:19], s[4:5], 0x8
	s_addc_u32 s1, s1, 0
	s_mov_b32 s12, s8
	s_not_b32 s8, s8
	s_waitcnt lgkmcnt(0)
	s_add_i32 s6, s6, s8
	s_lshl_b32 s6, s6, 14
	s_sub_i32 s13, s7, s6
	s_cmpk_gt_i32 s13, 0x3fff
	s_mov_b64 s[8:9], -1
	s_mov_b32 s32, 0
	s_cbranch_scc1 .LBB30_3
; %bb.1:
	s_andn2_b64 vcc, exec, s[8:9]
	s_cbranch_vccz .LBB30_4
.LBB30_2:
	s_endpgm
.LBB30_3:
	s_ashr_i32 s7, s6, 31
	s_lshl_b64 s[8:9], s[6:7], 1
	s_add_u32 s20, s18, s8
	s_addc_u32 s21, s19, s9
	s_lshl_b64 s[6:7], s[6:7], 2
	v_or_b32_e32 v3, 0x400, v0
	s_add_u32 s6, s10, s6
	v_lshlrev_b32_e32 v2, 4, v0
	v_lshlrev_b32_e32 v1, 4, v3
	;; [unrolled: 1-line block ×3, first 2 shown]
	s_addc_u32 s7, s11, s7
	global_load_dwordx4 v[4:7], v2, s[20:21]
	global_load_dwordx4 v[8:11], v1, s[20:21]
	global_load_dwordx4 v[26:29], v14, s[6:7] offset:16
	global_load_dwordx4 v[30:33], v14, s[6:7]
	v_mov_b32_e32 v12, s21
	v_add_co_u32_e32 v15, vcc, s20, v2
	s_movk_i32 s14, 0x2000
	v_addc_co_u32_e32 v16, vcc, 0, v12, vcc
	v_add_co_u32_e32 v12, vcc, s14, v15
	s_movk_i32 s15, 0x6000
	v_addc_co_u32_e32 v13, vcc, 0, v16, vcc
	global_load_dwordx4 v[34:37], v[12:13], off
	v_add_co_u32_e32 v12, vcc, s15, v15
	v_addc_co_u32_e32 v13, vcc, 0, v16, vcc
	v_mov_b32_e32 v15, s7
	v_add_co_u32_e32 v17, vcc, s6, v14
	s_movk_i32 s20, 0x4000
	v_addc_co_u32_e32 v19, vcc, 0, v15, vcc
	global_load_dwordx4 v[46:49], v[12:13], off
	v_add_co_u32_e32 v12, vcc, s20, v17
	v_addc_co_u32_e32 v13, vcc, 0, v19, vcc
	v_lshlrev_b32_e32 v3, 5, v3
	global_load_dwordx4 v[50:53], v[12:13], off
	global_load_dwordx4 v[54:57], v[12:13], off offset:16
	global_load_dwordx4 v[58:61], v3, s[6:7]
	global_load_dwordx4 v[62:65], v3, s[6:7] offset:16
	s_mov_b32 s6, 0xc000
	v_add_co_u32_e32 v18, vcc, s6, v17
	v_addc_co_u32_e32 v19, vcc, 0, v19, vcc
	s_mov_b32 s15, 0x800000
	s_mov_b32 s20, 0x3f7ffffe
	s_waitcnt vmcnt(9)
	v_cvt_f32_f16_e32 v20, v4
	s_waitcnt vmcnt(7)
	v_cvt_f16_f32_e32 v69, v26
	s_waitcnt vmcnt(6)
	v_cvt_f16_f32_e32 v45, v30
	v_cvt_f16_f32_e32 v66, v31
	;; [unrolled: 1-line block ×7, first 2 shown]
	global_load_dwordx4 v[26:29], v[18:19], off
	global_load_dwordx4 v[30:33], v[18:19], off offset:16
	v_cvt_f32_f16_e32 v41, v7
	v_cvt_f32_f16_sdwa v42, v7 dst_sel:DWORD dst_unused:UNUSED_PAD src0_sel:WORD_1
	v_cvt_f32_f16_e32 v24, v8
	v_cvt_f32_f16_sdwa v21, v8 dst_sel:DWORD dst_unused:UNUSED_PAD src0_sel:WORD_1
	;; [unrolled: 2-line block ×4, first 2 shown]
	v_cvt_f32_f16_sdwa v22, v4 dst_sel:DWORD dst_unused:UNUSED_PAD src0_sel:WORD_1
	s_waitcnt vmcnt(7)
	v_cvt_f32_f16_e32 v75, v36
	v_cvt_f32_f16_sdwa v44, v36 dst_sel:DWORD dst_unused:UNUSED_PAD src0_sel:WORD_1
	v_cvt_f32_f16_e32 v73, v34
	v_cvt_f32_f16_e32 v43, v37
	v_cvt_f32_f16_sdwa v40, v37 dst_sel:DWORD dst_unused:UNUSED_PAD src0_sel:WORD_1
	s_waitcnt vmcnt(6)
	v_cvt_f32_f16_e32 v8, v47
	v_cvt_f32_f16_sdwa v7, v47 dst_sel:DWORD dst_unused:UNUSED_PAD src0_sel:WORD_1
	v_cvt_f32_f16_e32 v6, v48
	v_cvt_f32_f16_sdwa v5, v48 dst_sel:DWORD dst_unused:UNUSED_PAD src0_sel:WORD_1
	v_cvt_f32_f16_e32 v4, v49
	s_waitcnt vmcnt(5)
	v_cvt_f16_f32_e32 v47, v53
	s_waitcnt vmcnt(3)
	v_cvt_f16_f32_e32 v53, v59
	v_cvt_f16_f32_e32 v48, v54
	;; [unrolled: 1-line block ×3, first 2 shown]
	v_cvt_f32_f16_sdwa v3, v49 dst_sel:DWORD dst_unused:UNUSED_PAD src0_sel:WORD_1
	v_cvt_f16_f32_e32 v49, v55
	v_cvt_f16_f32_e32 v55, v61
	;; [unrolled: 1-line block ×4, first 2 shown]
	s_waitcnt vmcnt(2)
	v_cvt_f16_f32_e32 v56, v62
	v_cvt_f32_f16_e32 v62, v70
	v_cvt_f16_f32_e32 v17, v63
	v_cvt_f16_f32_e32 v37, v51
	v_cvt_f32_f16_sdwa v34, v34 dst_sel:DWORD dst_unused:UNUSED_PAD src0_sel:WORD_1
	v_cvt_f32_f16_e32 v16, v9
	v_cvt_f32_f16_sdwa v15, v9 dst_sel:DWORD dst_unused:UNUSED_PAD src0_sel:WORD_1
	v_cvt_f32_f16_e32 v37, v37
	v_cvt_f32_f16_e32 v14, v10
	v_cvt_f32_f16_sdwa v13, v10 dst_sel:DWORD dst_unused:UNUSED_PAD src0_sel:WORD_1
	v_cvt_f32_f16_e32 v10, v46
	v_cvt_f32_f16_sdwa v9, v46 dst_sel:DWORD dst_unused:UNUSED_PAD src0_sel:WORD_1
	v_cvt_f16_f32_e32 v46, v52
	v_cvt_f16_f32_e32 v51, v57
	;; [unrolled: 1-line block ×3, first 2 shown]
	v_cvt_f32_f16_e32 v74, v35
	v_cvt_f32_f16_sdwa v35, v35 dst_sel:DWORD dst_unused:UNUSED_PAD src0_sel:WORD_1
	v_cvt_f32_f16_e32 v47, v47
	v_cvt_f16_f32_e32 v52, v58
	v_cvt_f16_f32_e32 v58, v65
	v_cvt_f32_f16_e32 v48, v48
	v_cvt_f32_f16_e32 v49, v49
	;; [unrolled: 1-line block ×10, first 2 shown]
	v_cvt_f32_f16_sdwa v11, v11 dst_sel:DWORD dst_unused:UNUSED_PAD src0_sel:WORD_1
	s_waitcnt vmcnt(1)
	v_cvt_f16_f32_e32 v18, v26
	v_cvt_f16_f32_e32 v26, v28
	s_waitcnt vmcnt(0)
	v_cvt_f16_f32_e32 v28, v30
	v_cvt_f32_f16_e32 v30, v45
	v_cvt_f16_f32_e32 v19, v27
	v_cvt_f16_f32_e32 v27, v29
	;; [unrolled: 1-line block ×5, first 2 shown]
	v_div_scale_f32 v33, s[6:7], v30, v30, v20
	v_rcp_f32_e32 v45, v33
	v_fma_f32 v59, -v33, v45, 1.0
	v_fmac_f32_e32 v45, v59, v45
	v_div_scale_f32 v59, vcc, v20, v30, v20
	v_mul_f32_e32 v60, v59, v45
	v_fma_f32 v61, -v33, v60, v59
	v_fmac_f32_e32 v60, v61, v45
	v_fma_f32 v33, -v33, v60, v59
	v_div_fmas_f32 v33, v33, v45, v60
	v_cvt_f32_f16_e32 v45, v66
	v_div_fixup_f32 v33, v33, v30, v20
	v_cvt_f32_f16_e32 v66, v17
	v_cvt_f32_f16_e32 v17, v31
	v_div_scale_f32 v20, s[6:7], v45, v45, v22
	v_rcp_f32_e32 v30, v20
	v_fma_f32 v59, -v20, v30, 1.0
	v_fmac_f32_e32 v30, v59, v30
	v_div_scale_f32 v59, vcc, v22, v45, v22
	v_mul_f32_e32 v60, v59, v30
	v_fma_f32 v61, -v20, v60, v59
	v_fmac_f32_e32 v60, v61, v30
	v_fma_f32 v20, -v20, v60, v59
	v_div_fmas_f32 v20, v20, v30, v60
	v_cvt_f32_f16_e32 v30, v67
	v_div_fixup_f32 v59, v20, v45, v22
	v_div_scale_f32 v20, s[6:7], v30, v30, v23
	v_rcp_f32_e32 v22, v20
	v_fma_f32 v45, -v20, v22, 1.0
	v_fmac_f32_e32 v22, v45, v22
	v_div_scale_f32 v45, vcc, v23, v30, v23
	v_mul_f32_e32 v60, v45, v22
	v_fma_f32 v61, -v20, v60, v45
	v_fmac_f32_e32 v60, v61, v22
	v_fma_f32 v20, -v20, v60, v45
	v_cvt_f32_f16_e32 v45, v68
	v_div_fmas_f32 v20, v20, v22, v60
	v_div_fixup_f32 v61, v20, v30, v23
	v_div_scale_f32 v22, s[6:7], v45, v45, v25
	v_rcp_f32_e32 v60, v22
	v_fma_f32 v20, -v22, v60, 1.0
	v_fmac_f32_e32 v60, v20, v60
	v_div_scale_f32 v20, vcc, v25, v45, v25
	v_mul_f32_e32 v23, v20, v60
	v_fma_f32 v30, -v22, v23, v20
	v_fmac_f32_e32 v23, v30, v60
	v_fma_f32 v20, -v22, v23, v20
	v_cvt_f32_f16_e32 v22, v69
	v_div_fmas_f32 v20, v20, v60, v23
	v_div_fixup_f32 v60, v20, v45, v25
	v_div_scale_f32 v23, s[6:7], v22, v22, v38
	v_rcp_f32_e32 v30, v23
	v_fma_f32 v20, -v23, v30, 1.0
	v_fmac_f32_e32 v30, v20, v30
	v_div_scale_f32 v20, vcc, v38, v22, v38
	v_mul_f32_e32 v25, v20, v30
	v_fma_f32 v45, -v23, v25, v20
	v_fmac_f32_e32 v25, v45, v30
	v_fma_f32 v20, -v23, v25, v20
	v_div_scale_f32 v23, s[6:7], v62, v62, v39
	v_rcp_f32_e32 v45, v23
	v_div_fmas_f32 v20, v20, v30, v25
	v_div_fixup_f32 v38, v20, v22, v38
	v_cvt_f32_f16_e32 v30, v71
	v_fma_f32 v20, -v23, v45, 1.0
	v_fmac_f32_e32 v45, v20, v45
	v_div_scale_f32 v20, vcc, v39, v62, v39
	v_mul_f32_e32 v22, v20, v45
	v_fma_f32 v25, -v23, v22, v20
	v_fmac_f32_e32 v22, v25, v45
	v_fma_f32 v20, -v23, v22, v20
	v_div_scale_f32 v23, s[6:7], v30, v30, v41
	v_rcp_f32_e32 v25, v23
	v_div_fmas_f32 v20, v20, v45, v22
	v_div_fixup_f32 v62, v20, v62, v39
	v_cvt_f32_f16_e32 v45, v72
	;; [unrolled: 12-line block ×7, first 2 shown]
	v_fma_f32 v20, -v23, v37, 1.0
	v_fmac_f32_e32 v37, v20, v37
	v_div_scale_f32 v20, vcc, v35, v47, v35
	v_mul_f32_e32 v25, v20, v37
	v_fma_f32 v22, -v23, v25, v20
	v_fmac_f32_e32 v25, v22, v37
	v_fma_f32 v18, -v23, v25, v20
	v_div_scale_f32 v23, s[6:7], v48, v48, v75
	v_div_fmas_f32 v20, v18, v37, v25
	v_rcp_f32_e32 v25, v23
	v_div_fixup_f32 v47, v20, v47, v35
	v_div_scale_f32 v26, vcc, v75, v48, v75
	v_fma_f32 v20, -v23, v25, 1.0
	v_fmac_f32_e32 v25, v20, v25
	v_cvt_f32_f16_e32 v30, v27
	v_mul_f32_e32 v27, v26, v25
	v_div_scale_f32 v57, s[6:7], v49, v49, v44
	v_cvt_f32_f16_e32 v45, v58
	v_fma_f32 v20, -v23, v27, v26
	v_rcp_f32_e32 v58, v57
	v_fmac_f32_e32 v27, v20, v25
	v_fma_f32 v23, -v23, v27, v26
	v_div_fmas_f32 v23, v23, v25, v27
	v_mov_b32_e32 v20, 0x800000
	v_cmp_ngt_f32_e32 vcc, s15, v33
	v_div_fixup_f32 v48, v23, v48, v75
	v_fma_f32 v23, -v57, v58, 1.0
	v_cndmask_b32_e32 v26, v20, v33, vcc
	v_fmac_f32_e32 v58, v23, v58
	v_div_scale_f32 v67, vcc, v44, v49, v44
	v_mul_f32_e32 v68, v67, v58
	v_fma_f32 v23, -v57, v68, v67
	v_mov_b32_e32 v25, 0x3f7ffffe
	v_cmp_nlt_f32_e64 s[6:7], s20, v26
	v_fmac_f32_e32 v68, v23, v58
	v_cndmask_b32_e64 v23, v25, v26, s[6:7]
	v_cmp_ngt_f32_e64 s[6:7], s15, v59
	v_cndmask_b32_e64 v26, v20, v59, s[6:7]
	v_cmp_nlt_f32_e64 s[6:7], s20, v26
	v_cndmask_b32_e64 v26, v25, v26, s[6:7]
	v_cmp_ngt_f32_e64 s[6:7], s15, v61
	v_cndmask_b32_e64 v27, v20, v61, s[6:7]
	v_cmp_nlt_f32_e64 s[6:7], s20, v27
	v_cndmask_b32_e64 v27, v25, v27, s[6:7]
	v_cmp_ngt_f32_e64 s[6:7], s15, v60
	v_cvt_f32_f16_e32 v22, v28
	v_cndmask_b32_e64 v28, v20, v60, s[6:7]
	v_cmp_nlt_f32_e64 s[6:7], s20, v28
	v_cndmask_b32_e64 v28, v25, v28, s[6:7]
	v_cmp_ngt_f32_e64 s[6:7], s15, v38
	v_cvt_f32_f16_e32 v41, v19
	v_cvt_f32_f16_e32 v19, v29
	v_cndmask_b32_e64 v29, v20, v38, s[6:7]
	v_cmp_nlt_f32_e64 s[6:7], s20, v29
	v_cndmask_b32_e64 v31, v25, v29, s[6:7]
	v_cmp_ngt_f32_e64 s[6:7], s15, v62
	v_cndmask_b32_e64 v29, v20, v62, s[6:7]
	v_cmp_nlt_f32_e64 s[6:7], s20, v29
	v_cndmask_b32_e64 v33, v25, v29, s[6:7]
	v_cmp_ngt_f32_e64 s[6:7], s15, v63
	;; [unrolled: 4-line block ×5, first 2 shown]
	v_cvt_f32_f16_e32 v18, v32
	v_cndmask_b32_e64 v32, v20, v34, s[6:7]
	v_cmp_nlt_f32_e64 s[6:7], s20, v32
	v_cndmask_b32_e64 v32, v25, v32, s[6:7]
	v_cmp_ngt_f32_e64 s[6:7], s15, v65
	v_cndmask_b32_e64 v34, v20, v65, s[6:7]
	v_cmp_nlt_f32_e64 s[6:7], s20, v34
	v_cndmask_b32_e64 v34, v25, v34, s[6:7]
	v_cmp_ngt_f32_e64 s[6:7], s15, v47
	;; [unrolled: 4-line block ×3, first 2 shown]
	v_cndmask_b32_e64 v38, v20, v48, s[6:7]
	v_fma_f32 v47, -v57, v68, v67
	v_cmp_nlt_f32_e64 s[6:7], s20, v38
	v_div_fmas_f32 v47, v47, v58, v68
	v_cndmask_b32_e64 v38, v25, v38, s[6:7]
	v_div_fixup_f32 v44, v47, v49, v44
	v_div_scale_f32 v47, s[6:7], v50, v50, v43
	v_rcp_f32_e32 v48, v47
	v_cmp_ngt_f32_e32 vcc, s15, v44
	v_cndmask_b32_e32 v44, v20, v44, vcc
	v_cmp_nlt_f32_e32 vcc, s20, v44
	v_fma_f32 v49, -v47, v48, 1.0
	v_cndmask_b32_e32 v44, v25, v44, vcc
	v_fmac_f32_e32 v48, v49, v48
	v_div_scale_f32 v49, vcc, v43, v50, v43
	v_mul_f32_e32 v57, v49, v48
	v_fma_f32 v58, -v47, v57, v49
	v_fmac_f32_e32 v57, v58, v48
	v_fma_f32 v47, -v47, v57, v49
	v_div_fmas_f32 v47, v47, v48, v57
	v_div_fixup_f32 v43, v47, v50, v43
	v_div_scale_f32 v47, s[6:7], v51, v51, v40
	v_rcp_f32_e32 v48, v47
	v_cmp_ngt_f32_e32 vcc, s15, v43
	v_cndmask_b32_e32 v43, v20, v43, vcc
	v_cmp_nlt_f32_e32 vcc, s20, v43
	v_fma_f32 v49, -v47, v48, 1.0
	v_cndmask_b32_e32 v43, v25, v43, vcc
	v_fmac_f32_e32 v48, v49, v48
	v_div_scale_f32 v49, vcc, v40, v51, v40
	v_mul_f32_e32 v50, v49, v48
	v_fma_f32 v57, -v47, v50, v49
	v_fmac_f32_e32 v50, v57, v48
	v_fma_f32 v47, -v47, v50, v49
	v_div_fmas_f32 v47, v47, v48, v50
	;; [unrolled: 15-line block ×14, first 2 shown]
	v_div_fixup_f32 v7, v39, v30, v7
	v_div_scale_f32 v30, s[6:7], v22, v22, v6
	v_rcp_f32_e32 v39, v30
	v_cmp_ngt_f32_e32 vcc, s15, v7
	v_cndmask_b32_e32 v7, v20, v7, vcc
	v_cmp_nlt_f32_e32 vcc, s20, v7
	v_cndmask_b32_e32 v41, v25, v7, vcc
	v_fma_f32 v7, -v30, v39, 1.0
	v_fmac_f32_e32 v39, v7, v39
	v_div_scale_f32 v7, vcc, v6, v22, v6
	v_mul_f32_e32 v42, v7, v39
	v_fma_f32 v45, -v30, v42, v7
	v_fmac_f32_e32 v42, v45, v39
	v_fma_f32 v7, -v30, v42, v7
	v_div_fmas_f32 v7, v7, v39, v42
	v_div_fixup_f32 v6, v7, v22, v6
	v_div_scale_f32 v7, s[6:7], v19, v19, v5
	v_rcp_f32_e32 v22, v7
	v_cmp_ngt_f32_e32 vcc, s15, v6
	v_cndmask_b32_e32 v6, v20, v6, vcc
	v_cmp_nlt_f32_e32 vcc, s20, v6
	v_cndmask_b32_e32 v30, v25, v6, vcc
	v_fma_f32 v6, -v7, v22, 1.0
	v_fmac_f32_e32 v22, v6, v22
	v_div_scale_f32 v6, vcc, v5, v19, v5
	v_mul_f32_e32 v39, v6, v22
	v_fma_f32 v42, -v7, v39, v6
	v_fmac_f32_e32 v39, v42, v22
	v_fma_f32 v6, -v7, v39, v6
	v_div_fmas_f32 v6, v6, v22, v39
	;; [unrolled: 15-line block ×4, first 2 shown]
	v_div_fixup_f32 v3, v4, v18, v3
	v_cmp_ngt_f32_e32 vcc, s15, v3
	v_cndmask_b32_e32 v3, v20, v3, vcc
	v_cmp_nlt_f32_e32 vcc, s20, v3
	v_cndmask_b32_e32 v18, v25, v3, vcc
	v_cvt_f16_f32_e32 v3, v23
	v_cvt_f16_f32_e32 v4, v26
	;; [unrolled: 1-line block ×8, first 2 shown]
	s_add_u32 s6, s16, s8
	s_addc_u32 s7, s17, s9
	v_pack_b32_f16 v6, v6, v22
	v_pack_b32_f16 v7, v7, v23
	;; [unrolled: 1-line block ×4, first 2 shown]
	v_add_co_u32_e32 v26, vcc, s6, v2
	global_store_dwordx4 v2, v[4:7], s[6:7]
	v_cvt_f16_f32_e32 v2, v29
	v_cvt_f16_f32_e32 v4, v32
	;; [unrolled: 1-line block ×8, first 2 shown]
	v_mov_b32_e32 v25, s7
	v_addc_co_u32_e32 v25, vcc, 0, v25, vcc
	v_pack_b32_f16 v2, v2, v4
	v_pack_b32_f16 v4, v6, v22
	v_add_co_u32_e32 v6, vcc, s14, v26
	v_pack_b32_f16 v3, v3, v5
	v_pack_b32_f16 v5, v7, v20
	v_addc_co_u32_e32 v7, vcc, 0, v25, vcc
	global_store_dwordx4 v[6:7], v[2:5], off
	v_cvt_f16_f32_e32 v6, v11
	v_cvt_f16_f32_e32 v2, v24
	;; [unrolled: 1-line block ×8, first 2 shown]
	v_pack_b32_f16 v5, v5, v6
	v_pack_b32_f16 v4, v4, v7
	;; [unrolled: 1-line block ×4, first 2 shown]
	global_store_dwordx4 v1, v[2:5], s[6:7]
	v_cvt_f16_f32_e32 v6, v30
	v_cvt_f16_f32_e32 v3, v8
	;; [unrolled: 1-line block ×8, first 2 shown]
	v_pack_b32_f16 v3, v3, v4
	v_pack_b32_f16 v4, v6, v8
	v_add_co_u32_e32 v6, vcc, 0x6000, v26
	v_pack_b32_f16 v2, v1, v2
	v_pack_b32_f16 v5, v5, v7
	v_addc_co_u32_e32 v7, vcc, 0, v25, vcc
	global_store_dwordx4 v[6:7], v[2:5], off
	s_cbranch_execnz .LBB30_2
.LBB30_4:
	s_load_dword s6, s[4:5], 0x24
	s_load_dwordx4 s[20:23], s[4:5], 0x28
	s_add_u32 s8, s4, 56
	s_addc_u32 s9, s5, 0
	v_mov_b32_e32 v31, v0
	s_waitcnt lgkmcnt(0)
	v_lshrrev_b16_e64 v8, 8, s6
	v_mov_b32_e32 v0, s16
	v_mov_b32_e32 v1, s17
	;; [unrolled: 1-line block ×12, first 2 shown]
	s_getpc_b64 s[4:5]
	s_add_u32 s4, s4, _ZN2at6native25elementwise_kernel_helperILb1EZZZNS0_23launch_dirichlet_kernelERNS_18TensorIteratorBaseEENKUlvE_clEvENKUlvE0_clEvEUlffE_NS0_6memory8policies11unroll_baseILi512ESt5arrayIPcLm3EE23TrivialOffsetCalculatorILi2EjESD_ILi1EjENS7_12LoadWithCastILi2EEENS7_13StoreWithCastILi1EEELi32ELi1EEEEEvT0_T1_@rel32@lo+4
	s_addc_u32 s5, s5, _ZN2at6native25elementwise_kernel_helperILb1EZZZNS0_23launch_dirichlet_kernelERNS_18TensorIteratorBaseEENKUlvE_clEvENKUlvE0_clEvEUlffE_NS0_6memory8policies11unroll_baseILi512ESt5arrayIPcLm3EE23TrivialOffsetCalculatorILi2EjESD_ILi1EjENS7_12LoadWithCastILi2EEENS7_13StoreWithCastILi1EEELi32ELi1EEEEEvT0_T1_@rel32@hi+12
	s_swappc_b64 s[30:31], s[4:5]
	s_endpgm
	.section	.rodata,"a",@progbits
	.p2align	6, 0x0
	.amdhsa_kernel _ZN2at6native39vectorized_templated_elementwise_kernelILi8EZZZNS0_23launch_dirichlet_kernelERNS_18TensorIteratorBaseEENKUlvE_clEvENKUlvE0_clEvEUlffE_St5arrayIPcLm3EE23TrivialOffsetCalculatorILi2EjESA_ILi1EjENS0_6memory12LoadWithCastILi2EEENSD_13StoreWithCastILi1EEEN3c104HalfEJSJ_fEEEviT0_T1_T2_T3_T4_T5_
		.amdhsa_group_segment_fixed_size 0
		.amdhsa_private_segment_fixed_size 288
		.amdhsa_kernarg_size 312
		.amdhsa_user_sgpr_count 8
		.amdhsa_user_sgpr_private_segment_buffer 1
		.amdhsa_user_sgpr_dispatch_ptr 0
		.amdhsa_user_sgpr_queue_ptr 0
		.amdhsa_user_sgpr_kernarg_segment_ptr 1
		.amdhsa_user_sgpr_dispatch_id 0
		.amdhsa_user_sgpr_flat_scratch_init 1
		.amdhsa_user_sgpr_kernarg_preload_length 0
		.amdhsa_user_sgpr_kernarg_preload_offset 0
		.amdhsa_user_sgpr_private_segment_size 0
		.amdhsa_uses_dynamic_stack 0
		.amdhsa_system_sgpr_private_segment_wavefront_offset 1
		.amdhsa_system_sgpr_workgroup_id_x 1
		.amdhsa_system_sgpr_workgroup_id_y 0
		.amdhsa_system_sgpr_workgroup_id_z 0
		.amdhsa_system_sgpr_workgroup_info 0
		.amdhsa_system_vgpr_workitem_id 0
		.amdhsa_next_free_vgpr 118
		.amdhsa_next_free_sgpr 98
		.amdhsa_accum_offset 120
		.amdhsa_reserve_vcc 1
		.amdhsa_reserve_flat_scratch 1
		.amdhsa_float_round_mode_32 0
		.amdhsa_float_round_mode_16_64 0
		.amdhsa_float_denorm_mode_32 3
		.amdhsa_float_denorm_mode_16_64 3
		.amdhsa_dx10_clamp 1
		.amdhsa_ieee_mode 1
		.amdhsa_fp16_overflow 0
		.amdhsa_tg_split 0
		.amdhsa_exception_fp_ieee_invalid_op 0
		.amdhsa_exception_fp_denorm_src 0
		.amdhsa_exception_fp_ieee_div_zero 0
		.amdhsa_exception_fp_ieee_overflow 0
		.amdhsa_exception_fp_ieee_underflow 0
		.amdhsa_exception_fp_ieee_inexact 0
		.amdhsa_exception_int_div_zero 0
	.end_amdhsa_kernel
	.section	.text._ZN2at6native39vectorized_templated_elementwise_kernelILi8EZZZNS0_23launch_dirichlet_kernelERNS_18TensorIteratorBaseEENKUlvE_clEvENKUlvE0_clEvEUlffE_St5arrayIPcLm3EE23TrivialOffsetCalculatorILi2EjESA_ILi1EjENS0_6memory12LoadWithCastILi2EEENSD_13StoreWithCastILi1EEEN3c104HalfEJSJ_fEEEviT0_T1_T2_T3_T4_T5_,"axG",@progbits,_ZN2at6native39vectorized_templated_elementwise_kernelILi8EZZZNS0_23launch_dirichlet_kernelERNS_18TensorIteratorBaseEENKUlvE_clEvENKUlvE0_clEvEUlffE_St5arrayIPcLm3EE23TrivialOffsetCalculatorILi2EjESA_ILi1EjENS0_6memory12LoadWithCastILi2EEENSD_13StoreWithCastILi1EEEN3c104HalfEJSJ_fEEEviT0_T1_T2_T3_T4_T5_,comdat
.Lfunc_end30:
	.size	_ZN2at6native39vectorized_templated_elementwise_kernelILi8EZZZNS0_23launch_dirichlet_kernelERNS_18TensorIteratorBaseEENKUlvE_clEvENKUlvE0_clEvEUlffE_St5arrayIPcLm3EE23TrivialOffsetCalculatorILi2EjESA_ILi1EjENS0_6memory12LoadWithCastILi2EEENSD_13StoreWithCastILi1EEEN3c104HalfEJSJ_fEEEviT0_T1_T2_T3_T4_T5_, .Lfunc_end30-_ZN2at6native39vectorized_templated_elementwise_kernelILi8EZZZNS0_23launch_dirichlet_kernelERNS_18TensorIteratorBaseEENKUlvE_clEvENKUlvE0_clEvEUlffE_St5arrayIPcLm3EE23TrivialOffsetCalculatorILi2EjESA_ILi1EjENS0_6memory12LoadWithCastILi2EEENSD_13StoreWithCastILi1EEEN3c104HalfEJSJ_fEEEviT0_T1_T2_T3_T4_T5_
                                        ; -- End function
	.section	.AMDGPU.csdata,"",@progbits
; Kernel info:
; codeLenInByte = 4308
; NumSgprs: 104
; NumVgprs: 118
; NumAgprs: 0
; TotalNumVgprs: 118
; ScratchSize: 288
; MemoryBound: 0
; FloatMode: 240
; IeeeMode: 1
; LDSByteSize: 0 bytes/workgroup (compile time only)
; SGPRBlocks: 12
; VGPRBlocks: 14
; NumSGPRsForWavesPerEU: 104
; NumVGPRsForWavesPerEU: 118
; AccumOffset: 120
; Occupancy: 4
; WaveLimiterHint : 0
; COMPUTE_PGM_RSRC2:SCRATCH_EN: 1
; COMPUTE_PGM_RSRC2:USER_SGPR: 8
; COMPUTE_PGM_RSRC2:TRAP_HANDLER: 0
; COMPUTE_PGM_RSRC2:TGID_X_EN: 1
; COMPUTE_PGM_RSRC2:TGID_Y_EN: 0
; COMPUTE_PGM_RSRC2:TGID_Z_EN: 0
; COMPUTE_PGM_RSRC2:TIDIG_COMP_CNT: 0
; COMPUTE_PGM_RSRC3_GFX90A:ACCUM_OFFSET: 29
; COMPUTE_PGM_RSRC3_GFX90A:TG_SPLIT: 0
	.section	.text._ZN2at6native39vectorized_templated_elementwise_kernelILi4EZZZNS0_23launch_dirichlet_kernelERNS_18TensorIteratorBaseEENKUlvE_clEvENKUlvE0_clEvEUlffE_St5arrayIPcLm3EE23TrivialOffsetCalculatorILi2EjESA_ILi1EjENS0_6memory12LoadWithCastILi2EEENSD_13StoreWithCastILi1EEEN3c104HalfEJSJ_fEEEviT0_T1_T2_T3_T4_T5_,"axG",@progbits,_ZN2at6native39vectorized_templated_elementwise_kernelILi4EZZZNS0_23launch_dirichlet_kernelERNS_18TensorIteratorBaseEENKUlvE_clEvENKUlvE0_clEvEUlffE_St5arrayIPcLm3EE23TrivialOffsetCalculatorILi2EjESA_ILi1EjENS0_6memory12LoadWithCastILi2EEENSD_13StoreWithCastILi1EEEN3c104HalfEJSJ_fEEEviT0_T1_T2_T3_T4_T5_,comdat
	.globl	_ZN2at6native39vectorized_templated_elementwise_kernelILi4EZZZNS0_23launch_dirichlet_kernelERNS_18TensorIteratorBaseEENKUlvE_clEvENKUlvE0_clEvEUlffE_St5arrayIPcLm3EE23TrivialOffsetCalculatorILi2EjESA_ILi1EjENS0_6memory12LoadWithCastILi2EEENSD_13StoreWithCastILi1EEEN3c104HalfEJSJ_fEEEviT0_T1_T2_T3_T4_T5_ ; -- Begin function _ZN2at6native39vectorized_templated_elementwise_kernelILi4EZZZNS0_23launch_dirichlet_kernelERNS_18TensorIteratorBaseEENKUlvE_clEvENKUlvE0_clEvEUlffE_St5arrayIPcLm3EE23TrivialOffsetCalculatorILi2EjESA_ILi1EjENS0_6memory12LoadWithCastILi2EEENSD_13StoreWithCastILi1EEEN3c104HalfEJSJ_fEEEviT0_T1_T2_T3_T4_T5_
	.p2align	8
	.type	_ZN2at6native39vectorized_templated_elementwise_kernelILi4EZZZNS0_23launch_dirichlet_kernelERNS_18TensorIteratorBaseEENKUlvE_clEvENKUlvE0_clEvEUlffE_St5arrayIPcLm3EE23TrivialOffsetCalculatorILi2EjESA_ILi1EjENS0_6memory12LoadWithCastILi2EEENSD_13StoreWithCastILi1EEEN3c104HalfEJSJ_fEEEviT0_T1_T2_T3_T4_T5_,@function
_ZN2at6native39vectorized_templated_elementwise_kernelILi4EZZZNS0_23launch_dirichlet_kernelERNS_18TensorIteratorBaseEENKUlvE_clEvENKUlvE0_clEvEUlffE_St5arrayIPcLm3EE23TrivialOffsetCalculatorILi2EjESA_ILi1EjENS0_6memory12LoadWithCastILi2EEENSD_13StoreWithCastILi1EEEN3c104HalfEJSJ_fEEEviT0_T1_T2_T3_T4_T5_: ; @_ZN2at6native39vectorized_templated_elementwise_kernelILi4EZZZNS0_23launch_dirichlet_kernelERNS_18TensorIteratorBaseEENKUlvE_clEvENKUlvE0_clEvEUlffE_St5arrayIPcLm3EE23TrivialOffsetCalculatorILi2EjESA_ILi1EjENS0_6memory12LoadWithCastILi2EEENSD_13StoreWithCastILi1EEEN3c104HalfEJSJ_fEEEviT0_T1_T2_T3_T4_T5_
; %bb.0:
	s_add_u32 flat_scratch_lo, s6, s9
	s_addc_u32 flat_scratch_hi, s7, 0
	s_add_u32 s0, s0, s9
	s_load_dword s6, s[4:5], 0x38
	s_load_dwordx2 s[10:11], s[4:5], 0x18
	s_load_dword s7, s[4:5], 0x0
	s_load_dwordx4 s[16:19], s[4:5], 0x8
	s_addc_u32 s1, s1, 0
	s_mov_b32 s12, s8
	s_not_b32 s8, s8
	s_waitcnt lgkmcnt(0)
	s_add_i32 s6, s6, s8
	s_lshl_b32 s6, s6, 14
	s_sub_i32 s13, s7, s6
	s_cmpk_gt_i32 s13, 0x3fff
	s_mov_b64 s[8:9], -1
	s_mov_b32 s32, 0
	s_cbranch_scc1 .LBB31_3
; %bb.1:
	s_andn2_b64 vcc, exec, s[8:9]
	s_cbranch_vccz .LBB31_4
.LBB31_2:
	s_endpgm
.LBB31_3:
	s_ashr_i32 s7, s6, 31
	s_lshl_b64 s[8:9], s[6:7], 1
	s_add_u32 s14, s18, s8
	s_addc_u32 s15, s19, s9
	s_lshl_b64 s[6:7], s[6:7], 2
	s_add_u32 s6, s10, s6
	s_addc_u32 s7, s11, s7
	v_lshlrev_b32_e32 v12, 4, v0
	global_load_dwordx4 v[4:7], v12, s[6:7]
	v_lshlrev_b32_e32 v2, 3, v0
	v_mov_b32_e32 v1, s15
	v_add_co_u32_e32 v44, vcc, s14, v2
	v_addc_co_u32_e32 v45, vcc, 0, v1, vcc
	global_load_dwordx2 v[36:37], v2, s[14:15]
	s_movk_i32 s21, 0x1000
	v_add_co_u32_e32 v8, vcc, s21, v44
	v_addc_co_u32_e32 v9, vcc, 0, v45, vcc
	s_movk_i32 s20, 0x3000
	v_add_co_u32_e32 v10, vcc, s20, v44
	v_or_b32_e32 v3, 0x400, v0
	v_addc_co_u32_e32 v11, vcc, 0, v45, vcc
	v_lshlrev_b32_e32 v1, 3, v3
	global_load_dwordx2 v[38:39], v[8:9], off
	global_load_dwordx2 v[40:41], v1, s[14:15]
	global_load_dwordx2 v[42:43], v[10:11], off
	v_mov_b32_e32 v8, s7
	v_add_co_u32_e32 v32, vcc, s6, v12
	v_addc_co_u32_e32 v33, vcc, 0, v8, vcc
	s_movk_i32 s22, 0x2000
	v_add_co_u32_e32 v8, vcc, s22, v32
	v_addc_co_u32_e32 v9, vcc, 0, v33, vcc
	global_load_dwordx4 v[8:11], v[8:9], off
	v_lshlrev_b32_e32 v3, 4, v3
	global_load_dwordx4 v[12:15], v3, s[6:7]
	s_movk_i32 s22, 0x6000
	v_add_co_u32_e32 v16, vcc, s22, v32
	v_or_b32_e32 v46, 0x800, v0
	v_addc_co_u32_e32 v17, vcc, 0, v33, vcc
	s_mov_b32 s22, 0xa000
	v_or_b32_e32 v47, 0xc00, v0
	v_lshlrev_b32_e32 v3, 4, v46
	v_add_co_u32_e32 v24, vcc, s22, v32
	global_load_dwordx4 v[16:19], v[16:17], off
	v_addc_co_u32_e32 v25, vcc, 0, v33, vcc
	global_load_dwordx4 v[20:23], v3, s[6:7]
	v_lshlrev_b32_e32 v3, 4, v47
	global_load_dwordx4 v[24:27], v[24:25], off
	s_movk_i32 s22, 0x5000
	global_load_dwordx4 v[28:31], v3, s[6:7]
	v_lshlrev_b32_e32 v3, 3, v46
	s_mov_b32 s6, 0xe000
	v_add_co_u32_e32 v32, vcc, s6, v32
	v_addc_co_u32_e32 v33, vcc, 0, v33, vcc
	s_movk_i32 s23, 0x7000
	global_load_dwordx4 v[32:35], v[32:33], off
	s_waitcnt vmcnt(11)
	v_cvt_f16_f32_e32 v4, v4
	v_cvt_f16_f32_e32 v49, v6
	;; [unrolled: 1-line block ×4, first 2 shown]
	v_cvt_f32_f16_e32 v4, v4
	s_waitcnt vmcnt(10)
	v_cvt_f32_f16_e32 v46, v36
	v_cvt_f32_f16_sdwa v36, v36 dst_sel:DWORD dst_unused:UNUSED_PAD src0_sel:WORD_1
	v_cvt_f32_f16_e32 v5, v5
	v_cvt_f32_f16_e32 v48, v37
	v_div_scale_f32 v6, s[6:7], v4, v4, v46
	v_rcp_f32_e32 v7, v6
	v_cvt_f32_f16_sdwa v37, v37 dst_sel:DWORD dst_unused:UNUSED_PAD src0_sel:WORD_1
	s_waitcnt vmcnt(9)
	v_cvt_f32_f16_e32 v51, v38
	v_cvt_f32_f16_sdwa v38, v38 dst_sel:DWORD dst_unused:UNUSED_PAD src0_sel:WORD_1
	v_cvt_f32_f16_e32 v52, v39
	v_cvt_f32_f16_sdwa v39, v39 dst_sel:DWORD dst_unused:UNUSED_PAD src0_sel:WORD_1
	s_waitcnt vmcnt(8)
	v_cvt_f32_f16_e32 v53, v40
	v_cvt_f32_f16_sdwa v40, v40 dst_sel:DWORD dst_unused:UNUSED_PAD src0_sel:WORD_1
	v_cvt_f32_f16_e32 v54, v41
	;; [unrolled: 5-line block ×3, first 2 shown]
	v_cvt_f32_f16_sdwa v43, v43 dst_sel:DWORD dst_unused:UNUSED_PAD src0_sel:WORD_1
	s_waitcnt vmcnt(6)
	v_cvt_f16_f32_e32 v57, v8
	v_fma_f32 v8, -v6, v7, 1.0
	v_fmac_f32_e32 v7, v8, v7
	v_div_scale_f32 v8, vcc, v46, v4, v46
	v_cvt_f16_f32_e32 v58, v9
	v_mul_f32_e32 v9, v8, v7
	v_cvt_f16_f32_e32 v59, v10
	v_fma_f32 v10, -v6, v9, v8
	v_fmac_f32_e32 v9, v10, v7
	v_fma_f32 v6, -v6, v9, v8
	v_div_scale_f32 v8, s[6:7], v5, v5, v36
	v_rcp_f32_e32 v10, v8
	v_div_fmas_f32 v6, v6, v7, v9
	v_div_fixup_f32 v46, v6, v4, v46
	v_cvt_f16_f32_e32 v60, v11
	v_fma_f32 v4, -v8, v10, 1.0
	v_fmac_f32_e32 v10, v4, v10
	v_div_scale_f32 v4, vcc, v36, v5, v36
	v_cvt_f32_f16_e32 v11, v49
	v_mul_f32_e32 v9, v4, v10
	v_fma_f32 v6, -v8, v9, v4
	v_fmac_f32_e32 v9, v6, v10
	v_fma_f32 v4, -v8, v9, v4
	v_div_scale_f32 v8, s[6:7], v11, v11, v48
	v_div_fmas_f32 v4, v4, v10, v9
	v_rcp_f32_e32 v9, v8
	s_waitcnt vmcnt(5)
	v_cvt_f16_f32_e32 v61, v12
	v_cvt_f32_f16_e32 v12, v50
	v_div_fixup_f32 v36, v4, v5, v36
	v_fma_f32 v4, -v8, v9, 1.0
	v_fmac_f32_e32 v9, v4, v9
	v_div_scale_f32 v4, vcc, v48, v11, v48
	v_mul_f32_e32 v5, v4, v9
	v_fma_f32 v10, -v8, v5, v4
	v_fmac_f32_e32 v5, v10, v9
	v_div_scale_f32 v10, s[6:7], v12, v12, v37
	v_cvt_f16_f32_e32 v62, v13
	v_rcp_f32_e32 v13, v10
	v_fma_f32 v4, -v8, v5, v4
	v_div_fmas_f32 v4, v4, v9, v5
	v_div_fixup_f32 v48, v4, v11, v48
	v_fma_f32 v4, -v10, v13, 1.0
	v_fmac_f32_e32 v13, v4, v13
	v_div_scale_f32 v11, vcc, v37, v12, v37
	v_cvt_f16_f32_e32 v63, v14
	v_mul_f32_e32 v14, v11, v13
	v_fma_f32 v4, -v10, v14, v11
	v_fmac_f32_e32 v14, v4, v13
	v_add_co_u32_e64 v4, s[6:7], s22, v44
	v_addc_co_u32_e64 v5, s[6:7], 0, v45, s[6:7]
	global_load_dwordx2 v[6:7], v3, s[14:15]
	global_load_dwordx2 v[8:9], v[4:5], off
	v_cvt_f32_f16_e32 v5, v57
	v_fma_f32 v10, -v10, v14, v11
	v_div_fmas_f32 v13, v10, v13, v14
	v_cvt_f16_f32_e32 v64, v15
	v_div_scale_f32 v14, s[6:7], v5, v5, v51
	v_rcp_f32_e32 v15, v14
	v_add_co_u32_e32 v10, vcc, s23, v44
	v_addc_co_u32_e32 v11, vcc, 0, v45, vcc
	v_cvt_f32_f16_e32 v44, v58
	v_div_fixup_f32 v37, v13, v12, v37
	v_fma_f32 v12, -v14, v15, 1.0
	v_fmac_f32_e32 v15, v12, v15
	v_div_scale_f32 v12, vcc, v51, v5, v51
	v_mul_f32_e32 v13, v12, v15
	v_fma_f32 v45, -v14, v13, v12
	v_fmac_f32_e32 v13, v45, v15
	v_div_scale_f32 v45, s[6:7], v44, v44, v38
	v_lshlrev_b32_e32 v4, 3, v47
	v_rcp_f32_e32 v47, v45
	v_fma_f32 v12, -v14, v13, v12
	v_div_fmas_f32 v12, v12, v15, v13
	v_div_fixup_f32 v5, v12, v5, v51
	v_fma_f32 v12, -v45, v47, 1.0
	v_fmac_f32_e32 v47, v12, v47
	v_div_scale_f32 v49, vcc, v38, v44, v38
	v_mul_f32_e32 v50, v49, v47
	v_fma_f32 v12, -v45, v50, v49
	v_fmac_f32_e32 v50, v12, v47
	global_load_dwordx2 v[12:13], v4, s[14:15]
	global_load_dwordx2 v[14:15], v[10:11], off
	v_fma_f32 v10, -v45, v50, v49
	v_cvt_f32_f16_e32 v45, v59
	v_div_fmas_f32 v10, v10, v47, v50
	v_div_fixup_f32 v10, v10, v44, v38
	s_waitcnt vmcnt(8)
	v_cvt_f16_f32_e32 v16, v16
	v_div_scale_f32 v38, s[6:7], v45, v45, v52
	v_rcp_f32_e32 v44, v38
	v_cvt_f32_f16_e32 v16, v16
	v_cvt_f16_f32_e32 v17, v17
	v_cvt_f16_f32_e32 v18, v18
	v_fma_f32 v49, -v38, v44, 1.0
	v_fmac_f32_e32 v44, v49, v44
	v_div_scale_f32 v49, vcc, v52, v45, v52
	v_mul_f32_e32 v50, v49, v44
	v_fma_f32 v51, -v38, v50, v49
	v_fmac_f32_e32 v50, v51, v44
	v_fma_f32 v38, -v38, v50, v49
	v_cvt_f32_f16_e32 v49, v60
	v_div_fmas_f32 v38, v38, v44, v50
	v_div_fixup_f32 v38, v38, v45, v52
	v_cvt_f32_f16_e32 v17, v17
	v_div_scale_f32 v44, s[6:7], v49, v49, v39
	v_rcp_f32_e32 v50, v44
	v_cvt_f32_f16_e32 v18, v18
	v_cvt_f16_f32_e32 v19, v19
	s_mov_b32 s14, 0x800000
	v_fma_f32 v45, -v44, v50, 1.0
	v_fmac_f32_e32 v50, v45, v50
	v_div_scale_f32 v45, vcc, v39, v49, v39
	v_mul_f32_e32 v51, v45, v50
	v_fma_f32 v52, -v44, v51, v45
	v_fmac_f32_e32 v51, v52, v50
	v_cvt_f32_f16_e32 v52, v61
	v_fma_f32 v44, -v44, v51, v45
	v_div_fmas_f32 v44, v44, v50, v51
	v_div_fixup_f32 v39, v44, v49, v39
	v_div_scale_f32 v44, s[6:7], v52, v52, v53
	v_rcp_f32_e32 v49, v44
	v_cvt_f32_f16_e32 v19, v19
	s_mov_b32 s15, 0x3f7ffffe
	s_waitcnt vmcnt(7)
	v_cvt_f16_f32_e32 v20, v20
	v_fma_f32 v51, -v44, v49, 1.0
	v_fmac_f32_e32 v49, v51, v49
	v_div_scale_f32 v51, vcc, v53, v52, v53
	v_mul_f32_e32 v57, v51, v49
	v_fma_f32 v58, -v44, v57, v51
	v_fmac_f32_e32 v57, v58, v49
	v_fma_f32 v44, -v44, v57, v51
	v_cvt_f32_f16_e32 v51, v62
	v_div_fmas_f32 v44, v44, v49, v57
	v_div_fixup_f32 v44, v44, v52, v53
	s_waitcnt vmcnt(3)
	v_cvt_f32_f16_e32 v11, v6
	v_div_scale_f32 v49, s[6:7], v51, v51, v40
	v_rcp_f32_e32 v57, v49
	v_cvt_f32_f16_e32 v20, v20
	v_cvt_f16_f32_e32 v21, v21
	v_cvt_f32_f16_sdwa v6, v6 dst_sel:DWORD dst_unused:UNUSED_PAD src0_sel:WORD_1
	v_fma_f32 v52, -v49, v57, 1.0
	v_fmac_f32_e32 v57, v52, v57
	v_div_scale_f32 v52, vcc, v40, v51, v40
	v_mul_f32_e32 v53, v52, v57
	v_fma_f32 v58, -v49, v53, v52
	v_fmac_f32_e32 v53, v58, v57
	v_cvt_f32_f16_e32 v58, v63
	v_fma_f32 v49, -v49, v53, v52
	v_div_fmas_f32 v49, v49, v57, v53
	v_div_fixup_f32 v40, v49, v51, v40
	v_div_scale_f32 v49, s[6:7], v58, v58, v54
	v_rcp_f32_e32 v51, v49
	v_cvt_f32_f16_e32 v21, v21
	v_cvt_f16_f32_e32 v22, v22
	v_cvt_f32_f16_e32 v47, v7
	v_fma_f32 v57, -v49, v51, 1.0
	v_fmac_f32_e32 v51, v57, v51
	v_div_scale_f32 v57, vcc, v54, v58, v54
	v_mul_f32_e32 v59, v57, v51
	v_fma_f32 v60, -v49, v59, v57
	v_fmac_f32_e32 v59, v60, v51
	v_fma_f32 v49, -v49, v59, v57
	v_cvt_f32_f16_e32 v57, v64
	v_div_fmas_f32 v49, v49, v51, v59
	v_div_fixup_f32 v49, v49, v58, v54
	v_cvt_f32_f16_e32 v22, v22
	v_div_scale_f32 v51, s[6:7], v57, v57, v41
	v_rcp_f32_e32 v59, v51
	v_cvt_f16_f32_e32 v23, v23
	v_cvt_f32_f16_sdwa v7, v7 dst_sel:DWORD dst_unused:UNUSED_PAD src0_sel:WORD_1
	v_cvt_f16_f32_e32 v24, v24
	v_fma_f32 v54, -v51, v59, 1.0
	v_fmac_f32_e32 v59, v54, v59
	v_div_scale_f32 v54, vcc, v41, v57, v41
	v_mul_f32_e32 v58, v54, v59
	v_fma_f32 v60, -v51, v58, v54
	v_fmac_f32_e32 v58, v60, v59
	v_fma_f32 v51, -v51, v58, v54
	v_div_fmas_f32 v51, v51, v59, v58
	v_div_fixup_f32 v41, v51, v57, v41
	v_div_scale_f32 v51, s[6:7], v16, v16, v55
	v_rcp_f32_e32 v57, v51
	v_cvt_f32_f16_e32 v23, v23
	s_waitcnt vmcnt(2)
	v_cvt_f32_f16_e32 v45, v8
	v_cvt_f32_f16_e32 v24, v24
	v_fma_f32 v59, -v51, v57, 1.0
	v_fmac_f32_e32 v57, v59, v57
	v_div_scale_f32 v59, vcc, v55, v16, v55
	v_mul_f32_e32 v60, v59, v57
	v_fma_f32 v61, -v51, v60, v59
	v_fmac_f32_e32 v60, v61, v57
	v_fma_f32 v51, -v51, v60, v59
	v_div_fmas_f32 v51, v51, v57, v60
	v_div_scale_f32 v57, s[6:7], v17, v17, v42
	v_rcp_f32_e32 v59, v57
	v_div_fixup_f32 v16, v51, v16, v55
	v_cvt_f16_f32_e32 v25, v25
	v_cvt_f32_f16_sdwa v8, v8 dst_sel:DWORD dst_unused:UNUSED_PAD src0_sel:WORD_1
	v_fma_f32 v51, -v57, v59, 1.0
	v_fmac_f32_e32 v59, v51, v59
	v_div_scale_f32 v51, vcc, v42, v17, v42
	v_mul_f32_e32 v55, v51, v59
	v_fma_f32 v60, -v57, v55, v51
	v_fmac_f32_e32 v55, v60, v59
	v_fma_f32 v51, -v57, v55, v51
	v_div_fmas_f32 v51, v51, v59, v55
	v_div_scale_f32 v55, s[6:7], v18, v18, v56
	v_rcp_f32_e32 v57, v55
	v_div_fixup_f32 v17, v51, v17, v42
	v_cvt_f32_f16_e32 v25, v25
	v_cvt_f16_f32_e32 v26, v26
	v_fma_f32 v42, -v55, v57, 1.0
	v_fmac_f32_e32 v57, v42, v57
	v_div_scale_f32 v42, vcc, v56, v18, v56
	v_mul_f32_e32 v51, v42, v57
	v_fma_f32 v59, -v55, v51, v42
	v_fmac_f32_e32 v51, v59, v57
	v_fma_f32 v42, -v55, v51, v42
	v_div_fmas_f32 v42, v42, v57, v51
	v_div_scale_f32 v51, s[6:7], v19, v19, v43
	v_rcp_f32_e32 v55, v51
	v_mov_b32_e32 v59, 0x800000
	v_cmp_ngt_f32_e32 vcc, s14, v46
	v_div_fixup_f32 v18, v42, v18, v56
	v_fma_f32 v42, -v51, v55, 1.0
	v_cndmask_b32_e32 v46, v59, v46, vcc
	v_fmac_f32_e32 v55, v42, v55
	v_div_scale_f32 v42, vcc, v43, v19, v43
	v_mul_f32_e32 v56, v42, v55
	v_fma_f32 v57, -v51, v56, v42
	v_fmac_f32_e32 v56, v57, v55
	v_mov_b32_e32 v57, 0x3f7ffffe
	v_cmp_nlt_f32_e64 s[6:7], s15, v46
	v_cndmask_b32_e64 v46, v57, v46, s[6:7]
	v_cmp_ngt_f32_e64 s[6:7], s14, v36
	v_cndmask_b32_e64 v36, v59, v36, s[6:7]
	v_cmp_nlt_f32_e64 s[6:7], s15, v36
	v_cndmask_b32_e64 v36, v57, v36, s[6:7]
	v_cmp_ngt_f32_e64 s[6:7], s14, v48
	v_cndmask_b32_e64 v48, v59, v48, s[6:7]
	;; [unrolled: 4-line block ×14, first 2 shown]
	v_fma_f32 v42, -v51, v56, v42
	v_cmp_nlt_f32_e64 s[6:7], s15, v18
	v_div_fmas_f32 v42, v42, v55, v56
	v_cndmask_b32_e64 v18, v57, v18, s[6:7]
	v_div_fixup_f32 v19, v42, v19, v43
	v_div_scale_f32 v42, s[6:7], v20, v20, v11
	v_rcp_f32_e32 v43, v42
	v_cmp_ngt_f32_e32 vcc, s14, v19
	v_cndmask_b32_e32 v19, v59, v19, vcc
	v_cmp_nlt_f32_e32 vcc, s15, v19
	v_fma_f32 v51, -v42, v43, 1.0
	v_cndmask_b32_e32 v19, v57, v19, vcc
	v_fmac_f32_e32 v43, v51, v43
	v_div_scale_f32 v51, vcc, v11, v20, v11
	v_mul_f32_e32 v55, v51, v43
	v_fma_f32 v56, -v42, v55, v51
	v_fmac_f32_e32 v55, v56, v43
	v_fma_f32 v42, -v42, v55, v51
	v_div_fmas_f32 v42, v42, v43, v55
	v_div_fixup_f32 v11, v42, v20, v11
	v_div_scale_f32 v20, s[6:7], v21, v21, v6
	v_rcp_f32_e32 v42, v20
	v_cmp_ngt_f32_e32 vcc, s14, v11
	v_cndmask_b32_e32 v11, v59, v11, vcc
	v_cmp_nlt_f32_e32 vcc, s15, v11
	v_fma_f32 v43, -v20, v42, 1.0
	v_cndmask_b32_e32 v11, v57, v11, vcc
	v_fmac_f32_e32 v42, v43, v42
	v_div_scale_f32 v43, vcc, v6, v21, v6
	v_mul_f32_e32 v51, v43, v42
	v_fma_f32 v55, -v20, v51, v43
	v_fmac_f32_e32 v51, v55, v42
	v_fma_f32 v20, -v20, v51, v43
	v_div_fmas_f32 v20, v20, v42, v51
	v_div_fixup_f32 v6, v20, v21, v6
	v_div_scale_f32 v20, s[6:7], v22, v22, v47
	v_rcp_f32_e32 v21, v20
	v_cmp_ngt_f32_e32 vcc, s14, v6
	v_cndmask_b32_e32 v6, v59, v6, vcc
	v_cmp_nlt_f32_e32 vcc, s15, v6
	v_cndmask_b32_e32 v42, v57, v6, vcc
	v_fma_f32 v6, -v20, v21, 1.0
	v_fmac_f32_e32 v21, v6, v21
	v_div_scale_f32 v6, vcc, v47, v22, v47
	v_mul_f32_e32 v43, v6, v21
	v_fma_f32 v51, -v20, v43, v6
	v_fmac_f32_e32 v43, v51, v21
	v_fma_f32 v6, -v20, v43, v6
	v_div_fmas_f32 v6, v6, v21, v43
	v_div_scale_f32 v20, s[6:7], v23, v23, v7
	v_div_fixup_f32 v6, v6, v22, v47
	v_rcp_f32_e32 v21, v20
	v_cmp_ngt_f32_e32 vcc, s14, v6
	v_cndmask_b32_e32 v6, v59, v6, vcc
	v_cmp_nlt_f32_e32 vcc, s15, v6
	v_cndmask_b32_e32 v22, v57, v6, vcc
	v_fma_f32 v6, -v20, v21, 1.0
	v_fmac_f32_e32 v21, v6, v21
	v_div_scale_f32 v6, vcc, v7, v23, v7
	v_mul_f32_e32 v43, v6, v21
	v_fma_f32 v47, -v20, v43, v6
	v_fmac_f32_e32 v43, v47, v21
	v_fma_f32 v6, -v20, v43, v6
	v_div_fmas_f32 v6, v6, v21, v43
	v_div_fixup_f32 v6, v6, v23, v7
	v_div_scale_f32 v7, s[6:7], v24, v24, v45
	v_rcp_f32_e32 v20, v7
	v_cmp_ngt_f32_e32 vcc, s14, v6
	v_cndmask_b32_e32 v6, v59, v6, vcc
	v_cmp_nlt_f32_e32 vcc, s15, v6
	v_cndmask_b32_e32 v21, v57, v6, vcc
	v_fma_f32 v6, -v7, v20, 1.0
	v_fmac_f32_e32 v20, v6, v20
	v_div_scale_f32 v6, vcc, v45, v24, v45
	v_mul_f32_e32 v23, v6, v20
	v_fma_f32 v43, -v7, v23, v6
	v_fmac_f32_e32 v23, v43, v20
	v_fma_f32 v6, -v7, v23, v6
	v_div_fmas_f32 v6, v6, v20, v23
	v_div_scale_f32 v7, s[6:7], v25, v25, v8
	v_div_fixup_f32 v6, v6, v24, v45
	v_rcp_f32_e32 v20, v7
	v_cmp_ngt_f32_e32 vcc, s14, v6
	v_cndmask_b32_e32 v6, v59, v6, vcc
	v_cmp_nlt_f32_e32 vcc, s15, v6
	v_cndmask_b32_e32 v23, v57, v6, vcc
	v_fma_f32 v6, -v7, v20, 1.0
	v_fmac_f32_e32 v20, v6, v20
	v_div_scale_f32 v6, vcc, v8, v25, v8
	v_cvt_f32_f16_e32 v50, v9
	v_cvt_f32_f16_e32 v26, v26
	v_mul_f32_e32 v24, v6, v20
	v_fma_f32 v43, -v7, v24, v6
	v_fmac_f32_e32 v24, v43, v20
	v_fma_f32 v6, -v7, v24, v6
	v_div_fmas_f32 v6, v6, v20, v24
	v_div_scale_f32 v7, s[6:7], v26, v26, v50
	v_div_fixup_f32 v6, v6, v25, v8
	v_rcp_f32_e32 v8, v7
	v_cmp_ngt_f32_e32 vcc, s14, v6
	v_cvt_f16_f32_e32 v27, v27
	v_cndmask_b32_e32 v6, v59, v6, vcc
	v_cmp_nlt_f32_e32 vcc, s15, v6
	v_cndmask_b32_e32 v20, v57, v6, vcc
	v_fma_f32 v6, -v7, v8, 1.0
	v_fmac_f32_e32 v8, v6, v8
	v_div_scale_f32 v6, vcc, v50, v26, v50
	v_cvt_f32_f16_sdwa v9, v9 dst_sel:DWORD dst_unused:UNUSED_PAD src0_sel:WORD_1
	v_cvt_f32_f16_e32 v27, v27
	v_mul_f32_e32 v24, v6, v8
	v_fma_f32 v25, -v7, v24, v6
	v_fmac_f32_e32 v24, v25, v8
	v_fma_f32 v6, -v7, v24, v6
	v_div_fmas_f32 v6, v6, v8, v24
	v_div_scale_f32 v7, s[6:7], v27, v27, v9
	v_div_fixup_f32 v6, v6, v26, v50
	v_rcp_f32_e32 v8, v7
	v_cmp_ngt_f32_e32 vcc, s14, v6
	v_cvt_f16_f32_e32 v28, v28
	v_cndmask_b32_e32 v6, v59, v6, vcc
	v_cmp_nlt_f32_e32 vcc, s15, v6
	v_cndmask_b32_e32 v24, v57, v6, vcc
	v_fma_f32 v6, -v7, v8, 1.0
	v_fmac_f32_e32 v8, v6, v8
	v_div_scale_f32 v6, vcc, v9, v27, v9
	s_waitcnt vmcnt(1)
	v_cvt_f32_f16_e32 v52, v12
	v_cvt_f32_f16_e32 v28, v28
	v_mul_f32_e32 v25, v6, v8
	v_fma_f32 v26, -v7, v25, v6
	v_fmac_f32_e32 v25, v26, v8
	v_fma_f32 v6, -v7, v25, v6
	v_div_fmas_f32 v6, v6, v8, v25
	v_div_scale_f32 v7, s[6:7], v28, v28, v52
	v_div_fixup_f32 v6, v6, v27, v9
	v_rcp_f32_e32 v8, v7
	v_cmp_ngt_f32_e32 vcc, s14, v6
	v_cvt_f16_f32_e32 v29, v29
	v_cndmask_b32_e32 v6, v59, v6, vcc
	v_cmp_nlt_f32_e32 vcc, s15, v6
	v_cndmask_b32_e32 v25, v57, v6, vcc
	v_fma_f32 v6, -v7, v8, 1.0
	v_fmac_f32_e32 v8, v6, v8
	v_div_scale_f32 v6, vcc, v52, v28, v52
	v_cvt_f32_f16_sdwa v12, v12 dst_sel:DWORD dst_unused:UNUSED_PAD src0_sel:WORD_1
	v_cvt_f32_f16_e32 v29, v29
	v_mul_f32_e32 v9, v6, v8
	v_fma_f32 v26, -v7, v9, v6
	v_fmac_f32_e32 v9, v26, v8
	v_fma_f32 v6, -v7, v9, v6
	v_div_fmas_f32 v6, v6, v8, v9
	v_div_scale_f32 v7, s[6:7], v29, v29, v12
	v_div_fixup_f32 v6, v6, v28, v52
	v_rcp_f32_e32 v8, v7
	v_cmp_ngt_f32_e32 vcc, s14, v6
	v_cvt_f16_f32_e32 v30, v30
	v_cndmask_b32_e32 v6, v59, v6, vcc
	v_cmp_nlt_f32_e32 vcc, s15, v6
	v_cndmask_b32_e32 v26, v57, v6, vcc
	v_fma_f32 v6, -v7, v8, 1.0
	v_fmac_f32_e32 v8, v6, v8
	v_div_scale_f32 v6, vcc, v12, v29, v12
	v_cvt_f32_f16_e32 v53, v13
	v_cvt_f32_f16_e32 v30, v30
	v_mul_f32_e32 v9, v6, v8
	v_fma_f32 v27, -v7, v9, v6
	v_fmac_f32_e32 v9, v27, v8
	v_fma_f32 v6, -v7, v9, v6
	v_div_fmas_f32 v6, v6, v8, v9
	v_div_scale_f32 v7, s[6:7], v30, v30, v53
	v_div_fixup_f32 v6, v6, v29, v12
	v_rcp_f32_e32 v8, v7
	v_cmp_ngt_f32_e32 vcc, s14, v6
	v_cvt_f16_f32_e32 v31, v31
	v_cndmask_b32_e32 v6, v59, v6, vcc
	v_cmp_nlt_f32_e32 vcc, s15, v6
	v_cndmask_b32_e32 v12, v57, v6, vcc
	v_fma_f32 v6, -v7, v8, 1.0
	v_fmac_f32_e32 v8, v6, v8
	v_div_scale_f32 v6, vcc, v53, v30, v53
	v_cvt_f32_f16_sdwa v13, v13 dst_sel:DWORD dst_unused:UNUSED_PAD src0_sel:WORD_1
	v_cvt_f32_f16_e32 v31, v31
	v_mul_f32_e32 v9, v6, v8
	v_fma_f32 v27, -v7, v9, v6
	v_fmac_f32_e32 v9, v27, v8
	v_fma_f32 v6, -v7, v9, v6
	v_div_fmas_f32 v6, v6, v8, v9
	v_div_scale_f32 v7, s[6:7], v31, v31, v13
	v_div_fixup_f32 v6, v6, v30, v53
	v_rcp_f32_e32 v8, v7
	v_cmp_ngt_f32_e32 vcc, s14, v6
	v_cvt_f16_f32_e32 v32, v32
	v_cndmask_b32_e32 v6, v59, v6, vcc
	v_cmp_nlt_f32_e32 vcc, s15, v6
	v_cndmask_b32_e32 v27, v57, v6, vcc
	v_fma_f32 v6, -v7, v8, 1.0
	v_fmac_f32_e32 v8, v6, v8
	v_div_scale_f32 v6, vcc, v13, v31, v13
	s_waitcnt vmcnt(0)
	v_cvt_f32_f16_e32 v54, v14
	v_cvt_f32_f16_e32 v32, v32
	v_mul_f32_e32 v9, v6, v8
	v_fma_f32 v28, -v7, v9, v6
	v_fmac_f32_e32 v9, v28, v8
	v_fma_f32 v6, -v7, v9, v6
	v_div_fmas_f32 v6, v6, v8, v9
	v_div_scale_f32 v7, s[6:7], v32, v32, v54
	v_div_fixup_f32 v6, v6, v31, v13
	v_rcp_f32_e32 v8, v7
	v_cmp_ngt_f32_e32 vcc, s14, v6
	v_cvt_f16_f32_e32 v33, v33
	v_cndmask_b32_e32 v6, v59, v6, vcc
	v_cmp_nlt_f32_e32 vcc, s15, v6
	v_cndmask_b32_e32 v13, v57, v6, vcc
	v_fma_f32 v6, -v7, v8, 1.0
	v_fmac_f32_e32 v8, v6, v8
	v_div_scale_f32 v6, vcc, v54, v32, v54
	v_cvt_f32_f16_sdwa v14, v14 dst_sel:DWORD dst_unused:UNUSED_PAD src0_sel:WORD_1
	v_cvt_f32_f16_e32 v33, v33
	v_mul_f32_e32 v9, v6, v8
	v_fma_f32 v28, -v7, v9, v6
	v_fmac_f32_e32 v9, v28, v8
	v_fma_f32 v6, -v7, v9, v6
	v_div_fmas_f32 v6, v6, v8, v9
	v_div_scale_f32 v7, s[6:7], v33, v33, v14
	v_div_fixup_f32 v6, v6, v32, v54
	v_rcp_f32_e32 v8, v7
	v_cmp_ngt_f32_e32 vcc, s14, v6
	v_cvt_f16_f32_e32 v34, v34
	v_cndmask_b32_e32 v6, v59, v6, vcc
	v_cmp_nlt_f32_e32 vcc, s15, v6
	v_cndmask_b32_e32 v28, v57, v6, vcc
	v_fma_f32 v6, -v7, v8, 1.0
	v_fmac_f32_e32 v8, v6, v8
	v_div_scale_f32 v6, vcc, v14, v33, v14
	v_cvt_f32_f16_e32 v58, v15
	v_cvt_f32_f16_e32 v34, v34
	v_mul_f32_e32 v9, v6, v8
	v_fma_f32 v29, -v7, v9, v6
	v_fmac_f32_e32 v9, v29, v8
	v_fma_f32 v6, -v7, v9, v6
	v_div_fmas_f32 v6, v6, v8, v9
	v_div_scale_f32 v7, s[6:7], v34, v34, v58
	v_div_fixup_f32 v6, v6, v33, v14
	v_rcp_f32_e32 v8, v7
	v_cmp_ngt_f32_e32 vcc, s14, v6
	v_cvt_f16_f32_e32 v35, v35
	v_cndmask_b32_e32 v6, v59, v6, vcc
	v_cmp_nlt_f32_e32 vcc, s15, v6
	v_cndmask_b32_e32 v14, v57, v6, vcc
	v_fma_f32 v6, -v7, v8, 1.0
	v_fmac_f32_e32 v8, v6, v8
	v_div_scale_f32 v6, vcc, v58, v34, v58
	v_cvt_f32_f16_sdwa v15, v15 dst_sel:DWORD dst_unused:UNUSED_PAD src0_sel:WORD_1
	v_cvt_f32_f16_e32 v35, v35
	v_mul_f32_e32 v9, v6, v8
	v_fma_f32 v29, -v7, v9, v6
	v_fmac_f32_e32 v9, v29, v8
	v_fma_f32 v6, -v7, v9, v6
	v_div_fmas_f32 v6, v6, v8, v9
	v_div_scale_f32 v7, s[6:7], v35, v35, v15
	v_div_fixup_f32 v6, v6, v34, v58
	v_rcp_f32_e32 v8, v7
	v_cmp_ngt_f32_e32 vcc, s14, v6
	v_cndmask_b32_e32 v6, v59, v6, vcc
	v_cmp_nlt_f32_e32 vcc, s15, v6
	v_cndmask_b32_e32 v29, v57, v6, vcc
	v_fma_f32 v6, -v7, v8, 1.0
	v_fmac_f32_e32 v8, v6, v8
	v_div_scale_f32 v6, vcc, v15, v35, v15
	v_mul_f32_e32 v9, v6, v8
	v_fma_f32 v30, -v7, v9, v6
	v_fmac_f32_e32 v9, v30, v8
	v_fma_f32 v6, -v7, v9, v6
	v_div_fmas_f32 v6, v6, v8, v9
	v_div_fixup_f32 v6, v6, v35, v15
	v_cmp_ngt_f32_e32 vcc, s14, v6
	v_cndmask_b32_e32 v6, v59, v6, vcc
	v_cmp_nlt_f32_e32 vcc, s15, v6
	v_cvt_f16_f32_e32 v7, v48
	v_cvt_f16_f32_e32 v9, v37
	v_cndmask_b32_e32 v15, v57, v6, vcc
	v_cvt_f16_f32_e32 v6, v46
	v_cvt_f16_f32_e32 v8, v36
	;; [unrolled: 1-line block ×4, first 2 shown]
	s_add_u32 s6, s16, s8
	s_addc_u32 s7, s17, s9
	v_pack_b32_f16 v7, v7, v9
	v_cvt_f16_f32_e32 v9, v38
	v_cvt_f16_f32_e32 v32, v39
	v_mov_b32_e32 v30, s7
	v_add_co_u32_e32 v31, vcc, s6, v2
	v_pack_b32_f16 v6, v6, v8
	v_addc_co_u32_e32 v30, vcc, 0, v30, vcc
	global_store_dwordx2 v2, v[6:7], s[6:7]
	v_pack_b32_f16 v6, v5, v10
	v_cvt_f16_f32_e32 v2, v49
	v_cvt_f16_f32_e32 v5, v41
	v_add_co_u32_e32 v8, vcc, s21, v31
	v_pack_b32_f16 v7, v9, v32
	v_addc_co_u32_e32 v9, vcc, 0, v30, vcc
	global_store_dwordx2 v[8:9], v[6:7], off
	v_cvt_f16_f32_e32 v6, v44
	v_cvt_f16_f32_e32 v8, v40
	v_pack_b32_f16 v7, v2, v5
	v_cvt_f16_f32_e32 v2, v16
	v_cvt_f16_f32_e32 v10, v17
	;; [unrolled: 1-line block ×4, first 2 shown]
	v_pack_b32_f16 v6, v6, v8
	global_store_dwordx2 v1, v[6:7], s[6:7]
	v_pack_b32_f16 v6, v2, v10
	v_cvt_f16_f32_e32 v1, v22
	v_cvt_f16_f32_e32 v2, v21
	v_add_co_u32_e32 v8, vcc, s20, v31
	v_pack_b32_f16 v7, v5, v9
	v_addc_co_u32_e32 v9, vcc, 0, v30, vcc
	global_store_dwordx2 v[8:9], v[6:7], off
	v_cvt_f16_f32_e32 v5, v11
	v_cvt_f16_f32_e32 v6, v42
	v_pack_b32_f16 v7, v1, v2
	v_cvt_f16_f32_e32 v1, v23
	v_cvt_f16_f32_e32 v2, v24
	v_cvt_f16_f32_e32 v8, v25
	v_cvt_f16_f32_e32 v9, v20
	v_pack_b32_f16 v6, v5, v6
	global_store_dwordx2 v3, v[6:7], s[6:7]
	v_pack_b32_f16 v3, v2, v8
	v_pack_b32_f16 v2, v1, v9
	v_add_co_u32_e32 v6, vcc, s22, v31
	v_cvt_f16_f32_e32 v1, v27
	v_cvt_f16_f32_e32 v5, v13
	v_addc_co_u32_e32 v7, vcc, 0, v30, vcc
	global_store_dwordx2 v[6:7], v[2:3], off
	v_cvt_f16_f32_e32 v2, v26
	v_cvt_f16_f32_e32 v6, v12
	v_pack_b32_f16 v3, v1, v5
	v_cvt_f16_f32_e32 v1, v28
	v_cvt_f16_f32_e32 v5, v29
	;; [unrolled: 1-line block ×4, first 2 shown]
	v_pack_b32_f16 v2, v2, v6
	global_store_dwordx2 v4, v[2:3], s[6:7]
	v_add_co_u32_e32 v4, vcc, 0x7000, v31
	v_pack_b32_f16 v3, v5, v7
	v_pack_b32_f16 v2, v1, v8
	v_addc_co_u32_e32 v5, vcc, 0, v30, vcc
	global_store_dwordx2 v[4:5], v[2:3], off
	s_cbranch_execnz .LBB31_2
.LBB31_4:
	s_load_dword s6, s[4:5], 0x24
	s_load_dwordx4 s[20:23], s[4:5], 0x28
	s_add_u32 s8, s4, 56
	s_addc_u32 s9, s5, 0
	v_mov_b32_e32 v31, v0
	s_waitcnt lgkmcnt(0)
	v_lshrrev_b16_e64 v8, 8, s6
	v_mov_b32_e32 v0, s16
	v_mov_b32_e32 v1, s17
	;; [unrolled: 1-line block ×12, first 2 shown]
	s_getpc_b64 s[4:5]
	s_add_u32 s4, s4, _ZN2at6native25elementwise_kernel_helperILb1EZZZNS0_23launch_dirichlet_kernelERNS_18TensorIteratorBaseEENKUlvE_clEvENKUlvE0_clEvEUlffE_NS0_6memory8policies11unroll_baseILi512ESt5arrayIPcLm3EE23TrivialOffsetCalculatorILi2EjESD_ILi1EjENS7_12LoadWithCastILi2EEENS7_13StoreWithCastILi1EEELi32ELi1EEEEEvT0_T1_@rel32@lo+4
	s_addc_u32 s5, s5, _ZN2at6native25elementwise_kernel_helperILb1EZZZNS0_23launch_dirichlet_kernelERNS_18TensorIteratorBaseEENKUlvE_clEvENKUlvE0_clEvEUlffE_NS0_6memory8policies11unroll_baseILi512ESt5arrayIPcLm3EE23TrivialOffsetCalculatorILi2EjESD_ILi1EjENS7_12LoadWithCastILi2EEENS7_13StoreWithCastILi1EEELi32ELi1EEEEEvT0_T1_@rel32@hi+12
	s_swappc_b64 s[30:31], s[4:5]
	s_endpgm
	.section	.rodata,"a",@progbits
	.p2align	6, 0x0
	.amdhsa_kernel _ZN2at6native39vectorized_templated_elementwise_kernelILi4EZZZNS0_23launch_dirichlet_kernelERNS_18TensorIteratorBaseEENKUlvE_clEvENKUlvE0_clEvEUlffE_St5arrayIPcLm3EE23TrivialOffsetCalculatorILi2EjESA_ILi1EjENS0_6memory12LoadWithCastILi2EEENSD_13StoreWithCastILi1EEEN3c104HalfEJSJ_fEEEviT0_T1_T2_T3_T4_T5_
		.amdhsa_group_segment_fixed_size 0
		.amdhsa_private_segment_fixed_size 288
		.amdhsa_kernarg_size 312
		.amdhsa_user_sgpr_count 8
		.amdhsa_user_sgpr_private_segment_buffer 1
		.amdhsa_user_sgpr_dispatch_ptr 0
		.amdhsa_user_sgpr_queue_ptr 0
		.amdhsa_user_sgpr_kernarg_segment_ptr 1
		.amdhsa_user_sgpr_dispatch_id 0
		.amdhsa_user_sgpr_flat_scratch_init 1
		.amdhsa_user_sgpr_kernarg_preload_length 0
		.amdhsa_user_sgpr_kernarg_preload_offset 0
		.amdhsa_user_sgpr_private_segment_size 0
		.amdhsa_uses_dynamic_stack 0
		.amdhsa_system_sgpr_private_segment_wavefront_offset 1
		.amdhsa_system_sgpr_workgroup_id_x 1
		.amdhsa_system_sgpr_workgroup_id_y 0
		.amdhsa_system_sgpr_workgroup_id_z 0
		.amdhsa_system_sgpr_workgroup_info 0
		.amdhsa_system_vgpr_workitem_id 0
		.amdhsa_next_free_vgpr 118
		.amdhsa_next_free_sgpr 98
		.amdhsa_accum_offset 120
		.amdhsa_reserve_vcc 1
		.amdhsa_reserve_flat_scratch 1
		.amdhsa_float_round_mode_32 0
		.amdhsa_float_round_mode_16_64 0
		.amdhsa_float_denorm_mode_32 3
		.amdhsa_float_denorm_mode_16_64 3
		.amdhsa_dx10_clamp 1
		.amdhsa_ieee_mode 1
		.amdhsa_fp16_overflow 0
		.amdhsa_tg_split 0
		.amdhsa_exception_fp_ieee_invalid_op 0
		.amdhsa_exception_fp_denorm_src 0
		.amdhsa_exception_fp_ieee_div_zero 0
		.amdhsa_exception_fp_ieee_overflow 0
		.amdhsa_exception_fp_ieee_underflow 0
		.amdhsa_exception_fp_ieee_inexact 0
		.amdhsa_exception_int_div_zero 0
	.end_amdhsa_kernel
	.section	.text._ZN2at6native39vectorized_templated_elementwise_kernelILi4EZZZNS0_23launch_dirichlet_kernelERNS_18TensorIteratorBaseEENKUlvE_clEvENKUlvE0_clEvEUlffE_St5arrayIPcLm3EE23TrivialOffsetCalculatorILi2EjESA_ILi1EjENS0_6memory12LoadWithCastILi2EEENSD_13StoreWithCastILi1EEEN3c104HalfEJSJ_fEEEviT0_T1_T2_T3_T4_T5_,"axG",@progbits,_ZN2at6native39vectorized_templated_elementwise_kernelILi4EZZZNS0_23launch_dirichlet_kernelERNS_18TensorIteratorBaseEENKUlvE_clEvENKUlvE0_clEvEUlffE_St5arrayIPcLm3EE23TrivialOffsetCalculatorILi2EjESA_ILi1EjENS0_6memory12LoadWithCastILi2EEENSD_13StoreWithCastILi1EEEN3c104HalfEJSJ_fEEEviT0_T1_T2_T3_T4_T5_,comdat
.Lfunc_end31:
	.size	_ZN2at6native39vectorized_templated_elementwise_kernelILi4EZZZNS0_23launch_dirichlet_kernelERNS_18TensorIteratorBaseEENKUlvE_clEvENKUlvE0_clEvEUlffE_St5arrayIPcLm3EE23TrivialOffsetCalculatorILi2EjESA_ILi1EjENS0_6memory12LoadWithCastILi2EEENSD_13StoreWithCastILi1EEEN3c104HalfEJSJ_fEEEviT0_T1_T2_T3_T4_T5_, .Lfunc_end31-_ZN2at6native39vectorized_templated_elementwise_kernelILi4EZZZNS0_23launch_dirichlet_kernelERNS_18TensorIteratorBaseEENKUlvE_clEvENKUlvE0_clEvEUlffE_St5arrayIPcLm3EE23TrivialOffsetCalculatorILi2EjESA_ILi1EjENS0_6memory12LoadWithCastILi2EEENSD_13StoreWithCastILi1EEEN3c104HalfEJSJ_fEEEviT0_T1_T2_T3_T4_T5_
                                        ; -- End function
	.section	.AMDGPU.csdata,"",@progbits
; Kernel info:
; codeLenInByte = 4524
; NumSgprs: 104
; NumVgprs: 118
; NumAgprs: 0
; TotalNumVgprs: 118
; ScratchSize: 288
; MemoryBound: 0
; FloatMode: 240
; IeeeMode: 1
; LDSByteSize: 0 bytes/workgroup (compile time only)
; SGPRBlocks: 12
; VGPRBlocks: 14
; NumSGPRsForWavesPerEU: 104
; NumVGPRsForWavesPerEU: 118
; AccumOffset: 120
; Occupancy: 4
; WaveLimiterHint : 0
; COMPUTE_PGM_RSRC2:SCRATCH_EN: 1
; COMPUTE_PGM_RSRC2:USER_SGPR: 8
; COMPUTE_PGM_RSRC2:TRAP_HANDLER: 0
; COMPUTE_PGM_RSRC2:TGID_X_EN: 1
; COMPUTE_PGM_RSRC2:TGID_Y_EN: 0
; COMPUTE_PGM_RSRC2:TGID_Z_EN: 0
; COMPUTE_PGM_RSRC2:TIDIG_COMP_CNT: 0
; COMPUTE_PGM_RSRC3_GFX90A:ACCUM_OFFSET: 29
; COMPUTE_PGM_RSRC3_GFX90A:TG_SPLIT: 0
	.section	.text._ZN2at6native39vectorized_templated_elementwise_kernelILi2EZZZNS0_23launch_dirichlet_kernelERNS_18TensorIteratorBaseEENKUlvE_clEvENKUlvE0_clEvEUlffE_St5arrayIPcLm3EE23TrivialOffsetCalculatorILi2EjESA_ILi1EjENS0_6memory12LoadWithCastILi2EEENSD_13StoreWithCastILi1EEEN3c104HalfEJSJ_fEEEviT0_T1_T2_T3_T4_T5_,"axG",@progbits,_ZN2at6native39vectorized_templated_elementwise_kernelILi2EZZZNS0_23launch_dirichlet_kernelERNS_18TensorIteratorBaseEENKUlvE_clEvENKUlvE0_clEvEUlffE_St5arrayIPcLm3EE23TrivialOffsetCalculatorILi2EjESA_ILi1EjENS0_6memory12LoadWithCastILi2EEENSD_13StoreWithCastILi1EEEN3c104HalfEJSJ_fEEEviT0_T1_T2_T3_T4_T5_,comdat
	.globl	_ZN2at6native39vectorized_templated_elementwise_kernelILi2EZZZNS0_23launch_dirichlet_kernelERNS_18TensorIteratorBaseEENKUlvE_clEvENKUlvE0_clEvEUlffE_St5arrayIPcLm3EE23TrivialOffsetCalculatorILi2EjESA_ILi1EjENS0_6memory12LoadWithCastILi2EEENSD_13StoreWithCastILi1EEEN3c104HalfEJSJ_fEEEviT0_T1_T2_T3_T4_T5_ ; -- Begin function _ZN2at6native39vectorized_templated_elementwise_kernelILi2EZZZNS0_23launch_dirichlet_kernelERNS_18TensorIteratorBaseEENKUlvE_clEvENKUlvE0_clEvEUlffE_St5arrayIPcLm3EE23TrivialOffsetCalculatorILi2EjESA_ILi1EjENS0_6memory12LoadWithCastILi2EEENSD_13StoreWithCastILi1EEEN3c104HalfEJSJ_fEEEviT0_T1_T2_T3_T4_T5_
	.p2align	8
	.type	_ZN2at6native39vectorized_templated_elementwise_kernelILi2EZZZNS0_23launch_dirichlet_kernelERNS_18TensorIteratorBaseEENKUlvE_clEvENKUlvE0_clEvEUlffE_St5arrayIPcLm3EE23TrivialOffsetCalculatorILi2EjESA_ILi1EjENS0_6memory12LoadWithCastILi2EEENSD_13StoreWithCastILi1EEEN3c104HalfEJSJ_fEEEviT0_T1_T2_T3_T4_T5_,@function
_ZN2at6native39vectorized_templated_elementwise_kernelILi2EZZZNS0_23launch_dirichlet_kernelERNS_18TensorIteratorBaseEENKUlvE_clEvENKUlvE0_clEvEUlffE_St5arrayIPcLm3EE23TrivialOffsetCalculatorILi2EjESA_ILi1EjENS0_6memory12LoadWithCastILi2EEENSD_13StoreWithCastILi1EEEN3c104HalfEJSJ_fEEEviT0_T1_T2_T3_T4_T5_: ; @_ZN2at6native39vectorized_templated_elementwise_kernelILi2EZZZNS0_23launch_dirichlet_kernelERNS_18TensorIteratorBaseEENKUlvE_clEvENKUlvE0_clEvEUlffE_St5arrayIPcLm3EE23TrivialOffsetCalculatorILi2EjESA_ILi1EjENS0_6memory12LoadWithCastILi2EEENSD_13StoreWithCastILi1EEEN3c104HalfEJSJ_fEEEviT0_T1_T2_T3_T4_T5_
; %bb.0:
	s_add_u32 flat_scratch_lo, s6, s9
	s_addc_u32 flat_scratch_hi, s7, 0
	s_add_u32 s0, s0, s9
	s_load_dword s6, s[4:5], 0x38
	s_load_dwordx2 s[10:11], s[4:5], 0x18
	s_load_dword s7, s[4:5], 0x0
	s_load_dwordx4 s[16:19], s[4:5], 0x8
	s_addc_u32 s1, s1, 0
	s_mov_b32 s12, s8
	s_not_b32 s8, s8
	s_waitcnt lgkmcnt(0)
	s_add_i32 s6, s6, s8
	s_lshl_b32 s14, s6, 14
	s_sub_i32 s13, s7, s14
	s_cmpk_gt_i32 s13, 0x3fff
	s_mov_b64 s[6:7], -1
	s_mov_b32 s32, 0
	s_cbranch_scc1 .LBB32_3
; %bb.1:
	s_andn2_b64 vcc, exec, s[6:7]
	s_cbranch_vccz .LBB32_4
.LBB32_2:
	s_endpgm
.LBB32_3:
	s_ashr_i32 s15, s14, 31
	s_lshl_b64 s[8:9], s[14:15], 1
	s_add_u32 s6, s18, s8
	s_addc_u32 s7, s19, s9
	v_lshlrev_b32_e32 v1, 2, v0
	v_mov_b32_e32 v2, s7
	v_add_co_u32_e32 v28, vcc, s6, v1
	v_addc_co_u32_e32 v29, vcc, 0, v2, vcc
	s_movk_i32 s21, 0x1000
	v_add_co_u32_e32 v6, vcc, s21, v28
	v_addc_co_u32_e32 v7, vcc, 0, v29, vcc
	s_movk_i32 s20, 0x2000
	v_or_b32_e32 v5, 0x400, v0
	v_add_co_u32_e32 v8, vcc, s20, v28
	v_lshlrev_b32_e32 v4, 2, v5
	v_or_b32_e32 v18, 0x800, v0
	v_addc_co_u32_e32 v9, vcc, 0, v29, vcc
	global_load_dword v22, v1, s[6:7]
	global_load_dword v23, v1, s[6:7] offset:2048
	v_or_b32_e32 v30, 0xc00, v0
	s_movk_i32 s22, 0x3000
	v_lshlrev_b32_e32 v2, 2, v18
	v_lshlrev_b32_e32 v3, 2, v30
	global_load_dword v24, v4, s[6:7]
	global_load_dword v25, v[6:7], off offset:2048
	global_load_dword v26, v2, s[6:7]
	global_load_dword v27, v[8:9], off offset:2048
	global_load_dword v31, v3, s[6:7]
	v_add_co_u32_e32 v6, vcc, s22, v28
	s_lshl_b64 s[14:15], s[14:15], 2
	v_addc_co_u32_e32 v7, vcc, 0, v29, vcc
	s_add_u32 s14, s10, s14
	global_load_dword v32, v[6:7], off offset:2048
	s_addc_u32 s15, s11, s15
	v_lshlrev_b32_e32 v6, 3, v0
	v_mov_b32_e32 v7, s15
	v_add_co_u32_e32 v33, vcc, s14, v6
	v_addc_co_u32_e32 v34, vcc, 0, v7, vcc
	global_load_dwordx2 v[10:11], v6, s[14:15]
	v_add_co_u32_e32 v6, vcc, s21, v33
	v_addc_co_u32_e32 v7, vcc, 0, v34, vcc
	v_lshlrev_b32_e32 v5, 3, v5
	global_load_dwordx2 v[12:13], v[6:7], off
	global_load_dwordx2 v[14:15], v5, s[14:15]
	v_add_co_u32_e32 v6, vcc, s22, v33
	v_addc_co_u32_e32 v7, vcc, 0, v34, vcc
	global_load_dwordx2 v[16:17], v[6:7], off
	s_movk_i32 s23, 0x5000
	v_add_co_u32_e32 v8, vcc, s23, v33
	v_addc_co_u32_e32 v9, vcc, 0, v34, vcc
	global_load_dwordx2 v[20:21], v[8:9], off
	s_movk_i32 s25, 0x4000
	s_movk_i32 s24, 0x6000
	v_or_b32_e32 v35, 0x1000, v0
	s_movk_i32 s26, 0x7000
	v_lshlrev_b32_e32 v5, 3, v18
	v_lshlrev_b32_e32 v6, 2, v35
	v_or_b32_e32 v51, 0x1400, v0
	v_or_b32_e32 v52, 0x1800, v0
	;; [unrolled: 1-line block ×3, first 2 shown]
	global_load_dwordx2 v[18:19], v5, s[14:15]
	global_load_dword v36, v6, s[6:7]
	v_lshlrev_b32_e32 v8, 2, v51
	v_lshlrev_b32_e32 v7, 2, v52
	;; [unrolled: 1-line block ×3, first 2 shown]
	s_waitcnt vmcnt(14)
	v_cvt_f32_f16_e32 v37, v22
	v_cvt_f32_f16_sdwa v38, v22 dst_sel:DWORD dst_unused:UNUSED_PAD src0_sel:WORD_1
	v_add_co_u32_e32 v22, vcc, s25, v28
	s_waitcnt vmcnt(13)
	v_cvt_f32_f16_e32 v39, v23
	v_cvt_f32_f16_sdwa v40, v23 dst_sel:DWORD dst_unused:UNUSED_PAD src0_sel:WORD_1
	v_addc_co_u32_e32 v23, vcc, 0, v29, vcc
	s_waitcnt vmcnt(12)
	v_cvt_f32_f16_e32 v41, v24
	v_cvt_f32_f16_sdwa v42, v24 dst_sel:DWORD dst_unused:UNUSED_PAD src0_sel:WORD_1
	v_add_co_u32_e32 v24, vcc, s23, v28
	s_waitcnt vmcnt(11)
	v_cvt_f32_f16_e32 v43, v25
	v_cvt_f32_f16_sdwa v44, v25 dst_sel:DWORD dst_unused:UNUSED_PAD src0_sel:WORD_1
	v_addc_co_u32_e32 v25, vcc, 0, v29, vcc
	;; [unrolled: 8-line block ×3, first 2 shown]
	v_add_co_u32_e32 v28, vcc, s26, v28
	s_waitcnt vmcnt(6)
	v_cvt_f16_f32_e32 v10, v10
	v_addc_co_u32_e32 v29, vcc, 0, v29, vcc
	global_load_dword v54, v[22:23], off offset:2048
	global_load_dword v55, v8, s[6:7]
	global_load_dword v56, v[24:25], off offset:2048
	global_load_dword v57, v7, s[6:7]
	;; [unrolled: 2-line block ×3, first 2 shown]
	global_load_dword v9, v[28:29], off offset:2048
	s_waitcnt vmcnt(12)
	v_cvt_f16_f32_e32 v24, v12
	v_lshlrev_b32_e32 v12, 3, v30
	v_cvt_f16_f32_e32 v25, v13
	global_load_dwordx2 v[12:13], v12, s[14:15]
	v_cvt_f32_f16_e32 v22, v10
	v_add_co_u32_e32 v10, vcc, s26, v33
	v_cvt_f16_f32_e32 v23, v11
	v_addc_co_u32_e32 v11, vcc, 0, v34, vcc
	global_load_dwordx2 v[10:11], v[10:11], off
	v_div_scale_f32 v26, s[6:7], v22, v22, v37
	v_rcp_f32_e32 v27, v26
	s_waitcnt vmcnt(13)
	v_cvt_f16_f32_e32 v15, v15
	v_cvt_f32_f16_e32 v23, v23
	s_waitcnt vmcnt(12)
	v_cvt_f16_f32_e32 v16, v16
	v_fma_f32 v28, -v26, v27, 1.0
	v_cvt_f16_f32_e32 v14, v14
	v_fmac_f32_e32 v27, v28, v27
	v_div_scale_f32 v28, vcc, v37, v22, v37
	v_mul_f32_e32 v29, v28, v27
	v_cvt_f32_f16_e32 v61, v15
	v_div_scale_f32 v15, s[6:7], v23, v23, v38
	v_fma_f32 v30, -v26, v29, v28
	v_cvt_f32_f16_e32 v62, v16
	v_rcp_f32_e32 v16, v15
	v_fmac_f32_e32 v29, v30, v27
	v_cvt_f32_f16_e32 v60, v14
	v_fma_f32 v14, -v26, v29, v28
	v_div_fmas_f32 v14, v14, v27, v29
	v_div_fixup_f32 v22, v14, v22, v37
	v_fma_f32 v14, -v15, v16, 1.0
	v_fmac_f32_e32 v16, v14, v16
	v_div_scale_f32 v14, vcc, v38, v23, v38
	v_cvt_f32_f16_e32 v24, v24
	v_mul_f32_e32 v26, v14, v16
	v_fma_f32 v27, -v15, v26, v14
	v_fmac_f32_e32 v26, v27, v16
	v_fma_f32 v14, -v15, v26, v14
	v_div_fmas_f32 v16, v14, v16, v26
	v_div_scale_f32 v26, s[6:7], v24, v24, v39
	v_rcp_f32_e32 v27, v26
	v_cvt_f16_f32_e32 v17, v17
	v_div_fixup_f32 v23, v16, v23, v38
	v_cvt_f32_f16_e32 v25, v25
	v_fma_f32 v16, -v26, v27, 1.0
	v_cvt_f32_f16_e32 v63, v17
	v_lshlrev_b32_e32 v17, 3, v35
	global_load_dwordx2 v[14:15], v17, s[14:15]
	v_fmac_f32_e32 v27, v16, v27
	v_div_scale_f32 v16, vcc, v39, v24, v39
	v_mul_f32_e32 v17, v16, v27
	v_fma_f32 v28, -v26, v17, v16
	v_fmac_f32_e32 v17, v28, v27
	v_fma_f32 v16, -v26, v17, v16
	v_div_scale_f32 v26, s[6:7], v25, v25, v40
	v_rcp_f32_e32 v28, v26
	v_div_fmas_f32 v16, v16, v27, v17
	v_div_fixup_f32 v24, v16, v24, v39
	v_div_scale_f32 v27, vcc, v40, v25, v40
	v_fma_f32 v16, -v26, v28, 1.0
	v_fmac_f32_e32 v28, v16, v28
	v_mul_f32_e32 v29, v27, v28
	s_mov_b32 s26, 0x9000
	v_fma_f32 v16, -v26, v29, v27
	v_fmac_f32_e32 v29, v16, v28
	v_add_co_u32_e64 v16, s[6:7], s26, v33
	v_addc_co_u32_e64 v17, s[6:7], 0, v34, s[6:7]
	global_load_dwordx2 v[16:17], v[16:17], off
	v_fma_f32 v26, -v26, v29, v27
	v_div_scale_f32 v27, s[6:7], v60, v60, v41
	v_div_fmas_f32 v26, v26, v28, v29
	v_rcp_f32_e32 v28, v27
	s_waitcnt vmcnt(3)
	v_cvt_f16_f32_e32 v29, v12
	v_div_fixup_f32 v25, v26, v25, v40
	v_cvt_f16_f32_e32 v35, v13
	v_fma_f32 v12, -v27, v28, 1.0
	v_fmac_f32_e32 v28, v12, v28
	v_div_scale_f32 v12, vcc, v41, v60, v41
	v_mul_f32_e32 v26, v12, v28
	v_fma_f32 v13, -v27, v26, v12
	v_fmac_f32_e32 v26, v13, v28
	s_waitcnt vmcnt(2)
	v_cvt_f16_f32_e32 v37, v10
	v_lshlrev_b32_e32 v10, 3, v51
	v_fma_f32 v27, -v27, v26, v12
	global_load_dwordx2 v[12:13], v10, s[14:15]
	v_div_fmas_f32 v10, v27, v28, v26
	v_div_scale_f32 v26, s[6:7], v61, v61, v42
	v_rcp_f32_e32 v27, v26
	v_div_fixup_f32 v38, v10, v60, v41
	v_cvt_f16_f32_e32 v28, v11
	s_mov_b32 s26, 0xb000
	v_fma_f32 v10, -v26, v27, 1.0
	v_fmac_f32_e32 v27, v10, v27
	v_div_scale_f32 v10, vcc, v42, v61, v42
	v_mul_f32_e32 v11, v10, v27
	v_fma_f32 v39, -v26, v11, v10
	v_fmac_f32_e32 v11, v39, v27
	v_fma_f32 v10, -v26, v11, v10
	v_div_scale_f32 v26, s[6:7], v62, v62, v43
	v_rcp_f32_e32 v39, v26
	v_div_fmas_f32 v10, v10, v27, v11
	v_div_fixup_f32 v27, v10, v61, v42
	v_div_scale_f32 v40, vcc, v43, v62, v43
	v_fma_f32 v10, -v26, v39, 1.0
	v_fmac_f32_e32 v39, v10, v39
	v_mul_f32_e32 v41, v40, v39
	v_fma_f32 v10, -v26, v41, v40
	v_fmac_f32_e32 v41, v10, v39
	v_add_co_u32_e64 v10, s[6:7], s26, v33
	v_fma_f32 v26, -v26, v41, v40
	v_addc_co_u32_e64 v11, s[6:7], 0, v34, s[6:7]
	v_div_fmas_f32 v26, v26, v39, v41
	v_div_scale_f32 v39, s[6:7], v63, v63, v44
	v_rcp_f32_e32 v40, v39
	v_cvt_f16_f32_e32 v18, v18
	s_waitcnt vmcnt(2)
	v_cvt_f16_f32_e32 v41, v14
	v_cvt_f16_f32_e32 v42, v15
	v_fma_f32 v14, -v39, v40, 1.0
	v_fmac_f32_e32 v40, v14, v40
	v_div_scale_f32 v14, vcc, v44, v63, v44
	v_mul_f32_e32 v15, v14, v40
	v_cvt_f32_f16_e32 v18, v18
	v_div_fixup_f32 v26, v26, v62, v43
	v_fma_f32 v43, -v39, v15, v14
	v_fmac_f32_e32 v15, v43, v40
	v_fma_f32 v14, -v39, v15, v14
	v_div_fmas_f32 v14, v14, v40, v15
	v_div_scale_f32 v15, s[6:7], v18, v18, v45
	v_rcp_f32_e32 v39, v15
	v_cvt_f16_f32_e32 v19, v19
	v_div_fixup_f32 v44, v14, v63, v44
	v_cvt_f32_f16_e32 v43, v54
	v_fma_f32 v14, -v15, v39, 1.0
	v_cvt_f32_f16_e32 v19, v19
	v_fmac_f32_e32 v39, v14, v39
	v_div_scale_f32 v14, vcc, v45, v18, v45
	s_waitcnt vmcnt(1)
	v_cvt_f16_f32_e32 v40, v16
	v_mul_f32_e32 v16, v14, v39
	v_cvt_f32_f16_sdwa v51, v54 dst_sel:DWORD dst_unused:UNUSED_PAD src0_sel:WORD_1
	v_cvt_f16_f32_e32 v54, v17
	v_fma_f32 v17, -v15, v16, v14
	v_fmac_f32_e32 v16, v17, v39
	v_fma_f32 v14, -v15, v16, v14
	v_div_scale_f32 v15, s[6:7], v19, v19, v46
	v_div_fmas_f32 v14, v14, v39, v16
	v_rcp_f32_e32 v16, v15
	v_cvt_f16_f32_e32 v20, v20
	v_div_fixup_f32 v45, v14, v18, v45
	v_cvt_f16_f32_e32 v21, v21
	v_fma_f32 v14, -v15, v16, 1.0
	v_fmac_f32_e32 v16, v14, v16
	v_div_scale_f32 v14, vcc, v46, v19, v46
	v_cvt_f32_f16_e32 v20, v20
	v_mul_f32_e32 v17, v14, v16
	v_fma_f32 v18, -v15, v17, v14
	v_fmac_f32_e32 v17, v18, v16
	v_fma_f32 v14, -v15, v17, v14
	v_div_fmas_f32 v16, v14, v16, v17
	v_div_scale_f32 v17, s[6:7], v20, v20, v47
	v_rcp_f32_e32 v18, v17
	s_waitcnt vmcnt(0)
	v_cvt_f16_f32_e32 v39, v12
	v_lshlrev_b32_e32 v12, 3, v52
	global_load_dwordx2 v[10:11], v[10:11], off
	v_cvt_f32_f16_e32 v21, v21
	global_load_dwordx2 v[14:15], v12, s[14:15]
	v_fma_f32 v12, -v17, v18, 1.0
	v_fmac_f32_e32 v18, v12, v18
	v_div_scale_f32 v12, vcc, v47, v20, v47
	v_div_fixup_f32 v46, v16, v19, v46
	v_mul_f32_e32 v19, v12, v18
	v_fma_f32 v16, -v17, v19, v12
	s_mov_b32 s6, 0xd000
	v_fmac_f32_e32 v19, v16, v18
	v_fma_f32 v12, -v17, v19, v12
	v_add_co_u32_e64 v16, s[6:7], s6, v33
	v_addc_co_u32_e64 v17, s[6:7], 0, v34, s[6:7]
	v_div_fmas_f32 v12, v12, v18, v19
	v_div_scale_f32 v18, s[6:7], v21, v21, v48
	v_rcp_f32_e32 v19, v18
	v_div_fixup_f32 v20, v12, v20, v47
	v_div_scale_f32 v47, vcc, v48, v21, v48
	v_fma_f32 v12, -v18, v19, 1.0
	v_fmac_f32_e32 v19, v12, v19
	v_cvt_f32_f16_e32 v49, v31
	v_cvt_f32_f16_e32 v29, v29
	v_cvt_f16_f32_e32 v52, v13
	v_lshlrev_b32_e32 v13, 3, v53
	v_mul_f32_e32 v53, v47, v19
	v_fma_f32 v12, -v18, v53, v47
	v_fmac_f32_e32 v53, v12, v19
	v_fma_f32 v18, -v18, v53, v47
	v_div_fmas_f32 v47, v18, v19, v53
	v_div_scale_f32 v53, s[6:7], v29, v29, v49
	v_rcp_f32_e32 v60, v53
	global_load_dwordx2 v[16:17], v[16:17], off
	v_cvt_f32_f16_sdwa v31, v31 dst_sel:DWORD dst_unused:UNUSED_PAD src0_sel:WORD_1
	global_load_dwordx2 v[12:13], v13, s[14:15]
	s_mov_b32 s14, 0xf000
	v_add_co_u32_e32 v18, vcc, s14, v33
	v_addc_co_u32_e32 v19, vcc, 0, v34, vcc
	v_fma_f32 v33, -v53, v60, 1.0
	v_fmac_f32_e32 v60, v33, v60
	v_div_scale_f32 v33, vcc, v49, v29, v49
	v_mul_f32_e32 v34, v33, v60
	v_cvt_f32_f16_e32 v35, v35
	v_div_fixup_f32 v21, v47, v21, v48
	v_fma_f32 v47, -v53, v34, v33
	v_fmac_f32_e32 v34, v47, v60
	v_fma_f32 v33, -v53, v34, v33
	v_div_fmas_f32 v33, v33, v60, v34
	v_div_scale_f32 v34, s[6:7], v35, v35, v31
	v_rcp_f32_e32 v53, v34
	v_div_fixup_f32 v29, v33, v29, v49
	v_cvt_f32_f16_e32 v50, v32
	v_cvt_f32_f16_e32 v37, v37
	v_fma_f32 v33, -v34, v53, 1.0
	v_fmac_f32_e32 v53, v33, v53
	v_div_scale_f32 v33, vcc, v31, v35, v31
	v_mul_f32_e32 v49, v33, v53
	v_cvt_f32_f16_e32 v47, v55
	v_cvt_f32_f16_sdwa v48, v55 dst_sel:DWORD dst_unused:UNUSED_PAD src0_sel:WORD_1
	v_fma_f32 v55, -v34, v49, v33
	v_fmac_f32_e32 v49, v55, v53
	v_fma_f32 v33, -v34, v49, v33
	v_div_scale_f32 v34, s[6:7], v37, v37, v50
	v_div_fmas_f32 v33, v33, v53, v49
	v_rcp_f32_e32 v49, v34
	v_div_fixup_f32 v31, v33, v35, v31
	v_cvt_f32_f16_sdwa v32, v32 dst_sel:DWORD dst_unused:UNUSED_PAD src0_sel:WORD_1
	v_cvt_f32_f16_e32 v28, v28
	v_fma_f32 v33, -v34, v49, 1.0
	v_fmac_f32_e32 v49, v33, v49
	v_div_scale_f32 v33, vcc, v50, v37, v50
	v_mul_f32_e32 v35, v33, v49
	v_fma_f32 v53, -v34, v35, v33
	v_fmac_f32_e32 v35, v53, v49
	v_fma_f32 v33, -v34, v35, v33
	v_div_scale_f32 v34, s[6:7], v28, v28, v32
	v_div_fmas_f32 v33, v33, v49, v35
	v_rcp_f32_e32 v35, v34
	v_div_fixup_f32 v33, v33, v37, v50
	v_cvt_f32_f16_e32 v30, v36
	v_cvt_f32_f16_e32 v41, v41
	v_fma_f32 v37, -v34, v35, 1.0
	v_fmac_f32_e32 v35, v37, v35
	v_div_scale_f32 v37, vcc, v32, v28, v32
	v_mul_f32_e32 v49, v37, v35
	v_fma_f32 v50, -v34, v49, v37
	v_fmac_f32_e32 v49, v50, v35
	v_fma_f32 v34, -v34, v49, v37
	v_div_fmas_f32 v34, v34, v35, v49
	v_div_scale_f32 v35, s[6:7], v41, v41, v30
	v_rcp_f32_e32 v37, v35
	v_div_fixup_f32 v28, v34, v28, v32
	v_cvt_f32_f16_sdwa v36, v36 dst_sel:DWORD dst_unused:UNUSED_PAD src0_sel:WORD_1
	v_cvt_f32_f16_e32 v42, v42
	v_fma_f32 v32, -v35, v37, 1.0
	v_fmac_f32_e32 v37, v32, v37
	v_div_scale_f32 v32, vcc, v30, v41, v30
	v_mul_f32_e32 v34, v32, v37
	v_fma_f32 v49, -v35, v34, v32
	v_fmac_f32_e32 v34, v49, v37
	v_fma_f32 v32, -v35, v34, v32
	v_div_fmas_f32 v32, v32, v37, v34
	v_div_scale_f32 v34, s[6:7], v42, v42, v36
	v_rcp_f32_e32 v35, v34
	v_div_fixup_f32 v30, v32, v41, v30
	v_cvt_f32_f16_e32 v40, v40
	v_cvt_f32_f16_e32 v54, v54
	v_fma_f32 v32, -v34, v35, 1.0
	v_fmac_f32_e32 v35, v32, v35
	v_div_scale_f32 v32, vcc, v36, v42, v36
	v_mul_f32_e32 v37, v32, v35
	v_fma_f32 v41, -v34, v37, v32
	v_fmac_f32_e32 v37, v41, v35
	v_fma_f32 v32, -v34, v37, v32
	v_div_scale_f32 v34, s[6:7], v40, v40, v43
	v_div_fmas_f32 v32, v32, v35, v37
	v_rcp_f32_e32 v35, v34
	v_div_fixup_f32 v32, v32, v42, v36
	s_mov_b32 s14, 0x800000
	s_mov_b32 s15, 0x3f7ffffe
	v_fma_f32 v36, -v34, v35, 1.0
	v_fmac_f32_e32 v35, v36, v35
	v_div_scale_f32 v36, vcc, v43, v40, v43
	v_mul_f32_e32 v37, v36, v35
	v_fma_f32 v42, -v34, v37, v36
	v_fmac_f32_e32 v37, v42, v35
	v_fma_f32 v34, -v34, v37, v36
	v_div_fmas_f32 v34, v34, v35, v37
	v_div_scale_f32 v35, s[6:7], v54, v54, v51
	v_rcp_f32_e32 v36, v35
	v_mov_b32_e32 v42, 0x800000
	v_cmp_ngt_f32_e32 vcc, s14, v22
	v_cndmask_b32_e32 v22, v42, v22, vcc
	v_fma_f32 v37, -v35, v36, 1.0
	v_fmac_f32_e32 v36, v37, v36
	v_div_scale_f32 v37, vcc, v51, v54, v51
	v_div_fixup_f32 v34, v34, v40, v43
	v_mul_f32_e32 v40, v37, v36
	v_fma_f32 v43, -v35, v40, v37
	v_fmac_f32_e32 v40, v43, v36
	v_mov_b32_e32 v43, 0x3f7ffffe
	v_cmp_nlt_f32_e64 s[6:7], s15, v22
	v_cndmask_b32_e64 v22, v43, v22, s[6:7]
	v_cmp_ngt_f32_e64 s[6:7], s14, v23
	v_cndmask_b32_e64 v23, v42, v23, s[6:7]
	v_cmp_nlt_f32_e64 s[6:7], s15, v23
	v_cndmask_b32_e64 v23, v43, v23, s[6:7]
	v_cmp_ngt_f32_e64 s[6:7], s14, v24
	v_cndmask_b32_e64 v24, v42, v24, s[6:7]
	;; [unrolled: 4-line block ×17, first 2 shown]
	v_cvt_f32_f16_e32 v39, v39
	v_cmp_nlt_f32_e64 s[6:7], s15, v32
	v_cndmask_b32_e64 v32, v43, v32, s[6:7]
	v_cmp_ngt_f32_e64 s[6:7], s14, v34
	v_cndmask_b32_e64 v34, v42, v34, s[6:7]
	v_cmp_nlt_f32_e64 s[6:7], s15, v34
	v_fma_f32 v35, -v35, v40, v37
	v_cndmask_b32_e64 v34, v43, v34, s[6:7]
	v_div_fmas_f32 v35, v35, v36, v40
	v_div_scale_f32 v36, s[6:7], v39, v39, v47
	v_rcp_f32_e32 v37, v36
	v_div_fixup_f32 v35, v35, v54, v51
	v_cmp_ngt_f32_e32 vcc, s14, v35
	v_cndmask_b32_e32 v35, v42, v35, vcc
	v_cmp_nlt_f32_e32 vcc, s15, v35
	v_fma_f32 v40, -v36, v37, 1.0
	v_cndmask_b32_e32 v35, v43, v35, vcc
	v_fmac_f32_e32 v37, v40, v37
	v_div_scale_f32 v40, vcc, v47, v39, v47
	v_cvt_f32_f16_e32 v52, v52
	v_mul_f32_e32 v51, v40, v37
	v_fma_f32 v54, -v36, v51, v40
	v_fmac_f32_e32 v51, v54, v37
	v_fma_f32 v36, -v36, v51, v40
	v_div_fmas_f32 v36, v36, v37, v51
	v_div_scale_f32 v37, s[6:7], v52, v52, v48
	v_div_fixup_f32 v36, v36, v39, v47
	v_rcp_f32_e32 v39, v37
	s_waitcnt vmcnt(3)
	v_cvt_f16_f32_e32 v10, v10
	v_cmp_ngt_f32_e32 vcc, s14, v36
	v_cndmask_b32_e32 v36, v42, v36, vcc
	v_cmp_nlt_f32_e32 vcc, s15, v36
	v_fma_f32 v40, -v37, v39, 1.0
	v_cndmask_b32_e32 v36, v43, v36, vcc
	v_fmac_f32_e32 v39, v40, v39
	v_div_scale_f32 v40, vcc, v48, v52, v48
	v_cvt_f32_f16_e32 v55, v56
	v_cvt_f32_f16_e32 v10, v10
	v_mul_f32_e32 v47, v40, v39
	v_fma_f32 v51, -v37, v47, v40
	v_fmac_f32_e32 v47, v51, v39
	v_fma_f32 v37, -v37, v47, v40
	v_div_fmas_f32 v37, v37, v39, v47
	v_div_scale_f32 v39, s[6:7], v10, v10, v55
	v_rcp_f32_e32 v40, v39
	global_load_dwordx2 v[18:19], v[18:19], off
	v_div_fixup_f32 v37, v37, v52, v48
	v_cmp_ngt_f32_e32 vcc, s14, v37
	v_cvt_f16_f32_e32 v11, v11
	v_cndmask_b32_e32 v37, v42, v37, vcc
	v_cmp_nlt_f32_e32 vcc, s15, v37
	v_fma_f32 v47, -v39, v40, 1.0
	v_cndmask_b32_e32 v37, v43, v37, vcc
	v_fmac_f32_e32 v40, v47, v40
	v_div_scale_f32 v47, vcc, v55, v10, v55
	v_mul_f32_e32 v48, v47, v40
	v_cvt_f32_f16_sdwa v56, v56 dst_sel:DWORD dst_unused:UNUSED_PAD src0_sel:WORD_1
	v_cvt_f32_f16_e32 v11, v11
	v_fma_f32 v51, -v39, v48, v47
	v_fmac_f32_e32 v48, v51, v40
	v_fma_f32 v39, -v39, v48, v47
	v_div_fmas_f32 v39, v39, v40, v48
	v_div_fixup_f32 v10, v39, v10, v55
	v_div_scale_f32 v39, s[6:7], v11, v11, v56
	v_rcp_f32_e32 v40, v39
	v_cmp_ngt_f32_e32 vcc, s14, v10
	v_cndmask_b32_e32 v10, v42, v10, vcc
	s_waitcnt vmcnt(3)
	v_cvt_f16_f32_e32 v14, v14
	v_cmp_nlt_f32_e32 vcc, s15, v10
	v_cndmask_b32_e32 v47, v43, v10, vcc
	v_fma_f32 v10, -v39, v40, 1.0
	v_fmac_f32_e32 v40, v10, v40
	v_div_scale_f32 v10, vcc, v56, v11, v56
	v_mul_f32_e32 v48, v10, v40
	v_cvt_f32_f16_e32 v53, v57
	v_cvt_f32_f16_e32 v14, v14
	v_fma_f32 v51, -v39, v48, v10
	v_fmac_f32_e32 v48, v51, v40
	v_fma_f32 v10, -v39, v48, v10
	v_div_fmas_f32 v10, v10, v40, v48
	v_div_fixup_f32 v10, v10, v11, v56
	v_div_scale_f32 v11, s[6:7], v14, v14, v53
	v_rcp_f32_e32 v39, v11
	v_cmp_ngt_f32_e32 vcc, s14, v10
	v_cvt_f16_f32_e32 v15, v15
	v_cndmask_b32_e32 v10, v42, v10, vcc
	v_cmp_nlt_f32_e32 vcc, s15, v10
	v_cndmask_b32_e32 v40, v43, v10, vcc
	v_fma_f32 v10, -v11, v39, 1.0
	v_fmac_f32_e32 v39, v10, v39
	v_div_scale_f32 v10, vcc, v53, v14, v53
	v_cvt_f32_f16_sdwa v57, v57 dst_sel:DWORD dst_unused:UNUSED_PAD src0_sel:WORD_1
	v_cvt_f32_f16_e32 v15, v15
	v_mul_f32_e32 v48, v10, v39
	v_fma_f32 v51, -v11, v48, v10
	v_fmac_f32_e32 v48, v51, v39
	v_fma_f32 v10, -v11, v48, v10
	v_div_fmas_f32 v10, v10, v39, v48
	v_div_scale_f32 v11, s[6:7], v15, v15, v57
	v_div_fixup_f32 v10, v10, v14, v53
	v_rcp_f32_e32 v14, v11
	v_cmp_ngt_f32_e32 vcc, s14, v10
	s_waitcnt vmcnt(2)
	v_cvt_f16_f32_e32 v16, v16
	v_cndmask_b32_e32 v10, v42, v10, vcc
	v_cmp_nlt_f32_e32 vcc, s15, v10
	v_cndmask_b32_e32 v39, v43, v10, vcc
	v_fma_f32 v10, -v11, v14, 1.0
	v_fmac_f32_e32 v14, v10, v14
	v_div_scale_f32 v10, vcc, v57, v15, v57
	v_cvt_f32_f16_e32 v50, v58
	v_cvt_f32_f16_e32 v16, v16
	v_mul_f32_e32 v48, v10, v14
	v_fma_f32 v51, -v11, v48, v10
	v_fmac_f32_e32 v48, v51, v14
	v_fma_f32 v10, -v11, v48, v10
	v_div_fmas_f32 v10, v10, v14, v48
	v_div_scale_f32 v11, s[6:7], v16, v16, v50
	v_div_fixup_f32 v10, v10, v15, v57
	v_rcp_f32_e32 v14, v11
	v_cmp_ngt_f32_e32 vcc, s14, v10
	v_cvt_f16_f32_e32 v17, v17
	v_cndmask_b32_e32 v10, v42, v10, vcc
	v_cmp_nlt_f32_e32 vcc, s15, v10
	v_cndmask_b32_e32 v15, v43, v10, vcc
	v_fma_f32 v10, -v11, v14, 1.0
	v_fmac_f32_e32 v14, v10, v14
	v_div_scale_f32 v10, vcc, v50, v16, v50
	v_cvt_f32_f16_sdwa v58, v58 dst_sel:DWORD dst_unused:UNUSED_PAD src0_sel:WORD_1
	v_cvt_f32_f16_e32 v17, v17
	v_mul_f32_e32 v48, v10, v14
	v_fma_f32 v51, -v11, v48, v10
	v_fmac_f32_e32 v48, v51, v14
	v_fma_f32 v10, -v11, v48, v10
	v_div_fmas_f32 v10, v10, v14, v48
	v_div_scale_f32 v11, s[6:7], v17, v17, v58
	v_div_fixup_f32 v10, v10, v16, v50
	v_rcp_f32_e32 v14, v11
	v_cmp_ngt_f32_e32 vcc, s14, v10
	s_waitcnt vmcnt(1)
	v_cvt_f16_f32_e32 v12, v12
	v_cndmask_b32_e32 v10, v42, v10, vcc
	v_cmp_nlt_f32_e32 vcc, s15, v10
	v_cndmask_b32_e32 v16, v43, v10, vcc
	v_fma_f32 v10, -v11, v14, 1.0
	v_fmac_f32_e32 v14, v10, v14
	v_div_scale_f32 v10, vcc, v58, v17, v58
	v_cvt_f32_f16_e32 v49, v59
	v_cvt_f32_f16_e32 v12, v12
	v_mul_f32_e32 v48, v10, v14
	v_fma_f32 v50, -v11, v48, v10
	v_fmac_f32_e32 v48, v50, v14
	v_fma_f32 v10, -v11, v48, v10
	v_div_fmas_f32 v10, v10, v14, v48
	v_div_scale_f32 v11, s[6:7], v12, v12, v49
	v_div_fixup_f32 v10, v10, v17, v58
	;; [unrolled: 37-line block ×3, first 2 shown]
	v_rcp_f32_e32 v12, v11
	v_cmp_ngt_f32_e32 vcc, s14, v10
	v_cvt_f16_f32_e32 v19, v19
	v_cndmask_b32_e32 v10, v42, v10, vcc
	v_cmp_nlt_f32_e32 vcc, s15, v10
	v_cndmask_b32_e32 v13, v43, v10, vcc
	v_fma_f32 v10, -v11, v12, 1.0
	v_fmac_f32_e32 v12, v10, v12
	v_div_scale_f32 v10, vcc, v41, v18, v41
	v_cvt_f32_f16_sdwa v9, v9 dst_sel:DWORD dst_unused:UNUSED_PAD src0_sel:WORD_1
	v_cvt_f32_f16_e32 v19, v19
	v_mul_f32_e32 v48, v10, v12
	v_fma_f32 v49, -v11, v48, v10
	v_fmac_f32_e32 v48, v49, v12
	v_fma_f32 v10, -v11, v48, v10
	v_div_fmas_f32 v10, v10, v12, v48
	v_div_scale_f32 v11, s[6:7], v19, v19, v9
	v_div_fixup_f32 v10, v10, v18, v41
	v_rcp_f32_e32 v12, v11
	v_cmp_ngt_f32_e32 vcc, s14, v10
	v_cndmask_b32_e32 v10, v42, v10, vcc
	v_cmp_nlt_f32_e32 vcc, s15, v10
	v_cndmask_b32_e32 v18, v43, v10, vcc
	v_fma_f32 v10, -v11, v12, 1.0
	v_fmac_f32_e32 v12, v10, v12
	v_div_scale_f32 v10, vcc, v9, v19, v9
	v_mul_f32_e32 v41, v10, v12
	v_fma_f32 v48, -v11, v41, v10
	v_fmac_f32_e32 v41, v48, v12
	v_fma_f32 v10, -v11, v41, v10
	v_div_fmas_f32 v10, v10, v12, v41
	v_div_fixup_f32 v9, v10, v19, v9
	v_cvt_f16_f32_e32 v10, v22
	v_cvt_f16_f32_e32 v11, v23
	;; [unrolled: 1-line block ×4, first 2 shown]
	s_add_u32 s6, s16, s8
	s_addc_u32 s7, s17, s9
	v_pack_b32_f16 v10, v10, v11
	global_store_dword v1, v10, s[6:7]
	v_pack_b32_f16 v10, v19, v22
	v_cvt_f16_f32_e32 v11, v38
	v_cvt_f16_f32_e32 v19, v27
	v_cmp_ngt_f32_e32 vcc, s14, v9
	v_cndmask_b32_e32 v9, v42, v9, vcc
	v_cmp_nlt_f32_e32 vcc, s15, v9
	v_cndmask_b32_e32 v9, v43, v9, vcc
	v_add_co_u32_e32 v23, vcc, s6, v1
	v_cvt_f16_f32_e32 v22, v26
	v_cvt_f16_f32_e32 v24, v44
	global_store_dword v1, v10, s[6:7] offset:2048
	v_pack_b32_f16 v1, v11, v19
	v_mov_b32_e32 v12, s7
	global_store_dword v4, v1, s[6:7]
	v_cvt_f16_f32_e32 v4, v45
	v_cvt_f16_f32_e32 v19, v46
	v_addc_co_u32_e32 v12, vcc, 0, v12, vcc
	v_add_co_u32_e32 v10, vcc, s21, v23
	v_pack_b32_f16 v1, v22, v24
	v_addc_co_u32_e32 v11, vcc, 0, v12, vcc
	v_cvt_f16_f32_e32 v20, v20
	v_cvt_f16_f32_e32 v21, v21
	global_store_dword v[10:11], v1, off offset:2048
	v_pack_b32_f16 v1, v4, v19
	global_store_dword v2, v1, s[6:7]
	v_cvt_f16_f32_e32 v2, v29
	v_cvt_f16_f32_e32 v4, v31
	v_pack_b32_f16 v1, v20, v21
	v_add_co_u32_e32 v10, vcc, s20, v23
	v_cvt_f16_f32_e32 v19, v33
	v_cvt_f16_f32_e32 v20, v28
	v_addc_co_u32_e32 v11, vcc, 0, v12, vcc
	global_store_dword v[10:11], v1, off offset:2048
	v_pack_b32_f16 v1, v2, v4
	v_cvt_f16_f32_e32 v4, v30
	v_cvt_f16_f32_e32 v10, v32
	global_store_dword v3, v1, s[6:7]
	v_pack_b32_f16 v1, v19, v20
	v_add_co_u32_e32 v2, vcc, s22, v23
	v_cvt_f16_f32_e32 v11, v34
	v_cvt_f16_f32_e32 v19, v35
	v_addc_co_u32_e32 v3, vcc, 0, v12, vcc
	global_store_dword v[2:3], v1, off offset:2048
	v_pack_b32_f16 v1, v4, v10
	global_store_dword v6, v1, s[6:7]
	v_cvt_f16_f32_e32 v4, v36
	v_cvt_f16_f32_e32 v6, v37
	v_pack_b32_f16 v1, v11, v19
	v_cvt_f16_f32_e32 v10, v47
	v_cvt_f16_f32_e32 v11, v40
	v_add_co_u32_e32 v2, vcc, s25, v23
	v_addc_co_u32_e32 v3, vcc, 0, v12, vcc
	global_store_dword v[2:3], v1, off offset:2048
	v_pack_b32_f16 v1, v4, v6
	v_cvt_f16_f32_e32 v4, v39
	v_cvt_f16_f32_e32 v6, v15
	global_store_dword v8, v1, s[6:7]
	v_pack_b32_f16 v1, v10, v11
	v_cvt_f16_f32_e32 v8, v16
	v_cvt_f16_f32_e32 v10, v17
	v_add_co_u32_e32 v2, vcc, s23, v23
	v_addc_co_u32_e32 v3, vcc, 0, v12, vcc
	global_store_dword v[2:3], v1, off offset:2048
	v_pack_b32_f16 v1, v4, v6
	v_cvt_f16_f32_e32 v4, v14
	v_cvt_f16_f32_e32 v6, v13
	global_store_dword v7, v1, s[6:7]
	v_pack_b32_f16 v1, v8, v10
	v_cvt_f16_f32_e32 v7, v18
	v_cvt_f16_f32_e32 v8, v9
	v_add_co_u32_e32 v2, vcc, s24, v23
	v_addc_co_u32_e32 v3, vcc, 0, v12, vcc
	global_store_dword v[2:3], v1, off offset:2048
	v_pack_b32_f16 v1, v4, v6
	v_add_co_u32_e32 v2, vcc, 0x7000, v23
	global_store_dword v5, v1, s[6:7]
	v_pack_b32_f16 v1, v7, v8
	v_addc_co_u32_e32 v3, vcc, 0, v12, vcc
	global_store_dword v[2:3], v1, off offset:2048
	s_cbranch_execnz .LBB32_2
.LBB32_4:
	s_load_dword s6, s[4:5], 0x24
	s_load_dwordx4 s[20:23], s[4:5], 0x28
	s_add_u32 s8, s4, 56
	s_addc_u32 s9, s5, 0
	v_mov_b32_e32 v31, v0
	s_waitcnt lgkmcnt(0)
	v_lshrrev_b16_e64 v8, 8, s6
	v_mov_b32_e32 v0, s16
	v_mov_b32_e32 v1, s17
	;; [unrolled: 1-line block ×12, first 2 shown]
	s_getpc_b64 s[4:5]
	s_add_u32 s4, s4, _ZN2at6native25elementwise_kernel_helperILb1EZZZNS0_23launch_dirichlet_kernelERNS_18TensorIteratorBaseEENKUlvE_clEvENKUlvE0_clEvEUlffE_NS0_6memory8policies11unroll_baseILi512ESt5arrayIPcLm3EE23TrivialOffsetCalculatorILi2EjESD_ILi1EjENS7_12LoadWithCastILi2EEENS7_13StoreWithCastILi1EEELi32ELi1EEEEEvT0_T1_@rel32@lo+4
	s_addc_u32 s5, s5, _ZN2at6native25elementwise_kernel_helperILb1EZZZNS0_23launch_dirichlet_kernelERNS_18TensorIteratorBaseEENKUlvE_clEvENKUlvE0_clEvEUlffE_NS0_6memory8policies11unroll_baseILi512ESt5arrayIPcLm3EE23TrivialOffsetCalculatorILi2EjESD_ILi1EjENS7_12LoadWithCastILi2EEENS7_13StoreWithCastILi1EEELi32ELi1EEEEEvT0_T1_@rel32@hi+12
	s_swappc_b64 s[30:31], s[4:5]
	s_endpgm
	.section	.rodata,"a",@progbits
	.p2align	6, 0x0
	.amdhsa_kernel _ZN2at6native39vectorized_templated_elementwise_kernelILi2EZZZNS0_23launch_dirichlet_kernelERNS_18TensorIteratorBaseEENKUlvE_clEvENKUlvE0_clEvEUlffE_St5arrayIPcLm3EE23TrivialOffsetCalculatorILi2EjESA_ILi1EjENS0_6memory12LoadWithCastILi2EEENSD_13StoreWithCastILi1EEEN3c104HalfEJSJ_fEEEviT0_T1_T2_T3_T4_T5_
		.amdhsa_group_segment_fixed_size 0
		.amdhsa_private_segment_fixed_size 288
		.amdhsa_kernarg_size 312
		.amdhsa_user_sgpr_count 8
		.amdhsa_user_sgpr_private_segment_buffer 1
		.amdhsa_user_sgpr_dispatch_ptr 0
		.amdhsa_user_sgpr_queue_ptr 0
		.amdhsa_user_sgpr_kernarg_segment_ptr 1
		.amdhsa_user_sgpr_dispatch_id 0
		.amdhsa_user_sgpr_flat_scratch_init 1
		.amdhsa_user_sgpr_kernarg_preload_length 0
		.amdhsa_user_sgpr_kernarg_preload_offset 0
		.amdhsa_user_sgpr_private_segment_size 0
		.amdhsa_uses_dynamic_stack 0
		.amdhsa_system_sgpr_private_segment_wavefront_offset 1
		.amdhsa_system_sgpr_workgroup_id_x 1
		.amdhsa_system_sgpr_workgroup_id_y 0
		.amdhsa_system_sgpr_workgroup_id_z 0
		.amdhsa_system_sgpr_workgroup_info 0
		.amdhsa_system_vgpr_workitem_id 0
		.amdhsa_next_free_vgpr 118
		.amdhsa_next_free_sgpr 98
		.amdhsa_accum_offset 120
		.amdhsa_reserve_vcc 1
		.amdhsa_reserve_flat_scratch 1
		.amdhsa_float_round_mode_32 0
		.amdhsa_float_round_mode_16_64 0
		.amdhsa_float_denorm_mode_32 3
		.amdhsa_float_denorm_mode_16_64 3
		.amdhsa_dx10_clamp 1
		.amdhsa_ieee_mode 1
		.amdhsa_fp16_overflow 0
		.amdhsa_tg_split 0
		.amdhsa_exception_fp_ieee_invalid_op 0
		.amdhsa_exception_fp_denorm_src 0
		.amdhsa_exception_fp_ieee_div_zero 0
		.amdhsa_exception_fp_ieee_overflow 0
		.amdhsa_exception_fp_ieee_underflow 0
		.amdhsa_exception_fp_ieee_inexact 0
		.amdhsa_exception_int_div_zero 0
	.end_amdhsa_kernel
	.section	.text._ZN2at6native39vectorized_templated_elementwise_kernelILi2EZZZNS0_23launch_dirichlet_kernelERNS_18TensorIteratorBaseEENKUlvE_clEvENKUlvE0_clEvEUlffE_St5arrayIPcLm3EE23TrivialOffsetCalculatorILi2EjESA_ILi1EjENS0_6memory12LoadWithCastILi2EEENSD_13StoreWithCastILi1EEEN3c104HalfEJSJ_fEEEviT0_T1_T2_T3_T4_T5_,"axG",@progbits,_ZN2at6native39vectorized_templated_elementwise_kernelILi2EZZZNS0_23launch_dirichlet_kernelERNS_18TensorIteratorBaseEENKUlvE_clEvENKUlvE0_clEvEUlffE_St5arrayIPcLm3EE23TrivialOffsetCalculatorILi2EjESA_ILi1EjENS0_6memory12LoadWithCastILi2EEENSD_13StoreWithCastILi1EEEN3c104HalfEJSJ_fEEEviT0_T1_T2_T3_T4_T5_,comdat
.Lfunc_end32:
	.size	_ZN2at6native39vectorized_templated_elementwise_kernelILi2EZZZNS0_23launch_dirichlet_kernelERNS_18TensorIteratorBaseEENKUlvE_clEvENKUlvE0_clEvEUlffE_St5arrayIPcLm3EE23TrivialOffsetCalculatorILi2EjESA_ILi1EjENS0_6memory12LoadWithCastILi2EEENSD_13StoreWithCastILi1EEEN3c104HalfEJSJ_fEEEviT0_T1_T2_T3_T4_T5_, .Lfunc_end32-_ZN2at6native39vectorized_templated_elementwise_kernelILi2EZZZNS0_23launch_dirichlet_kernelERNS_18TensorIteratorBaseEENKUlvE_clEvENKUlvE0_clEvEUlffE_St5arrayIPcLm3EE23TrivialOffsetCalculatorILi2EjESA_ILi1EjENS0_6memory12LoadWithCastILi2EEENSD_13StoreWithCastILi1EEEN3c104HalfEJSJ_fEEEviT0_T1_T2_T3_T4_T5_
                                        ; -- End function
	.section	.AMDGPU.csdata,"",@progbits
; Kernel info:
; codeLenInByte = 4988
; NumSgprs: 104
; NumVgprs: 118
; NumAgprs: 0
; TotalNumVgprs: 118
; ScratchSize: 288
; MemoryBound: 0
; FloatMode: 240
; IeeeMode: 1
; LDSByteSize: 0 bytes/workgroup (compile time only)
; SGPRBlocks: 12
; VGPRBlocks: 14
; NumSGPRsForWavesPerEU: 104
; NumVGPRsForWavesPerEU: 118
; AccumOffset: 120
; Occupancy: 4
; WaveLimiterHint : 0
; COMPUTE_PGM_RSRC2:SCRATCH_EN: 1
; COMPUTE_PGM_RSRC2:USER_SGPR: 8
; COMPUTE_PGM_RSRC2:TRAP_HANDLER: 0
; COMPUTE_PGM_RSRC2:TGID_X_EN: 1
; COMPUTE_PGM_RSRC2:TGID_Y_EN: 0
; COMPUTE_PGM_RSRC2:TGID_Z_EN: 0
; COMPUTE_PGM_RSRC2:TIDIG_COMP_CNT: 0
; COMPUTE_PGM_RSRC3_GFX90A:ACCUM_OFFSET: 29
; COMPUTE_PGM_RSRC3_GFX90A:TG_SPLIT: 0
	.section	.text._ZN2at6native32elementwise_kernel_manual_unrollILi128ELi4EZNS0_15gpu_kernel_implIZZZNS0_23launch_dirichlet_kernelERNS_18TensorIteratorBaseEENKUlvE_clEvENKUlvE0_clEvEUlffE_EEvS4_RKT_EUlibE_EEviT1_,"axG",@progbits,_ZN2at6native32elementwise_kernel_manual_unrollILi128ELi4EZNS0_15gpu_kernel_implIZZZNS0_23launch_dirichlet_kernelERNS_18TensorIteratorBaseEENKUlvE_clEvENKUlvE0_clEvEUlffE_EEvS4_RKT_EUlibE_EEviT1_,comdat
	.globl	_ZN2at6native32elementwise_kernel_manual_unrollILi128ELi4EZNS0_15gpu_kernel_implIZZZNS0_23launch_dirichlet_kernelERNS_18TensorIteratorBaseEENKUlvE_clEvENKUlvE0_clEvEUlffE_EEvS4_RKT_EUlibE_EEviT1_ ; -- Begin function _ZN2at6native32elementwise_kernel_manual_unrollILi128ELi4EZNS0_15gpu_kernel_implIZZZNS0_23launch_dirichlet_kernelERNS_18TensorIteratorBaseEENKUlvE_clEvENKUlvE0_clEvEUlffE_EEvS4_RKT_EUlibE_EEviT1_
	.p2align	8
	.type	_ZN2at6native32elementwise_kernel_manual_unrollILi128ELi4EZNS0_15gpu_kernel_implIZZZNS0_23launch_dirichlet_kernelERNS_18TensorIteratorBaseEENKUlvE_clEvENKUlvE0_clEvEUlffE_EEvS4_RKT_EUlibE_EEviT1_,@function
_ZN2at6native32elementwise_kernel_manual_unrollILi128ELi4EZNS0_15gpu_kernel_implIZZZNS0_23launch_dirichlet_kernelERNS_18TensorIteratorBaseEENKUlvE_clEvENKUlvE0_clEvEUlffE_EEvS4_RKT_EUlibE_EEviT1_: ; @_ZN2at6native32elementwise_kernel_manual_unrollILi128ELi4EZNS0_15gpu_kernel_implIZZZNS0_23launch_dirichlet_kernelERNS_18TensorIteratorBaseEENKUlvE_clEvENKUlvE0_clEvEUlffE_EEvS4_RKT_EUlibE_EEviT1_
; %bb.0:
	v_mov_b32_e32 v1, 0
	global_load_ushort v4, v1, s[4:5] offset:45
	global_load_sbyte v6, v1, s[4:5] offset:47
	s_load_dword s33, s[4:5], 0x0
	s_load_dwordx4 s[8:11], s[4:5], 0x8
	s_load_dwordx2 s[16:17], s[4:5], 0x18
	s_load_dwordx4 s[12:15], s[4:5], 0x20
	v_lshl_or_b32 v5, s6, 9, v0
	v_or_b32_e32 v0, 0x180, v5
	s_mov_b64 s[18:19], 0
	s_waitcnt lgkmcnt(0)
	v_cmp_le_i32_e32 vcc, s33, v0
	s_mov_b64 s[20:21], 0
	s_waitcnt vmcnt(1)
	v_lshrrev_b32_e32 v7, 8, v4
	s_and_saveexec_b64 s[0:1], vcc
	s_xor_b64 s[6:7], exec, s[0:1]
	s_cbranch_execz .LBB33_1543
; %bb.1:
	v_cmp_gt_i32_e32 vcc, s33, v5
	s_mov_b64 s[0:1], -1
	s_mov_b64 s[30:31], 0
	s_mov_b64 s[24:25], 0
	;; [unrolled: 1-line block ×3, first 2 shown]
	s_and_saveexec_b64 s[26:27], vcc
	s_cbranch_execz .LBB33_382
; %bb.2:
	v_mul_lo_u32 v0, v5, s13
	v_ashrrev_i32_e32 v1, 31, v0
	v_mov_b32_e32 v2, s11
	v_add_co_u32_e32 v0, vcc, s10, v0
	v_addc_co_u32_e32 v1, vcc, v2, v1, vcc
	v_mov_b32_e32 v2, 11
	v_cmp_lt_i16_sdwa s[0:1], v7, v2 src0_sel:BYTE_0 src1_sel:DWORD
	s_and_b64 vcc, exec, s[0:1]
	s_cbranch_vccnz .LBB33_9
; %bb.3:
	v_mov_b32_e32 v2, 25
	v_cmp_gt_i16_sdwa s[0:1], v7, v2 src0_sel:BYTE_0 src1_sel:DWORD
	s_and_b64 vcc, exec, s[0:1]
	s_cbranch_vccz .LBB33_11
; %bb.4:
	v_mov_b32_e32 v2, 28
	v_cmp_gt_i16_sdwa s[0:1], v7, v2 src0_sel:BYTE_0 src1_sel:DWORD
	s_and_b64 vcc, exec, s[0:1]
	s_cbranch_vccz .LBB33_12
	;; [unrolled: 5-line block ×4, first 2 shown]
; %bb.7:
	v_mov_b32_e32 v2, 46
	v_cmp_eq_u16_sdwa s[0:1], v7, v2 src0_sel:BYTE_0 src1_sel:DWORD
	s_mov_b64 s[2:3], 0
	s_and_b64 vcc, exec, s[0:1]
	s_cbranch_vccz .LBB33_15
; %bb.8:
	global_load_dword v2, v[0:1], off
	s_mov_b64 s[0:1], -1
	s_waitcnt vmcnt(0)
	v_lshlrev_b32_e32 v2, 16, v2
	s_branch .LBB33_17
.LBB33_9:
                                        ; implicit-def: $vgpr2
	s_mov_b64 s[0:1], 0
	s_cbranch_execnz .LBB33_81
.LBB33_10:
	s_andn2_b64 vcc, exec, s[0:1]
	s_cbranch_vccz .LBB33_128
	s_branch .LBB33_379
.LBB33_11:
	s_mov_b64 s[0:1], 0
                                        ; implicit-def: $vgpr2
	s_cbranch_execnz .LBB33_46
	s_branch .LBB33_80
.LBB33_12:
	s_mov_b64 s[2:3], -1
	s_mov_b64 s[0:1], 0
                                        ; implicit-def: $vgpr2
	s_branch .LBB33_27
.LBB33_13:
	s_mov_b64 s[2:3], -1
	s_mov_b64 s[0:1], 0
                                        ; implicit-def: $vgpr2
	s_branch .LBB33_22
.LBB33_14:
	s_mov_b64 s[2:3], -1
	s_branch .LBB33_16
.LBB33_15:
	s_mov_b64 s[24:25], -1
.LBB33_16:
	s_mov_b64 s[0:1], 0
                                        ; implicit-def: $vgpr2
.LBB33_17:
	s_and_b64 vcc, exec, s[2:3]
	s_cbranch_vccz .LBB33_21
; %bb.18:
	v_mov_b32_e32 v2, 44
	v_cmp_eq_u16_sdwa s[2:3], v7, v2 src0_sel:BYTE_0 src1_sel:DWORD
	s_and_b64 vcc, exec, s[2:3]
	s_cbranch_vccz .LBB33_20
; %bb.19:
	global_load_ubyte v2, v[0:1], off
	s_movk_i32 s2, 0xff
	v_mov_b32_e32 v3, 0x7f800001
	v_mov_b32_e32 v8, 0x400000
	s_mov_b64 s[0:1], -1
	s_mov_b64 s[24:25], 0
	s_waitcnt vmcnt(0)
	v_lshlrev_b32_e32 v9, 23, v2
	v_cmp_ne_u32_e32 vcc, s2, v2
	v_cndmask_b32_e32 v3, v3, v9, vcc
	v_cmp_ne_u32_e32 vcc, 0, v2
	v_cndmask_b32_e32 v2, v8, v3, vcc
	s_branch .LBB33_21
.LBB33_20:
	s_mov_b64 s[24:25], -1
                                        ; implicit-def: $vgpr2
.LBB33_21:
	s_mov_b64 s[2:3], 0
.LBB33_22:
	s_and_b64 vcc, exec, s[2:3]
	s_cbranch_vccz .LBB33_26
; %bb.23:
	v_mov_b32_e32 v2, 29
	v_cmp_eq_u16_sdwa s[2:3], v7, v2 src0_sel:BYTE_0 src1_sel:DWORD
	s_and_b64 vcc, exec, s[2:3]
	s_cbranch_vccz .LBB33_25
; %bb.24:
	global_load_dwordx2 v[2:3], v[0:1], off
	s_mov_b64 s[0:1], -1
	s_mov_b64 s[24:25], 0
	s_mov_b64 s[2:3], 0
	s_waitcnt vmcnt(0)
	v_ffbh_u32_e32 v8, v3
	v_min_u32_e32 v8, 32, v8
	v_lshlrev_b64 v[2:3], v8, v[2:3]
	v_min_u32_e32 v2, 1, v2
	v_or_b32_e32 v2, v3, v2
	v_cvt_f32_u32_e32 v2, v2
	v_sub_u32_e32 v3, 32, v8
	v_ldexp_f32 v2, v2, v3
	s_branch .LBB33_27
.LBB33_25:
	s_mov_b64 s[24:25], -1
                                        ; implicit-def: $vgpr2
.LBB33_26:
	s_mov_b64 s[2:3], 0
.LBB33_27:
	s_and_b64 vcc, exec, s[2:3]
	s_cbranch_vccz .LBB33_45
; %bb.28:
	v_mov_b32_e32 v2, 27
	v_cmp_lt_i16_sdwa s[0:1], v7, v2 src0_sel:BYTE_0 src1_sel:DWORD
	s_and_b64 vcc, exec, s[0:1]
	s_cbranch_vccnz .LBB33_31
; %bb.29:
	v_cmp_gt_i16_sdwa s[0:1], v7, v2 src0_sel:BYTE_0 src1_sel:DWORD
	s_and_b64 vcc, exec, s[0:1]
	s_cbranch_vccz .LBB33_32
; %bb.30:
	global_load_dword v2, v[0:1], off
	s_mov_b64 s[0:1], 0
	s_waitcnt vmcnt(0)
	v_cvt_f32_u32_e32 v2, v2
	s_branch .LBB33_33
.LBB33_31:
	s_mov_b64 s[0:1], -1
                                        ; implicit-def: $vgpr2
	s_branch .LBB33_36
.LBB33_32:
	s_mov_b64 s[0:1], -1
                                        ; implicit-def: $vgpr2
.LBB33_33:
	s_andn2_b64 vcc, exec, s[0:1]
	s_cbranch_vccnz .LBB33_35
; %bb.34:
	global_load_ushort v2, v[0:1], off
	s_waitcnt vmcnt(0)
	v_cvt_f32_u32_e32 v2, v2
.LBB33_35:
	s_mov_b64 s[0:1], 0
.LBB33_36:
	s_andn2_b64 vcc, exec, s[0:1]
	s_cbranch_vccnz .LBB33_44
; %bb.37:
	global_load_ubyte v3, v[0:1], off
	s_movk_i32 s0, 0x7f
                                        ; implicit-def: $sgpr15
	s_waitcnt vmcnt(0)
	v_cmp_lt_i16_e32 vcc, s0, v3
	s_mov_b64 s[0:1], 0
	s_and_saveexec_b64 s[2:3], vcc
	s_xor_b64 s[2:3], exec, s[2:3]
	s_cbranch_execz .LBB33_57
; %bb.38:
	s_movk_i32 s0, 0x80
	v_cmp_eq_u16_e32 vcc, s0, v3
	s_mov_b64 s[0:1], -1
                                        ; implicit-def: $sgpr15
	s_and_saveexec_b64 s[4:5], vcc
; %bb.39:
	s_mov_b32 s15, 0x7f800001
	s_xor_b64 s[0:1], exec, -1
; %bb.40:
	s_or_b64 exec, exec, s[4:5]
	s_and_b64 s[0:1], s[0:1], exec
	s_or_saveexec_b64 s[2:3], s[2:3]
	v_mov_b32_e32 v2, s15
	s_xor_b64 exec, exec, s[2:3]
	s_cbranch_execnz .LBB33_58
.LBB33_41:
	s_or_b64 exec, exec, s[2:3]
	s_and_saveexec_b64 s[2:3], s[0:1]
	s_cbranch_execz .LBB33_43
.LBB33_42:
	v_lshlrev_b32_e32 v2, 24, v3
	v_and_b32_e32 v3, 0xffff, v3
	v_and_b32_e32 v8, 7, v3
	v_ffbh_u32_e32 v10, v8
	v_min_u32_e32 v10, 32, v10
	v_subrev_u32_e32 v11, 28, v10
	v_bfe_u32 v9, v3, 3, 4
	v_lshlrev_b32_e32 v3, v11, v3
	v_sub_u32_e32 v10, 29, v10
	v_and_b32_e32 v3, 7, v3
	v_cmp_eq_u32_e32 vcc, 0, v9
	v_cndmask_b32_e32 v9, v9, v10, vcc
	v_cndmask_b32_e32 v3, v8, v3, vcc
	v_mov_b32_e32 v8, 0x3b800000
	v_lshlrev_b32_e32 v3, 20, v3
	v_and_b32_e32 v2, 0x80000000, v2
	v_lshl_add_u32 v8, v9, 23, v8
	v_or3_b32 v2, v2, v8, v3
.LBB33_43:
	s_or_b64 exec, exec, s[2:3]
.LBB33_44:
	s_mov_b64 s[0:1], -1
.LBB33_45:
	s_branch .LBB33_80
.LBB33_46:
	v_mov_b32_e32 v2, 22
	v_cmp_gt_i16_sdwa s[2:3], v7, v2 src0_sel:BYTE_0 src1_sel:DWORD
	s_and_b64 vcc, exec, s[2:3]
	s_cbranch_vccz .LBB33_56
; %bb.47:
	v_mov_b32_e32 v2, 24
	v_cmp_lt_i16_sdwa s[0:1], v7, v2 src0_sel:BYTE_0 src1_sel:DWORD
	s_and_b64 vcc, exec, s[0:1]
	s_cbranch_vccnz .LBB33_59
; %bb.48:
	v_cmp_gt_i16_sdwa s[0:1], v7, v2 src0_sel:BYTE_0 src1_sel:DWORD
	s_and_b64 vcc, exec, s[0:1]
	s_cbranch_vccz .LBB33_60
; %bb.49:
	global_load_ubyte v3, v[0:1], off
	s_movk_i32 s0, 0x7f
                                        ; implicit-def: $sgpr15
	s_waitcnt vmcnt(0)
	v_cmp_lt_i16_e32 vcc, s0, v3
	s_mov_b64 s[0:1], 0
	s_and_saveexec_b64 s[2:3], vcc
	s_xor_b64 s[2:3], exec, s[2:3]
	s_cbranch_execz .LBB33_72
; %bb.50:
	s_movk_i32 s0, 0x80
	v_cmp_eq_u16_e32 vcc, s0, v3
	s_mov_b64 s[0:1], -1
                                        ; implicit-def: $sgpr15
	s_and_saveexec_b64 s[4:5], vcc
; %bb.51:
	s_mov_b32 s15, 0x7f800001
	s_xor_b64 s[0:1], exec, -1
; %bb.52:
	s_or_b64 exec, exec, s[4:5]
	s_and_b64 s[0:1], s[0:1], exec
	s_or_saveexec_b64 s[2:3], s[2:3]
	v_mov_b32_e32 v2, s15
	s_xor_b64 exec, exec, s[2:3]
	s_cbranch_execnz .LBB33_73
.LBB33_53:
	s_or_b64 exec, exec, s[2:3]
	s_and_saveexec_b64 s[2:3], s[0:1]
	s_cbranch_execz .LBB33_55
.LBB33_54:
	v_lshlrev_b32_e32 v2, 24, v3
	v_and_b32_e32 v3, 0xffff, v3
	v_and_b32_e32 v8, 3, v3
	v_ffbh_u32_e32 v10, v8
	v_min_u32_e32 v10, 32, v10
	v_subrev_u32_e32 v11, 29, v10
	v_bfe_u32 v9, v3, 2, 5
	v_lshlrev_b32_e32 v3, v11, v3
	v_sub_u32_e32 v10, 30, v10
	v_and_b32_e32 v3, 3, v3
	v_cmp_eq_u32_e32 vcc, 0, v9
	v_cndmask_b32_e32 v9, v9, v10, vcc
	v_cndmask_b32_e32 v3, v8, v3, vcc
	v_mov_b32_e32 v8, 0x37800000
	v_lshlrev_b32_e32 v3, 21, v3
	v_and_b32_e32 v2, 0x80000000, v2
	v_lshl_add_u32 v8, v9, 23, v8
	v_or3_b32 v2, v2, v8, v3
.LBB33_55:
	s_or_b64 exec, exec, s[2:3]
	s_mov_b64 s[0:1], 0
	s_branch .LBB33_61
.LBB33_56:
	s_mov_b64 s[2:3], -1
                                        ; implicit-def: $vgpr2
	s_branch .LBB33_67
.LBB33_57:
	s_or_saveexec_b64 s[2:3], s[2:3]
	v_mov_b32_e32 v2, s15
	s_xor_b64 exec, exec, s[2:3]
	s_cbranch_execz .LBB33_41
.LBB33_58:
	v_cmp_ne_u16_e32 vcc, 0, v3
	s_andn2_b64 s[0:1], s[0:1], exec
	s_and_b64 s[4:5], vcc, exec
	v_mov_b32_e32 v2, 0
	s_or_b64 s[0:1], s[0:1], s[4:5]
	s_or_b64 exec, exec, s[2:3]
	s_and_saveexec_b64 s[2:3], s[0:1]
	s_cbranch_execnz .LBB33_42
	s_branch .LBB33_43
.LBB33_59:
	s_mov_b64 s[0:1], -1
                                        ; implicit-def: $vgpr2
	s_branch .LBB33_64
.LBB33_60:
	s_mov_b64 s[0:1], -1
                                        ; implicit-def: $vgpr2
.LBB33_61:
	s_and_b64 vcc, exec, s[0:1]
	s_cbranch_vccz .LBB33_63
; %bb.62:
	global_load_ubyte v2, v[0:1], off
	s_mov_b32 s0, 0x7f800000
	s_waitcnt vmcnt(0)
	v_lshlrev_b32_e32 v2, 24, v2
	v_and_b32_e32 v3, 0x7f000000, v2
	v_ffbh_u32_e32 v8, v3
	v_min_u32_e32 v8, 32, v8
	v_sub_u32_e64 v8, v8, 4 clamp
	v_lshlrev_b32_e32 v10, v8, v3
	v_lshlrev_b32_e32 v8, 23, v8
	v_lshrrev_b32_e32 v10, 4, v10
	v_add_u32_e32 v9, 0x1000000, v3
	v_sub_u32_e32 v8, v10, v8
	v_ashrrev_i32_e32 v9, 8, v9
	v_add_u32_e32 v8, 0x3c000000, v8
	v_and_or_b32 v8, v9, s0, v8
	v_cmp_ne_u32_e32 vcc, 0, v3
	v_cndmask_b32_e32 v3, 0, v8, vcc
	s_brev_b32 s0, 1
	v_and_or_b32 v2, v2, s0, v3
.LBB33_63:
	s_mov_b64 s[0:1], 0
.LBB33_64:
	s_andn2_b64 vcc, exec, s[0:1]
	s_cbranch_vccnz .LBB33_66
; %bb.65:
	global_load_ubyte v2, v[0:1], off
	s_movk_i32 s0, 0x7f00
	s_brev_b32 s1, 16
	s_waitcnt vmcnt(0)
	v_lshlrev_b16_e32 v3, 8, v2
	v_lshlrev_b32_e32 v2, 25, v2
	v_lshrrev_b32_e32 v8, 4, v2
	v_and_or_b32 v9, v3, s0, 0.5
	v_or_b32_e32 v8, 0x70000000, v8
	v_add_f32_e32 v9, -0.5, v9
	v_mul_f32_e32 v8, 0x7800000, v8
	v_cmp_gt_u32_e32 vcc, s1, v2
	v_bfe_i32 v3, v3, 0, 16
	v_cndmask_b32_e32 v2, v8, v9, vcc
	s_brev_b32 s0, 1
	v_and_or_b32 v2, v3, s0, v2
.LBB33_66:
	s_mov_b64 s[2:3], 0
	s_mov_b64 s[0:1], -1
.LBB33_67:
	s_andn2_b64 vcc, exec, s[2:3]
	s_cbranch_vccnz .LBB33_80
; %bb.68:
	v_mov_b32_e32 v2, 14
	v_cmp_gt_i16_sdwa s[2:3], v7, v2 src0_sel:BYTE_0 src1_sel:DWORD
	s_and_b64 vcc, exec, s[2:3]
	s_cbranch_vccz .LBB33_71
; %bb.69:
	v_mov_b32_e32 v2, 15
	v_cmp_eq_u16_sdwa s[2:3], v7, v2 src0_sel:BYTE_0 src1_sel:DWORD
	s_and_b64 vcc, exec, s[2:3]
	s_cbranch_vccz .LBB33_74
; %bb.70:
	global_load_ushort v2, v[0:1], off
	s_mov_b64 s[0:1], -1
	s_mov_b64 s[24:25], 0
	s_waitcnt vmcnt(0)
	v_lshlrev_b32_e32 v2, 16, v2
	s_branch .LBB33_75
.LBB33_71:
	s_mov_b64 s[2:3], -1
                                        ; implicit-def: $vgpr2
	s_branch .LBB33_76
.LBB33_72:
	s_or_saveexec_b64 s[2:3], s[2:3]
	v_mov_b32_e32 v2, s15
	s_xor_b64 exec, exec, s[2:3]
	s_cbranch_execz .LBB33_53
.LBB33_73:
	v_cmp_ne_u16_e32 vcc, 0, v3
	s_andn2_b64 s[0:1], s[0:1], exec
	s_and_b64 s[4:5], vcc, exec
	v_mov_b32_e32 v2, 0
	s_or_b64 s[0:1], s[0:1], s[4:5]
	s_or_b64 exec, exec, s[2:3]
	s_and_saveexec_b64 s[2:3], s[0:1]
	s_cbranch_execnz .LBB33_54
	s_branch .LBB33_55
.LBB33_74:
	s_mov_b64 s[24:25], -1
                                        ; implicit-def: $vgpr2
.LBB33_75:
	s_mov_b64 s[2:3], 0
.LBB33_76:
	s_and_b64 vcc, exec, s[2:3]
	s_cbranch_vccz .LBB33_80
; %bb.77:
	v_mov_b32_e32 v2, 11
	v_cmp_eq_u16_sdwa s[2:3], v7, v2 src0_sel:BYTE_0 src1_sel:DWORD
	s_and_b64 vcc, exec, s[2:3]
	s_cbranch_vccz .LBB33_79
; %bb.78:
	global_load_ubyte v2, v[0:1], off
	s_mov_b64 s[0:1], -1
	s_mov_b64 s[24:25], 0
	s_waitcnt vmcnt(0)
	v_cmp_ne_u16_e32 vcc, 0, v2
	v_cndmask_b32_e64 v2, 0, 1.0, vcc
	s_branch .LBB33_80
.LBB33_79:
	s_mov_b64 s[24:25], -1
                                        ; implicit-def: $vgpr2
.LBB33_80:
	s_branch .LBB33_10
.LBB33_81:
	v_mov_b32_e32 v2, 5
	v_cmp_lt_i16_sdwa s[0:1], v7, v2 src0_sel:BYTE_0 src1_sel:DWORD
	s_and_b64 vcc, exec, s[0:1]
	s_cbranch_vccnz .LBB33_86
; %bb.82:
	v_mov_b32_e32 v2, 8
	v_cmp_lt_i16_sdwa s[0:1], v7, v2 src0_sel:BYTE_0 src1_sel:DWORD
	s_and_b64 vcc, exec, s[0:1]
	s_cbranch_vccnz .LBB33_87
; %bb.83:
	;; [unrolled: 5-line block ×3, first 2 shown]
	v_cmp_gt_i16_sdwa s[0:1], v7, v2 src0_sel:BYTE_0 src1_sel:DWORD
	s_and_b64 vcc, exec, s[0:1]
	s_cbranch_vccz .LBB33_89
; %bb.85:
	global_load_dwordx2 v[2:3], v[0:1], off
	s_mov_b64 s[0:1], 0
	s_waitcnt vmcnt(0)
	v_cvt_f32_f64_e32 v2, v[2:3]
	s_branch .LBB33_90
.LBB33_86:
                                        ; implicit-def: $vgpr2
	s_branch .LBB33_108
.LBB33_87:
	s_mov_b64 s[0:1], -1
                                        ; implicit-def: $vgpr2
	s_branch .LBB33_96
.LBB33_88:
	s_mov_b64 s[0:1], -1
                                        ; implicit-def: $vgpr2
	s_branch .LBB33_93
.LBB33_89:
	s_mov_b64 s[0:1], -1
                                        ; implicit-def: $vgpr2
.LBB33_90:
	s_andn2_b64 vcc, exec, s[0:1]
	s_cbranch_vccnz .LBB33_92
; %bb.91:
	global_load_dword v2, v[0:1], off
.LBB33_92:
	s_mov_b64 s[0:1], 0
.LBB33_93:
	s_andn2_b64 vcc, exec, s[0:1]
	s_cbranch_vccnz .LBB33_95
; %bb.94:
	global_load_dword v2, v[0:1], off
	s_waitcnt vmcnt(0)
	v_cvt_f32_f16_e32 v2, v2
.LBB33_95:
	s_mov_b64 s[0:1], 0
.LBB33_96:
	s_andn2_b64 vcc, exec, s[0:1]
	s_cbranch_vccnz .LBB33_107
; %bb.97:
	s_waitcnt vmcnt(0)
	v_mov_b32_e32 v2, 6
	v_cmp_lt_i16_sdwa s[0:1], v7, v2 src0_sel:BYTE_0 src1_sel:DWORD
	s_and_b64 vcc, exec, s[0:1]
	s_cbranch_vccnz .LBB33_100
; %bb.98:
	v_cmp_gt_i16_sdwa s[0:1], v7, v2 src0_sel:BYTE_0 src1_sel:DWORD
	s_and_b64 vcc, exec, s[0:1]
	s_cbranch_vccz .LBB33_101
; %bb.99:
	global_load_dwordx2 v[2:3], v[0:1], off
	s_mov_b64 s[0:1], 0
	s_waitcnt vmcnt(0)
	v_cvt_f32_f64_e32 v2, v[2:3]
	s_branch .LBB33_102
.LBB33_100:
	s_mov_b64 s[0:1], -1
                                        ; implicit-def: $vgpr2
	s_branch .LBB33_105
.LBB33_101:
	s_mov_b64 s[0:1], -1
                                        ; implicit-def: $vgpr2
.LBB33_102:
	s_andn2_b64 vcc, exec, s[0:1]
	s_cbranch_vccnz .LBB33_104
; %bb.103:
	global_load_dword v2, v[0:1], off
.LBB33_104:
	s_mov_b64 s[0:1], 0
.LBB33_105:
	s_andn2_b64 vcc, exec, s[0:1]
	s_cbranch_vccnz .LBB33_107
; %bb.106:
	global_load_ushort v2, v[0:1], off
	s_waitcnt vmcnt(0)
	v_cvt_f32_f16_e32 v2, v2
.LBB33_107:
	s_cbranch_execnz .LBB33_127
.LBB33_108:
	s_waitcnt vmcnt(0)
	v_mov_b32_e32 v2, 2
	v_cmp_lt_i16_sdwa s[0:1], v7, v2 src0_sel:BYTE_0 src1_sel:DWORD
	s_and_b64 vcc, exec, s[0:1]
	s_cbranch_vccnz .LBB33_112
; %bb.109:
	v_mov_b32_e32 v2, 3
	v_cmp_lt_i16_sdwa s[0:1], v7, v2 src0_sel:BYTE_0 src1_sel:DWORD
	s_and_b64 vcc, exec, s[0:1]
	s_cbranch_vccnz .LBB33_113
; %bb.110:
	v_cmp_gt_i16_sdwa s[0:1], v7, v2 src0_sel:BYTE_0 src1_sel:DWORD
	s_and_b64 vcc, exec, s[0:1]
	s_cbranch_vccz .LBB33_114
; %bb.111:
	global_load_dwordx2 v[2:3], v[0:1], off
	s_mov_b64 s[0:1], 0
	s_waitcnt vmcnt(0)
	v_xor_b32_e32 v9, v2, v3
	v_ffbh_i32_e32 v8, v3
	v_ashrrev_i32_e32 v9, 31, v9
	v_add_u32_e32 v8, -1, v8
	v_add_u32_e32 v9, 32, v9
	v_min_u32_e32 v8, v8, v9
	v_lshlrev_b64 v[2:3], v8, v[2:3]
	v_min_u32_e32 v2, 1, v2
	v_or_b32_e32 v2, v3, v2
	v_cvt_f32_i32_e32 v2, v2
	v_sub_u32_e32 v3, 32, v8
	v_ldexp_f32 v2, v2, v3
	s_branch .LBB33_115
.LBB33_112:
	s_mov_b64 s[0:1], -1
                                        ; implicit-def: $vgpr2
	s_branch .LBB33_121
.LBB33_113:
	s_mov_b64 s[0:1], -1
                                        ; implicit-def: $vgpr2
	s_branch .LBB33_118
.LBB33_114:
	s_mov_b64 s[0:1], -1
                                        ; implicit-def: $vgpr2
.LBB33_115:
	s_andn2_b64 vcc, exec, s[0:1]
	s_cbranch_vccnz .LBB33_117
; %bb.116:
	global_load_dword v2, v[0:1], off
	s_waitcnt vmcnt(0)
	v_cvt_f32_i32_e32 v2, v2
.LBB33_117:
	s_mov_b64 s[0:1], 0
.LBB33_118:
	s_andn2_b64 vcc, exec, s[0:1]
	s_cbranch_vccnz .LBB33_120
; %bb.119:
	global_load_sshort v2, v[0:1], off
	s_waitcnt vmcnt(0)
	v_cvt_f32_i32_e32 v2, v2
.LBB33_120:
	s_mov_b64 s[0:1], 0
.LBB33_121:
	s_andn2_b64 vcc, exec, s[0:1]
	s_cbranch_vccnz .LBB33_127
; %bb.122:
	v_mov_b32_e32 v2, 0
	v_cmp_gt_i16_sdwa s[0:1], v7, v2 src0_sel:BYTE_0 src1_sel:DWORD
	s_and_b64 vcc, exec, s[0:1]
	s_cbranch_vccz .LBB33_124
; %bb.123:
	global_load_sbyte v2, v[0:1], off
	s_mov_b64 s[0:1], 0
	s_waitcnt vmcnt(0)
	v_cvt_f32_i32_e32 v2, v2
	s_branch .LBB33_125
.LBB33_124:
	s_mov_b64 s[0:1], -1
                                        ; implicit-def: $vgpr2
.LBB33_125:
	s_andn2_b64 vcc, exec, s[0:1]
	s_cbranch_vccnz .LBB33_127
; %bb.126:
	global_load_ubyte v0, v[0:1], off
	s_waitcnt vmcnt(0)
	v_cvt_f32_ubyte0_e32 v2, v0
.LBB33_127:
.LBB33_128:
	v_mul_lo_u32 v0, v5, s14
	v_ashrrev_i32_e32 v1, 31, v0
	v_mov_b32_e32 v3, s17
	v_add_co_u32_e32 v0, vcc, s16, v0
	v_addc_co_u32_e32 v1, vcc, v3, v1, vcc
	v_mov_b32_e32 v3, 11
	s_waitcnt vmcnt(0)
	v_cmp_lt_i16_sdwa s[0:1], v6, v3 src0_sel:BYTE_0 src1_sel:DWORD
	s_and_b64 vcc, exec, s[0:1]
	s_cbranch_vccnz .LBB33_135
; %bb.129:
	v_mov_b32_e32 v3, 25
	v_cmp_gt_i16_sdwa s[0:1], v6, v3 src0_sel:BYTE_0 src1_sel:DWORD
	s_and_b64 vcc, exec, s[0:1]
	s_cbranch_vccz .LBB33_144
; %bb.130:
	v_mov_b32_e32 v3, 28
	v_cmp_gt_i16_sdwa s[0:1], v6, v3 src0_sel:BYTE_0 src1_sel:DWORD
	s_and_b64 vcc, exec, s[0:1]
	s_cbranch_vccz .LBB33_146
	;; [unrolled: 5-line block ×4, first 2 shown]
; %bb.133:
	v_mov_b32_e32 v3, 46
	v_cmp_eq_u16_sdwa s[0:1], v6, v3 src0_sel:BYTE_0 src1_sel:DWORD
	s_mov_b64 s[2:3], 0
	s_and_b64 vcc, exec, s[0:1]
	s_cbranch_vccz .LBB33_152
; %bb.134:
	global_load_dword v3, v[0:1], off
	s_mov_b64 s[0:1], -1
	s_waitcnt vmcnt(0)
	v_lshlrev_b32_e32 v3, 16, v3
	s_branch .LBB33_154
.LBB33_135:
                                        ; implicit-def: $vgpr3
	s_mov_b64 s[0:1], 0
	s_cbranch_execnz .LBB33_331
.LBB33_136:
	s_andn2_b64 vcc, exec, s[0:1]
	s_cbranch_vccnz .LBB33_379
.LBB33_137:
	s_waitcnt vmcnt(0)
	v_div_scale_f32 v0, s[0:1], v3, v3, v2
	v_rcp_f32_e32 v1, v0
	v_div_scale_f32 v8, vcc, v2, v3, v2
	s_mov_b32 s0, 0x800000
	v_fma_f32 v9, -v0, v1, 1.0
	v_fmac_f32_e32 v1, v9, v1
	v_mul_f32_e32 v9, v8, v1
	v_fma_f32 v10, -v0, v9, v8
	v_fmac_f32_e32 v9, v10, v1
	v_fma_f32 v0, -v0, v9, v8
	v_div_fmas_f32 v0, v0, v1, v9
	v_div_fixup_f32 v3, v0, v3, v2
	v_mov_b32_e32 v0, 0x800000
	v_cmp_gt_f32_e64 s[0:1], s0, v3
	v_cndmask_b32_e64 v0, v3, v0, s[0:1]
	s_mov_b32 s2, 0x3f7ffffe
	v_mov_b32_e32 v1, 0x3f7ffffe
	v_cmp_lt_f32_e64 s[2:3], s2, v0
	v_cndmask_b32_e64 v2, v0, v1, s[2:3]
	v_mul_lo_u32 v0, v5, s12
	v_ashrrev_i32_e32 v1, 31, v0
	v_mov_b32_e32 v8, s9
	v_add_co_u32_e32 v0, vcc, s8, v0
	v_addc_co_u32_e32 v1, vcc, v8, v1, vcc
	v_mov_b32_e32 v8, 11
	v_cmp_lt_i16_sdwa s[4:5], v4, v8 src0_sel:BYTE_0 src1_sel:DWORD
	s_and_b64 vcc, exec, s[4:5]
	s_cbranch_vccnz .LBB33_145
; %bb.138:
	v_mov_b32_e32 v8, 25
	v_cmp_gt_i16_sdwa s[4:5], v4, v8 src0_sel:BYTE_0 src1_sel:DWORD
	s_and_b64 vcc, exec, s[4:5]
	s_cbranch_vccz .LBB33_147
; %bb.139:
	v_mov_b32_e32 v8, 28
	v_cmp_gt_i16_sdwa s[4:5], v4, v8 src0_sel:BYTE_0 src1_sel:DWORD
	s_and_b64 vcc, exec, s[4:5]
	s_cbranch_vccz .LBB33_149
	;; [unrolled: 5-line block ×4, first 2 shown]
; %bb.142:
	v_mov_b32_e32 v8, 46
	v_cmp_eq_u16_sdwa s[20:21], v4, v8 src0_sel:BYTE_0 src1_sel:DWORD
	s_mov_b64 s[28:29], 0
	s_mov_b64 s[4:5], -1
	s_and_b64 vcc, exec, s[20:21]
	s_mov_b64 s[20:21], 0
	s_cbranch_vccz .LBB33_159
; %bb.143:
	v_bfe_u32 v8, v2, 16, 1
	s_movk_i32 s4, 0x7fff
	v_add3_u32 v8, v2, v8, s4
	v_lshrrev_b32_e32 v8, 16, v8
	v_mov_b32_e32 v9, 0x7fc0
	v_cmp_o_f32_e32 vcc, v2, v2
	v_cndmask_b32_e32 v8, v9, v8, vcc
	global_store_dword v[0:1], v8, off
	s_mov_b64 s[20:21], -1
	s_branch .LBB33_158
.LBB33_144:
	s_mov_b64 s[2:3], -1
	s_mov_b64 s[0:1], 0
                                        ; implicit-def: $vgpr3
	s_branch .LBB33_295
.LBB33_145:
	s_mov_b64 s[0:1], -1
	s_mov_b64 s[4:5], 0
	s_branch .LBB33_228
.LBB33_146:
	s_mov_b64 s[2:3], -1
	s_mov_b64 s[0:1], 0
                                        ; implicit-def: $vgpr3
	s_branch .LBB33_276
.LBB33_147:
	s_mov_b64 s[28:29], -1
	s_mov_b64 s[4:5], 0
	s_branch .LBB33_186
.LBB33_148:
	s_mov_b64 s[2:3], -1
	s_mov_b64 s[0:1], 0
                                        ; implicit-def: $vgpr3
	s_branch .LBB33_271
.LBB33_149:
	s_mov_b64 s[28:29], -1
	s_mov_b64 s[4:5], 0
	s_branch .LBB33_169
.LBB33_150:
	s_mov_b64 s[2:3], -1
	s_branch .LBB33_153
.LBB33_151:
	s_mov_b64 s[28:29], -1
	s_mov_b64 s[4:5], 0
	s_branch .LBB33_165
.LBB33_152:
	s_mov_b64 s[22:23], -1
.LBB33_153:
	s_mov_b64 s[0:1], 0
                                        ; implicit-def: $vgpr3
.LBB33_154:
	s_and_b64 vcc, exec, s[2:3]
	s_cbranch_vccz .LBB33_270
; %bb.155:
	v_mov_b32_e32 v3, 44
	v_cmp_eq_u16_sdwa s[2:3], v6, v3 src0_sel:BYTE_0 src1_sel:DWORD
	s_and_b64 vcc, exec, s[2:3]
	s_cbranch_vccz .LBB33_269
; %bb.156:
	global_load_ubyte v3, v[0:1], off
	s_movk_i32 s2, 0xff
	v_mov_b32_e32 v8, 0x7f800001
	v_mov_b32_e32 v9, 0x400000
	s_mov_b64 s[0:1], -1
	s_mov_b64 s[22:23], 0
	s_waitcnt vmcnt(0)
	v_lshlrev_b32_e32 v10, 23, v3
	v_cmp_ne_u32_e32 vcc, s2, v3
	v_cndmask_b32_e32 v8, v8, v10, vcc
	v_cmp_ne_u32_e32 vcc, 0, v3
	v_cndmask_b32_e32 v3, v9, v8, vcc
	s_branch .LBB33_270
.LBB33_157:
	s_mov_b64 s[28:29], -1
.LBB33_158:
	s_mov_b64 s[4:5], 0
.LBB33_159:
	s_and_b64 vcc, exec, s[28:29]
	s_cbranch_vccz .LBB33_164
; %bb.160:
	v_mov_b32_e32 v8, 44
	v_cmp_eq_u16_sdwa s[28:29], v4, v8 src0_sel:BYTE_0 src1_sel:DWORD
	s_mov_b64 s[4:5], -1
	s_and_b64 vcc, exec, s[28:29]
	s_cbranch_vccz .LBB33_164
; %bb.161:
	v_bfe_u32 v8, v2, 23, 8
	s_movk_i32 s4, 0xff
	v_cmp_ne_u32_e32 vcc, s4, v8
	v_mov_b32_e32 v9, 0xff
	s_and_saveexec_b64 s[20:21], vcc
; %bb.162:
	s_mov_b32 s4, 0x3fffff
	v_and_b32_e32 v10, 0x400000, v2
	v_and_or_b32 v8, v2, s4, v8
	v_cmp_ne_u32_e32 vcc, 0, v10
	v_cmp_ne_u32_e64 s[4:5], 0, v8
	s_and_b64 s[4:5], vcc, s[4:5]
	v_lshrrev_b32_e32 v9, 23, v2
	v_cndmask_b32_e64 v8, 0, 1, s[4:5]
	v_add_u32_e32 v9, v9, v8
; %bb.163:
	s_or_b64 exec, exec, s[20:21]
	s_mov_b64 s[20:21], -1
	s_mov_b64 s[4:5], 0
	global_store_byte v[0:1], v9, off
.LBB33_164:
	s_mov_b64 s[28:29], 0
.LBB33_165:
	s_and_b64 vcc, exec, s[28:29]
	s_cbranch_vccz .LBB33_168
; %bb.166:
	v_mov_b32_e32 v8, 29
	v_cmp_eq_u16_sdwa s[28:29], v4, v8 src0_sel:BYTE_0 src1_sel:DWORD
	s_mov_b64 s[4:5], -1
	s_and_b64 vcc, exec, s[28:29]
	s_cbranch_vccz .LBB33_168
; %bb.167:
	v_trunc_f32_e32 v8, v2
	v_mul_f32_e32 v9, 0x2f800000, v8
	v_floor_f32_e32 v10, v9
	v_fmac_f32_e32 v8, 0xcf800000, v10
	v_cvt_u32_f32_e32 v9, v10
	v_cvt_u32_f32_e32 v8, v8
	s_mov_b64 s[20:21], -1
	s_mov_b64 s[4:5], 0
	s_mov_b64 s[28:29], 0
	global_store_dwordx2 v[0:1], v[8:9], off
	s_branch .LBB33_169
.LBB33_168:
	s_mov_b64 s[28:29], 0
.LBB33_169:
	s_and_b64 vcc, exec, s[28:29]
	s_cbranch_vccz .LBB33_185
; %bb.170:
	v_mov_b32_e32 v8, 27
	v_cmp_lt_i16_sdwa s[28:29], v4, v8 src0_sel:BYTE_0 src1_sel:DWORD
	s_mov_b64 s[20:21], -1
	s_and_b64 vcc, exec, s[28:29]
	s_cbranch_vccnz .LBB33_176
; %bb.171:
	v_cmp_gt_i16_sdwa s[28:29], v4, v8 src0_sel:BYTE_0 src1_sel:DWORD
	v_cvt_u32_f32_e32 v8, v2
	s_and_b64 vcc, exec, s[28:29]
	s_cbranch_vccz .LBB33_173
; %bb.172:
	s_mov_b64 s[20:21], 0
	global_store_dword v[0:1], v8, off
.LBB33_173:
	s_andn2_b64 vcc, exec, s[20:21]
	s_cbranch_vccnz .LBB33_175
; %bb.174:
	global_store_short v[0:1], v8, off
.LBB33_175:
	s_mov_b64 s[20:21], 0
.LBB33_176:
	s_andn2_b64 vcc, exec, s[20:21]
	s_cbranch_vccnz .LBB33_184
; %bb.177:
	v_mov_b32_e32 v8, 0x800000
	v_cndmask_b32_e64 v8, |v3|, v8, s[0:1]
	v_mov_b32_e32 v9, 0x3f7ffffe
	v_cndmask_b32_e64 v9, v8, v9, s[2:3]
	s_mov_b32 s15, 0x43800000
	v_cmp_gt_u32_e32 vcc, s15, v9
	v_mov_b32_e32 v10, 0x80
	s_and_saveexec_b64 s[20:21], vcc
	s_cbranch_execz .LBB33_183
; %bb.178:
	s_mov_b32 s15, 0x3bffffff
	v_cmp_lt_u32_e32 vcc, s15, v9
	s_mov_b64 s[28:29], 0
                                        ; implicit-def: $vgpr8
	s_and_saveexec_b64 s[34:35], vcc
	s_xor_b64 s[34:35], exec, s[34:35]
	s_cbranch_execz .LBB33_411
; %bb.179:
	v_bfe_u32 v8, v2, 20, 1
	s_mov_b32 s15, 0x487ffff
	v_add3_u32 v8, v2, v8, s15
	s_mov_b64 s[28:29], exec
	v_lshrrev_b32_e32 v8, 20, v8
                                        ; implicit-def: $vgpr9
	s_or_saveexec_b64 s[34:35], s[34:35]
                                        ; implicit-def: $sgpr15
	s_xor_b64 exec, exec, s[34:35]
	s_cbranch_execnz .LBB33_412
.LBB33_180:
	s_or_b64 exec, exec, s[34:35]
	v_mov_b32_e32 v10, s15
	s_and_saveexec_b64 s[34:35], s[28:29]
.LBB33_181:
	v_lshrrev_b32_e32 v9, 24, v2
	s_movk_i32 s15, 0x80
	v_and_or_b32 v10, v9, s15, v8
.LBB33_182:
	s_or_b64 exec, exec, s[34:35]
.LBB33_183:
	s_or_b64 exec, exec, s[20:21]
	global_store_byte v[0:1], v10, off
.LBB33_184:
	s_mov_b64 s[20:21], -1
.LBB33_185:
	s_mov_b64 s[28:29], 0
.LBB33_186:
	s_and_b64 vcc, exec, s[28:29]
	s_cbranch_vccz .LBB33_227
; %bb.187:
	v_mov_b32_e32 v8, 22
	v_cmp_gt_i16_sdwa s[34:35], v4, v8 src0_sel:BYTE_0 src1_sel:DWORD
	s_mov_b64 s[28:29], -1
	s_and_b64 vcc, exec, s[34:35]
	s_cbranch_vccz .LBB33_219
; %bb.188:
	v_mov_b32_e32 v8, 24
	v_cmp_lt_i16_sdwa s[28:29], v4, v8 src0_sel:BYTE_0 src1_sel:DWORD
	s_mov_b64 s[20:21], -1
	s_and_b64 vcc, exec, s[28:29]
	s_cbranch_vccnz .LBB33_208
; %bb.189:
	v_cmp_gt_i16_sdwa s[28:29], v4, v8 src0_sel:BYTE_0 src1_sel:DWORD
	s_and_b64 vcc, exec, s[28:29]
	s_cbranch_vccz .LBB33_197
; %bb.190:
	v_mov_b32_e32 v8, 0x800000
	v_cndmask_b32_e64 v8, |v3|, v8, s[0:1]
	v_mov_b32_e32 v9, 0x3f7ffffe
	v_cndmask_b32_e64 v9, v8, v9, s[2:3]
	s_mov_b32 s15, 0x47800000
	v_cmp_gt_u32_e32 vcc, s15, v9
	v_mov_b32_e32 v10, 0x80
	s_and_saveexec_b64 s[20:21], vcc
	s_cbranch_execz .LBB33_196
; %bb.191:
	s_mov_b32 s15, 0x37ffffff
	v_cmp_lt_u32_e32 vcc, s15, v9
	s_mov_b64 s[28:29], 0
                                        ; implicit-def: $vgpr8
	s_and_saveexec_b64 s[34:35], vcc
	s_xor_b64 s[34:35], exec, s[34:35]
	s_cbranch_execz .LBB33_530
; %bb.192:
	v_bfe_u32 v8, v2, 21, 1
	s_mov_b32 s15, 0x88fffff
	v_add3_u32 v8, v2, v8, s15
	s_mov_b64 s[28:29], exec
	v_lshrrev_b32_e32 v8, 21, v8
                                        ; implicit-def: $vgpr9
	s_or_saveexec_b64 s[34:35], s[34:35]
                                        ; implicit-def: $sgpr15
	s_xor_b64 exec, exec, s[34:35]
	s_cbranch_execnz .LBB33_531
.LBB33_193:
	s_or_b64 exec, exec, s[34:35]
	v_mov_b32_e32 v10, s15
	s_and_saveexec_b64 s[34:35], s[28:29]
.LBB33_194:
	v_lshrrev_b32_e32 v9, 24, v2
	s_movk_i32 s15, 0x80
	v_and_or_b32 v10, v9, s15, v8
.LBB33_195:
	s_or_b64 exec, exec, s[34:35]
.LBB33_196:
	s_or_b64 exec, exec, s[20:21]
	s_mov_b64 s[20:21], 0
	global_store_byte v[0:1], v10, off
.LBB33_197:
	s_and_b64 vcc, exec, s[20:21]
	s_cbranch_vccz .LBB33_207
; %bb.198:
	v_mov_b32_e32 v8, 0x800000
	v_cndmask_b32_e64 v8, |v3|, v8, s[0:1]
	v_mov_b32_e32 v9, 0x3f7ffffe
	v_cndmask_b32_e64 v9, v8, v9, s[2:3]
	s_mov_b32 s15, 0x43f00000
	v_cmp_gt_u32_e32 vcc, s15, v9
                                        ; implicit-def: $vgpr8
	s_and_saveexec_b64 s[20:21], vcc
	s_xor_b64 s[20:21], exec, s[20:21]
	s_cbranch_execz .LBB33_204
; %bb.199:
	s_mov_b32 s15, 0x3c7fffff
	v_cmp_lt_u32_e32 vcc, s15, v9
                                        ; implicit-def: $vgpr8
	s_and_saveexec_b64 s[28:29], vcc
	s_xor_b64 s[28:29], exec, s[28:29]
; %bb.200:
	v_bfe_u32 v8, v2, 20, 1
	s_mov_b32 s15, 0x407ffff
	v_add3_u32 v8, v2, v8, s15
	v_lshrrev_b32_e32 v9, 20, v8
	v_and_b32_e32 v8, 0xff00000, v8
	s_mov_b32 s15, 0x7f00000
	v_mov_b32_e32 v10, 0x7e
	v_cmp_ne_u32_e32 vcc, s15, v8
	v_cndmask_b32_e32 v8, v10, v9, vcc
                                        ; implicit-def: $vgpr9
; %bb.201:
	s_andn2_saveexec_b64 s[28:29], s[28:29]
; %bb.202:
	v_add_f32_e32 v8, 0x46800000, v9
; %bb.203:
	s_or_b64 exec, exec, s[28:29]
                                        ; implicit-def: $vgpr9
.LBB33_204:
	s_andn2_saveexec_b64 s[20:21], s[20:21]
; %bb.205:
	s_mov_b32 s15, 0x7f800000
	v_mov_b32_e32 v8, 0x7e
	v_mov_b32_e32 v10, 0x7f
	v_cmp_lt_u32_e32 vcc, s15, v9
	v_cndmask_b32_e32 v8, v8, v10, vcc
; %bb.206:
	s_or_b64 exec, exec, s[20:21]
	v_lshrrev_b32_e32 v9, 24, v2
	s_movk_i32 s15, 0x80
	v_and_or_b32 v8, v9, s15, v8
	global_store_byte v[0:1], v8, off
.LBB33_207:
	s_mov_b64 s[20:21], 0
.LBB33_208:
	s_andn2_b64 vcc, exec, s[20:21]
	s_cbranch_vccnz .LBB33_218
; %bb.209:
	v_mov_b32_e32 v8, 0x800000
	v_cndmask_b32_e64 v3, |v3|, v8, s[0:1]
	v_mov_b32_e32 v8, 0x3f7ffffe
	v_cndmask_b32_e64 v8, v3, v8, s[2:3]
	s_mov_b32 s0, 0x47800000
	v_cmp_gt_u32_e32 vcc, s0, v8
                                        ; implicit-def: $vgpr3
	s_and_saveexec_b64 s[0:1], vcc
	s_xor_b64 s[0:1], exec, s[0:1]
	s_cbranch_execz .LBB33_215
; %bb.210:
	s_mov_b32 s2, 0x387fffff
	v_cmp_lt_u32_e32 vcc, s2, v8
                                        ; implicit-def: $vgpr3
	s_and_saveexec_b64 s[2:3], vcc
	s_xor_b64 s[2:3], exec, s[2:3]
; %bb.211:
	v_bfe_u32 v3, v2, 21, 1
	s_mov_b32 s15, 0x80fffff
	v_add3_u32 v3, v2, v3, s15
	v_lshrrev_b32_e32 v3, 21, v3
                                        ; implicit-def: $vgpr8
; %bb.212:
	s_andn2_saveexec_b64 s[2:3], s[2:3]
; %bb.213:
	v_add_f32_e32 v3, 0x43000000, v8
; %bb.214:
	s_or_b64 exec, exec, s[2:3]
                                        ; implicit-def: $vgpr8
.LBB33_215:
	s_andn2_saveexec_b64 s[0:1], s[0:1]
; %bb.216:
	s_mov_b32 s2, 0x7f800000
	v_mov_b32_e32 v3, 0x7c
	v_mov_b32_e32 v9, 0x7f
	v_cmp_lt_u32_e32 vcc, s2, v8
	v_cndmask_b32_e32 v3, v3, v9, vcc
; %bb.217:
	s_or_b64 exec, exec, s[0:1]
	v_lshrrev_b32_e32 v8, 24, v2
	s_movk_i32 s0, 0x80
	v_and_or_b32 v3, v8, s0, v3
	global_store_byte v[0:1], v3, off
.LBB33_218:
	s_mov_b64 s[28:29], 0
	s_mov_b64 s[20:21], -1
.LBB33_219:
	s_andn2_b64 vcc, exec, s[28:29]
	s_cbranch_vccnz .LBB33_227
; %bb.220:
	v_mov_b32_e32 v3, 14
	v_cmp_gt_i16_sdwa s[2:3], v4, v3 src0_sel:BYTE_0 src1_sel:DWORD
	s_mov_b64 s[0:1], -1
	s_and_b64 vcc, exec, s[2:3]
	s_cbranch_vccz .LBB33_224
; %bb.221:
	v_mov_b32_e32 v3, 15
	v_cmp_eq_u16_sdwa s[0:1], v4, v3 src0_sel:BYTE_0 src1_sel:DWORD
	s_mov_b64 s[4:5], -1
	s_and_b64 vcc, exec, s[0:1]
	s_cbranch_vccz .LBB33_223
; %bb.222:
	v_bfe_u32 v3, v2, 16, 1
	s_movk_i32 s0, 0x7fff
	v_add3_u32 v3, v2, v3, s0
	v_lshrrev_b32_e32 v3, 16, v3
	v_mov_b32_e32 v8, 0x7fc0
	v_cmp_o_f32_e32 vcc, v2, v2
	v_cndmask_b32_e32 v3, v8, v3, vcc
	global_store_short v[0:1], v3, off
	s_mov_b64 s[20:21], -1
	s_mov_b64 s[4:5], 0
.LBB33_223:
	s_mov_b64 s[0:1], 0
.LBB33_224:
	s_and_b64 vcc, exec, s[0:1]
	s_cbranch_vccz .LBB33_227
; %bb.225:
	v_mov_b32_e32 v3, 11
	v_cmp_eq_u16_sdwa s[0:1], v4, v3 src0_sel:BYTE_0 src1_sel:DWORD
	s_mov_b64 s[4:5], -1
	s_and_b64 vcc, exec, s[0:1]
	s_cbranch_vccz .LBB33_227
; %bb.226:
	v_mov_b32_e32 v3, 1
	s_mov_b64 s[20:21], -1
	s_mov_b64 s[4:5], 0
	global_store_byte v[0:1], v3, off
.LBB33_227:
	s_mov_b64 s[0:1], 0
.LBB33_228:
	s_and_b64 vcc, exec, s[0:1]
	s_cbranch_vccz .LBB33_267
; %bb.229:
	v_mov_b32_e32 v3, 5
	v_cmp_lt_i16_sdwa s[2:3], v4, v3 src0_sel:BYTE_0 src1_sel:DWORD
	s_mov_b64 s[0:1], -1
	s_and_b64 vcc, exec, s[2:3]
	s_cbranch_vccnz .LBB33_250
; %bb.230:
	v_mov_b32_e32 v3, 8
	v_cmp_lt_i16_sdwa s[2:3], v4, v3 src0_sel:BYTE_0 src1_sel:DWORD
	s_and_b64 vcc, exec, s[2:3]
	s_cbranch_vccnz .LBB33_240
; %bb.231:
	v_mov_b32_e32 v3, 9
	v_cmp_lt_i16_sdwa s[2:3], v4, v3 src0_sel:BYTE_0 src1_sel:DWORD
	s_and_b64 vcc, exec, s[2:3]
	s_cbranch_vccnz .LBB33_237
; %bb.232:
	v_cmp_gt_i16_sdwa s[2:3], v4, v3 src0_sel:BYTE_0 src1_sel:DWORD
	s_and_b64 vcc, exec, s[2:3]
	s_cbranch_vccz .LBB33_234
; %bb.233:
	v_mov_b32_e32 v10, 0
	v_cvt_f64_f32_e32 v[8:9], v2
	v_mov_b32_e32 v11, v10
	global_store_dwordx4 v[0:1], v[8:11], off
	s_mov_b64 s[0:1], 0
.LBB33_234:
	s_andn2_b64 vcc, exec, s[0:1]
	s_cbranch_vccnz .LBB33_236
; %bb.235:
	v_mov_b32_e32 v3, 0
	global_store_dwordx2 v[0:1], v[2:3], off
.LBB33_236:
	s_mov_b64 s[0:1], 0
.LBB33_237:
	s_andn2_b64 vcc, exec, s[0:1]
	s_cbranch_vccnz .LBB33_239
; %bb.238:
	v_cvt_f16_f32_e32 v3, v2
	global_store_dword v[0:1], v3, off
.LBB33_239:
	s_mov_b64 s[0:1], 0
.LBB33_240:
	s_andn2_b64 vcc, exec, s[0:1]
	s_cbranch_vccnz .LBB33_249
; %bb.241:
	v_mov_b32_e32 v3, 6
	v_cmp_lt_i16_sdwa s[2:3], v4, v3 src0_sel:BYTE_0 src1_sel:DWORD
	s_mov_b64 s[0:1], -1
	s_and_b64 vcc, exec, s[2:3]
	s_cbranch_vccnz .LBB33_247
; %bb.242:
	v_cmp_gt_i16_sdwa s[2:3], v4, v3 src0_sel:BYTE_0 src1_sel:DWORD
	s_and_b64 vcc, exec, s[2:3]
	s_cbranch_vccz .LBB33_244
; %bb.243:
	v_cvt_f64_f32_e32 v[8:9], v2
	global_store_dwordx2 v[0:1], v[8:9], off
	s_mov_b64 s[0:1], 0
.LBB33_244:
	s_andn2_b64 vcc, exec, s[0:1]
	s_cbranch_vccnz .LBB33_246
; %bb.245:
	global_store_dword v[0:1], v2, off
.LBB33_246:
	s_mov_b64 s[0:1], 0
.LBB33_247:
	s_andn2_b64 vcc, exec, s[0:1]
	s_cbranch_vccnz .LBB33_249
; %bb.248:
	v_cvt_f16_f32_e32 v3, v2
	global_store_short v[0:1], v3, off
.LBB33_249:
	s_mov_b64 s[0:1], 0
.LBB33_250:
	s_andn2_b64 vcc, exec, s[0:1]
	s_cbranch_vccnz .LBB33_266
; %bb.251:
	v_mov_b32_e32 v3, 2
	v_cmp_lt_i16_sdwa s[2:3], v4, v3 src0_sel:BYTE_0 src1_sel:DWORD
	s_mov_b64 s[0:1], -1
	s_and_b64 vcc, exec, s[2:3]
	s_cbranch_vccnz .LBB33_261
; %bb.252:
	v_mov_b32_e32 v3, 3
	v_cmp_lt_i16_sdwa s[2:3], v4, v3 src0_sel:BYTE_0 src1_sel:DWORD
	s_and_b64 vcc, exec, s[2:3]
	s_cbranch_vccnz .LBB33_258
; %bb.253:
	v_cmp_gt_i16_sdwa s[2:3], v4, v3 src0_sel:BYTE_0 src1_sel:DWORD
	s_and_b64 vcc, exec, s[2:3]
	s_cbranch_vccz .LBB33_255
; %bb.254:
	v_trunc_f32_e32 v3, v2
	s_mov_b32 s0, 0x2f800000
	v_mul_f32_e64 v8, |v3|, s0
	v_floor_f32_e32 v8, v8
	s_mov_b32 s0, 0xcf800000
	v_cvt_u32_f32_e32 v9, v8
	v_fma_f32 v8, v8, s0, |v3|
	v_cvt_u32_f32_e32 v8, v8
	v_ashrrev_i32_e32 v3, 31, v3
	v_xor_b32_e32 v9, v9, v3
	s_mov_b64 s[0:1], 0
	v_xor_b32_e32 v8, v8, v3
	v_sub_co_u32_e32 v8, vcc, v8, v3
	v_subb_co_u32_e32 v9, vcc, v9, v3, vcc
	global_store_dwordx2 v[0:1], v[8:9], off
.LBB33_255:
	s_andn2_b64 vcc, exec, s[0:1]
	s_cbranch_vccnz .LBB33_257
; %bb.256:
	v_cvt_i32_f32_e32 v3, v2
	global_store_dword v[0:1], v3, off
.LBB33_257:
	s_mov_b64 s[0:1], 0
.LBB33_258:
	s_andn2_b64 vcc, exec, s[0:1]
	s_cbranch_vccnz .LBB33_260
; %bb.259:
	v_cvt_i32_f32_e32 v3, v2
	global_store_short v[0:1], v3, off
.LBB33_260:
	s_mov_b64 s[0:1], 0
.LBB33_261:
	s_andn2_b64 vcc, exec, s[0:1]
	s_cbranch_vccnz .LBB33_266
; %bb.262:
	v_mov_b32_e32 v3, 0
	v_cmp_gt_i16_sdwa s[2:3], v4, v3 src0_sel:BYTE_0 src1_sel:DWORD
	s_mov_b64 s[0:1], -1
	s_and_b64 vcc, exec, s[2:3]
	s_cbranch_vccz .LBB33_264
; %bb.263:
	v_cvt_i32_f32_e32 v3, v2
	s_mov_b64 s[0:1], 0
	global_store_byte v[0:1], v3, off
.LBB33_264:
	s_andn2_b64 vcc, exec, s[0:1]
	s_cbranch_vccnz .LBB33_266
; %bb.265:
	v_trunc_f32_e32 v2, v2
	s_mov_b32 s0, 0x2f800000
	v_mul_f32_e64 v3, |v2|, s0
	v_floor_f32_e32 v3, v3
	s_mov_b32 s0, 0xcf800000
	v_fma_f32 v3, v3, s0, |v2|
	v_cvt_u32_f32_e32 v3, v3
	v_ashrrev_i32_e32 v2, 31, v2
	v_xor_b32_e32 v3, v3, v2
	v_sub_u32_e32 v2, v3, v2
	global_store_byte v[0:1], v2, off
.LBB33_266:
	s_mov_b64 s[20:21], -1
.LBB33_267:
	s_andn2_b64 vcc, exec, s[20:21]
	s_cbranch_vccnz .LBB33_380
; %bb.268:
	v_add_u32_e32 v5, 0x80, v5
	s_mov_b64 s[0:1], -1
	s_branch .LBB33_381
.LBB33_269:
	s_mov_b64 s[22:23], -1
                                        ; implicit-def: $vgpr3
.LBB33_270:
	s_mov_b64 s[2:3], 0
.LBB33_271:
	s_and_b64 vcc, exec, s[2:3]
	s_cbranch_vccz .LBB33_275
; %bb.272:
	v_mov_b32_e32 v3, 29
	v_cmp_eq_u16_sdwa s[2:3], v6, v3 src0_sel:BYTE_0 src1_sel:DWORD
	s_and_b64 vcc, exec, s[2:3]
	s_cbranch_vccz .LBB33_274
; %bb.273:
	global_load_dwordx2 v[8:9], v[0:1], off
	s_mov_b64 s[0:1], -1
	s_mov_b64 s[22:23], 0
	s_mov_b64 s[2:3], 0
	s_waitcnt vmcnt(0)
	v_ffbh_u32_e32 v3, v9
	v_min_u32_e32 v3, 32, v3
	v_lshlrev_b64 v[8:9], v3, v[8:9]
	v_min_u32_e32 v8, 1, v8
	v_or_b32_e32 v8, v9, v8
	v_cvt_f32_u32_e32 v8, v8
	v_sub_u32_e32 v3, 32, v3
	v_ldexp_f32 v3, v8, v3
	s_branch .LBB33_276
.LBB33_274:
	s_mov_b64 s[22:23], -1
                                        ; implicit-def: $vgpr3
.LBB33_275:
	s_mov_b64 s[2:3], 0
.LBB33_276:
	s_and_b64 vcc, exec, s[2:3]
	s_cbranch_vccz .LBB33_294
; %bb.277:
	v_mov_b32_e32 v3, 27
	v_cmp_lt_i16_sdwa s[0:1], v6, v3 src0_sel:BYTE_0 src1_sel:DWORD
	s_and_b64 vcc, exec, s[0:1]
	s_cbranch_vccnz .LBB33_280
; %bb.278:
	v_cmp_gt_i16_sdwa s[0:1], v6, v3 src0_sel:BYTE_0 src1_sel:DWORD
	s_and_b64 vcc, exec, s[0:1]
	s_cbranch_vccz .LBB33_281
; %bb.279:
	global_load_dword v3, v[0:1], off
	s_mov_b64 s[0:1], 0
	s_waitcnt vmcnt(0)
	v_cvt_f32_u32_e32 v3, v3
	s_branch .LBB33_282
.LBB33_280:
	s_mov_b64 s[0:1], -1
                                        ; implicit-def: $vgpr3
	s_branch .LBB33_285
.LBB33_281:
	s_mov_b64 s[0:1], -1
                                        ; implicit-def: $vgpr3
.LBB33_282:
	s_andn2_b64 vcc, exec, s[0:1]
	s_cbranch_vccnz .LBB33_284
; %bb.283:
	global_load_ushort v3, v[0:1], off
	s_waitcnt vmcnt(0)
	v_cvt_f32_u32_e32 v3, v3
.LBB33_284:
	s_mov_b64 s[0:1], 0
.LBB33_285:
	s_andn2_b64 vcc, exec, s[0:1]
	s_cbranch_vccnz .LBB33_293
; %bb.286:
	global_load_ubyte v8, v[0:1], off
	s_movk_i32 s0, 0x7f
                                        ; implicit-def: $sgpr15
	s_waitcnt vmcnt(0)
	v_cmp_lt_i16_e32 vcc, s0, v8
	s_mov_b64 s[0:1], 0
	s_and_saveexec_b64 s[2:3], vcc
	s_xor_b64 s[2:3], exec, s[2:3]
	s_cbranch_execz .LBB33_307
; %bb.287:
	s_movk_i32 s0, 0x80
	v_cmp_eq_u16_e32 vcc, s0, v8
	s_mov_b64 s[0:1], -1
                                        ; implicit-def: $sgpr15
	s_and_saveexec_b64 s[4:5], vcc
; %bb.288:
	s_mov_b32 s15, 0x7f800001
	s_xor_b64 s[0:1], exec, -1
; %bb.289:
	s_or_b64 exec, exec, s[4:5]
	s_and_b64 s[0:1], s[0:1], exec
	s_or_saveexec_b64 s[2:3], s[2:3]
	v_mov_b32_e32 v3, s15
	s_xor_b64 exec, exec, s[2:3]
	s_cbranch_execnz .LBB33_308
.LBB33_290:
	s_or_b64 exec, exec, s[2:3]
	s_and_saveexec_b64 s[2:3], s[0:1]
	s_cbranch_execz .LBB33_292
.LBB33_291:
	v_lshlrev_b32_e32 v3, 24, v8
	v_and_b32_e32 v8, 0xffff, v8
	v_and_b32_e32 v9, 7, v8
	v_ffbh_u32_e32 v11, v9
	v_min_u32_e32 v11, 32, v11
	v_subrev_u32_e32 v12, 28, v11
	v_bfe_u32 v10, v8, 3, 4
	v_lshlrev_b32_e32 v8, v12, v8
	v_sub_u32_e32 v11, 29, v11
	v_and_b32_e32 v8, 7, v8
	v_cmp_eq_u32_e32 vcc, 0, v10
	v_cndmask_b32_e32 v10, v10, v11, vcc
	v_cndmask_b32_e32 v8, v9, v8, vcc
	v_mov_b32_e32 v9, 0x3b800000
	v_lshlrev_b32_e32 v8, 20, v8
	v_and_b32_e32 v3, 0x80000000, v3
	v_lshl_add_u32 v9, v10, 23, v9
	v_or3_b32 v3, v3, v9, v8
.LBB33_292:
	s_or_b64 exec, exec, s[2:3]
.LBB33_293:
	s_mov_b64 s[0:1], -1
.LBB33_294:
	s_mov_b64 s[2:3], 0
.LBB33_295:
	s_and_b64 vcc, exec, s[2:3]
	s_cbranch_vccz .LBB33_330
; %bb.296:
	v_mov_b32_e32 v3, 22
	v_cmp_gt_i16_sdwa s[2:3], v6, v3 src0_sel:BYTE_0 src1_sel:DWORD
	s_and_b64 vcc, exec, s[2:3]
	s_cbranch_vccz .LBB33_306
; %bb.297:
	v_mov_b32_e32 v3, 24
	v_cmp_lt_i16_sdwa s[0:1], v6, v3 src0_sel:BYTE_0 src1_sel:DWORD
	s_and_b64 vcc, exec, s[0:1]
	s_cbranch_vccnz .LBB33_309
; %bb.298:
	v_cmp_gt_i16_sdwa s[0:1], v6, v3 src0_sel:BYTE_0 src1_sel:DWORD
	s_and_b64 vcc, exec, s[0:1]
	s_cbranch_vccz .LBB33_310
; %bb.299:
	global_load_ubyte v8, v[0:1], off
	s_movk_i32 s0, 0x7f
                                        ; implicit-def: $sgpr15
	s_waitcnt vmcnt(0)
	v_cmp_lt_i16_e32 vcc, s0, v8
	s_mov_b64 s[0:1], 0
	s_and_saveexec_b64 s[2:3], vcc
	s_xor_b64 s[2:3], exec, s[2:3]
	s_cbranch_execz .LBB33_322
; %bb.300:
	s_movk_i32 s0, 0x80
	v_cmp_eq_u16_e32 vcc, s0, v8
	s_mov_b64 s[0:1], -1
                                        ; implicit-def: $sgpr15
	s_and_saveexec_b64 s[4:5], vcc
; %bb.301:
	s_mov_b32 s15, 0x7f800001
	s_xor_b64 s[0:1], exec, -1
; %bb.302:
	s_or_b64 exec, exec, s[4:5]
	s_and_b64 s[0:1], s[0:1], exec
	s_or_saveexec_b64 s[2:3], s[2:3]
	v_mov_b32_e32 v3, s15
	s_xor_b64 exec, exec, s[2:3]
	s_cbranch_execnz .LBB33_323
.LBB33_303:
	s_or_b64 exec, exec, s[2:3]
	s_and_saveexec_b64 s[2:3], s[0:1]
	s_cbranch_execz .LBB33_305
.LBB33_304:
	v_lshlrev_b32_e32 v3, 24, v8
	v_and_b32_e32 v8, 0xffff, v8
	v_and_b32_e32 v9, 3, v8
	v_ffbh_u32_e32 v11, v9
	v_min_u32_e32 v11, 32, v11
	v_subrev_u32_e32 v12, 29, v11
	v_bfe_u32 v10, v8, 2, 5
	v_lshlrev_b32_e32 v8, v12, v8
	v_sub_u32_e32 v11, 30, v11
	v_and_b32_e32 v8, 3, v8
	v_cmp_eq_u32_e32 vcc, 0, v10
	v_cndmask_b32_e32 v10, v10, v11, vcc
	v_cndmask_b32_e32 v8, v9, v8, vcc
	v_mov_b32_e32 v9, 0x37800000
	v_lshlrev_b32_e32 v8, 21, v8
	v_and_b32_e32 v3, 0x80000000, v3
	v_lshl_add_u32 v9, v10, 23, v9
	v_or3_b32 v3, v3, v9, v8
.LBB33_305:
	s_or_b64 exec, exec, s[2:3]
	s_mov_b64 s[0:1], 0
	s_branch .LBB33_311
.LBB33_306:
	s_mov_b64 s[2:3], -1
                                        ; implicit-def: $vgpr3
	s_branch .LBB33_317
.LBB33_307:
	s_or_saveexec_b64 s[2:3], s[2:3]
	v_mov_b32_e32 v3, s15
	s_xor_b64 exec, exec, s[2:3]
	s_cbranch_execz .LBB33_290
.LBB33_308:
	v_cmp_ne_u16_e32 vcc, 0, v8
	s_andn2_b64 s[0:1], s[0:1], exec
	s_and_b64 s[4:5], vcc, exec
	v_mov_b32_e32 v3, 0
	s_or_b64 s[0:1], s[0:1], s[4:5]
	s_or_b64 exec, exec, s[2:3]
	s_and_saveexec_b64 s[2:3], s[0:1]
	s_cbranch_execnz .LBB33_291
	s_branch .LBB33_292
.LBB33_309:
	s_mov_b64 s[0:1], -1
                                        ; implicit-def: $vgpr3
	s_branch .LBB33_314
.LBB33_310:
	s_mov_b64 s[0:1], -1
                                        ; implicit-def: $vgpr3
.LBB33_311:
	s_and_b64 vcc, exec, s[0:1]
	s_cbranch_vccz .LBB33_313
; %bb.312:
	global_load_ubyte v3, v[0:1], off
	s_mov_b32 s0, 0x7f800000
	s_waitcnt vmcnt(0)
	v_lshlrev_b32_e32 v3, 24, v3
	v_and_b32_e32 v8, 0x7f000000, v3
	v_ffbh_u32_e32 v9, v8
	v_min_u32_e32 v9, 32, v9
	v_sub_u32_e64 v9, v9, 4 clamp
	v_lshlrev_b32_e32 v11, v9, v8
	v_lshlrev_b32_e32 v9, 23, v9
	v_lshrrev_b32_e32 v11, 4, v11
	v_add_u32_e32 v10, 0x1000000, v8
	v_sub_u32_e32 v9, v11, v9
	v_ashrrev_i32_e32 v10, 8, v10
	v_add_u32_e32 v9, 0x3c000000, v9
	v_and_or_b32 v9, v10, s0, v9
	v_cmp_ne_u32_e32 vcc, 0, v8
	v_cndmask_b32_e32 v8, 0, v9, vcc
	s_brev_b32 s0, 1
	v_and_or_b32 v3, v3, s0, v8
.LBB33_313:
	s_mov_b64 s[0:1], 0
.LBB33_314:
	s_andn2_b64 vcc, exec, s[0:1]
	s_cbranch_vccnz .LBB33_316
; %bb.315:
	global_load_ubyte v3, v[0:1], off
	s_movk_i32 s0, 0x7f00
	s_brev_b32 s1, 16
	s_waitcnt vmcnt(0)
	v_lshlrev_b16_e32 v8, 8, v3
	v_lshlrev_b32_e32 v3, 25, v3
	v_lshrrev_b32_e32 v9, 4, v3
	v_and_or_b32 v10, v8, s0, 0.5
	v_or_b32_e32 v9, 0x70000000, v9
	v_add_f32_e32 v10, -0.5, v10
	v_mul_f32_e32 v9, 0x7800000, v9
	v_cmp_gt_u32_e32 vcc, s1, v3
	v_bfe_i32 v8, v8, 0, 16
	v_cndmask_b32_e32 v3, v9, v10, vcc
	s_brev_b32 s0, 1
	v_and_or_b32 v3, v8, s0, v3
.LBB33_316:
	s_mov_b64 s[2:3], 0
	s_mov_b64 s[0:1], -1
.LBB33_317:
	s_andn2_b64 vcc, exec, s[2:3]
	s_cbranch_vccnz .LBB33_330
; %bb.318:
	v_mov_b32_e32 v3, 14
	v_cmp_gt_i16_sdwa s[2:3], v6, v3 src0_sel:BYTE_0 src1_sel:DWORD
	s_and_b64 vcc, exec, s[2:3]
	s_cbranch_vccz .LBB33_321
; %bb.319:
	v_mov_b32_e32 v3, 15
	v_cmp_eq_u16_sdwa s[2:3], v6, v3 src0_sel:BYTE_0 src1_sel:DWORD
	s_and_b64 vcc, exec, s[2:3]
	s_cbranch_vccz .LBB33_324
; %bb.320:
	global_load_ushort v3, v[0:1], off
	s_mov_b64 s[0:1], -1
	s_mov_b64 s[22:23], 0
	s_waitcnt vmcnt(0)
	v_lshlrev_b32_e32 v3, 16, v3
	s_branch .LBB33_325
.LBB33_321:
	s_mov_b64 s[2:3], -1
                                        ; implicit-def: $vgpr3
	s_branch .LBB33_326
.LBB33_322:
	s_or_saveexec_b64 s[2:3], s[2:3]
	v_mov_b32_e32 v3, s15
	s_xor_b64 exec, exec, s[2:3]
	s_cbranch_execz .LBB33_303
.LBB33_323:
	v_cmp_ne_u16_e32 vcc, 0, v8
	s_andn2_b64 s[0:1], s[0:1], exec
	s_and_b64 s[4:5], vcc, exec
	v_mov_b32_e32 v3, 0
	s_or_b64 s[0:1], s[0:1], s[4:5]
	s_or_b64 exec, exec, s[2:3]
	s_and_saveexec_b64 s[2:3], s[0:1]
	s_cbranch_execnz .LBB33_304
	s_branch .LBB33_305
.LBB33_324:
	s_mov_b64 s[22:23], -1
                                        ; implicit-def: $vgpr3
.LBB33_325:
	s_mov_b64 s[2:3], 0
.LBB33_326:
	s_and_b64 vcc, exec, s[2:3]
	s_cbranch_vccz .LBB33_330
; %bb.327:
	v_mov_b32_e32 v3, 11
	v_cmp_eq_u16_sdwa s[2:3], v6, v3 src0_sel:BYTE_0 src1_sel:DWORD
	s_and_b64 vcc, exec, s[2:3]
	s_cbranch_vccz .LBB33_329
; %bb.328:
	global_load_ubyte v3, v[0:1], off
	s_mov_b64 s[0:1], -1
	s_mov_b64 s[22:23], 0
	s_waitcnt vmcnt(0)
	v_cmp_ne_u16_e32 vcc, 0, v3
	v_cndmask_b32_e64 v3, 0, 1.0, vcc
	s_branch .LBB33_330
.LBB33_329:
	s_mov_b64 s[22:23], -1
                                        ; implicit-def: $vgpr3
.LBB33_330:
	s_branch .LBB33_136
.LBB33_331:
	v_mov_b32_e32 v3, 5
	v_cmp_lt_i16_sdwa s[0:1], v6, v3 src0_sel:BYTE_0 src1_sel:DWORD
	s_and_b64 vcc, exec, s[0:1]
	s_cbranch_vccnz .LBB33_336
; %bb.332:
	v_mov_b32_e32 v3, 8
	v_cmp_lt_i16_sdwa s[0:1], v6, v3 src0_sel:BYTE_0 src1_sel:DWORD
	s_and_b64 vcc, exec, s[0:1]
	s_cbranch_vccnz .LBB33_337
; %bb.333:
	;; [unrolled: 5-line block ×3, first 2 shown]
	v_cmp_gt_i16_sdwa s[0:1], v6, v3 src0_sel:BYTE_0 src1_sel:DWORD
	s_and_b64 vcc, exec, s[0:1]
	s_cbranch_vccz .LBB33_339
; %bb.335:
	global_load_dwordx2 v[8:9], v[0:1], off
	s_mov_b64 s[0:1], 0
	s_waitcnt vmcnt(0)
	v_cvt_f32_f64_e32 v3, v[8:9]
	s_branch .LBB33_340
.LBB33_336:
	s_mov_b64 s[0:1], -1
                                        ; implicit-def: $vgpr3
	s_branch .LBB33_358
.LBB33_337:
	s_mov_b64 s[0:1], -1
                                        ; implicit-def: $vgpr3
	s_branch .LBB33_346
.LBB33_338:
	s_mov_b64 s[0:1], -1
                                        ; implicit-def: $vgpr3
	s_branch .LBB33_343
.LBB33_339:
	s_mov_b64 s[0:1], -1
                                        ; implicit-def: $vgpr3
.LBB33_340:
	s_andn2_b64 vcc, exec, s[0:1]
	s_cbranch_vccnz .LBB33_342
; %bb.341:
	global_load_dword v3, v[0:1], off
.LBB33_342:
	s_mov_b64 s[0:1], 0
.LBB33_343:
	s_andn2_b64 vcc, exec, s[0:1]
	s_cbranch_vccnz .LBB33_345
; %bb.344:
	global_load_dword v3, v[0:1], off
	s_waitcnt vmcnt(0)
	v_cvt_f32_f16_e32 v3, v3
.LBB33_345:
	s_mov_b64 s[0:1], 0
.LBB33_346:
	s_andn2_b64 vcc, exec, s[0:1]
	s_cbranch_vccnz .LBB33_357
; %bb.347:
	s_waitcnt vmcnt(0)
	v_mov_b32_e32 v3, 6
	v_cmp_lt_i16_sdwa s[0:1], v6, v3 src0_sel:BYTE_0 src1_sel:DWORD
	s_and_b64 vcc, exec, s[0:1]
	s_cbranch_vccnz .LBB33_350
; %bb.348:
	v_cmp_gt_i16_sdwa s[0:1], v6, v3 src0_sel:BYTE_0 src1_sel:DWORD
	s_and_b64 vcc, exec, s[0:1]
	s_cbranch_vccz .LBB33_351
; %bb.349:
	global_load_dwordx2 v[8:9], v[0:1], off
	s_mov_b64 s[0:1], 0
	s_waitcnt vmcnt(0)
	v_cvt_f32_f64_e32 v3, v[8:9]
	s_branch .LBB33_352
.LBB33_350:
	s_mov_b64 s[0:1], -1
                                        ; implicit-def: $vgpr3
	s_branch .LBB33_355
.LBB33_351:
	s_mov_b64 s[0:1], -1
                                        ; implicit-def: $vgpr3
.LBB33_352:
	s_andn2_b64 vcc, exec, s[0:1]
	s_cbranch_vccnz .LBB33_354
; %bb.353:
	global_load_dword v3, v[0:1], off
.LBB33_354:
	s_mov_b64 s[0:1], 0
.LBB33_355:
	s_andn2_b64 vcc, exec, s[0:1]
	s_cbranch_vccnz .LBB33_357
; %bb.356:
	global_load_ushort v3, v[0:1], off
	s_waitcnt vmcnt(0)
	v_cvt_f32_f16_e32 v3, v3
.LBB33_357:
	s_mov_b64 s[0:1], 0
.LBB33_358:
	s_andn2_b64 vcc, exec, s[0:1]
	s_cbranch_vccnz .LBB33_378
; %bb.359:
	s_waitcnt vmcnt(0)
	v_mov_b32_e32 v3, 2
	v_cmp_lt_i16_sdwa s[0:1], v6, v3 src0_sel:BYTE_0 src1_sel:DWORD
	s_and_b64 vcc, exec, s[0:1]
	s_cbranch_vccnz .LBB33_363
; %bb.360:
	v_mov_b32_e32 v3, 3
	v_cmp_lt_i16_sdwa s[0:1], v6, v3 src0_sel:BYTE_0 src1_sel:DWORD
	s_and_b64 vcc, exec, s[0:1]
	s_cbranch_vccnz .LBB33_364
; %bb.361:
	v_cmp_gt_i16_sdwa s[0:1], v6, v3 src0_sel:BYTE_0 src1_sel:DWORD
	s_and_b64 vcc, exec, s[0:1]
	s_cbranch_vccz .LBB33_365
; %bb.362:
	global_load_dwordx2 v[8:9], v[0:1], off
	s_mov_b64 s[0:1], 0
	s_waitcnt vmcnt(0)
	v_xor_b32_e32 v10, v8, v9
	v_ffbh_i32_e32 v3, v9
	v_ashrrev_i32_e32 v10, 31, v10
	v_add_u32_e32 v3, -1, v3
	v_add_u32_e32 v10, 32, v10
	v_min_u32_e32 v3, v3, v10
	v_lshlrev_b64 v[8:9], v3, v[8:9]
	v_min_u32_e32 v8, 1, v8
	v_or_b32_e32 v8, v9, v8
	v_cvt_f32_i32_e32 v8, v8
	v_sub_u32_e32 v3, 32, v3
	v_ldexp_f32 v3, v8, v3
	s_branch .LBB33_366
.LBB33_363:
	s_mov_b64 s[0:1], -1
                                        ; implicit-def: $vgpr3
	s_branch .LBB33_372
.LBB33_364:
	s_mov_b64 s[0:1], -1
                                        ; implicit-def: $vgpr3
	s_branch .LBB33_369
.LBB33_365:
	s_mov_b64 s[0:1], -1
                                        ; implicit-def: $vgpr3
.LBB33_366:
	s_andn2_b64 vcc, exec, s[0:1]
	s_cbranch_vccnz .LBB33_368
; %bb.367:
	global_load_dword v3, v[0:1], off
	s_waitcnt vmcnt(0)
	v_cvt_f32_i32_e32 v3, v3
.LBB33_368:
	s_mov_b64 s[0:1], 0
.LBB33_369:
	s_andn2_b64 vcc, exec, s[0:1]
	s_cbranch_vccnz .LBB33_371
; %bb.370:
	global_load_sshort v3, v[0:1], off
	s_waitcnt vmcnt(0)
	v_cvt_f32_i32_e32 v3, v3
.LBB33_371:
	s_mov_b64 s[0:1], 0
.LBB33_372:
	s_andn2_b64 vcc, exec, s[0:1]
	s_cbranch_vccnz .LBB33_378
; %bb.373:
	v_mov_b32_e32 v3, 0
	v_cmp_gt_i16_sdwa s[0:1], v6, v3 src0_sel:BYTE_0 src1_sel:DWORD
	s_and_b64 vcc, exec, s[0:1]
	s_cbranch_vccz .LBB33_375
; %bb.374:
	global_load_sbyte v3, v[0:1], off
	s_mov_b64 s[0:1], 0
	s_waitcnt vmcnt(0)
	v_cvt_f32_i32_e32 v3, v3
	s_branch .LBB33_376
.LBB33_375:
	s_mov_b64 s[0:1], -1
                                        ; implicit-def: $vgpr3
.LBB33_376:
	s_andn2_b64 vcc, exec, s[0:1]
	s_cbranch_vccnz .LBB33_378
; %bb.377:
	global_load_ubyte v0, v[0:1], off
	s_waitcnt vmcnt(0)
	v_cvt_f32_ubyte0_e32 v3, v0
.LBB33_378:
	s_branch .LBB33_137
.LBB33_379:
	s_mov_b64 s[4:5], 0
.LBB33_380:
	s_mov_b64 s[0:1], 0
                                        ; implicit-def: $vgpr5
.LBB33_381:
	s_and_b64 s[20:21], s[4:5], exec
	s_and_b64 s[22:23], s[22:23], exec
	;; [unrolled: 1-line block ×3, first 2 shown]
	s_orn2_b64 s[0:1], s[0:1], exec
.LBB33_382:
	s_or_b64 exec, exec, s[26:27]
	s_mov_b64 s[4:5], 0
	s_mov_b64 s[2:3], 0
                                        ; implicit-def: $vgpr2
                                        ; implicit-def: $vgpr0_vgpr1
                                        ; implicit-def: $vgpr3
	s_and_saveexec_b64 s[26:27], s[0:1]
	s_cbranch_execz .LBB33_391
; %bb.383:
	v_cmp_gt_i32_e32 vcc, s33, v5
	s_mov_b64 s[0:1], -1
	s_mov_b64 s[28:29], s[24:25]
	s_mov_b64 s[30:31], s[22:23]
	s_mov_b64 s[34:35], s[20:21]
	s_and_saveexec_b64 s[36:37], vcc
	s_cbranch_execz .LBB33_772
; %bb.384:
	v_mul_lo_u32 v0, v5, s13
	v_ashrrev_i32_e32 v1, 31, v0
	s_waitcnt vmcnt(0)
	v_mov_b32_e32 v2, s11
	v_add_co_u32_e32 v0, vcc, s10, v0
	v_addc_co_u32_e32 v1, vcc, v2, v1, vcc
	v_mov_b32_e32 v2, 11
	v_cmp_lt_i16_sdwa s[0:1], v7, v2 src0_sel:BYTE_0 src1_sel:DWORD
	s_and_b64 vcc, exec, s[0:1]
	s_cbranch_vccnz .LBB33_394
; %bb.385:
	v_mov_b32_e32 v2, 25
	v_cmp_gt_i16_sdwa s[0:1], v7, v2 src0_sel:BYTE_0 src1_sel:DWORD
	s_and_b64 vcc, exec, s[0:1]
	s_cbranch_vccz .LBB33_403
; %bb.386:
	v_mov_b32_e32 v2, 28
	v_cmp_gt_i16_sdwa s[0:1], v7, v2 src0_sel:BYTE_0 src1_sel:DWORD
	s_and_b64 vcc, exec, s[0:1]
	s_cbranch_vccz .LBB33_405
	;; [unrolled: 5-line block ×4, first 2 shown]
; %bb.389:
	v_mov_b32_e32 v2, 46
	v_cmp_eq_u16_sdwa s[0:1], v7, v2 src0_sel:BYTE_0 src1_sel:DWORD
	s_and_b64 vcc, exec, s[0:1]
	s_cbranch_vccz .LBB33_413
; %bb.390:
	global_load_dword v2, v[0:1], off
	s_mov_b64 s[0:1], -1
	s_mov_b64 s[28:29], 0
	s_waitcnt vmcnt(0)
	v_lshlrev_b32_e32 v2, 16, v2
	s_branch .LBB33_414
.LBB33_391:
	s_or_b64 exec, exec, s[26:27]
	s_mov_b64 s[26:27], 0
	s_and_saveexec_b64 s[0:1], s[24:25]
	s_cbranch_execnz .LBB33_1247
.LBB33_392:
	s_or_b64 exec, exec, s[0:1]
	s_and_saveexec_b64 s[0:1], s[30:31]
	s_xor_b64 s[0:1], exec, s[0:1]
	s_cbranch_execz .LBB33_1248
.LBB33_393:
	global_load_ubyte v3, v[0:1], off
	s_or_b64 s[2:3], s[2:3], exec
	s_waitcnt vmcnt(0)
	v_cmp_ne_u16_e32 vcc, 0, v3
	v_cndmask_b32_e64 v3, 0, 1.0, vcc
	s_or_b64 exec, exec, s[0:1]
	s_and_saveexec_b64 s[0:1], s[4:5]
	s_cbranch_execz .LBB33_1294
	s_branch .LBB33_1249
.LBB33_394:
	s_mov_b64 s[0:1], 0
                                        ; implicit-def: $vgpr2
	s_mov_b64 s[28:29], s[24:25]
	s_cbranch_execnz .LBB33_480
.LBB33_395:
	s_andn2_b64 vcc, exec, s[0:1]
	s_cbranch_vccnz .LBB33_528
.LBB33_396:
	v_mul_lo_u32 v0, v5, s14
	v_ashrrev_i32_e32 v1, 31, v0
	v_mov_b32_e32 v3, s17
	v_add_co_u32_e32 v0, vcc, s16, v0
	v_addc_co_u32_e32 v1, vcc, v3, v1, vcc
	v_mov_b32_e32 v3, 11
	v_cmp_lt_i16_sdwa s[0:1], v6, v3 src0_sel:BYTE_0 src1_sel:DWORD
	s_and_b64 vcc, exec, s[0:1]
	s_cbranch_vccnz .LBB33_404
; %bb.397:
	v_mov_b32_e32 v3, 25
	v_cmp_gt_i16_sdwa s[0:1], v6, v3 src0_sel:BYTE_0 src1_sel:DWORD
	s_and_b64 vcc, exec, s[0:1]
	s_cbranch_vccz .LBB33_406
; %bb.398:
	v_mov_b32_e32 v3, 28
	v_cmp_gt_i16_sdwa s[0:1], v6, v3 src0_sel:BYTE_0 src1_sel:DWORD
	s_and_b64 vcc, exec, s[0:1]
	s_cbranch_vccz .LBB33_408
	;; [unrolled: 5-line block ×4, first 2 shown]
; %bb.401:
	v_mov_b32_e32 v3, 46
	v_cmp_eq_u16_sdwa s[0:1], v6, v3 src0_sel:BYTE_0 src1_sel:DWORD
	s_mov_b64 s[2:3], 0
	s_and_b64 vcc, exec, s[0:1]
	s_cbranch_vccz .LBB33_532
; %bb.402:
	global_load_dword v3, v[0:1], off
	s_mov_b64 s[0:1], -1
	s_mov_b64 s[30:31], 0
	s_waitcnt vmcnt(0)
	v_lshlrev_b32_e32 v3, 16, v3
	s_branch .LBB33_533
.LBB33_403:
	s_mov_b64 s[2:3], -1
	s_mov_b64 s[0:1], 0
	s_mov_b64 s[28:29], s[24:25]
                                        ; implicit-def: $vgpr2
	s_branch .LBB33_444
.LBB33_404:
	s_mov_b64 s[2:3], -1
	s_mov_b64 s[0:1], 0
                                        ; implicit-def: $vgpr3
	s_mov_b64 s[30:31], s[22:23]
	s_branch .LBB33_598
.LBB33_405:
	s_mov_b64 s[2:3], -1
	s_mov_b64 s[0:1], 0
	s_mov_b64 s[28:29], s[24:25]
                                        ; implicit-def: $vgpr2
	s_branch .LBB33_425
.LBB33_406:
	s_mov_b64 s[2:3], -1
	s_mov_b64 s[0:1], 0
	s_mov_b64 s[30:31], s[22:23]
                                        ; implicit-def: $vgpr3
	s_branch .LBB33_562
.LBB33_407:
	s_mov_b64 s[2:3], -1
	s_mov_b64 s[0:1], 0
	s_mov_b64 s[28:29], s[24:25]
                                        ; implicit-def: $vgpr2
	s_branch .LBB33_420
.LBB33_408:
	s_mov_b64 s[2:3], -1
	s_mov_b64 s[0:1], 0
	s_mov_b64 s[30:31], s[22:23]
                                        ; implicit-def: $vgpr3
	s_branch .LBB33_543
.LBB33_409:
	s_mov_b64 s[2:3], -1
	s_mov_b64 s[0:1], 0
	s_mov_b64 s[28:29], s[24:25]
                                        ; implicit-def: $vgpr2
	s_branch .LBB33_414
.LBB33_410:
	s_mov_b64 s[2:3], -1
	s_mov_b64 s[0:1], 0
	s_mov_b64 s[30:31], s[22:23]
                                        ; implicit-def: $vgpr3
	s_branch .LBB33_538
.LBB33_411:
	s_or_saveexec_b64 s[34:35], s[34:35]
                                        ; implicit-def: $sgpr15
	s_xor_b64 exec, exec, s[34:35]
	s_cbranch_execz .LBB33_180
.LBB33_412:
	v_add_f32_e32 v8, 0x46000000, v9
	v_and_b32_e32 v8, 0xff, v8
	v_cmp_ne_u32_e32 vcc, 0, v8
	s_andn2_b64 s[28:29], s[28:29], exec
	s_and_b64 s[36:37], vcc, exec
	s_mov_b32 s15, 0
	s_or_b64 s[28:29], s[28:29], s[36:37]
	s_or_b64 exec, exec, s[34:35]
	v_mov_b32_e32 v10, s15
	s_and_saveexec_b64 s[34:35], s[28:29]
	s_cbranch_execnz .LBB33_181
	s_branch .LBB33_182
.LBB33_413:
	s_mov_b64 s[28:29], -1
                                        ; implicit-def: $vgpr2
	s_mov_b64 s[0:1], 0
.LBB33_414:
	s_and_b64 vcc, exec, s[2:3]
	s_cbranch_vccz .LBB33_419
; %bb.415:
	v_mov_b32_e32 v2, 44
	v_cmp_eq_u16_sdwa s[2:3], v7, v2 src0_sel:BYTE_0 src1_sel:DWORD
	s_and_b64 vcc, exec, s[2:3]
	s_cbranch_vccz .LBB33_418
; %bb.416:
	global_load_ubyte v2, v[0:1], off
	s_movk_i32 s2, 0xff
	v_mov_b32_e32 v3, 0x7f800001
	v_mov_b32_e32 v8, 0x400000
	s_mov_b64 s[0:1], -1
	s_mov_b64 s[28:29], 0
	s_waitcnt vmcnt(0)
	v_lshlrev_b32_e32 v9, 23, v2
	v_cmp_ne_u32_e32 vcc, s2, v2
	v_cndmask_b32_e32 v3, v3, v9, vcc
	v_cmp_ne_u32_e32 vcc, 0, v2
	v_cndmask_b32_e32 v2, v8, v3, vcc
	s_branch .LBB33_419
.LBB33_417:
	s_mov_b64 s[2:3], -1
	s_mov_b64 s[0:1], 0
	s_mov_b64 s[30:31], s[22:23]
                                        ; implicit-def: $vgpr3
	s_branch .LBB33_533
.LBB33_418:
	s_mov_b64 s[28:29], -1
                                        ; implicit-def: $vgpr2
.LBB33_419:
	s_mov_b64 s[2:3], 0
.LBB33_420:
	s_and_b64 vcc, exec, s[2:3]
	s_cbranch_vccz .LBB33_424
; %bb.421:
	v_mov_b32_e32 v2, 29
	v_cmp_eq_u16_sdwa s[2:3], v7, v2 src0_sel:BYTE_0 src1_sel:DWORD
	s_and_b64 vcc, exec, s[2:3]
	s_cbranch_vccz .LBB33_423
; %bb.422:
	global_load_dwordx2 v[2:3], v[0:1], off
	s_mov_b64 s[0:1], -1
	s_mov_b64 s[28:29], 0
	s_mov_b64 s[2:3], 0
	s_waitcnt vmcnt(0)
	v_ffbh_u32_e32 v8, v3
	v_min_u32_e32 v8, 32, v8
	v_lshlrev_b64 v[2:3], v8, v[2:3]
	v_min_u32_e32 v2, 1, v2
	v_or_b32_e32 v2, v3, v2
	v_cvt_f32_u32_e32 v2, v2
	v_sub_u32_e32 v3, 32, v8
	v_ldexp_f32 v2, v2, v3
	s_branch .LBB33_425
.LBB33_423:
	s_mov_b64 s[28:29], -1
                                        ; implicit-def: $vgpr2
.LBB33_424:
	s_mov_b64 s[2:3], 0
.LBB33_425:
	s_and_b64 vcc, exec, s[2:3]
	s_cbranch_vccz .LBB33_443
; %bb.426:
	v_mov_b32_e32 v2, 27
	v_cmp_lt_i16_sdwa s[0:1], v7, v2 src0_sel:BYTE_0 src1_sel:DWORD
	s_and_b64 vcc, exec, s[0:1]
	s_cbranch_vccnz .LBB33_429
; %bb.427:
	v_cmp_gt_i16_sdwa s[0:1], v7, v2 src0_sel:BYTE_0 src1_sel:DWORD
	s_and_b64 vcc, exec, s[0:1]
	s_cbranch_vccz .LBB33_430
; %bb.428:
	global_load_dword v2, v[0:1], off
	s_mov_b64 s[0:1], 0
	s_waitcnt vmcnt(0)
	v_cvt_f32_u32_e32 v2, v2
	s_branch .LBB33_431
.LBB33_429:
	s_mov_b64 s[0:1], -1
                                        ; implicit-def: $vgpr2
	s_branch .LBB33_434
.LBB33_430:
	s_mov_b64 s[0:1], -1
                                        ; implicit-def: $vgpr2
.LBB33_431:
	s_andn2_b64 vcc, exec, s[0:1]
	s_cbranch_vccnz .LBB33_433
; %bb.432:
	global_load_ushort v2, v[0:1], off
	s_waitcnt vmcnt(0)
	v_cvt_f32_u32_e32 v2, v2
.LBB33_433:
	s_mov_b64 s[0:1], 0
.LBB33_434:
	s_andn2_b64 vcc, exec, s[0:1]
	s_cbranch_vccnz .LBB33_442
; %bb.435:
	global_load_ubyte v3, v[0:1], off
	s_movk_i32 s0, 0x7f
                                        ; implicit-def: $sgpr15
	s_waitcnt vmcnt(0)
	v_cmp_lt_i16_e32 vcc, s0, v3
	s_mov_b64 s[0:1], 0
	s_and_saveexec_b64 s[2:3], vcc
	s_xor_b64 s[2:3], exec, s[2:3]
	s_cbranch_execz .LBB33_456
; %bb.436:
	s_movk_i32 s0, 0x80
	v_cmp_eq_u16_e32 vcc, s0, v3
	s_mov_b64 s[0:1], -1
                                        ; implicit-def: $sgpr15
	s_and_saveexec_b64 s[4:5], vcc
; %bb.437:
	s_mov_b32 s15, 0x7f800001
	s_xor_b64 s[0:1], exec, -1
; %bb.438:
	s_or_b64 exec, exec, s[4:5]
	s_and_b64 s[0:1], s[0:1], exec
	s_or_saveexec_b64 s[2:3], s[2:3]
	v_mov_b32_e32 v2, s15
	s_xor_b64 exec, exec, s[2:3]
	s_cbranch_execnz .LBB33_457
.LBB33_439:
	s_or_b64 exec, exec, s[2:3]
	s_and_saveexec_b64 s[2:3], s[0:1]
	s_cbranch_execz .LBB33_441
.LBB33_440:
	v_lshlrev_b32_e32 v2, 24, v3
	v_and_b32_e32 v3, 0xffff, v3
	v_and_b32_e32 v8, 7, v3
	v_ffbh_u32_e32 v10, v8
	v_min_u32_e32 v10, 32, v10
	v_subrev_u32_e32 v11, 28, v10
	v_bfe_u32 v9, v3, 3, 4
	v_lshlrev_b32_e32 v3, v11, v3
	v_sub_u32_e32 v10, 29, v10
	v_and_b32_e32 v3, 7, v3
	v_cmp_eq_u32_e32 vcc, 0, v9
	v_cndmask_b32_e32 v9, v9, v10, vcc
	v_cndmask_b32_e32 v3, v8, v3, vcc
	v_mov_b32_e32 v8, 0x3b800000
	v_lshlrev_b32_e32 v3, 20, v3
	v_and_b32_e32 v2, 0x80000000, v2
	v_lshl_add_u32 v8, v9, 23, v8
	v_or3_b32 v2, v2, v8, v3
.LBB33_441:
	s_or_b64 exec, exec, s[2:3]
.LBB33_442:
	s_mov_b64 s[0:1], -1
.LBB33_443:
	s_mov_b64 s[2:3], 0
.LBB33_444:
	s_and_b64 vcc, exec, s[2:3]
	s_cbranch_vccz .LBB33_479
; %bb.445:
	v_mov_b32_e32 v2, 22
	v_cmp_gt_i16_sdwa s[2:3], v7, v2 src0_sel:BYTE_0 src1_sel:DWORD
	s_and_b64 vcc, exec, s[2:3]
	s_cbranch_vccz .LBB33_455
; %bb.446:
	v_mov_b32_e32 v2, 24
	v_cmp_lt_i16_sdwa s[0:1], v7, v2 src0_sel:BYTE_0 src1_sel:DWORD
	s_and_b64 vcc, exec, s[0:1]
	s_cbranch_vccnz .LBB33_458
; %bb.447:
	v_cmp_gt_i16_sdwa s[0:1], v7, v2 src0_sel:BYTE_0 src1_sel:DWORD
	s_and_b64 vcc, exec, s[0:1]
	s_cbranch_vccz .LBB33_459
; %bb.448:
	global_load_ubyte v3, v[0:1], off
	s_movk_i32 s0, 0x7f
                                        ; implicit-def: $sgpr15
	s_waitcnt vmcnt(0)
	v_cmp_lt_i16_e32 vcc, s0, v3
	s_mov_b64 s[0:1], 0
	s_and_saveexec_b64 s[2:3], vcc
	s_xor_b64 s[2:3], exec, s[2:3]
	s_cbranch_execz .LBB33_471
; %bb.449:
	s_movk_i32 s0, 0x80
	v_cmp_eq_u16_e32 vcc, s0, v3
	s_mov_b64 s[0:1], -1
                                        ; implicit-def: $sgpr15
	s_and_saveexec_b64 s[4:5], vcc
; %bb.450:
	s_mov_b32 s15, 0x7f800001
	s_xor_b64 s[0:1], exec, -1
; %bb.451:
	s_or_b64 exec, exec, s[4:5]
	s_and_b64 s[0:1], s[0:1], exec
	s_or_saveexec_b64 s[2:3], s[2:3]
	v_mov_b32_e32 v2, s15
	s_xor_b64 exec, exec, s[2:3]
	s_cbranch_execnz .LBB33_472
.LBB33_452:
	s_or_b64 exec, exec, s[2:3]
	s_and_saveexec_b64 s[2:3], s[0:1]
	s_cbranch_execz .LBB33_454
.LBB33_453:
	v_lshlrev_b32_e32 v2, 24, v3
	v_and_b32_e32 v3, 0xffff, v3
	v_and_b32_e32 v8, 3, v3
	v_ffbh_u32_e32 v10, v8
	v_min_u32_e32 v10, 32, v10
	v_subrev_u32_e32 v11, 29, v10
	v_bfe_u32 v9, v3, 2, 5
	v_lshlrev_b32_e32 v3, v11, v3
	v_sub_u32_e32 v10, 30, v10
	v_and_b32_e32 v3, 3, v3
	v_cmp_eq_u32_e32 vcc, 0, v9
	v_cndmask_b32_e32 v9, v9, v10, vcc
	v_cndmask_b32_e32 v3, v8, v3, vcc
	v_mov_b32_e32 v8, 0x37800000
	v_lshlrev_b32_e32 v3, 21, v3
	v_and_b32_e32 v2, 0x80000000, v2
	v_lshl_add_u32 v8, v9, 23, v8
	v_or3_b32 v2, v2, v8, v3
.LBB33_454:
	s_or_b64 exec, exec, s[2:3]
	s_mov_b64 s[0:1], 0
	s_branch .LBB33_460
.LBB33_455:
	s_mov_b64 s[2:3], -1
                                        ; implicit-def: $vgpr2
	s_branch .LBB33_466
.LBB33_456:
	s_or_saveexec_b64 s[2:3], s[2:3]
	v_mov_b32_e32 v2, s15
	s_xor_b64 exec, exec, s[2:3]
	s_cbranch_execz .LBB33_439
.LBB33_457:
	v_cmp_ne_u16_e32 vcc, 0, v3
	s_andn2_b64 s[0:1], s[0:1], exec
	s_and_b64 s[4:5], vcc, exec
	v_mov_b32_e32 v2, 0
	s_or_b64 s[0:1], s[0:1], s[4:5]
	s_or_b64 exec, exec, s[2:3]
	s_and_saveexec_b64 s[2:3], s[0:1]
	s_cbranch_execnz .LBB33_440
	s_branch .LBB33_441
.LBB33_458:
	s_mov_b64 s[0:1], -1
                                        ; implicit-def: $vgpr2
	s_branch .LBB33_463
.LBB33_459:
	s_mov_b64 s[0:1], -1
                                        ; implicit-def: $vgpr2
.LBB33_460:
	s_and_b64 vcc, exec, s[0:1]
	s_cbranch_vccz .LBB33_462
; %bb.461:
	global_load_ubyte v2, v[0:1], off
	s_mov_b32 s0, 0x7f800000
	s_waitcnt vmcnt(0)
	v_lshlrev_b32_e32 v2, 24, v2
	v_and_b32_e32 v3, 0x7f000000, v2
	v_ffbh_u32_e32 v8, v3
	v_min_u32_e32 v8, 32, v8
	v_sub_u32_e64 v8, v8, 4 clamp
	v_lshlrev_b32_e32 v10, v8, v3
	v_lshlrev_b32_e32 v8, 23, v8
	v_lshrrev_b32_e32 v10, 4, v10
	v_add_u32_e32 v9, 0x1000000, v3
	v_sub_u32_e32 v8, v10, v8
	v_ashrrev_i32_e32 v9, 8, v9
	v_add_u32_e32 v8, 0x3c000000, v8
	v_and_or_b32 v8, v9, s0, v8
	v_cmp_ne_u32_e32 vcc, 0, v3
	v_cndmask_b32_e32 v3, 0, v8, vcc
	s_brev_b32 s0, 1
	v_and_or_b32 v2, v2, s0, v3
.LBB33_462:
	s_mov_b64 s[0:1], 0
.LBB33_463:
	s_andn2_b64 vcc, exec, s[0:1]
	s_cbranch_vccnz .LBB33_465
; %bb.464:
	global_load_ubyte v2, v[0:1], off
	s_movk_i32 s0, 0x7f00
	s_brev_b32 s1, 16
	s_waitcnt vmcnt(0)
	v_lshlrev_b16_e32 v3, 8, v2
	v_lshlrev_b32_e32 v2, 25, v2
	v_lshrrev_b32_e32 v8, 4, v2
	v_and_or_b32 v9, v3, s0, 0.5
	v_or_b32_e32 v8, 0x70000000, v8
	v_add_f32_e32 v9, -0.5, v9
	v_mul_f32_e32 v8, 0x7800000, v8
	v_cmp_gt_u32_e32 vcc, s1, v2
	v_bfe_i32 v3, v3, 0, 16
	v_cndmask_b32_e32 v2, v8, v9, vcc
	s_brev_b32 s0, 1
	v_and_or_b32 v2, v3, s0, v2
.LBB33_465:
	s_mov_b64 s[2:3], 0
	s_mov_b64 s[0:1], -1
.LBB33_466:
	s_andn2_b64 vcc, exec, s[2:3]
	s_cbranch_vccnz .LBB33_479
; %bb.467:
	v_mov_b32_e32 v2, 14
	v_cmp_gt_i16_sdwa s[2:3], v7, v2 src0_sel:BYTE_0 src1_sel:DWORD
	s_and_b64 vcc, exec, s[2:3]
	s_cbranch_vccz .LBB33_470
; %bb.468:
	v_mov_b32_e32 v2, 15
	v_cmp_eq_u16_sdwa s[2:3], v7, v2 src0_sel:BYTE_0 src1_sel:DWORD
	s_and_b64 vcc, exec, s[2:3]
	s_cbranch_vccz .LBB33_473
; %bb.469:
	global_load_ushort v2, v[0:1], off
	s_mov_b64 s[0:1], -1
	s_mov_b64 s[28:29], 0
	s_waitcnt vmcnt(0)
	v_lshlrev_b32_e32 v2, 16, v2
	s_branch .LBB33_474
.LBB33_470:
	s_mov_b64 s[2:3], -1
                                        ; implicit-def: $vgpr2
	s_branch .LBB33_475
.LBB33_471:
	s_or_saveexec_b64 s[2:3], s[2:3]
	v_mov_b32_e32 v2, s15
	s_xor_b64 exec, exec, s[2:3]
	s_cbranch_execz .LBB33_452
.LBB33_472:
	v_cmp_ne_u16_e32 vcc, 0, v3
	s_andn2_b64 s[0:1], s[0:1], exec
	s_and_b64 s[4:5], vcc, exec
	v_mov_b32_e32 v2, 0
	s_or_b64 s[0:1], s[0:1], s[4:5]
	s_or_b64 exec, exec, s[2:3]
	s_and_saveexec_b64 s[2:3], s[0:1]
	s_cbranch_execnz .LBB33_453
	s_branch .LBB33_454
.LBB33_473:
	s_mov_b64 s[28:29], -1
                                        ; implicit-def: $vgpr2
.LBB33_474:
	s_mov_b64 s[2:3], 0
.LBB33_475:
	s_and_b64 vcc, exec, s[2:3]
	s_cbranch_vccz .LBB33_479
; %bb.476:
	v_mov_b32_e32 v2, 11
	v_cmp_eq_u16_sdwa s[2:3], v7, v2 src0_sel:BYTE_0 src1_sel:DWORD
	s_and_b64 vcc, exec, s[2:3]
	s_cbranch_vccz .LBB33_478
; %bb.477:
	global_load_ubyte v2, v[0:1], off
	s_mov_b64 s[0:1], -1
	s_mov_b64 s[28:29], 0
	s_waitcnt vmcnt(0)
	v_cmp_ne_u16_e32 vcc, 0, v2
	v_cndmask_b32_e64 v2, 0, 1.0, vcc
	s_branch .LBB33_479
.LBB33_478:
	s_mov_b64 s[28:29], -1
                                        ; implicit-def: $vgpr2
.LBB33_479:
	s_branch .LBB33_395
.LBB33_480:
	v_mov_b32_e32 v2, 5
	v_cmp_lt_i16_sdwa s[0:1], v7, v2 src0_sel:BYTE_0 src1_sel:DWORD
	s_and_b64 vcc, exec, s[0:1]
	s_cbranch_vccnz .LBB33_485
; %bb.481:
	v_mov_b32_e32 v2, 8
	v_cmp_lt_i16_sdwa s[0:1], v7, v2 src0_sel:BYTE_0 src1_sel:DWORD
	s_and_b64 vcc, exec, s[0:1]
	s_cbranch_vccnz .LBB33_486
; %bb.482:
	v_mov_b32_e32 v2, 9
	v_cmp_lt_i16_sdwa s[0:1], v7, v2 src0_sel:BYTE_0 src1_sel:DWORD
	s_and_b64 vcc, exec, s[0:1]
	s_cbranch_vccnz .LBB33_487
; %bb.483:
	v_cmp_gt_i16_sdwa s[0:1], v7, v2 src0_sel:BYTE_0 src1_sel:DWORD
	s_and_b64 vcc, exec, s[0:1]
	s_cbranch_vccz .LBB33_488
; %bb.484:
	global_load_dwordx2 v[2:3], v[0:1], off
	s_mov_b64 s[0:1], 0
	s_waitcnt vmcnt(0)
	v_cvt_f32_f64_e32 v2, v[2:3]
	s_branch .LBB33_489
.LBB33_485:
	s_mov_b64 s[0:1], -1
                                        ; implicit-def: $vgpr2
	s_branch .LBB33_507
.LBB33_486:
	s_mov_b64 s[0:1], -1
                                        ; implicit-def: $vgpr2
	s_branch .LBB33_495
.LBB33_487:
	s_mov_b64 s[0:1], -1
                                        ; implicit-def: $vgpr2
	s_branch .LBB33_492
.LBB33_488:
	s_mov_b64 s[0:1], -1
                                        ; implicit-def: $vgpr2
.LBB33_489:
	s_andn2_b64 vcc, exec, s[0:1]
	s_cbranch_vccnz .LBB33_491
; %bb.490:
	global_load_dword v2, v[0:1], off
.LBB33_491:
	s_mov_b64 s[0:1], 0
.LBB33_492:
	s_andn2_b64 vcc, exec, s[0:1]
	s_cbranch_vccnz .LBB33_494
; %bb.493:
	global_load_dword v2, v[0:1], off
	s_waitcnt vmcnt(0)
	v_cvt_f32_f16_e32 v2, v2
.LBB33_494:
	s_mov_b64 s[0:1], 0
.LBB33_495:
	s_andn2_b64 vcc, exec, s[0:1]
	s_cbranch_vccnz .LBB33_506
; %bb.496:
	s_waitcnt vmcnt(0)
	v_mov_b32_e32 v2, 6
	v_cmp_lt_i16_sdwa s[0:1], v7, v2 src0_sel:BYTE_0 src1_sel:DWORD
	s_and_b64 vcc, exec, s[0:1]
	s_cbranch_vccnz .LBB33_499
; %bb.497:
	v_cmp_gt_i16_sdwa s[0:1], v7, v2 src0_sel:BYTE_0 src1_sel:DWORD
	s_and_b64 vcc, exec, s[0:1]
	s_cbranch_vccz .LBB33_500
; %bb.498:
	global_load_dwordx2 v[2:3], v[0:1], off
	s_mov_b64 s[0:1], 0
	s_waitcnt vmcnt(0)
	v_cvt_f32_f64_e32 v2, v[2:3]
	s_branch .LBB33_501
.LBB33_499:
	s_mov_b64 s[0:1], -1
                                        ; implicit-def: $vgpr2
	s_branch .LBB33_504
.LBB33_500:
	s_mov_b64 s[0:1], -1
                                        ; implicit-def: $vgpr2
.LBB33_501:
	s_andn2_b64 vcc, exec, s[0:1]
	s_cbranch_vccnz .LBB33_503
; %bb.502:
	global_load_dword v2, v[0:1], off
.LBB33_503:
	s_mov_b64 s[0:1], 0
.LBB33_504:
	s_andn2_b64 vcc, exec, s[0:1]
	s_cbranch_vccnz .LBB33_506
; %bb.505:
	global_load_ushort v2, v[0:1], off
	s_waitcnt vmcnt(0)
	v_cvt_f32_f16_e32 v2, v2
.LBB33_506:
	s_mov_b64 s[0:1], 0
.LBB33_507:
	s_andn2_b64 vcc, exec, s[0:1]
	s_cbranch_vccnz .LBB33_527
; %bb.508:
	s_waitcnt vmcnt(0)
	v_mov_b32_e32 v2, 2
	v_cmp_lt_i16_sdwa s[0:1], v7, v2 src0_sel:BYTE_0 src1_sel:DWORD
	s_and_b64 vcc, exec, s[0:1]
	s_cbranch_vccnz .LBB33_512
; %bb.509:
	v_mov_b32_e32 v2, 3
	v_cmp_lt_i16_sdwa s[0:1], v7, v2 src0_sel:BYTE_0 src1_sel:DWORD
	s_and_b64 vcc, exec, s[0:1]
	s_cbranch_vccnz .LBB33_513
; %bb.510:
	v_cmp_gt_i16_sdwa s[0:1], v7, v2 src0_sel:BYTE_0 src1_sel:DWORD
	s_and_b64 vcc, exec, s[0:1]
	s_cbranch_vccz .LBB33_514
; %bb.511:
	global_load_dwordx2 v[2:3], v[0:1], off
	s_mov_b64 s[0:1], 0
	s_waitcnt vmcnt(0)
	v_xor_b32_e32 v9, v2, v3
	v_ffbh_i32_e32 v8, v3
	v_ashrrev_i32_e32 v9, 31, v9
	v_add_u32_e32 v8, -1, v8
	v_add_u32_e32 v9, 32, v9
	v_min_u32_e32 v8, v8, v9
	v_lshlrev_b64 v[2:3], v8, v[2:3]
	v_min_u32_e32 v2, 1, v2
	v_or_b32_e32 v2, v3, v2
	v_cvt_f32_i32_e32 v2, v2
	v_sub_u32_e32 v3, 32, v8
	v_ldexp_f32 v2, v2, v3
	s_branch .LBB33_515
.LBB33_512:
	s_mov_b64 s[0:1], -1
                                        ; implicit-def: $vgpr2
	s_branch .LBB33_521
.LBB33_513:
	s_mov_b64 s[0:1], -1
                                        ; implicit-def: $vgpr2
	s_branch .LBB33_518
.LBB33_514:
	s_mov_b64 s[0:1], -1
                                        ; implicit-def: $vgpr2
.LBB33_515:
	s_andn2_b64 vcc, exec, s[0:1]
	s_cbranch_vccnz .LBB33_517
; %bb.516:
	global_load_dword v2, v[0:1], off
	s_waitcnt vmcnt(0)
	v_cvt_f32_i32_e32 v2, v2
.LBB33_517:
	s_mov_b64 s[0:1], 0
.LBB33_518:
	s_andn2_b64 vcc, exec, s[0:1]
	s_cbranch_vccnz .LBB33_520
; %bb.519:
	global_load_sshort v2, v[0:1], off
	s_waitcnt vmcnt(0)
	v_cvt_f32_i32_e32 v2, v2
.LBB33_520:
	s_mov_b64 s[0:1], 0
.LBB33_521:
	s_andn2_b64 vcc, exec, s[0:1]
	s_cbranch_vccnz .LBB33_527
; %bb.522:
	v_mov_b32_e32 v2, 0
	v_cmp_gt_i16_sdwa s[0:1], v7, v2 src0_sel:BYTE_0 src1_sel:DWORD
	s_and_b64 vcc, exec, s[0:1]
	s_cbranch_vccz .LBB33_524
; %bb.523:
	global_load_sbyte v2, v[0:1], off
	s_mov_b64 s[0:1], 0
	s_waitcnt vmcnt(0)
	v_cvt_f32_i32_e32 v2, v2
	s_branch .LBB33_525
.LBB33_524:
	s_mov_b64 s[0:1], -1
                                        ; implicit-def: $vgpr2
.LBB33_525:
	s_andn2_b64 vcc, exec, s[0:1]
	s_cbranch_vccnz .LBB33_527
; %bb.526:
	global_load_ubyte v0, v[0:1], off
	s_waitcnt vmcnt(0)
	v_cvt_f32_ubyte0_e32 v2, v0
.LBB33_527:
	s_branch .LBB33_396
.LBB33_528:
	s_mov_b64 s[0:1], 0
	s_mov_b64 s[4:5], s[20:21]
	;; [unrolled: 1-line block ×3, first 2 shown]
.LBB33_529:
                                        ; implicit-def: $vgpr5
	s_branch .LBB33_771
.LBB33_530:
	s_or_saveexec_b64 s[34:35], s[34:35]
                                        ; implicit-def: $sgpr15
	s_xor_b64 exec, exec, s[34:35]
	s_cbranch_execz .LBB33_193
.LBB33_531:
	v_add_f32_e32 v8, 0x42800000, v9
	v_and_b32_e32 v8, 0xff, v8
	v_cmp_ne_u32_e32 vcc, 0, v8
	s_andn2_b64 s[28:29], s[28:29], exec
	s_and_b64 s[36:37], vcc, exec
	s_mov_b32 s15, 0
	s_or_b64 s[28:29], s[28:29], s[36:37]
	s_or_b64 exec, exec, s[34:35]
	v_mov_b32_e32 v10, s15
	s_and_saveexec_b64 s[34:35], s[28:29]
	s_cbranch_execnz .LBB33_194
	s_branch .LBB33_195
.LBB33_532:
	s_mov_b64 s[30:31], -1
                                        ; implicit-def: $vgpr3
	s_mov_b64 s[0:1], 0
.LBB33_533:
	s_and_b64 vcc, exec, s[2:3]
	s_cbranch_vccz .LBB33_537
; %bb.534:
	v_mov_b32_e32 v3, 44
	v_cmp_eq_u16_sdwa s[2:3], v6, v3 src0_sel:BYTE_0 src1_sel:DWORD
	s_and_b64 vcc, exec, s[2:3]
	s_cbranch_vccz .LBB33_536
; %bb.535:
	global_load_ubyte v3, v[0:1], off
	s_movk_i32 s2, 0xff
	v_mov_b32_e32 v8, 0x7f800001
	v_mov_b32_e32 v9, 0x400000
	s_mov_b64 s[0:1], -1
	s_mov_b64 s[30:31], 0
	s_waitcnt vmcnt(0)
	v_lshlrev_b32_e32 v10, 23, v3
	v_cmp_ne_u32_e32 vcc, s2, v3
	v_cndmask_b32_e32 v8, v8, v10, vcc
	v_cmp_ne_u32_e32 vcc, 0, v3
	v_cndmask_b32_e32 v3, v9, v8, vcc
	s_branch .LBB33_537
.LBB33_536:
	s_mov_b64 s[30:31], -1
                                        ; implicit-def: $vgpr3
.LBB33_537:
	s_mov_b64 s[2:3], 0
.LBB33_538:
	s_and_b64 vcc, exec, s[2:3]
	s_cbranch_vccz .LBB33_542
; %bb.539:
	v_mov_b32_e32 v3, 29
	v_cmp_eq_u16_sdwa s[2:3], v6, v3 src0_sel:BYTE_0 src1_sel:DWORD
	s_and_b64 vcc, exec, s[2:3]
	s_cbranch_vccz .LBB33_541
; %bb.540:
	global_load_dwordx2 v[8:9], v[0:1], off
	s_mov_b64 s[0:1], -1
	s_mov_b64 s[30:31], 0
	s_mov_b64 s[2:3], 0
	s_waitcnt vmcnt(0)
	v_ffbh_u32_e32 v3, v9
	v_min_u32_e32 v3, 32, v3
	v_lshlrev_b64 v[8:9], v3, v[8:9]
	v_min_u32_e32 v8, 1, v8
	v_or_b32_e32 v8, v9, v8
	v_cvt_f32_u32_e32 v8, v8
	v_sub_u32_e32 v3, 32, v3
	v_ldexp_f32 v3, v8, v3
	s_branch .LBB33_543
.LBB33_541:
	s_mov_b64 s[30:31], -1
                                        ; implicit-def: $vgpr3
.LBB33_542:
	s_mov_b64 s[2:3], 0
.LBB33_543:
	s_and_b64 vcc, exec, s[2:3]
	s_cbranch_vccz .LBB33_561
; %bb.544:
	v_mov_b32_e32 v3, 27
	v_cmp_lt_i16_sdwa s[0:1], v6, v3 src0_sel:BYTE_0 src1_sel:DWORD
	s_and_b64 vcc, exec, s[0:1]
	s_cbranch_vccnz .LBB33_547
; %bb.545:
	v_cmp_gt_i16_sdwa s[0:1], v6, v3 src0_sel:BYTE_0 src1_sel:DWORD
	s_and_b64 vcc, exec, s[0:1]
	s_cbranch_vccz .LBB33_548
; %bb.546:
	global_load_dword v3, v[0:1], off
	s_mov_b64 s[0:1], 0
	s_waitcnt vmcnt(0)
	v_cvt_f32_u32_e32 v3, v3
	s_branch .LBB33_549
.LBB33_547:
	s_mov_b64 s[0:1], -1
                                        ; implicit-def: $vgpr3
	s_branch .LBB33_552
.LBB33_548:
	s_mov_b64 s[0:1], -1
                                        ; implicit-def: $vgpr3
.LBB33_549:
	s_andn2_b64 vcc, exec, s[0:1]
	s_cbranch_vccnz .LBB33_551
; %bb.550:
	global_load_ushort v3, v[0:1], off
	s_waitcnt vmcnt(0)
	v_cvt_f32_u32_e32 v3, v3
.LBB33_551:
	s_mov_b64 s[0:1], 0
.LBB33_552:
	s_andn2_b64 vcc, exec, s[0:1]
	s_cbranch_vccnz .LBB33_560
; %bb.553:
	global_load_ubyte v8, v[0:1], off
	s_movk_i32 s0, 0x7f
                                        ; implicit-def: $sgpr15
	s_waitcnt vmcnt(0)
	v_cmp_lt_i16_e32 vcc, s0, v8
	s_mov_b64 s[0:1], 0
	s_and_saveexec_b64 s[2:3], vcc
	s_xor_b64 s[2:3], exec, s[2:3]
	s_cbranch_execz .LBB33_574
; %bb.554:
	s_movk_i32 s0, 0x80
	v_cmp_eq_u16_e32 vcc, s0, v8
	s_mov_b64 s[0:1], -1
                                        ; implicit-def: $sgpr15
	s_and_saveexec_b64 s[4:5], vcc
; %bb.555:
	s_mov_b32 s15, 0x7f800001
	s_xor_b64 s[0:1], exec, -1
; %bb.556:
	s_or_b64 exec, exec, s[4:5]
	s_and_b64 s[0:1], s[0:1], exec
	s_or_saveexec_b64 s[2:3], s[2:3]
	v_mov_b32_e32 v3, s15
	s_xor_b64 exec, exec, s[2:3]
	s_cbranch_execnz .LBB33_575
.LBB33_557:
	s_or_b64 exec, exec, s[2:3]
	s_and_saveexec_b64 s[2:3], s[0:1]
	s_cbranch_execz .LBB33_559
.LBB33_558:
	v_lshlrev_b32_e32 v3, 24, v8
	v_and_b32_e32 v8, 0xffff, v8
	v_and_b32_e32 v9, 7, v8
	v_ffbh_u32_e32 v11, v9
	v_min_u32_e32 v11, 32, v11
	v_subrev_u32_e32 v12, 28, v11
	v_bfe_u32 v10, v8, 3, 4
	v_lshlrev_b32_e32 v8, v12, v8
	v_sub_u32_e32 v11, 29, v11
	v_and_b32_e32 v8, 7, v8
	v_cmp_eq_u32_e32 vcc, 0, v10
	v_cndmask_b32_e32 v10, v10, v11, vcc
	v_cndmask_b32_e32 v8, v9, v8, vcc
	v_mov_b32_e32 v9, 0x3b800000
	v_lshlrev_b32_e32 v8, 20, v8
	v_and_b32_e32 v3, 0x80000000, v3
	v_lshl_add_u32 v9, v10, 23, v9
	v_or3_b32 v3, v3, v9, v8
.LBB33_559:
	s_or_b64 exec, exec, s[2:3]
.LBB33_560:
	s_mov_b64 s[0:1], -1
.LBB33_561:
	s_mov_b64 s[2:3], 0
.LBB33_562:
	s_and_b64 vcc, exec, s[2:3]
	s_cbranch_vccz .LBB33_597
; %bb.563:
	v_mov_b32_e32 v3, 22
	v_cmp_gt_i16_sdwa s[2:3], v6, v3 src0_sel:BYTE_0 src1_sel:DWORD
	s_and_b64 vcc, exec, s[2:3]
	s_cbranch_vccz .LBB33_573
; %bb.564:
	v_mov_b32_e32 v3, 24
	v_cmp_lt_i16_sdwa s[0:1], v6, v3 src0_sel:BYTE_0 src1_sel:DWORD
	s_and_b64 vcc, exec, s[0:1]
	s_cbranch_vccnz .LBB33_576
; %bb.565:
	v_cmp_gt_i16_sdwa s[0:1], v6, v3 src0_sel:BYTE_0 src1_sel:DWORD
	s_and_b64 vcc, exec, s[0:1]
	s_cbranch_vccz .LBB33_577
; %bb.566:
	global_load_ubyte v8, v[0:1], off
	s_movk_i32 s0, 0x7f
                                        ; implicit-def: $sgpr15
	s_waitcnt vmcnt(0)
	v_cmp_lt_i16_e32 vcc, s0, v8
	s_mov_b64 s[0:1], 0
	s_and_saveexec_b64 s[2:3], vcc
	s_xor_b64 s[2:3], exec, s[2:3]
	s_cbranch_execz .LBB33_589
; %bb.567:
	s_movk_i32 s0, 0x80
	v_cmp_eq_u16_e32 vcc, s0, v8
	s_mov_b64 s[0:1], -1
                                        ; implicit-def: $sgpr15
	s_and_saveexec_b64 s[4:5], vcc
; %bb.568:
	s_mov_b32 s15, 0x7f800001
	s_xor_b64 s[0:1], exec, -1
; %bb.569:
	s_or_b64 exec, exec, s[4:5]
	s_and_b64 s[0:1], s[0:1], exec
	s_or_saveexec_b64 s[2:3], s[2:3]
	v_mov_b32_e32 v3, s15
	s_xor_b64 exec, exec, s[2:3]
	s_cbranch_execnz .LBB33_590
.LBB33_570:
	s_or_b64 exec, exec, s[2:3]
	s_and_saveexec_b64 s[2:3], s[0:1]
	s_cbranch_execz .LBB33_572
.LBB33_571:
	v_lshlrev_b32_e32 v3, 24, v8
	v_and_b32_e32 v8, 0xffff, v8
	v_and_b32_e32 v9, 3, v8
	v_ffbh_u32_e32 v11, v9
	v_min_u32_e32 v11, 32, v11
	v_subrev_u32_e32 v12, 29, v11
	v_bfe_u32 v10, v8, 2, 5
	v_lshlrev_b32_e32 v8, v12, v8
	v_sub_u32_e32 v11, 30, v11
	v_and_b32_e32 v8, 3, v8
	v_cmp_eq_u32_e32 vcc, 0, v10
	v_cndmask_b32_e32 v10, v10, v11, vcc
	v_cndmask_b32_e32 v8, v9, v8, vcc
	v_mov_b32_e32 v9, 0x37800000
	v_lshlrev_b32_e32 v8, 21, v8
	v_and_b32_e32 v3, 0x80000000, v3
	v_lshl_add_u32 v9, v10, 23, v9
	v_or3_b32 v3, v3, v9, v8
.LBB33_572:
	s_or_b64 exec, exec, s[2:3]
	s_mov_b64 s[0:1], 0
	s_branch .LBB33_578
.LBB33_573:
	s_mov_b64 s[2:3], -1
                                        ; implicit-def: $vgpr3
	s_branch .LBB33_584
.LBB33_574:
	s_or_saveexec_b64 s[2:3], s[2:3]
	v_mov_b32_e32 v3, s15
	s_xor_b64 exec, exec, s[2:3]
	s_cbranch_execz .LBB33_557
.LBB33_575:
	v_cmp_ne_u16_e32 vcc, 0, v8
	s_andn2_b64 s[0:1], s[0:1], exec
	s_and_b64 s[4:5], vcc, exec
	v_mov_b32_e32 v3, 0
	s_or_b64 s[0:1], s[0:1], s[4:5]
	s_or_b64 exec, exec, s[2:3]
	s_and_saveexec_b64 s[2:3], s[0:1]
	s_cbranch_execnz .LBB33_558
	s_branch .LBB33_559
.LBB33_576:
	s_mov_b64 s[0:1], -1
                                        ; implicit-def: $vgpr3
	s_branch .LBB33_581
.LBB33_577:
	s_mov_b64 s[0:1], -1
                                        ; implicit-def: $vgpr3
.LBB33_578:
	s_and_b64 vcc, exec, s[0:1]
	s_cbranch_vccz .LBB33_580
; %bb.579:
	global_load_ubyte v3, v[0:1], off
	s_mov_b32 s0, 0x7f800000
	s_waitcnt vmcnt(0)
	v_lshlrev_b32_e32 v3, 24, v3
	v_and_b32_e32 v8, 0x7f000000, v3
	v_ffbh_u32_e32 v9, v8
	v_min_u32_e32 v9, 32, v9
	v_sub_u32_e64 v9, v9, 4 clamp
	v_lshlrev_b32_e32 v11, v9, v8
	v_lshlrev_b32_e32 v9, 23, v9
	v_lshrrev_b32_e32 v11, 4, v11
	v_add_u32_e32 v10, 0x1000000, v8
	v_sub_u32_e32 v9, v11, v9
	v_ashrrev_i32_e32 v10, 8, v10
	v_add_u32_e32 v9, 0x3c000000, v9
	v_and_or_b32 v9, v10, s0, v9
	v_cmp_ne_u32_e32 vcc, 0, v8
	v_cndmask_b32_e32 v8, 0, v9, vcc
	s_brev_b32 s0, 1
	v_and_or_b32 v3, v3, s0, v8
.LBB33_580:
	s_mov_b64 s[0:1], 0
.LBB33_581:
	s_andn2_b64 vcc, exec, s[0:1]
	s_cbranch_vccnz .LBB33_583
; %bb.582:
	global_load_ubyte v3, v[0:1], off
	s_movk_i32 s0, 0x7f00
	s_brev_b32 s1, 16
	s_waitcnt vmcnt(0)
	v_lshlrev_b16_e32 v8, 8, v3
	v_lshlrev_b32_e32 v3, 25, v3
	v_lshrrev_b32_e32 v9, 4, v3
	v_and_or_b32 v10, v8, s0, 0.5
	v_or_b32_e32 v9, 0x70000000, v9
	v_add_f32_e32 v10, -0.5, v10
	v_mul_f32_e32 v9, 0x7800000, v9
	v_cmp_gt_u32_e32 vcc, s1, v3
	v_bfe_i32 v8, v8, 0, 16
	v_cndmask_b32_e32 v3, v9, v10, vcc
	s_brev_b32 s0, 1
	v_and_or_b32 v3, v8, s0, v3
.LBB33_583:
	s_mov_b64 s[2:3], 0
	s_mov_b64 s[0:1], -1
.LBB33_584:
	s_andn2_b64 vcc, exec, s[2:3]
	s_cbranch_vccnz .LBB33_597
; %bb.585:
	v_mov_b32_e32 v3, 14
	v_cmp_gt_i16_sdwa s[2:3], v6, v3 src0_sel:BYTE_0 src1_sel:DWORD
	s_and_b64 vcc, exec, s[2:3]
	s_cbranch_vccz .LBB33_588
; %bb.586:
	v_mov_b32_e32 v3, 15
	v_cmp_eq_u16_sdwa s[2:3], v6, v3 src0_sel:BYTE_0 src1_sel:DWORD
	s_and_b64 vcc, exec, s[2:3]
	s_cbranch_vccz .LBB33_591
; %bb.587:
	global_load_ushort v3, v[0:1], off
	s_mov_b64 s[0:1], -1
	s_mov_b64 s[30:31], 0
	s_waitcnt vmcnt(0)
	v_lshlrev_b32_e32 v3, 16, v3
	s_branch .LBB33_592
.LBB33_588:
	s_mov_b64 s[2:3], -1
                                        ; implicit-def: $vgpr3
	s_branch .LBB33_593
.LBB33_589:
	s_or_saveexec_b64 s[2:3], s[2:3]
	v_mov_b32_e32 v3, s15
	s_xor_b64 exec, exec, s[2:3]
	s_cbranch_execz .LBB33_570
.LBB33_590:
	v_cmp_ne_u16_e32 vcc, 0, v8
	s_andn2_b64 s[0:1], s[0:1], exec
	s_and_b64 s[4:5], vcc, exec
	v_mov_b32_e32 v3, 0
	s_or_b64 s[0:1], s[0:1], s[4:5]
	s_or_b64 exec, exec, s[2:3]
	s_and_saveexec_b64 s[2:3], s[0:1]
	s_cbranch_execnz .LBB33_571
	s_branch .LBB33_572
.LBB33_591:
	s_mov_b64 s[30:31], -1
                                        ; implicit-def: $vgpr3
.LBB33_592:
	s_mov_b64 s[2:3], 0
.LBB33_593:
	s_and_b64 vcc, exec, s[2:3]
	s_cbranch_vccz .LBB33_597
; %bb.594:
	v_mov_b32_e32 v3, 11
	v_cmp_eq_u16_sdwa s[2:3], v6, v3 src0_sel:BYTE_0 src1_sel:DWORD
	s_and_b64 vcc, exec, s[2:3]
	s_cbranch_vccz .LBB33_596
; %bb.595:
	global_load_ubyte v3, v[0:1], off
	s_mov_b64 s[0:1], -1
	s_mov_b64 s[30:31], 0
	s_waitcnt vmcnt(0)
	v_cmp_ne_u16_e32 vcc, 0, v3
	v_cndmask_b32_e64 v3, 0, 1.0, vcc
	s_branch .LBB33_597
.LBB33_596:
	s_mov_b64 s[30:31], -1
                                        ; implicit-def: $vgpr3
.LBB33_597:
	s_mov_b64 s[2:3], 0
.LBB33_598:
	s_and_b64 vcc, exec, s[2:3]
	s_cbranch_vccz .LBB33_647
; %bb.599:
	v_mov_b32_e32 v3, 5
	v_cmp_lt_i16_sdwa s[0:1], v6, v3 src0_sel:BYTE_0 src1_sel:DWORD
	s_and_b64 vcc, exec, s[0:1]
	s_cbranch_vccnz .LBB33_604
; %bb.600:
	v_mov_b32_e32 v3, 8
	v_cmp_lt_i16_sdwa s[0:1], v6, v3 src0_sel:BYTE_0 src1_sel:DWORD
	s_and_b64 vcc, exec, s[0:1]
	s_cbranch_vccnz .LBB33_605
	;; [unrolled: 5-line block ×3, first 2 shown]
; %bb.602:
	v_cmp_gt_i16_sdwa s[0:1], v6, v3 src0_sel:BYTE_0 src1_sel:DWORD
	s_and_b64 vcc, exec, s[0:1]
	s_cbranch_vccz .LBB33_607
; %bb.603:
	global_load_dwordx2 v[8:9], v[0:1], off
	s_mov_b64 s[0:1], 0
	s_waitcnt vmcnt(0)
	v_cvt_f32_f64_e32 v3, v[8:9]
	s_branch .LBB33_608
.LBB33_604:
	s_mov_b64 s[0:1], -1
                                        ; implicit-def: $vgpr3
	s_branch .LBB33_626
.LBB33_605:
	s_mov_b64 s[0:1], -1
                                        ; implicit-def: $vgpr3
	s_branch .LBB33_614
.LBB33_606:
	s_mov_b64 s[0:1], -1
                                        ; implicit-def: $vgpr3
	s_branch .LBB33_611
.LBB33_607:
	s_mov_b64 s[0:1], -1
                                        ; implicit-def: $vgpr3
.LBB33_608:
	s_andn2_b64 vcc, exec, s[0:1]
	s_cbranch_vccnz .LBB33_610
; %bb.609:
	global_load_dword v3, v[0:1], off
.LBB33_610:
	s_mov_b64 s[0:1], 0
.LBB33_611:
	s_andn2_b64 vcc, exec, s[0:1]
	s_cbranch_vccnz .LBB33_613
; %bb.612:
	global_load_dword v3, v[0:1], off
	s_waitcnt vmcnt(0)
	v_cvt_f32_f16_e32 v3, v3
.LBB33_613:
	s_mov_b64 s[0:1], 0
.LBB33_614:
	s_andn2_b64 vcc, exec, s[0:1]
	s_cbranch_vccnz .LBB33_625
; %bb.615:
	s_waitcnt vmcnt(0)
	v_mov_b32_e32 v3, 6
	v_cmp_lt_i16_sdwa s[0:1], v6, v3 src0_sel:BYTE_0 src1_sel:DWORD
	s_and_b64 vcc, exec, s[0:1]
	s_cbranch_vccnz .LBB33_618
; %bb.616:
	v_cmp_gt_i16_sdwa s[0:1], v6, v3 src0_sel:BYTE_0 src1_sel:DWORD
	s_and_b64 vcc, exec, s[0:1]
	s_cbranch_vccz .LBB33_619
; %bb.617:
	global_load_dwordx2 v[8:9], v[0:1], off
	s_mov_b64 s[0:1], 0
	s_waitcnt vmcnt(0)
	v_cvt_f32_f64_e32 v3, v[8:9]
	s_branch .LBB33_620
.LBB33_618:
	s_mov_b64 s[0:1], -1
                                        ; implicit-def: $vgpr3
	s_branch .LBB33_623
.LBB33_619:
	s_mov_b64 s[0:1], -1
                                        ; implicit-def: $vgpr3
.LBB33_620:
	s_andn2_b64 vcc, exec, s[0:1]
	s_cbranch_vccnz .LBB33_622
; %bb.621:
	global_load_dword v3, v[0:1], off
.LBB33_622:
	s_mov_b64 s[0:1], 0
.LBB33_623:
	s_andn2_b64 vcc, exec, s[0:1]
	s_cbranch_vccnz .LBB33_625
; %bb.624:
	global_load_ushort v3, v[0:1], off
	s_waitcnt vmcnt(0)
	v_cvt_f32_f16_e32 v3, v3
.LBB33_625:
	s_mov_b64 s[0:1], 0
.LBB33_626:
	s_andn2_b64 vcc, exec, s[0:1]
	s_cbranch_vccnz .LBB33_646
; %bb.627:
	s_waitcnt vmcnt(0)
	v_mov_b32_e32 v3, 2
	v_cmp_lt_i16_sdwa s[0:1], v6, v3 src0_sel:BYTE_0 src1_sel:DWORD
	s_and_b64 vcc, exec, s[0:1]
	s_cbranch_vccnz .LBB33_631
; %bb.628:
	v_mov_b32_e32 v3, 3
	v_cmp_lt_i16_sdwa s[0:1], v6, v3 src0_sel:BYTE_0 src1_sel:DWORD
	s_and_b64 vcc, exec, s[0:1]
	s_cbranch_vccnz .LBB33_632
; %bb.629:
	v_cmp_gt_i16_sdwa s[0:1], v6, v3 src0_sel:BYTE_0 src1_sel:DWORD
	s_and_b64 vcc, exec, s[0:1]
	s_cbranch_vccz .LBB33_633
; %bb.630:
	global_load_dwordx2 v[8:9], v[0:1], off
	s_mov_b64 s[0:1], 0
	s_waitcnt vmcnt(0)
	v_xor_b32_e32 v10, v8, v9
	v_ffbh_i32_e32 v3, v9
	v_ashrrev_i32_e32 v10, 31, v10
	v_add_u32_e32 v3, -1, v3
	v_add_u32_e32 v10, 32, v10
	v_min_u32_e32 v3, v3, v10
	v_lshlrev_b64 v[8:9], v3, v[8:9]
	v_min_u32_e32 v8, 1, v8
	v_or_b32_e32 v8, v9, v8
	v_cvt_f32_i32_e32 v8, v8
	v_sub_u32_e32 v3, 32, v3
	v_ldexp_f32 v3, v8, v3
	s_branch .LBB33_634
.LBB33_631:
	s_mov_b64 s[0:1], -1
                                        ; implicit-def: $vgpr3
	s_branch .LBB33_640
.LBB33_632:
	s_mov_b64 s[0:1], -1
                                        ; implicit-def: $vgpr3
	s_branch .LBB33_637
.LBB33_633:
	s_mov_b64 s[0:1], -1
                                        ; implicit-def: $vgpr3
.LBB33_634:
	s_andn2_b64 vcc, exec, s[0:1]
	s_cbranch_vccnz .LBB33_636
; %bb.635:
	global_load_dword v3, v[0:1], off
	s_waitcnt vmcnt(0)
	v_cvt_f32_i32_e32 v3, v3
.LBB33_636:
	s_mov_b64 s[0:1], 0
.LBB33_637:
	s_andn2_b64 vcc, exec, s[0:1]
	s_cbranch_vccnz .LBB33_639
; %bb.638:
	global_load_sshort v3, v[0:1], off
	s_waitcnt vmcnt(0)
	v_cvt_f32_i32_e32 v3, v3
.LBB33_639:
	s_mov_b64 s[0:1], 0
.LBB33_640:
	s_andn2_b64 vcc, exec, s[0:1]
	s_cbranch_vccnz .LBB33_646
; %bb.641:
	v_mov_b32_e32 v3, 0
	v_cmp_gt_i16_sdwa s[0:1], v6, v3 src0_sel:BYTE_0 src1_sel:DWORD
	s_and_b64 vcc, exec, s[0:1]
	s_cbranch_vccz .LBB33_643
; %bb.642:
	global_load_sbyte v3, v[0:1], off
	s_mov_b64 s[0:1], 0
	s_waitcnt vmcnt(0)
	v_cvt_f32_i32_e32 v3, v3
	s_branch .LBB33_644
.LBB33_643:
	s_mov_b64 s[0:1], -1
                                        ; implicit-def: $vgpr3
.LBB33_644:
	s_andn2_b64 vcc, exec, s[0:1]
	s_cbranch_vccnz .LBB33_646
; %bb.645:
	global_load_ubyte v0, v[0:1], off
	s_waitcnt vmcnt(0)
	v_cvt_f32_ubyte0_e32 v3, v0
.LBB33_646:
	s_mov_b64 s[0:1], -1
.LBB33_647:
	s_andn2_b64 vcc, exec, s[0:1]
	s_cbranch_vccnz .LBB33_655
; %bb.648:
	s_waitcnt vmcnt(0)
	v_div_scale_f32 v0, s[0:1], v3, v3, v2
	v_rcp_f32_e32 v1, v0
	v_div_scale_f32 v8, vcc, v2, v3, v2
	s_mov_b32 s0, 0x800000
	v_fma_f32 v9, -v0, v1, 1.0
	v_fmac_f32_e32 v1, v9, v1
	v_mul_f32_e32 v9, v8, v1
	v_fma_f32 v10, -v0, v9, v8
	v_fmac_f32_e32 v9, v10, v1
	v_fma_f32 v0, -v0, v9, v8
	v_div_fmas_f32 v0, v0, v1, v9
	v_div_fixup_f32 v3, v0, v3, v2
	v_mov_b32_e32 v0, 0x800000
	v_cmp_gt_f32_e64 s[0:1], s0, v3
	v_cndmask_b32_e64 v0, v3, v0, s[0:1]
	s_mov_b32 s2, 0x3f7ffffe
	v_mov_b32_e32 v1, 0x3f7ffffe
	v_cmp_lt_f32_e64 s[2:3], s2, v0
	v_cndmask_b32_e64 v2, v0, v1, s[2:3]
	v_mul_lo_u32 v0, v5, s12
	v_ashrrev_i32_e32 v1, 31, v0
	v_mov_b32_e32 v8, s9
	v_add_co_u32_e32 v0, vcc, s8, v0
	v_addc_co_u32_e32 v1, vcc, v8, v1, vcc
	v_mov_b32_e32 v8, 11
	v_cmp_lt_i16_sdwa s[4:5], v4, v8 src0_sel:BYTE_0 src1_sel:DWORD
	s_and_b64 vcc, exec, s[4:5]
	s_cbranch_vccnz .LBB33_656
; %bb.649:
	v_mov_b32_e32 v8, 25
	v_cmp_gt_i16_sdwa s[4:5], v4, v8 src0_sel:BYTE_0 src1_sel:DWORD
	s_and_b64 vcc, exec, s[4:5]
	s_cbranch_vccz .LBB33_657
; %bb.650:
	v_mov_b32_e32 v8, 28
	v_cmp_gt_i16_sdwa s[4:5], v4, v8 src0_sel:BYTE_0 src1_sel:DWORD
	s_and_b64 vcc, exec, s[4:5]
	s_cbranch_vccz .LBB33_658
	;; [unrolled: 5-line block ×4, first 2 shown]
; %bb.653:
	v_mov_b32_e32 v8, 46
	v_cmp_eq_u16_sdwa s[34:35], v4, v8 src0_sel:BYTE_0 src1_sel:DWORD
	s_mov_b64 s[38:39], 0
	s_mov_b64 s[4:5], -1
	s_and_b64 vcc, exec, s[34:35]
	s_mov_b64 s[34:35], 0
	s_cbranch_vccz .LBB33_661
; %bb.654:
	v_bfe_u32 v8, v2, 16, 1
	s_movk_i32 s4, 0x7fff
	v_add3_u32 v8, v2, v8, s4
	v_lshrrev_b32_e32 v8, 16, v8
	v_mov_b32_e32 v9, 0x7fc0
	v_cmp_o_f32_e32 vcc, v2, v2
	v_cndmask_b32_e32 v8, v9, v8, vcc
	global_store_dword v[0:1], v8, off
	s_mov_b64 s[34:35], -1
	s_mov_b64 s[4:5], 0
	s_branch .LBB33_661
.LBB33_655:
	s_mov_b64 s[0:1], 0
                                        ; implicit-def: $vgpr5
	s_mov_b64 s[4:5], s[20:21]
	s_branch .LBB33_771
.LBB33_656:
	s_mov_b64 s[0:1], -1
	s_mov_b64 s[34:35], 0
	s_mov_b64 s[4:5], s[20:21]
	s_branch .LBB33_730
.LBB33_657:
	s_mov_b64 s[38:39], -1
	s_mov_b64 s[34:35], 0
	s_mov_b64 s[4:5], s[20:21]
	s_branch .LBB33_688
.LBB33_658:
	s_mov_b64 s[38:39], -1
	s_mov_b64 s[34:35], 0
	s_mov_b64 s[4:5], s[20:21]
	s_branch .LBB33_671
.LBB33_659:
	s_mov_b64 s[38:39], -1
	s_mov_b64 s[34:35], 0
	s_mov_b64 s[4:5], s[20:21]
	s_branch .LBB33_667
.LBB33_660:
	s_mov_b64 s[38:39], -1
	s_mov_b64 s[34:35], 0
	s_mov_b64 s[4:5], s[20:21]
.LBB33_661:
	s_and_b64 vcc, exec, s[38:39]
	s_cbranch_vccz .LBB33_666
; %bb.662:
	v_mov_b32_e32 v8, 44
	v_cmp_eq_u16_sdwa s[38:39], v4, v8 src0_sel:BYTE_0 src1_sel:DWORD
	s_mov_b64 s[4:5], -1
	s_and_b64 vcc, exec, s[38:39]
	s_cbranch_vccz .LBB33_666
; %bb.663:
	v_bfe_u32 v8, v2, 23, 8
	s_movk_i32 s4, 0xff
	v_cmp_ne_u32_e32 vcc, s4, v8
	v_mov_b32_e32 v9, 0xff
	s_and_saveexec_b64 s[34:35], vcc
; %bb.664:
	s_mov_b32 s4, 0x3fffff
	v_and_b32_e32 v10, 0x400000, v2
	v_and_or_b32 v8, v2, s4, v8
	v_cmp_ne_u32_e32 vcc, 0, v10
	v_cmp_ne_u32_e64 s[4:5], 0, v8
	s_and_b64 s[4:5], vcc, s[4:5]
	v_lshrrev_b32_e32 v9, 23, v2
	v_cndmask_b32_e64 v8, 0, 1, s[4:5]
	v_add_u32_e32 v9, v9, v8
; %bb.665:
	s_or_b64 exec, exec, s[34:35]
	s_mov_b64 s[34:35], -1
	s_mov_b64 s[4:5], 0
	global_store_byte v[0:1], v9, off
.LBB33_666:
	s_mov_b64 s[38:39], 0
.LBB33_667:
	s_and_b64 vcc, exec, s[38:39]
	s_cbranch_vccz .LBB33_670
; %bb.668:
	v_mov_b32_e32 v8, 29
	v_cmp_eq_u16_sdwa s[38:39], v4, v8 src0_sel:BYTE_0 src1_sel:DWORD
	s_mov_b64 s[4:5], -1
	s_and_b64 vcc, exec, s[38:39]
	s_cbranch_vccz .LBB33_670
; %bb.669:
	v_trunc_f32_e32 v8, v2
	v_mul_f32_e32 v9, 0x2f800000, v8
	v_floor_f32_e32 v10, v9
	v_fmac_f32_e32 v8, 0xcf800000, v10
	v_cvt_u32_f32_e32 v9, v10
	v_cvt_u32_f32_e32 v8, v8
	s_mov_b64 s[34:35], -1
	s_mov_b64 s[4:5], 0
	s_mov_b64 s[38:39], 0
	global_store_dwordx2 v[0:1], v[8:9], off
	s_branch .LBB33_671
.LBB33_670:
	s_mov_b64 s[38:39], 0
.LBB33_671:
	s_and_b64 vcc, exec, s[38:39]
	s_cbranch_vccz .LBB33_687
; %bb.672:
	v_mov_b32_e32 v8, 27
	v_cmp_lt_i16_sdwa s[38:39], v4, v8 src0_sel:BYTE_0 src1_sel:DWORD
	s_mov_b64 s[34:35], -1
	s_and_b64 vcc, exec, s[38:39]
	s_cbranch_vccnz .LBB33_678
; %bb.673:
	v_cmp_gt_i16_sdwa s[38:39], v4, v8 src0_sel:BYTE_0 src1_sel:DWORD
	v_cvt_u32_f32_e32 v8, v2
	s_and_b64 vcc, exec, s[38:39]
	s_cbranch_vccz .LBB33_675
; %bb.674:
	s_mov_b64 s[34:35], 0
	global_store_dword v[0:1], v8, off
.LBB33_675:
	s_andn2_b64 vcc, exec, s[34:35]
	s_cbranch_vccnz .LBB33_677
; %bb.676:
	global_store_short v[0:1], v8, off
.LBB33_677:
	s_mov_b64 s[34:35], 0
.LBB33_678:
	s_andn2_b64 vcc, exec, s[34:35]
	s_cbranch_vccnz .LBB33_686
; %bb.679:
	v_mov_b32_e32 v8, 0x800000
	v_cndmask_b32_e64 v8, |v3|, v8, s[0:1]
	v_mov_b32_e32 v9, 0x3f7ffffe
	v_cndmask_b32_e64 v9, v8, v9, s[2:3]
	s_mov_b32 s15, 0x43800000
	v_cmp_gt_u32_e32 vcc, s15, v9
	v_mov_b32_e32 v10, 0x80
	s_and_saveexec_b64 s[34:35], vcc
	s_cbranch_execz .LBB33_685
; %bb.680:
	s_mov_b32 s15, 0x3bffffff
	v_cmp_lt_u32_e32 vcc, s15, v9
	s_mov_b64 s[38:39], 0
                                        ; implicit-def: $vgpr8
	s_and_saveexec_b64 s[40:41], vcc
	s_xor_b64 s[40:41], exec, s[40:41]
	s_cbranch_execz .LBB33_787
; %bb.681:
	v_bfe_u32 v8, v2, 20, 1
	s_mov_b32 s15, 0x487ffff
	v_add3_u32 v8, v2, v8, s15
	s_mov_b64 s[38:39], exec
	v_lshrrev_b32_e32 v8, 20, v8
                                        ; implicit-def: $vgpr9
	s_or_saveexec_b64 s[40:41], s[40:41]
                                        ; implicit-def: $sgpr15
	s_xor_b64 exec, exec, s[40:41]
	s_cbranch_execnz .LBB33_788
.LBB33_682:
	s_or_b64 exec, exec, s[40:41]
	v_mov_b32_e32 v10, s15
	s_and_saveexec_b64 s[40:41], s[38:39]
.LBB33_683:
	v_lshrrev_b32_e32 v9, 24, v2
	s_movk_i32 s15, 0x80
	v_and_or_b32 v10, v9, s15, v8
.LBB33_684:
	s_or_b64 exec, exec, s[40:41]
.LBB33_685:
	s_or_b64 exec, exec, s[34:35]
	global_store_byte v[0:1], v10, off
.LBB33_686:
	s_mov_b64 s[34:35], -1
.LBB33_687:
	s_mov_b64 s[38:39], 0
.LBB33_688:
	s_and_b64 vcc, exec, s[38:39]
	s_cbranch_vccz .LBB33_729
; %bb.689:
	v_mov_b32_e32 v8, 22
	v_cmp_gt_i16_sdwa s[40:41], v4, v8 src0_sel:BYTE_0 src1_sel:DWORD
	s_mov_b64 s[38:39], -1
	s_and_b64 vcc, exec, s[40:41]
	s_cbranch_vccz .LBB33_721
; %bb.690:
	v_mov_b32_e32 v8, 24
	v_cmp_lt_i16_sdwa s[38:39], v4, v8 src0_sel:BYTE_0 src1_sel:DWORD
	s_mov_b64 s[34:35], -1
	s_and_b64 vcc, exec, s[38:39]
	s_cbranch_vccnz .LBB33_710
; %bb.691:
	v_cmp_gt_i16_sdwa s[38:39], v4, v8 src0_sel:BYTE_0 src1_sel:DWORD
	s_and_b64 vcc, exec, s[38:39]
	s_cbranch_vccz .LBB33_699
; %bb.692:
	v_mov_b32_e32 v8, 0x800000
	v_cndmask_b32_e64 v8, |v3|, v8, s[0:1]
	v_mov_b32_e32 v9, 0x3f7ffffe
	v_cndmask_b32_e64 v9, v8, v9, s[2:3]
	s_mov_b32 s15, 0x47800000
	v_cmp_gt_u32_e32 vcc, s15, v9
	v_mov_b32_e32 v10, 0x80
	s_and_saveexec_b64 s[34:35], vcc
	s_cbranch_execz .LBB33_698
; %bb.693:
	s_mov_b32 s15, 0x37ffffff
	v_cmp_lt_u32_e32 vcc, s15, v9
	s_mov_b64 s[38:39], 0
                                        ; implicit-def: $vgpr8
	s_and_saveexec_b64 s[40:41], vcc
	s_xor_b64 s[40:41], exec, s[40:41]
	s_cbranch_execz .LBB33_919
; %bb.694:
	v_bfe_u32 v8, v2, 21, 1
	s_mov_b32 s15, 0x88fffff
	v_add3_u32 v8, v2, v8, s15
	s_mov_b64 s[38:39], exec
	v_lshrrev_b32_e32 v8, 21, v8
                                        ; implicit-def: $vgpr9
	s_or_saveexec_b64 s[40:41], s[40:41]
                                        ; implicit-def: $sgpr15
	s_xor_b64 exec, exec, s[40:41]
	s_cbranch_execnz .LBB33_920
.LBB33_695:
	s_or_b64 exec, exec, s[40:41]
	v_mov_b32_e32 v10, s15
	s_and_saveexec_b64 s[40:41], s[38:39]
.LBB33_696:
	v_lshrrev_b32_e32 v9, 24, v2
	s_movk_i32 s15, 0x80
	v_and_or_b32 v10, v9, s15, v8
.LBB33_697:
	s_or_b64 exec, exec, s[40:41]
.LBB33_698:
	s_or_b64 exec, exec, s[34:35]
	s_mov_b64 s[34:35], 0
	global_store_byte v[0:1], v10, off
.LBB33_699:
	s_and_b64 vcc, exec, s[34:35]
	s_cbranch_vccz .LBB33_709
; %bb.700:
	v_mov_b32_e32 v8, 0x800000
	v_cndmask_b32_e64 v8, |v3|, v8, s[0:1]
	v_mov_b32_e32 v9, 0x3f7ffffe
	v_cndmask_b32_e64 v9, v8, v9, s[2:3]
	s_mov_b32 s15, 0x43f00000
	v_cmp_gt_u32_e32 vcc, s15, v9
                                        ; implicit-def: $vgpr8
	s_and_saveexec_b64 s[34:35], vcc
	s_xor_b64 s[34:35], exec, s[34:35]
	s_cbranch_execz .LBB33_706
; %bb.701:
	s_mov_b32 s15, 0x3c7fffff
	v_cmp_lt_u32_e32 vcc, s15, v9
                                        ; implicit-def: $vgpr8
	s_and_saveexec_b64 s[38:39], vcc
	s_xor_b64 s[38:39], exec, s[38:39]
; %bb.702:
	v_bfe_u32 v8, v2, 20, 1
	s_mov_b32 s15, 0x407ffff
	v_add3_u32 v8, v2, v8, s15
	v_lshrrev_b32_e32 v9, 20, v8
	v_and_b32_e32 v8, 0xff00000, v8
	s_mov_b32 s15, 0x7f00000
	v_mov_b32_e32 v10, 0x7e
	v_cmp_ne_u32_e32 vcc, s15, v8
	v_cndmask_b32_e32 v8, v10, v9, vcc
                                        ; implicit-def: $vgpr9
; %bb.703:
	s_andn2_saveexec_b64 s[38:39], s[38:39]
; %bb.704:
	v_add_f32_e32 v8, 0x46800000, v9
; %bb.705:
	s_or_b64 exec, exec, s[38:39]
                                        ; implicit-def: $vgpr9
.LBB33_706:
	s_andn2_saveexec_b64 s[34:35], s[34:35]
; %bb.707:
	s_mov_b32 s15, 0x7f800000
	v_mov_b32_e32 v8, 0x7e
	v_mov_b32_e32 v10, 0x7f
	v_cmp_lt_u32_e32 vcc, s15, v9
	v_cndmask_b32_e32 v8, v8, v10, vcc
; %bb.708:
	s_or_b64 exec, exec, s[34:35]
	v_lshrrev_b32_e32 v9, 24, v2
	s_movk_i32 s15, 0x80
	v_and_or_b32 v8, v9, s15, v8
	global_store_byte v[0:1], v8, off
.LBB33_709:
	s_mov_b64 s[34:35], 0
.LBB33_710:
	s_andn2_b64 vcc, exec, s[34:35]
	s_cbranch_vccnz .LBB33_720
; %bb.711:
	v_mov_b32_e32 v8, 0x800000
	v_cndmask_b32_e64 v3, |v3|, v8, s[0:1]
	v_mov_b32_e32 v8, 0x3f7ffffe
	v_cndmask_b32_e64 v8, v3, v8, s[2:3]
	s_mov_b32 s0, 0x47800000
	v_cmp_gt_u32_e32 vcc, s0, v8
                                        ; implicit-def: $vgpr3
	s_and_saveexec_b64 s[0:1], vcc
	s_xor_b64 s[0:1], exec, s[0:1]
	s_cbranch_execz .LBB33_717
; %bb.712:
	s_mov_b32 s2, 0x387fffff
	v_cmp_lt_u32_e32 vcc, s2, v8
                                        ; implicit-def: $vgpr3
	s_and_saveexec_b64 s[2:3], vcc
	s_xor_b64 s[2:3], exec, s[2:3]
; %bb.713:
	v_bfe_u32 v3, v2, 21, 1
	s_mov_b32 s15, 0x80fffff
	v_add3_u32 v3, v2, v3, s15
	v_lshrrev_b32_e32 v3, 21, v3
                                        ; implicit-def: $vgpr8
; %bb.714:
	s_andn2_saveexec_b64 s[2:3], s[2:3]
; %bb.715:
	v_add_f32_e32 v3, 0x43000000, v8
; %bb.716:
	s_or_b64 exec, exec, s[2:3]
                                        ; implicit-def: $vgpr8
.LBB33_717:
	s_andn2_saveexec_b64 s[0:1], s[0:1]
; %bb.718:
	s_mov_b32 s2, 0x7f800000
	v_mov_b32_e32 v3, 0x7c
	v_mov_b32_e32 v9, 0x7f
	v_cmp_lt_u32_e32 vcc, s2, v8
	v_cndmask_b32_e32 v3, v3, v9, vcc
; %bb.719:
	s_or_b64 exec, exec, s[0:1]
	v_lshrrev_b32_e32 v8, 24, v2
	s_movk_i32 s0, 0x80
	v_and_or_b32 v3, v8, s0, v3
	global_store_byte v[0:1], v3, off
.LBB33_720:
	s_mov_b64 s[38:39], 0
	s_mov_b64 s[34:35], -1
.LBB33_721:
	s_andn2_b64 vcc, exec, s[38:39]
	s_cbranch_vccnz .LBB33_729
; %bb.722:
	v_mov_b32_e32 v3, 14
	v_cmp_gt_i16_sdwa s[2:3], v4, v3 src0_sel:BYTE_0 src1_sel:DWORD
	s_mov_b64 s[0:1], -1
	s_and_b64 vcc, exec, s[2:3]
	s_cbranch_vccz .LBB33_726
; %bb.723:
	v_mov_b32_e32 v3, 15
	v_cmp_eq_u16_sdwa s[0:1], v4, v3 src0_sel:BYTE_0 src1_sel:DWORD
	s_mov_b64 s[4:5], -1
	s_and_b64 vcc, exec, s[0:1]
	s_cbranch_vccz .LBB33_725
; %bb.724:
	v_bfe_u32 v3, v2, 16, 1
	s_movk_i32 s0, 0x7fff
	v_add3_u32 v3, v2, v3, s0
	v_lshrrev_b32_e32 v3, 16, v3
	v_mov_b32_e32 v8, 0x7fc0
	v_cmp_o_f32_e32 vcc, v2, v2
	v_cndmask_b32_e32 v3, v8, v3, vcc
	global_store_short v[0:1], v3, off
	s_mov_b64 s[34:35], -1
	s_mov_b64 s[4:5], 0
.LBB33_725:
	s_mov_b64 s[0:1], 0
.LBB33_726:
	s_and_b64 vcc, exec, s[0:1]
	s_cbranch_vccz .LBB33_729
; %bb.727:
	v_mov_b32_e32 v3, 11
	v_cmp_eq_u16_sdwa s[0:1], v4, v3 src0_sel:BYTE_0 src1_sel:DWORD
	s_mov_b64 s[4:5], -1
	s_and_b64 vcc, exec, s[0:1]
	s_cbranch_vccz .LBB33_729
; %bb.728:
	v_mov_b32_e32 v3, 1
	s_mov_b64 s[34:35], -1
	s_mov_b64 s[4:5], 0
	global_store_byte v[0:1], v3, off
.LBB33_729:
	s_mov_b64 s[0:1], 0
.LBB33_730:
	s_and_b64 vcc, exec, s[0:1]
	s_cbranch_vccz .LBB33_769
; %bb.731:
	v_mov_b32_e32 v3, 5
	v_cmp_lt_i16_sdwa s[2:3], v4, v3 src0_sel:BYTE_0 src1_sel:DWORD
	s_mov_b64 s[0:1], -1
	s_and_b64 vcc, exec, s[2:3]
	s_cbranch_vccnz .LBB33_752
; %bb.732:
	v_mov_b32_e32 v3, 8
	v_cmp_lt_i16_sdwa s[2:3], v4, v3 src0_sel:BYTE_0 src1_sel:DWORD
	s_and_b64 vcc, exec, s[2:3]
	s_cbranch_vccnz .LBB33_742
; %bb.733:
	v_mov_b32_e32 v3, 9
	v_cmp_lt_i16_sdwa s[2:3], v4, v3 src0_sel:BYTE_0 src1_sel:DWORD
	s_and_b64 vcc, exec, s[2:3]
	s_cbranch_vccnz .LBB33_739
; %bb.734:
	v_cmp_gt_i16_sdwa s[2:3], v4, v3 src0_sel:BYTE_0 src1_sel:DWORD
	s_and_b64 vcc, exec, s[2:3]
	s_cbranch_vccz .LBB33_736
; %bb.735:
	v_mov_b32_e32 v10, 0
	v_cvt_f64_f32_e32 v[8:9], v2
	v_mov_b32_e32 v11, v10
	s_mov_b64 s[0:1], 0
	global_store_dwordx4 v[0:1], v[8:11], off
.LBB33_736:
	s_andn2_b64 vcc, exec, s[0:1]
	s_cbranch_vccnz .LBB33_738
; %bb.737:
	v_mov_b32_e32 v3, 0
	global_store_dwordx2 v[0:1], v[2:3], off
.LBB33_738:
	s_mov_b64 s[0:1], 0
.LBB33_739:
	s_andn2_b64 vcc, exec, s[0:1]
	s_cbranch_vccnz .LBB33_741
; %bb.740:
	v_cvt_f16_f32_e32 v3, v2
	global_store_dword v[0:1], v3, off
.LBB33_741:
	s_mov_b64 s[0:1], 0
.LBB33_742:
	s_andn2_b64 vcc, exec, s[0:1]
	s_cbranch_vccnz .LBB33_751
; %bb.743:
	v_mov_b32_e32 v3, 6
	v_cmp_lt_i16_sdwa s[2:3], v4, v3 src0_sel:BYTE_0 src1_sel:DWORD
	s_mov_b64 s[0:1], -1
	s_and_b64 vcc, exec, s[2:3]
	s_cbranch_vccnz .LBB33_749
; %bb.744:
	v_cmp_gt_i16_sdwa s[2:3], v4, v3 src0_sel:BYTE_0 src1_sel:DWORD
	s_and_b64 vcc, exec, s[2:3]
	s_cbranch_vccz .LBB33_746
; %bb.745:
	v_cvt_f64_f32_e32 v[8:9], v2
	s_mov_b64 s[0:1], 0
	global_store_dwordx2 v[0:1], v[8:9], off
.LBB33_746:
	s_andn2_b64 vcc, exec, s[0:1]
	s_cbranch_vccnz .LBB33_748
; %bb.747:
	global_store_dword v[0:1], v2, off
.LBB33_748:
	s_mov_b64 s[0:1], 0
.LBB33_749:
	s_andn2_b64 vcc, exec, s[0:1]
	s_cbranch_vccnz .LBB33_751
; %bb.750:
	v_cvt_f16_f32_e32 v3, v2
	global_store_short v[0:1], v3, off
.LBB33_751:
	s_mov_b64 s[0:1], 0
.LBB33_752:
	s_andn2_b64 vcc, exec, s[0:1]
	s_cbranch_vccnz .LBB33_768
; %bb.753:
	v_mov_b32_e32 v3, 2
	v_cmp_lt_i16_sdwa s[2:3], v4, v3 src0_sel:BYTE_0 src1_sel:DWORD
	s_mov_b64 s[0:1], -1
	s_and_b64 vcc, exec, s[2:3]
	s_cbranch_vccnz .LBB33_763
; %bb.754:
	v_mov_b32_e32 v3, 3
	v_cmp_lt_i16_sdwa s[2:3], v4, v3 src0_sel:BYTE_0 src1_sel:DWORD
	s_and_b64 vcc, exec, s[2:3]
	s_cbranch_vccnz .LBB33_760
; %bb.755:
	v_cmp_gt_i16_sdwa s[2:3], v4, v3 src0_sel:BYTE_0 src1_sel:DWORD
	s_and_b64 vcc, exec, s[2:3]
	s_cbranch_vccz .LBB33_757
; %bb.756:
	v_trunc_f32_e32 v3, v2
	s_mov_b32 s0, 0x2f800000
	v_mul_f32_e64 v8, |v3|, s0
	v_floor_f32_e32 v8, v8
	s_mov_b32 s0, 0xcf800000
	v_cvt_u32_f32_e32 v9, v8
	v_fma_f32 v8, v8, s0, |v3|
	v_cvt_u32_f32_e32 v8, v8
	v_ashrrev_i32_e32 v3, 31, v3
	v_xor_b32_e32 v9, v9, v3
	s_mov_b64 s[0:1], 0
	v_xor_b32_e32 v8, v8, v3
	v_sub_co_u32_e32 v8, vcc, v8, v3
	v_subb_co_u32_e32 v9, vcc, v9, v3, vcc
	global_store_dwordx2 v[0:1], v[8:9], off
.LBB33_757:
	s_andn2_b64 vcc, exec, s[0:1]
	s_cbranch_vccnz .LBB33_759
; %bb.758:
	v_cvt_i32_f32_e32 v3, v2
	global_store_dword v[0:1], v3, off
.LBB33_759:
	s_mov_b64 s[0:1], 0
.LBB33_760:
	s_andn2_b64 vcc, exec, s[0:1]
	s_cbranch_vccnz .LBB33_762
; %bb.761:
	v_cvt_i32_f32_e32 v3, v2
	global_store_short v[0:1], v3, off
.LBB33_762:
	s_mov_b64 s[0:1], 0
.LBB33_763:
	s_andn2_b64 vcc, exec, s[0:1]
	s_cbranch_vccnz .LBB33_768
; %bb.764:
	v_mov_b32_e32 v3, 0
	v_cmp_gt_i16_sdwa s[2:3], v4, v3 src0_sel:BYTE_0 src1_sel:DWORD
	s_mov_b64 s[0:1], -1
	s_and_b64 vcc, exec, s[2:3]
	s_cbranch_vccz .LBB33_766
; %bb.765:
	v_cvt_i32_f32_e32 v3, v2
	s_mov_b64 s[0:1], 0
	global_store_byte v[0:1], v3, off
.LBB33_766:
	s_andn2_b64 vcc, exec, s[0:1]
	s_cbranch_vccnz .LBB33_768
; %bb.767:
	v_trunc_f32_e32 v2, v2
	s_mov_b32 s0, 0x2f800000
	v_mul_f32_e64 v3, |v2|, s0
	v_floor_f32_e32 v3, v3
	s_mov_b32 s0, 0xcf800000
	v_fma_f32 v3, v3, s0, |v2|
	v_cvt_u32_f32_e32 v3, v3
	v_ashrrev_i32_e32 v2, 31, v2
	v_xor_b32_e32 v3, v3, v2
	v_sub_u32_e32 v2, v3, v2
	global_store_byte v[0:1], v2, off
.LBB33_768:
	s_mov_b64 s[34:35], -1
.LBB33_769:
	s_andn2_b64 vcc, exec, s[34:35]
	s_cbranch_vccnz .LBB33_782
; %bb.770:
	v_add_u32_e32 v5, 0x80, v5
	s_mov_b64 s[0:1], -1
.LBB33_771:
	s_andn2_b64 s[2:3], s[20:21], exec
	s_and_b64 s[4:5], s[4:5], exec
	s_or_b64 s[34:35], s[2:3], s[4:5]
	s_andn2_b64 s[2:3], s[22:23], exec
	s_and_b64 s[4:5], s[30:31], exec
	s_or_b64 s[30:31], s[2:3], s[4:5]
	;; [unrolled: 3-line block ×3, first 2 shown]
	s_orn2_b64 s[0:1], s[0:1], exec
.LBB33_772:
	s_or_b64 exec, exec, s[36:37]
	s_mov_b64 s[38:39], 0
	s_mov_b64 s[4:5], 0
	;; [unrolled: 1-line block ×3, first 2 shown]
                                        ; implicit-def: $vgpr2
                                        ; implicit-def: $vgpr0_vgpr1
                                        ; implicit-def: $vgpr3
	s_and_saveexec_b64 s[36:37], s[0:1]
	s_cbranch_execz .LBB33_1246
; %bb.773:
	v_cmp_gt_i32_e32 vcc, s33, v5
	s_mov_b64 s[46:47], -1
	s_mov_b64 s[0:1], s[28:29]
	s_mov_b64 s[2:3], s[30:31]
	;; [unrolled: 1-line block ×3, first 2 shown]
	s_and_saveexec_b64 s[38:39], vcc
	s_cbranch_execz .LBB33_1161
; %bb.774:
	v_mul_lo_u32 v0, v5, s13
	v_ashrrev_i32_e32 v1, 31, v0
	s_waitcnt vmcnt(0)
	v_mov_b32_e32 v2, s11
	v_add_co_u32_e32 v0, vcc, s10, v0
	v_addc_co_u32_e32 v1, vcc, v2, v1, vcc
	v_mov_b32_e32 v2, 11
	v_cmp_lt_i16_sdwa s[0:1], v7, v2 src0_sel:BYTE_0 src1_sel:DWORD
	s_and_b64 vcc, exec, s[0:1]
	s_cbranch_vccnz .LBB33_781
; %bb.775:
	v_mov_b32_e32 v2, 25
	v_cmp_gt_i16_sdwa s[0:1], v7, v2 src0_sel:BYTE_0 src1_sel:DWORD
	s_and_b64 vcc, exec, s[0:1]
	s_cbranch_vccz .LBB33_783
; %bb.776:
	v_mov_b32_e32 v2, 28
	v_cmp_gt_i16_sdwa s[0:1], v7, v2 src0_sel:BYTE_0 src1_sel:DWORD
	s_and_b64 vcc, exec, s[0:1]
	s_cbranch_vccz .LBB33_784
	;; [unrolled: 5-line block ×4, first 2 shown]
; %bb.779:
	v_mov_b32_e32 v2, 46
	v_cmp_eq_u16_sdwa s[0:1], v7, v2 src0_sel:BYTE_0 src1_sel:DWORD
	s_mov_b64 s[2:3], 0
	s_and_b64 vcc, exec, s[0:1]
	s_cbranch_vccz .LBB33_789
; %bb.780:
	global_load_dword v2, v[0:1], off
	s_mov_b64 s[0:1], -1
	s_mov_b64 s[40:41], 0
	s_waitcnt vmcnt(0)
	v_lshlrev_b32_e32 v2, 16, v2
	s_branch .LBB33_790
.LBB33_781:
	s_mov_b64 s[2:3], -1
	s_mov_b64 s[0:1], 0
                                        ; implicit-def: $vgpr2
	s_mov_b64 s[40:41], s[28:29]
	s_branch .LBB33_855
.LBB33_782:
	s_mov_b64 s[0:1], 0
	s_branch .LBB33_529
.LBB33_783:
	s_mov_b64 s[2:3], -1
	s_mov_b64 s[0:1], 0
	s_mov_b64 s[40:41], s[28:29]
                                        ; implicit-def: $vgpr2
	s_branch .LBB33_819
.LBB33_784:
	s_mov_b64 s[2:3], -1
	s_mov_b64 s[0:1], 0
	s_mov_b64 s[40:41], s[28:29]
                                        ; implicit-def: $vgpr2
	s_branch .LBB33_800
.LBB33_785:
	s_mov_b64 s[2:3], -1
	s_mov_b64 s[0:1], 0
	s_mov_b64 s[40:41], s[28:29]
                                        ; implicit-def: $vgpr2
	s_branch .LBB33_795
.LBB33_786:
	s_mov_b64 s[2:3], -1
	s_mov_b64 s[0:1], 0
	s_mov_b64 s[40:41], s[28:29]
                                        ; implicit-def: $vgpr2
	s_branch .LBB33_790
.LBB33_787:
	s_or_saveexec_b64 s[40:41], s[40:41]
                                        ; implicit-def: $sgpr15
	s_xor_b64 exec, exec, s[40:41]
	s_cbranch_execz .LBB33_682
.LBB33_788:
	v_add_f32_e32 v8, 0x46000000, v9
	v_and_b32_e32 v8, 0xff, v8
	v_cmp_ne_u32_e32 vcc, 0, v8
	s_andn2_b64 s[38:39], s[38:39], exec
	s_and_b64 s[42:43], vcc, exec
	s_mov_b32 s15, 0
	s_or_b64 s[38:39], s[38:39], s[42:43]
	s_or_b64 exec, exec, s[40:41]
	v_mov_b32_e32 v10, s15
	s_and_saveexec_b64 s[40:41], s[38:39]
	s_cbranch_execnz .LBB33_683
	s_branch .LBB33_684
.LBB33_789:
	s_mov_b64 s[40:41], -1
                                        ; implicit-def: $vgpr2
	s_mov_b64 s[0:1], 0
.LBB33_790:
	s_and_b64 vcc, exec, s[2:3]
	s_cbranch_vccz .LBB33_794
; %bb.791:
	v_mov_b32_e32 v2, 44
	v_cmp_eq_u16_sdwa s[2:3], v7, v2 src0_sel:BYTE_0 src1_sel:DWORD
	s_and_b64 vcc, exec, s[2:3]
	s_cbranch_vccz .LBB33_793
; %bb.792:
	global_load_ubyte v2, v[0:1], off
	s_movk_i32 s2, 0xff
	v_mov_b32_e32 v3, 0x7f800001
	v_mov_b32_e32 v8, 0x400000
	s_mov_b64 s[0:1], -1
	s_mov_b64 s[40:41], 0
	s_waitcnt vmcnt(0)
	v_lshlrev_b32_e32 v9, 23, v2
	v_cmp_ne_u32_e32 vcc, s2, v2
	v_cndmask_b32_e32 v3, v3, v9, vcc
	v_cmp_ne_u32_e32 vcc, 0, v2
	v_cndmask_b32_e32 v2, v8, v3, vcc
	s_branch .LBB33_794
.LBB33_793:
	s_mov_b64 s[40:41], -1
                                        ; implicit-def: $vgpr2
.LBB33_794:
	s_mov_b64 s[2:3], 0
.LBB33_795:
	s_and_b64 vcc, exec, s[2:3]
	s_cbranch_vccz .LBB33_799
; %bb.796:
	v_mov_b32_e32 v2, 29
	v_cmp_eq_u16_sdwa s[2:3], v7, v2 src0_sel:BYTE_0 src1_sel:DWORD
	s_and_b64 vcc, exec, s[2:3]
	s_cbranch_vccz .LBB33_798
; %bb.797:
	global_load_dwordx2 v[2:3], v[0:1], off
	s_mov_b64 s[0:1], -1
	s_mov_b64 s[40:41], 0
	s_mov_b64 s[2:3], 0
	s_waitcnt vmcnt(0)
	v_ffbh_u32_e32 v8, v3
	v_min_u32_e32 v8, 32, v8
	v_lshlrev_b64 v[2:3], v8, v[2:3]
	v_min_u32_e32 v2, 1, v2
	v_or_b32_e32 v2, v3, v2
	v_cvt_f32_u32_e32 v2, v2
	v_sub_u32_e32 v3, 32, v8
	v_ldexp_f32 v2, v2, v3
	s_branch .LBB33_800
.LBB33_798:
	s_mov_b64 s[40:41], -1
                                        ; implicit-def: $vgpr2
.LBB33_799:
	s_mov_b64 s[2:3], 0
.LBB33_800:
	s_and_b64 vcc, exec, s[2:3]
	s_cbranch_vccz .LBB33_818
; %bb.801:
	v_mov_b32_e32 v2, 27
	v_cmp_lt_i16_sdwa s[0:1], v7, v2 src0_sel:BYTE_0 src1_sel:DWORD
	s_and_b64 vcc, exec, s[0:1]
	s_cbranch_vccnz .LBB33_804
; %bb.802:
	v_cmp_gt_i16_sdwa s[0:1], v7, v2 src0_sel:BYTE_0 src1_sel:DWORD
	s_and_b64 vcc, exec, s[0:1]
	s_cbranch_vccz .LBB33_805
; %bb.803:
	global_load_dword v2, v[0:1], off
	s_mov_b64 s[0:1], 0
	s_waitcnt vmcnt(0)
	v_cvt_f32_u32_e32 v2, v2
	s_branch .LBB33_806
.LBB33_804:
	s_mov_b64 s[0:1], -1
                                        ; implicit-def: $vgpr2
	s_branch .LBB33_809
.LBB33_805:
	s_mov_b64 s[0:1], -1
                                        ; implicit-def: $vgpr2
.LBB33_806:
	s_andn2_b64 vcc, exec, s[0:1]
	s_cbranch_vccnz .LBB33_808
; %bb.807:
	global_load_ushort v2, v[0:1], off
	s_waitcnt vmcnt(0)
	v_cvt_f32_u32_e32 v2, v2
.LBB33_808:
	s_mov_b64 s[0:1], 0
.LBB33_809:
	s_andn2_b64 vcc, exec, s[0:1]
	s_cbranch_vccnz .LBB33_817
; %bb.810:
	global_load_ubyte v3, v[0:1], off
	s_movk_i32 s0, 0x7f
                                        ; implicit-def: $sgpr15
	s_waitcnt vmcnt(0)
	v_cmp_lt_i16_e32 vcc, s0, v3
	s_mov_b64 s[0:1], 0
	s_and_saveexec_b64 s[2:3], vcc
	s_xor_b64 s[2:3], exec, s[2:3]
	s_cbranch_execz .LBB33_831
; %bb.811:
	s_movk_i32 s0, 0x80
	v_cmp_eq_u16_e32 vcc, s0, v3
	s_mov_b64 s[0:1], -1
                                        ; implicit-def: $sgpr15
	s_and_saveexec_b64 s[4:5], vcc
; %bb.812:
	s_mov_b32 s15, 0x7f800001
	s_xor_b64 s[0:1], exec, -1
; %bb.813:
	s_or_b64 exec, exec, s[4:5]
	s_and_b64 s[0:1], s[0:1], exec
	s_or_saveexec_b64 s[2:3], s[2:3]
	v_mov_b32_e32 v2, s15
	s_xor_b64 exec, exec, s[2:3]
	s_cbranch_execnz .LBB33_832
.LBB33_814:
	s_or_b64 exec, exec, s[2:3]
	s_and_saveexec_b64 s[2:3], s[0:1]
	s_cbranch_execz .LBB33_816
.LBB33_815:
	v_lshlrev_b32_e32 v2, 24, v3
	v_and_b32_e32 v3, 0xffff, v3
	v_and_b32_e32 v8, 7, v3
	v_ffbh_u32_e32 v10, v8
	v_min_u32_e32 v10, 32, v10
	v_subrev_u32_e32 v11, 28, v10
	v_bfe_u32 v9, v3, 3, 4
	v_lshlrev_b32_e32 v3, v11, v3
	v_sub_u32_e32 v10, 29, v10
	v_and_b32_e32 v3, 7, v3
	v_cmp_eq_u32_e32 vcc, 0, v9
	v_cndmask_b32_e32 v9, v9, v10, vcc
	v_cndmask_b32_e32 v3, v8, v3, vcc
	v_mov_b32_e32 v8, 0x3b800000
	v_lshlrev_b32_e32 v3, 20, v3
	v_and_b32_e32 v2, 0x80000000, v2
	v_lshl_add_u32 v8, v9, 23, v8
	v_or3_b32 v2, v2, v8, v3
.LBB33_816:
	s_or_b64 exec, exec, s[2:3]
.LBB33_817:
	s_mov_b64 s[0:1], -1
.LBB33_818:
	s_mov_b64 s[2:3], 0
.LBB33_819:
	s_and_b64 vcc, exec, s[2:3]
	s_cbranch_vccz .LBB33_854
; %bb.820:
	v_mov_b32_e32 v2, 22
	v_cmp_gt_i16_sdwa s[2:3], v7, v2 src0_sel:BYTE_0 src1_sel:DWORD
	s_and_b64 vcc, exec, s[2:3]
	s_cbranch_vccz .LBB33_830
; %bb.821:
	v_mov_b32_e32 v2, 24
	v_cmp_lt_i16_sdwa s[0:1], v7, v2 src0_sel:BYTE_0 src1_sel:DWORD
	s_and_b64 vcc, exec, s[0:1]
	s_cbranch_vccnz .LBB33_833
; %bb.822:
	v_cmp_gt_i16_sdwa s[0:1], v7, v2 src0_sel:BYTE_0 src1_sel:DWORD
	s_and_b64 vcc, exec, s[0:1]
	s_cbranch_vccz .LBB33_834
; %bb.823:
	global_load_ubyte v3, v[0:1], off
	s_movk_i32 s0, 0x7f
                                        ; implicit-def: $sgpr15
	s_waitcnt vmcnt(0)
	v_cmp_lt_i16_e32 vcc, s0, v3
	s_mov_b64 s[0:1], 0
	s_and_saveexec_b64 s[2:3], vcc
	s_xor_b64 s[2:3], exec, s[2:3]
	s_cbranch_execz .LBB33_846
; %bb.824:
	s_movk_i32 s0, 0x80
	v_cmp_eq_u16_e32 vcc, s0, v3
	s_mov_b64 s[0:1], -1
                                        ; implicit-def: $sgpr15
	s_and_saveexec_b64 s[4:5], vcc
; %bb.825:
	s_mov_b32 s15, 0x7f800001
	s_xor_b64 s[0:1], exec, -1
; %bb.826:
	s_or_b64 exec, exec, s[4:5]
	s_and_b64 s[0:1], s[0:1], exec
	s_or_saveexec_b64 s[2:3], s[2:3]
	v_mov_b32_e32 v2, s15
	s_xor_b64 exec, exec, s[2:3]
	s_cbranch_execnz .LBB33_847
.LBB33_827:
	s_or_b64 exec, exec, s[2:3]
	s_and_saveexec_b64 s[2:3], s[0:1]
	s_cbranch_execz .LBB33_829
.LBB33_828:
	v_lshlrev_b32_e32 v2, 24, v3
	v_and_b32_e32 v3, 0xffff, v3
	v_and_b32_e32 v8, 3, v3
	v_ffbh_u32_e32 v10, v8
	v_min_u32_e32 v10, 32, v10
	v_subrev_u32_e32 v11, 29, v10
	v_bfe_u32 v9, v3, 2, 5
	v_lshlrev_b32_e32 v3, v11, v3
	v_sub_u32_e32 v10, 30, v10
	v_and_b32_e32 v3, 3, v3
	v_cmp_eq_u32_e32 vcc, 0, v9
	v_cndmask_b32_e32 v9, v9, v10, vcc
	v_cndmask_b32_e32 v3, v8, v3, vcc
	v_mov_b32_e32 v8, 0x37800000
	v_lshlrev_b32_e32 v3, 21, v3
	v_and_b32_e32 v2, 0x80000000, v2
	v_lshl_add_u32 v8, v9, 23, v8
	v_or3_b32 v2, v2, v8, v3
.LBB33_829:
	s_or_b64 exec, exec, s[2:3]
	s_mov_b64 s[0:1], 0
	s_branch .LBB33_835
.LBB33_830:
	s_mov_b64 s[2:3], -1
                                        ; implicit-def: $vgpr2
	s_branch .LBB33_841
.LBB33_831:
	s_or_saveexec_b64 s[2:3], s[2:3]
	v_mov_b32_e32 v2, s15
	s_xor_b64 exec, exec, s[2:3]
	s_cbranch_execz .LBB33_814
.LBB33_832:
	v_cmp_ne_u16_e32 vcc, 0, v3
	s_andn2_b64 s[0:1], s[0:1], exec
	s_and_b64 s[4:5], vcc, exec
	v_mov_b32_e32 v2, 0
	s_or_b64 s[0:1], s[0:1], s[4:5]
	s_or_b64 exec, exec, s[2:3]
	s_and_saveexec_b64 s[2:3], s[0:1]
	s_cbranch_execnz .LBB33_815
	s_branch .LBB33_816
.LBB33_833:
	s_mov_b64 s[0:1], -1
                                        ; implicit-def: $vgpr2
	s_branch .LBB33_838
.LBB33_834:
	s_mov_b64 s[0:1], -1
                                        ; implicit-def: $vgpr2
.LBB33_835:
	s_and_b64 vcc, exec, s[0:1]
	s_cbranch_vccz .LBB33_837
; %bb.836:
	global_load_ubyte v2, v[0:1], off
	s_mov_b32 s0, 0x7f800000
	s_waitcnt vmcnt(0)
	v_lshlrev_b32_e32 v2, 24, v2
	v_and_b32_e32 v3, 0x7f000000, v2
	v_ffbh_u32_e32 v8, v3
	v_min_u32_e32 v8, 32, v8
	v_sub_u32_e64 v8, v8, 4 clamp
	v_lshlrev_b32_e32 v10, v8, v3
	v_lshlrev_b32_e32 v8, 23, v8
	v_lshrrev_b32_e32 v10, 4, v10
	v_add_u32_e32 v9, 0x1000000, v3
	v_sub_u32_e32 v8, v10, v8
	v_ashrrev_i32_e32 v9, 8, v9
	v_add_u32_e32 v8, 0x3c000000, v8
	v_and_or_b32 v8, v9, s0, v8
	v_cmp_ne_u32_e32 vcc, 0, v3
	v_cndmask_b32_e32 v3, 0, v8, vcc
	s_brev_b32 s0, 1
	v_and_or_b32 v2, v2, s0, v3
.LBB33_837:
	s_mov_b64 s[0:1], 0
.LBB33_838:
	s_andn2_b64 vcc, exec, s[0:1]
	s_cbranch_vccnz .LBB33_840
; %bb.839:
	global_load_ubyte v2, v[0:1], off
	s_movk_i32 s0, 0x7f00
	s_brev_b32 s1, 16
	s_waitcnt vmcnt(0)
	v_lshlrev_b16_e32 v3, 8, v2
	v_lshlrev_b32_e32 v2, 25, v2
	v_lshrrev_b32_e32 v8, 4, v2
	v_and_or_b32 v9, v3, s0, 0.5
	v_or_b32_e32 v8, 0x70000000, v8
	v_add_f32_e32 v9, -0.5, v9
	v_mul_f32_e32 v8, 0x7800000, v8
	v_cmp_gt_u32_e32 vcc, s1, v2
	v_bfe_i32 v3, v3, 0, 16
	v_cndmask_b32_e32 v2, v8, v9, vcc
	s_brev_b32 s0, 1
	v_and_or_b32 v2, v3, s0, v2
.LBB33_840:
	s_mov_b64 s[2:3], 0
	s_mov_b64 s[0:1], -1
.LBB33_841:
	s_andn2_b64 vcc, exec, s[2:3]
	s_cbranch_vccnz .LBB33_854
; %bb.842:
	v_mov_b32_e32 v2, 14
	v_cmp_gt_i16_sdwa s[2:3], v7, v2 src0_sel:BYTE_0 src1_sel:DWORD
	s_and_b64 vcc, exec, s[2:3]
	s_cbranch_vccz .LBB33_845
; %bb.843:
	v_mov_b32_e32 v2, 15
	v_cmp_eq_u16_sdwa s[2:3], v7, v2 src0_sel:BYTE_0 src1_sel:DWORD
	s_and_b64 vcc, exec, s[2:3]
	s_cbranch_vccz .LBB33_848
; %bb.844:
	global_load_ushort v2, v[0:1], off
	s_mov_b64 s[0:1], -1
	s_mov_b64 s[40:41], 0
	s_waitcnt vmcnt(0)
	v_lshlrev_b32_e32 v2, 16, v2
	s_branch .LBB33_849
.LBB33_845:
	s_mov_b64 s[2:3], -1
                                        ; implicit-def: $vgpr2
	s_branch .LBB33_850
.LBB33_846:
	s_or_saveexec_b64 s[2:3], s[2:3]
	v_mov_b32_e32 v2, s15
	s_xor_b64 exec, exec, s[2:3]
	s_cbranch_execz .LBB33_827
.LBB33_847:
	v_cmp_ne_u16_e32 vcc, 0, v3
	s_andn2_b64 s[0:1], s[0:1], exec
	s_and_b64 s[4:5], vcc, exec
	v_mov_b32_e32 v2, 0
	s_or_b64 s[0:1], s[0:1], s[4:5]
	s_or_b64 exec, exec, s[2:3]
	s_and_saveexec_b64 s[2:3], s[0:1]
	s_cbranch_execnz .LBB33_828
	s_branch .LBB33_829
.LBB33_848:
	s_mov_b64 s[40:41], -1
                                        ; implicit-def: $vgpr2
.LBB33_849:
	s_mov_b64 s[2:3], 0
.LBB33_850:
	s_and_b64 vcc, exec, s[2:3]
	s_cbranch_vccz .LBB33_854
; %bb.851:
	v_mov_b32_e32 v2, 11
	v_cmp_eq_u16_sdwa s[2:3], v7, v2 src0_sel:BYTE_0 src1_sel:DWORD
	s_and_b64 vcc, exec, s[2:3]
	s_cbranch_vccz .LBB33_853
; %bb.852:
	global_load_ubyte v2, v[0:1], off
	s_mov_b64 s[0:1], -1
	s_mov_b64 s[40:41], 0
	s_waitcnt vmcnt(0)
	v_cmp_ne_u16_e32 vcc, 0, v2
	v_cndmask_b32_e64 v2, 0, 1.0, vcc
	s_branch .LBB33_854
.LBB33_853:
	s_mov_b64 s[40:41], -1
                                        ; implicit-def: $vgpr2
.LBB33_854:
	s_mov_b64 s[2:3], 0
.LBB33_855:
	s_and_b64 vcc, exec, s[2:3]
	s_cbranch_vccz .LBB33_904
; %bb.856:
	v_mov_b32_e32 v2, 5
	v_cmp_lt_i16_sdwa s[0:1], v7, v2 src0_sel:BYTE_0 src1_sel:DWORD
	s_and_b64 vcc, exec, s[0:1]
	s_cbranch_vccnz .LBB33_861
; %bb.857:
	v_mov_b32_e32 v2, 8
	v_cmp_lt_i16_sdwa s[0:1], v7, v2 src0_sel:BYTE_0 src1_sel:DWORD
	s_and_b64 vcc, exec, s[0:1]
	s_cbranch_vccnz .LBB33_862
	;; [unrolled: 5-line block ×3, first 2 shown]
; %bb.859:
	v_cmp_gt_i16_sdwa s[0:1], v7, v2 src0_sel:BYTE_0 src1_sel:DWORD
	s_and_b64 vcc, exec, s[0:1]
	s_cbranch_vccz .LBB33_864
; %bb.860:
	global_load_dwordx2 v[2:3], v[0:1], off
	s_mov_b64 s[0:1], 0
	s_waitcnt vmcnt(0)
	v_cvt_f32_f64_e32 v2, v[2:3]
	s_branch .LBB33_865
.LBB33_861:
	s_mov_b64 s[0:1], -1
                                        ; implicit-def: $vgpr2
	s_branch .LBB33_883
.LBB33_862:
	s_mov_b64 s[0:1], -1
                                        ; implicit-def: $vgpr2
	s_branch .LBB33_871
.LBB33_863:
	s_mov_b64 s[0:1], -1
                                        ; implicit-def: $vgpr2
	s_branch .LBB33_868
.LBB33_864:
	s_mov_b64 s[0:1], -1
                                        ; implicit-def: $vgpr2
.LBB33_865:
	s_andn2_b64 vcc, exec, s[0:1]
	s_cbranch_vccnz .LBB33_867
; %bb.866:
	global_load_dword v2, v[0:1], off
.LBB33_867:
	s_mov_b64 s[0:1], 0
.LBB33_868:
	s_andn2_b64 vcc, exec, s[0:1]
	s_cbranch_vccnz .LBB33_870
; %bb.869:
	global_load_dword v2, v[0:1], off
	s_waitcnt vmcnt(0)
	v_cvt_f32_f16_e32 v2, v2
.LBB33_870:
	s_mov_b64 s[0:1], 0
.LBB33_871:
	s_andn2_b64 vcc, exec, s[0:1]
	s_cbranch_vccnz .LBB33_882
; %bb.872:
	s_waitcnt vmcnt(0)
	v_mov_b32_e32 v2, 6
	v_cmp_lt_i16_sdwa s[0:1], v7, v2 src0_sel:BYTE_0 src1_sel:DWORD
	s_and_b64 vcc, exec, s[0:1]
	s_cbranch_vccnz .LBB33_875
; %bb.873:
	v_cmp_gt_i16_sdwa s[0:1], v7, v2 src0_sel:BYTE_0 src1_sel:DWORD
	s_and_b64 vcc, exec, s[0:1]
	s_cbranch_vccz .LBB33_876
; %bb.874:
	global_load_dwordx2 v[2:3], v[0:1], off
	s_mov_b64 s[0:1], 0
	s_waitcnt vmcnt(0)
	v_cvt_f32_f64_e32 v2, v[2:3]
	s_branch .LBB33_877
.LBB33_875:
	s_mov_b64 s[0:1], -1
                                        ; implicit-def: $vgpr2
	s_branch .LBB33_880
.LBB33_876:
	s_mov_b64 s[0:1], -1
                                        ; implicit-def: $vgpr2
.LBB33_877:
	s_andn2_b64 vcc, exec, s[0:1]
	s_cbranch_vccnz .LBB33_879
; %bb.878:
	global_load_dword v2, v[0:1], off
.LBB33_879:
	s_mov_b64 s[0:1], 0
.LBB33_880:
	s_andn2_b64 vcc, exec, s[0:1]
	s_cbranch_vccnz .LBB33_882
; %bb.881:
	global_load_ushort v2, v[0:1], off
	s_waitcnt vmcnt(0)
	v_cvt_f32_f16_e32 v2, v2
.LBB33_882:
	s_mov_b64 s[0:1], 0
.LBB33_883:
	s_andn2_b64 vcc, exec, s[0:1]
	s_cbranch_vccnz .LBB33_903
; %bb.884:
	s_waitcnt vmcnt(0)
	v_mov_b32_e32 v2, 2
	v_cmp_lt_i16_sdwa s[0:1], v7, v2 src0_sel:BYTE_0 src1_sel:DWORD
	s_and_b64 vcc, exec, s[0:1]
	s_cbranch_vccnz .LBB33_888
; %bb.885:
	v_mov_b32_e32 v2, 3
	v_cmp_lt_i16_sdwa s[0:1], v7, v2 src0_sel:BYTE_0 src1_sel:DWORD
	s_and_b64 vcc, exec, s[0:1]
	s_cbranch_vccnz .LBB33_889
; %bb.886:
	v_cmp_gt_i16_sdwa s[0:1], v7, v2 src0_sel:BYTE_0 src1_sel:DWORD
	s_and_b64 vcc, exec, s[0:1]
	s_cbranch_vccz .LBB33_890
; %bb.887:
	global_load_dwordx2 v[2:3], v[0:1], off
	s_mov_b64 s[0:1], 0
	s_waitcnt vmcnt(0)
	v_xor_b32_e32 v9, v2, v3
	v_ffbh_i32_e32 v8, v3
	v_ashrrev_i32_e32 v9, 31, v9
	v_add_u32_e32 v8, -1, v8
	v_add_u32_e32 v9, 32, v9
	v_min_u32_e32 v8, v8, v9
	v_lshlrev_b64 v[2:3], v8, v[2:3]
	v_min_u32_e32 v2, 1, v2
	v_or_b32_e32 v2, v3, v2
	v_cvt_f32_i32_e32 v2, v2
	v_sub_u32_e32 v3, 32, v8
	v_ldexp_f32 v2, v2, v3
	s_branch .LBB33_891
.LBB33_888:
	s_mov_b64 s[0:1], -1
                                        ; implicit-def: $vgpr2
	s_branch .LBB33_897
.LBB33_889:
	s_mov_b64 s[0:1], -1
                                        ; implicit-def: $vgpr2
	s_branch .LBB33_894
.LBB33_890:
	s_mov_b64 s[0:1], -1
                                        ; implicit-def: $vgpr2
.LBB33_891:
	s_andn2_b64 vcc, exec, s[0:1]
	s_cbranch_vccnz .LBB33_893
; %bb.892:
	global_load_dword v2, v[0:1], off
	s_waitcnt vmcnt(0)
	v_cvt_f32_i32_e32 v2, v2
.LBB33_893:
	s_mov_b64 s[0:1], 0
.LBB33_894:
	s_andn2_b64 vcc, exec, s[0:1]
	s_cbranch_vccnz .LBB33_896
; %bb.895:
	global_load_sshort v2, v[0:1], off
	s_waitcnt vmcnt(0)
	v_cvt_f32_i32_e32 v2, v2
.LBB33_896:
	s_mov_b64 s[0:1], 0
.LBB33_897:
	s_andn2_b64 vcc, exec, s[0:1]
	s_cbranch_vccnz .LBB33_903
; %bb.898:
	v_mov_b32_e32 v2, 0
	v_cmp_gt_i16_sdwa s[0:1], v7, v2 src0_sel:BYTE_0 src1_sel:DWORD
	s_and_b64 vcc, exec, s[0:1]
	s_cbranch_vccz .LBB33_900
; %bb.899:
	global_load_sbyte v2, v[0:1], off
	s_mov_b64 s[0:1], 0
	s_waitcnt vmcnt(0)
	v_cvt_f32_i32_e32 v2, v2
	s_branch .LBB33_901
.LBB33_900:
	s_mov_b64 s[0:1], -1
                                        ; implicit-def: $vgpr2
.LBB33_901:
	s_andn2_b64 vcc, exec, s[0:1]
	s_cbranch_vccnz .LBB33_903
; %bb.902:
	global_load_ubyte v0, v[0:1], off
	s_waitcnt vmcnt(0)
	v_cvt_f32_ubyte0_e32 v2, v0
.LBB33_903:
	s_mov_b64 s[0:1], -1
.LBB33_904:
	s_andn2_b64 vcc, exec, s[0:1]
	s_cbranch_vccnz .LBB33_912
; %bb.905:
	v_mul_lo_u32 v0, v5, s14
	v_ashrrev_i32_e32 v1, 31, v0
	v_mov_b32_e32 v3, s17
	v_add_co_u32_e32 v0, vcc, s16, v0
	v_addc_co_u32_e32 v1, vcc, v3, v1, vcc
	v_mov_b32_e32 v3, 11
	v_cmp_lt_i16_sdwa s[0:1], v6, v3 src0_sel:BYTE_0 src1_sel:DWORD
	s_and_b64 vcc, exec, s[0:1]
	s_cbranch_vccnz .LBB33_914
; %bb.906:
	v_mov_b32_e32 v3, 25
	v_cmp_gt_i16_sdwa s[0:1], v6, v3 src0_sel:BYTE_0 src1_sel:DWORD
	s_and_b64 vcc, exec, s[0:1]
	s_cbranch_vccz .LBB33_915
; %bb.907:
	v_mov_b32_e32 v3, 28
	v_cmp_gt_i16_sdwa s[0:1], v6, v3 src0_sel:BYTE_0 src1_sel:DWORD
	s_and_b64 vcc, exec, s[0:1]
	s_cbranch_vccz .LBB33_916
	;; [unrolled: 5-line block ×4, first 2 shown]
; %bb.910:
	v_mov_b32_e32 v3, 46
	v_cmp_eq_u16_sdwa s[0:1], v6, v3 src0_sel:BYTE_0 src1_sel:DWORD
	s_mov_b64 s[2:3], 0
	s_and_b64 vcc, exec, s[0:1]
	s_cbranch_vccz .LBB33_921
; %bb.911:
	global_load_dword v3, v[0:1], off
	s_mov_b64 s[0:1], -1
	s_mov_b64 s[42:43], 0
	s_waitcnt vmcnt(0)
	v_lshlrev_b32_e32 v3, 16, v3
	s_branch .LBB33_922
.LBB33_912:
	s_mov_b64 s[44:45], 0
	s_mov_b64 s[4:5], s[34:35]
	;; [unrolled: 1-line block ×3, first 2 shown]
.LBB33_913:
                                        ; implicit-def: $vgpr5
	s_branch .LBB33_1160
.LBB33_914:
	s_mov_b64 s[2:3], -1
	s_mov_b64 s[0:1], 0
                                        ; implicit-def: $vgpr3
	s_mov_b64 s[42:43], s[30:31]
	s_branch .LBB33_987
.LBB33_915:
	s_mov_b64 s[2:3], -1
	s_mov_b64 s[0:1], 0
	s_mov_b64 s[42:43], s[30:31]
                                        ; implicit-def: $vgpr3
	s_branch .LBB33_951
.LBB33_916:
	s_mov_b64 s[2:3], -1
	s_mov_b64 s[0:1], 0
	s_mov_b64 s[42:43], s[30:31]
                                        ; implicit-def: $vgpr3
	s_branch .LBB33_932
.LBB33_917:
	s_mov_b64 s[2:3], -1
	s_mov_b64 s[0:1], 0
	s_mov_b64 s[42:43], s[30:31]
                                        ; implicit-def: $vgpr3
	s_branch .LBB33_927
.LBB33_918:
	s_mov_b64 s[2:3], -1
	s_mov_b64 s[0:1], 0
	s_mov_b64 s[42:43], s[30:31]
                                        ; implicit-def: $vgpr3
	s_branch .LBB33_922
.LBB33_919:
	s_or_saveexec_b64 s[40:41], s[40:41]
                                        ; implicit-def: $sgpr15
	s_xor_b64 exec, exec, s[40:41]
	s_cbranch_execz .LBB33_695
.LBB33_920:
	v_add_f32_e32 v8, 0x42800000, v9
	v_and_b32_e32 v8, 0xff, v8
	v_cmp_ne_u32_e32 vcc, 0, v8
	s_andn2_b64 s[38:39], s[38:39], exec
	s_and_b64 s[42:43], vcc, exec
	s_mov_b32 s15, 0
	s_or_b64 s[38:39], s[38:39], s[42:43]
	s_or_b64 exec, exec, s[40:41]
	v_mov_b32_e32 v10, s15
	s_and_saveexec_b64 s[40:41], s[38:39]
	s_cbranch_execnz .LBB33_696
	s_branch .LBB33_697
.LBB33_921:
	s_mov_b64 s[42:43], -1
                                        ; implicit-def: $vgpr3
	s_mov_b64 s[0:1], 0
.LBB33_922:
	s_and_b64 vcc, exec, s[2:3]
	s_cbranch_vccz .LBB33_926
; %bb.923:
	v_mov_b32_e32 v3, 44
	v_cmp_eq_u16_sdwa s[2:3], v6, v3 src0_sel:BYTE_0 src1_sel:DWORD
	s_and_b64 vcc, exec, s[2:3]
	s_cbranch_vccz .LBB33_925
; %bb.924:
	global_load_ubyte v3, v[0:1], off
	s_movk_i32 s2, 0xff
	v_mov_b32_e32 v8, 0x7f800001
	v_mov_b32_e32 v9, 0x400000
	s_mov_b64 s[0:1], -1
	s_mov_b64 s[42:43], 0
	s_waitcnt vmcnt(0)
	v_lshlrev_b32_e32 v10, 23, v3
	v_cmp_ne_u32_e32 vcc, s2, v3
	v_cndmask_b32_e32 v8, v8, v10, vcc
	v_cmp_ne_u32_e32 vcc, 0, v3
	v_cndmask_b32_e32 v3, v9, v8, vcc
	s_branch .LBB33_926
.LBB33_925:
	s_mov_b64 s[42:43], -1
                                        ; implicit-def: $vgpr3
.LBB33_926:
	s_mov_b64 s[2:3], 0
.LBB33_927:
	s_and_b64 vcc, exec, s[2:3]
	s_cbranch_vccz .LBB33_931
; %bb.928:
	v_mov_b32_e32 v3, 29
	v_cmp_eq_u16_sdwa s[2:3], v6, v3 src0_sel:BYTE_0 src1_sel:DWORD
	s_and_b64 vcc, exec, s[2:3]
	s_cbranch_vccz .LBB33_930
; %bb.929:
	global_load_dwordx2 v[8:9], v[0:1], off
	s_mov_b64 s[0:1], -1
	s_mov_b64 s[42:43], 0
	s_mov_b64 s[2:3], 0
	s_waitcnt vmcnt(0)
	v_ffbh_u32_e32 v3, v9
	v_min_u32_e32 v3, 32, v3
	v_lshlrev_b64 v[8:9], v3, v[8:9]
	v_min_u32_e32 v8, 1, v8
	v_or_b32_e32 v8, v9, v8
	v_cvt_f32_u32_e32 v8, v8
	v_sub_u32_e32 v3, 32, v3
	v_ldexp_f32 v3, v8, v3
	s_branch .LBB33_932
.LBB33_930:
	s_mov_b64 s[42:43], -1
                                        ; implicit-def: $vgpr3
.LBB33_931:
	s_mov_b64 s[2:3], 0
.LBB33_932:
	s_and_b64 vcc, exec, s[2:3]
	s_cbranch_vccz .LBB33_950
; %bb.933:
	v_mov_b32_e32 v3, 27
	v_cmp_lt_i16_sdwa s[0:1], v6, v3 src0_sel:BYTE_0 src1_sel:DWORD
	s_and_b64 vcc, exec, s[0:1]
	s_cbranch_vccnz .LBB33_936
; %bb.934:
	v_cmp_gt_i16_sdwa s[0:1], v6, v3 src0_sel:BYTE_0 src1_sel:DWORD
	s_and_b64 vcc, exec, s[0:1]
	s_cbranch_vccz .LBB33_937
; %bb.935:
	global_load_dword v3, v[0:1], off
	s_mov_b64 s[0:1], 0
	s_waitcnt vmcnt(0)
	v_cvt_f32_u32_e32 v3, v3
	s_branch .LBB33_938
.LBB33_936:
	s_mov_b64 s[0:1], -1
                                        ; implicit-def: $vgpr3
	s_branch .LBB33_941
.LBB33_937:
	s_mov_b64 s[0:1], -1
                                        ; implicit-def: $vgpr3
.LBB33_938:
	s_andn2_b64 vcc, exec, s[0:1]
	s_cbranch_vccnz .LBB33_940
; %bb.939:
	global_load_ushort v3, v[0:1], off
	s_waitcnt vmcnt(0)
	v_cvt_f32_u32_e32 v3, v3
.LBB33_940:
	s_mov_b64 s[0:1], 0
.LBB33_941:
	s_andn2_b64 vcc, exec, s[0:1]
	s_cbranch_vccnz .LBB33_949
; %bb.942:
	global_load_ubyte v8, v[0:1], off
	s_movk_i32 s0, 0x7f
                                        ; implicit-def: $sgpr15
	s_waitcnt vmcnt(0)
	v_cmp_lt_i16_e32 vcc, s0, v8
	s_mov_b64 s[0:1], 0
	s_and_saveexec_b64 s[2:3], vcc
	s_xor_b64 s[2:3], exec, s[2:3]
	s_cbranch_execz .LBB33_963
; %bb.943:
	s_movk_i32 s0, 0x80
	v_cmp_eq_u16_e32 vcc, s0, v8
	s_mov_b64 s[0:1], -1
                                        ; implicit-def: $sgpr15
	s_and_saveexec_b64 s[4:5], vcc
; %bb.944:
	s_mov_b32 s15, 0x7f800001
	s_xor_b64 s[0:1], exec, -1
; %bb.945:
	s_or_b64 exec, exec, s[4:5]
	s_and_b64 s[0:1], s[0:1], exec
	s_or_saveexec_b64 s[2:3], s[2:3]
	v_mov_b32_e32 v3, s15
	s_xor_b64 exec, exec, s[2:3]
	s_cbranch_execnz .LBB33_964
.LBB33_946:
	s_or_b64 exec, exec, s[2:3]
	s_and_saveexec_b64 s[2:3], s[0:1]
	s_cbranch_execz .LBB33_948
.LBB33_947:
	v_lshlrev_b32_e32 v3, 24, v8
	v_and_b32_e32 v8, 0xffff, v8
	v_and_b32_e32 v9, 7, v8
	v_ffbh_u32_e32 v11, v9
	v_min_u32_e32 v11, 32, v11
	v_subrev_u32_e32 v12, 28, v11
	v_bfe_u32 v10, v8, 3, 4
	v_lshlrev_b32_e32 v8, v12, v8
	v_sub_u32_e32 v11, 29, v11
	v_and_b32_e32 v8, 7, v8
	v_cmp_eq_u32_e32 vcc, 0, v10
	v_cndmask_b32_e32 v10, v10, v11, vcc
	v_cndmask_b32_e32 v8, v9, v8, vcc
	v_mov_b32_e32 v9, 0x3b800000
	v_lshlrev_b32_e32 v8, 20, v8
	v_and_b32_e32 v3, 0x80000000, v3
	v_lshl_add_u32 v9, v10, 23, v9
	v_or3_b32 v3, v3, v9, v8
.LBB33_948:
	s_or_b64 exec, exec, s[2:3]
.LBB33_949:
	s_mov_b64 s[0:1], -1
.LBB33_950:
	s_mov_b64 s[2:3], 0
.LBB33_951:
	s_and_b64 vcc, exec, s[2:3]
	s_cbranch_vccz .LBB33_986
; %bb.952:
	v_mov_b32_e32 v3, 22
	v_cmp_gt_i16_sdwa s[2:3], v6, v3 src0_sel:BYTE_0 src1_sel:DWORD
	s_and_b64 vcc, exec, s[2:3]
	s_cbranch_vccz .LBB33_962
; %bb.953:
	v_mov_b32_e32 v3, 24
	v_cmp_lt_i16_sdwa s[0:1], v6, v3 src0_sel:BYTE_0 src1_sel:DWORD
	s_and_b64 vcc, exec, s[0:1]
	s_cbranch_vccnz .LBB33_965
; %bb.954:
	v_cmp_gt_i16_sdwa s[0:1], v6, v3 src0_sel:BYTE_0 src1_sel:DWORD
	s_and_b64 vcc, exec, s[0:1]
	s_cbranch_vccz .LBB33_966
; %bb.955:
	global_load_ubyte v8, v[0:1], off
	s_movk_i32 s0, 0x7f
                                        ; implicit-def: $sgpr15
	s_waitcnt vmcnt(0)
	v_cmp_lt_i16_e32 vcc, s0, v8
	s_mov_b64 s[0:1], 0
	s_and_saveexec_b64 s[2:3], vcc
	s_xor_b64 s[2:3], exec, s[2:3]
	s_cbranch_execz .LBB33_978
; %bb.956:
	s_movk_i32 s0, 0x80
	v_cmp_eq_u16_e32 vcc, s0, v8
	s_mov_b64 s[0:1], -1
                                        ; implicit-def: $sgpr15
	s_and_saveexec_b64 s[4:5], vcc
; %bb.957:
	s_mov_b32 s15, 0x7f800001
	s_xor_b64 s[0:1], exec, -1
; %bb.958:
	s_or_b64 exec, exec, s[4:5]
	s_and_b64 s[0:1], s[0:1], exec
	s_or_saveexec_b64 s[2:3], s[2:3]
	v_mov_b32_e32 v3, s15
	s_xor_b64 exec, exec, s[2:3]
	s_cbranch_execnz .LBB33_979
.LBB33_959:
	s_or_b64 exec, exec, s[2:3]
	s_and_saveexec_b64 s[2:3], s[0:1]
	s_cbranch_execz .LBB33_961
.LBB33_960:
	v_lshlrev_b32_e32 v3, 24, v8
	v_and_b32_e32 v8, 0xffff, v8
	v_and_b32_e32 v9, 3, v8
	v_ffbh_u32_e32 v11, v9
	v_min_u32_e32 v11, 32, v11
	v_subrev_u32_e32 v12, 29, v11
	v_bfe_u32 v10, v8, 2, 5
	v_lshlrev_b32_e32 v8, v12, v8
	v_sub_u32_e32 v11, 30, v11
	v_and_b32_e32 v8, 3, v8
	v_cmp_eq_u32_e32 vcc, 0, v10
	v_cndmask_b32_e32 v10, v10, v11, vcc
	v_cndmask_b32_e32 v8, v9, v8, vcc
	v_mov_b32_e32 v9, 0x37800000
	v_lshlrev_b32_e32 v8, 21, v8
	v_and_b32_e32 v3, 0x80000000, v3
	v_lshl_add_u32 v9, v10, 23, v9
	v_or3_b32 v3, v3, v9, v8
.LBB33_961:
	s_or_b64 exec, exec, s[2:3]
	s_mov_b64 s[0:1], 0
	s_branch .LBB33_967
.LBB33_962:
	s_mov_b64 s[2:3], -1
                                        ; implicit-def: $vgpr3
	s_branch .LBB33_973
.LBB33_963:
	s_or_saveexec_b64 s[2:3], s[2:3]
	v_mov_b32_e32 v3, s15
	s_xor_b64 exec, exec, s[2:3]
	s_cbranch_execz .LBB33_946
.LBB33_964:
	v_cmp_ne_u16_e32 vcc, 0, v8
	s_andn2_b64 s[0:1], s[0:1], exec
	s_and_b64 s[4:5], vcc, exec
	v_mov_b32_e32 v3, 0
	s_or_b64 s[0:1], s[0:1], s[4:5]
	s_or_b64 exec, exec, s[2:3]
	s_and_saveexec_b64 s[2:3], s[0:1]
	s_cbranch_execnz .LBB33_947
	s_branch .LBB33_948
.LBB33_965:
	s_mov_b64 s[0:1], -1
                                        ; implicit-def: $vgpr3
	s_branch .LBB33_970
.LBB33_966:
	s_mov_b64 s[0:1], -1
                                        ; implicit-def: $vgpr3
.LBB33_967:
	s_and_b64 vcc, exec, s[0:1]
	s_cbranch_vccz .LBB33_969
; %bb.968:
	global_load_ubyte v3, v[0:1], off
	s_mov_b32 s0, 0x7f800000
	s_waitcnt vmcnt(0)
	v_lshlrev_b32_e32 v3, 24, v3
	v_and_b32_e32 v8, 0x7f000000, v3
	v_ffbh_u32_e32 v9, v8
	v_min_u32_e32 v9, 32, v9
	v_sub_u32_e64 v9, v9, 4 clamp
	v_lshlrev_b32_e32 v11, v9, v8
	v_lshlrev_b32_e32 v9, 23, v9
	v_lshrrev_b32_e32 v11, 4, v11
	v_add_u32_e32 v10, 0x1000000, v8
	v_sub_u32_e32 v9, v11, v9
	v_ashrrev_i32_e32 v10, 8, v10
	v_add_u32_e32 v9, 0x3c000000, v9
	v_and_or_b32 v9, v10, s0, v9
	v_cmp_ne_u32_e32 vcc, 0, v8
	v_cndmask_b32_e32 v8, 0, v9, vcc
	s_brev_b32 s0, 1
	v_and_or_b32 v3, v3, s0, v8
.LBB33_969:
	s_mov_b64 s[0:1], 0
.LBB33_970:
	s_andn2_b64 vcc, exec, s[0:1]
	s_cbranch_vccnz .LBB33_972
; %bb.971:
	global_load_ubyte v3, v[0:1], off
	s_movk_i32 s0, 0x7f00
	s_brev_b32 s1, 16
	s_waitcnt vmcnt(0)
	v_lshlrev_b16_e32 v8, 8, v3
	v_lshlrev_b32_e32 v3, 25, v3
	v_lshrrev_b32_e32 v9, 4, v3
	v_and_or_b32 v10, v8, s0, 0.5
	v_or_b32_e32 v9, 0x70000000, v9
	v_add_f32_e32 v10, -0.5, v10
	v_mul_f32_e32 v9, 0x7800000, v9
	v_cmp_gt_u32_e32 vcc, s1, v3
	v_bfe_i32 v8, v8, 0, 16
	v_cndmask_b32_e32 v3, v9, v10, vcc
	s_brev_b32 s0, 1
	v_and_or_b32 v3, v8, s0, v3
.LBB33_972:
	s_mov_b64 s[2:3], 0
	s_mov_b64 s[0:1], -1
.LBB33_973:
	s_andn2_b64 vcc, exec, s[2:3]
	s_cbranch_vccnz .LBB33_986
; %bb.974:
	v_mov_b32_e32 v3, 14
	v_cmp_gt_i16_sdwa s[2:3], v6, v3 src0_sel:BYTE_0 src1_sel:DWORD
	s_and_b64 vcc, exec, s[2:3]
	s_cbranch_vccz .LBB33_977
; %bb.975:
	v_mov_b32_e32 v3, 15
	v_cmp_eq_u16_sdwa s[2:3], v6, v3 src0_sel:BYTE_0 src1_sel:DWORD
	s_and_b64 vcc, exec, s[2:3]
	s_cbranch_vccz .LBB33_980
; %bb.976:
	global_load_ushort v3, v[0:1], off
	s_mov_b64 s[0:1], -1
	s_mov_b64 s[42:43], 0
	s_waitcnt vmcnt(0)
	v_lshlrev_b32_e32 v3, 16, v3
	s_branch .LBB33_981
.LBB33_977:
	s_mov_b64 s[2:3], -1
                                        ; implicit-def: $vgpr3
	s_branch .LBB33_982
.LBB33_978:
	s_or_saveexec_b64 s[2:3], s[2:3]
	v_mov_b32_e32 v3, s15
	s_xor_b64 exec, exec, s[2:3]
	s_cbranch_execz .LBB33_959
.LBB33_979:
	v_cmp_ne_u16_e32 vcc, 0, v8
	s_andn2_b64 s[0:1], s[0:1], exec
	s_and_b64 s[4:5], vcc, exec
	v_mov_b32_e32 v3, 0
	s_or_b64 s[0:1], s[0:1], s[4:5]
	s_or_b64 exec, exec, s[2:3]
	s_and_saveexec_b64 s[2:3], s[0:1]
	s_cbranch_execnz .LBB33_960
	s_branch .LBB33_961
.LBB33_980:
	s_mov_b64 s[42:43], -1
                                        ; implicit-def: $vgpr3
.LBB33_981:
	s_mov_b64 s[2:3], 0
.LBB33_982:
	s_and_b64 vcc, exec, s[2:3]
	s_cbranch_vccz .LBB33_986
; %bb.983:
	v_mov_b32_e32 v3, 11
	v_cmp_eq_u16_sdwa s[2:3], v6, v3 src0_sel:BYTE_0 src1_sel:DWORD
	s_and_b64 vcc, exec, s[2:3]
	s_cbranch_vccz .LBB33_985
; %bb.984:
	global_load_ubyte v3, v[0:1], off
	s_mov_b64 s[0:1], -1
	s_mov_b64 s[42:43], 0
	s_waitcnt vmcnt(0)
	v_cmp_ne_u16_e32 vcc, 0, v3
	v_cndmask_b32_e64 v3, 0, 1.0, vcc
	s_branch .LBB33_986
.LBB33_985:
	s_mov_b64 s[42:43], -1
                                        ; implicit-def: $vgpr3
.LBB33_986:
	s_mov_b64 s[2:3], 0
.LBB33_987:
	s_and_b64 vcc, exec, s[2:3]
	s_cbranch_vccz .LBB33_1036
; %bb.988:
	v_mov_b32_e32 v3, 5
	v_cmp_lt_i16_sdwa s[0:1], v6, v3 src0_sel:BYTE_0 src1_sel:DWORD
	s_and_b64 vcc, exec, s[0:1]
	s_cbranch_vccnz .LBB33_993
; %bb.989:
	v_mov_b32_e32 v3, 8
	v_cmp_lt_i16_sdwa s[0:1], v6, v3 src0_sel:BYTE_0 src1_sel:DWORD
	s_and_b64 vcc, exec, s[0:1]
	s_cbranch_vccnz .LBB33_994
	;; [unrolled: 5-line block ×3, first 2 shown]
; %bb.991:
	v_cmp_gt_i16_sdwa s[0:1], v6, v3 src0_sel:BYTE_0 src1_sel:DWORD
	s_and_b64 vcc, exec, s[0:1]
	s_cbranch_vccz .LBB33_996
; %bb.992:
	global_load_dwordx2 v[8:9], v[0:1], off
	s_mov_b64 s[0:1], 0
	s_waitcnt vmcnt(0)
	v_cvt_f32_f64_e32 v3, v[8:9]
	s_branch .LBB33_997
.LBB33_993:
	s_mov_b64 s[0:1], -1
                                        ; implicit-def: $vgpr3
	s_branch .LBB33_1015
.LBB33_994:
	s_mov_b64 s[0:1], -1
                                        ; implicit-def: $vgpr3
	s_branch .LBB33_1003
.LBB33_995:
	s_mov_b64 s[0:1], -1
                                        ; implicit-def: $vgpr3
	s_branch .LBB33_1000
.LBB33_996:
	s_mov_b64 s[0:1], -1
                                        ; implicit-def: $vgpr3
.LBB33_997:
	s_andn2_b64 vcc, exec, s[0:1]
	s_cbranch_vccnz .LBB33_999
; %bb.998:
	global_load_dword v3, v[0:1], off
.LBB33_999:
	s_mov_b64 s[0:1], 0
.LBB33_1000:
	s_andn2_b64 vcc, exec, s[0:1]
	s_cbranch_vccnz .LBB33_1002
; %bb.1001:
	global_load_dword v3, v[0:1], off
	s_waitcnt vmcnt(0)
	v_cvt_f32_f16_e32 v3, v3
.LBB33_1002:
	s_mov_b64 s[0:1], 0
.LBB33_1003:
	s_andn2_b64 vcc, exec, s[0:1]
	s_cbranch_vccnz .LBB33_1014
; %bb.1004:
	s_waitcnt vmcnt(0)
	v_mov_b32_e32 v3, 6
	v_cmp_lt_i16_sdwa s[0:1], v6, v3 src0_sel:BYTE_0 src1_sel:DWORD
	s_and_b64 vcc, exec, s[0:1]
	s_cbranch_vccnz .LBB33_1007
; %bb.1005:
	v_cmp_gt_i16_sdwa s[0:1], v6, v3 src0_sel:BYTE_0 src1_sel:DWORD
	s_and_b64 vcc, exec, s[0:1]
	s_cbranch_vccz .LBB33_1008
; %bb.1006:
	global_load_dwordx2 v[8:9], v[0:1], off
	s_mov_b64 s[0:1], 0
	s_waitcnt vmcnt(0)
	v_cvt_f32_f64_e32 v3, v[8:9]
	s_branch .LBB33_1009
.LBB33_1007:
	s_mov_b64 s[0:1], -1
                                        ; implicit-def: $vgpr3
	s_branch .LBB33_1012
.LBB33_1008:
	s_mov_b64 s[0:1], -1
                                        ; implicit-def: $vgpr3
.LBB33_1009:
	s_andn2_b64 vcc, exec, s[0:1]
	s_cbranch_vccnz .LBB33_1011
; %bb.1010:
	global_load_dword v3, v[0:1], off
.LBB33_1011:
	s_mov_b64 s[0:1], 0
.LBB33_1012:
	s_andn2_b64 vcc, exec, s[0:1]
	s_cbranch_vccnz .LBB33_1014
; %bb.1013:
	global_load_ushort v3, v[0:1], off
	s_waitcnt vmcnt(0)
	v_cvt_f32_f16_e32 v3, v3
.LBB33_1014:
	s_mov_b64 s[0:1], 0
.LBB33_1015:
	s_andn2_b64 vcc, exec, s[0:1]
	s_cbranch_vccnz .LBB33_1035
; %bb.1016:
	s_waitcnt vmcnt(0)
	v_mov_b32_e32 v3, 2
	v_cmp_lt_i16_sdwa s[0:1], v6, v3 src0_sel:BYTE_0 src1_sel:DWORD
	s_and_b64 vcc, exec, s[0:1]
	s_cbranch_vccnz .LBB33_1020
; %bb.1017:
	v_mov_b32_e32 v3, 3
	v_cmp_lt_i16_sdwa s[0:1], v6, v3 src0_sel:BYTE_0 src1_sel:DWORD
	s_and_b64 vcc, exec, s[0:1]
	s_cbranch_vccnz .LBB33_1021
; %bb.1018:
	v_cmp_gt_i16_sdwa s[0:1], v6, v3 src0_sel:BYTE_0 src1_sel:DWORD
	s_and_b64 vcc, exec, s[0:1]
	s_cbranch_vccz .LBB33_1022
; %bb.1019:
	global_load_dwordx2 v[8:9], v[0:1], off
	s_mov_b64 s[0:1], 0
	s_waitcnt vmcnt(0)
	v_xor_b32_e32 v10, v8, v9
	v_ffbh_i32_e32 v3, v9
	v_ashrrev_i32_e32 v10, 31, v10
	v_add_u32_e32 v3, -1, v3
	v_add_u32_e32 v10, 32, v10
	v_min_u32_e32 v3, v3, v10
	v_lshlrev_b64 v[8:9], v3, v[8:9]
	v_min_u32_e32 v8, 1, v8
	v_or_b32_e32 v8, v9, v8
	v_cvt_f32_i32_e32 v8, v8
	v_sub_u32_e32 v3, 32, v3
	v_ldexp_f32 v3, v8, v3
	s_branch .LBB33_1023
.LBB33_1020:
	s_mov_b64 s[0:1], -1
                                        ; implicit-def: $vgpr3
	s_branch .LBB33_1029
.LBB33_1021:
	s_mov_b64 s[0:1], -1
                                        ; implicit-def: $vgpr3
	s_branch .LBB33_1026
.LBB33_1022:
	s_mov_b64 s[0:1], -1
                                        ; implicit-def: $vgpr3
.LBB33_1023:
	s_andn2_b64 vcc, exec, s[0:1]
	s_cbranch_vccnz .LBB33_1025
; %bb.1024:
	global_load_dword v3, v[0:1], off
	s_waitcnt vmcnt(0)
	v_cvt_f32_i32_e32 v3, v3
.LBB33_1025:
	s_mov_b64 s[0:1], 0
.LBB33_1026:
	s_andn2_b64 vcc, exec, s[0:1]
	s_cbranch_vccnz .LBB33_1028
; %bb.1027:
	global_load_sshort v3, v[0:1], off
	s_waitcnt vmcnt(0)
	v_cvt_f32_i32_e32 v3, v3
.LBB33_1028:
	s_mov_b64 s[0:1], 0
.LBB33_1029:
	s_andn2_b64 vcc, exec, s[0:1]
	s_cbranch_vccnz .LBB33_1035
; %bb.1030:
	v_mov_b32_e32 v3, 0
	v_cmp_gt_i16_sdwa s[0:1], v6, v3 src0_sel:BYTE_0 src1_sel:DWORD
	s_and_b64 vcc, exec, s[0:1]
	s_cbranch_vccz .LBB33_1032
; %bb.1031:
	global_load_sbyte v3, v[0:1], off
	s_mov_b64 s[0:1], 0
	s_waitcnt vmcnt(0)
	v_cvt_f32_i32_e32 v3, v3
	s_branch .LBB33_1033
.LBB33_1032:
	s_mov_b64 s[0:1], -1
                                        ; implicit-def: $vgpr3
.LBB33_1033:
	s_andn2_b64 vcc, exec, s[0:1]
	s_cbranch_vccnz .LBB33_1035
; %bb.1034:
	global_load_ubyte v0, v[0:1], off
	s_waitcnt vmcnt(0)
	v_cvt_f32_ubyte0_e32 v3, v0
.LBB33_1035:
	s_mov_b64 s[0:1], -1
.LBB33_1036:
	s_andn2_b64 vcc, exec, s[0:1]
	s_cbranch_vccnz .LBB33_1044
; %bb.1037:
	s_waitcnt vmcnt(0)
	v_div_scale_f32 v0, s[0:1], v3, v3, v2
	v_rcp_f32_e32 v1, v0
	v_div_scale_f32 v8, vcc, v2, v3, v2
	s_mov_b32 s0, 0x800000
	v_fma_f32 v9, -v0, v1, 1.0
	v_fmac_f32_e32 v1, v9, v1
	v_mul_f32_e32 v9, v8, v1
	v_fma_f32 v10, -v0, v9, v8
	v_fmac_f32_e32 v9, v10, v1
	v_fma_f32 v0, -v0, v9, v8
	v_div_fmas_f32 v0, v0, v1, v9
	v_div_fixup_f32 v3, v0, v3, v2
	v_mov_b32_e32 v0, 0x800000
	v_cmp_gt_f32_e64 s[0:1], s0, v3
	v_cndmask_b32_e64 v0, v3, v0, s[0:1]
	s_mov_b32 s2, 0x3f7ffffe
	v_mov_b32_e32 v1, 0x3f7ffffe
	v_cmp_lt_f32_e64 s[2:3], s2, v0
	v_cndmask_b32_e64 v2, v0, v1, s[2:3]
	v_mul_lo_u32 v0, v5, s12
	v_ashrrev_i32_e32 v1, 31, v0
	v_mov_b32_e32 v8, s9
	v_add_co_u32_e32 v0, vcc, s8, v0
	v_addc_co_u32_e32 v1, vcc, v8, v1, vcc
	v_mov_b32_e32 v8, 11
	v_cmp_lt_i16_sdwa s[4:5], v4, v8 src0_sel:BYTE_0 src1_sel:DWORD
	s_and_b64 vcc, exec, s[4:5]
	s_cbranch_vccnz .LBB33_1045
; %bb.1038:
	v_mov_b32_e32 v8, 25
	v_cmp_gt_i16_sdwa s[4:5], v4, v8 src0_sel:BYTE_0 src1_sel:DWORD
	s_and_b64 vcc, exec, s[4:5]
	s_cbranch_vccz .LBB33_1046
; %bb.1039:
	v_mov_b32_e32 v8, 28
	v_cmp_gt_i16_sdwa s[4:5], v4, v8 src0_sel:BYTE_0 src1_sel:DWORD
	s_and_b64 vcc, exec, s[4:5]
	s_cbranch_vccz .LBB33_1047
	;; [unrolled: 5-line block ×4, first 2 shown]
; %bb.1042:
	v_mov_b32_e32 v8, 46
	v_cmp_eq_u16_sdwa s[44:45], v4, v8 src0_sel:BYTE_0 src1_sel:DWORD
	s_mov_b64 s[46:47], 0
	s_mov_b64 s[4:5], -1
	s_and_b64 vcc, exec, s[44:45]
	s_mov_b64 s[44:45], 0
	s_cbranch_vccz .LBB33_1050
; %bb.1043:
	v_bfe_u32 v8, v2, 16, 1
	s_movk_i32 s4, 0x7fff
	v_add3_u32 v8, v2, v8, s4
	v_lshrrev_b32_e32 v8, 16, v8
	v_mov_b32_e32 v9, 0x7fc0
	v_cmp_o_f32_e32 vcc, v2, v2
	v_cndmask_b32_e32 v8, v9, v8, vcc
	global_store_dword v[0:1], v8, off
	s_mov_b64 s[44:45], -1
	s_mov_b64 s[4:5], 0
	s_branch .LBB33_1050
.LBB33_1044:
	s_mov_b64 s[44:45], 0
                                        ; implicit-def: $vgpr5
	s_mov_b64 s[4:5], s[34:35]
	s_branch .LBB33_1160
.LBB33_1045:
	s_mov_b64 s[0:1], -1
	s_mov_b64 s[44:45], 0
	s_mov_b64 s[4:5], s[34:35]
	s_branch .LBB33_1119
.LBB33_1046:
	s_mov_b64 s[44:45], 0
	s_mov_b64 s[4:5], s[34:35]
	s_branch .LBB33_1077
.LBB33_1047:
	s_mov_b64 s[44:45], 0
	s_mov_b64 s[4:5], s[34:35]
	s_branch .LBB33_1060
.LBB33_1048:
	s_mov_b64 s[44:45], 0
	s_mov_b64 s[4:5], s[34:35]
	s_branch .LBB33_1056
.LBB33_1049:
	s_mov_b64 s[44:45], 0
	s_mov_b64 s[4:5], s[34:35]
.LBB33_1050:
	s_and_b64 vcc, exec, s[46:47]
	s_cbranch_vccz .LBB33_1055
; %bb.1051:
	v_mov_b32_e32 v8, 44
	v_cmp_eq_u16_sdwa s[46:47], v4, v8 src0_sel:BYTE_0 src1_sel:DWORD
	s_mov_b64 s[4:5], -1
	s_and_b64 vcc, exec, s[46:47]
	s_cbranch_vccz .LBB33_1055
; %bb.1052:
	v_bfe_u32 v8, v2, 23, 8
	s_movk_i32 s4, 0xff
	v_cmp_ne_u32_e32 vcc, s4, v8
	v_mov_b32_e32 v9, 0xff
	s_and_saveexec_b64 s[44:45], vcc
; %bb.1053:
	s_mov_b32 s4, 0x3fffff
	v_and_b32_e32 v10, 0x400000, v2
	v_and_or_b32 v8, v2, s4, v8
	v_cmp_ne_u32_e32 vcc, 0, v10
	v_cmp_ne_u32_e64 s[4:5], 0, v8
	s_and_b64 s[4:5], vcc, s[4:5]
	v_lshrrev_b32_e32 v9, 23, v2
	v_cndmask_b32_e64 v8, 0, 1, s[4:5]
	v_add_u32_e32 v9, v9, v8
; %bb.1054:
	s_or_b64 exec, exec, s[44:45]
	s_mov_b64 s[44:45], -1
	s_mov_b64 s[4:5], 0
	global_store_byte v[0:1], v9, off
.LBB33_1055:
	s_mov_b64 s[46:47], 0
.LBB33_1056:
	s_and_b64 vcc, exec, s[46:47]
	s_cbranch_vccz .LBB33_1059
; %bb.1057:
	v_mov_b32_e32 v8, 29
	v_cmp_eq_u16_sdwa s[46:47], v4, v8 src0_sel:BYTE_0 src1_sel:DWORD
	s_mov_b64 s[4:5], -1
	s_and_b64 vcc, exec, s[46:47]
	s_cbranch_vccz .LBB33_1059
; %bb.1058:
	v_trunc_f32_e32 v8, v2
	v_mul_f32_e32 v9, 0x2f800000, v8
	v_floor_f32_e32 v10, v9
	v_fmac_f32_e32 v8, 0xcf800000, v10
	v_cvt_u32_f32_e32 v9, v10
	v_cvt_u32_f32_e32 v8, v8
	s_mov_b64 s[44:45], -1
	s_mov_b64 s[4:5], 0
	s_mov_b64 s[46:47], 0
	global_store_dwordx2 v[0:1], v[8:9], off
	s_branch .LBB33_1060
.LBB33_1059:
	s_mov_b64 s[46:47], 0
.LBB33_1060:
	s_and_b64 vcc, exec, s[46:47]
	s_cbranch_vccz .LBB33_1076
; %bb.1061:
	v_mov_b32_e32 v8, 27
	v_cmp_lt_i16_sdwa s[46:47], v4, v8 src0_sel:BYTE_0 src1_sel:DWORD
	s_mov_b64 s[44:45], -1
	s_and_b64 vcc, exec, s[46:47]
	s_cbranch_vccnz .LBB33_1067
; %bb.1062:
	v_cmp_gt_i16_sdwa s[46:47], v4, v8 src0_sel:BYTE_0 src1_sel:DWORD
	v_cvt_u32_f32_e32 v8, v2
	s_and_b64 vcc, exec, s[46:47]
	s_cbranch_vccz .LBB33_1064
; %bb.1063:
	s_mov_b64 s[44:45], 0
	global_store_dword v[0:1], v8, off
.LBB33_1064:
	s_andn2_b64 vcc, exec, s[44:45]
	s_cbranch_vccnz .LBB33_1066
; %bb.1065:
	global_store_short v[0:1], v8, off
.LBB33_1066:
	s_mov_b64 s[44:45], 0
.LBB33_1067:
	s_andn2_b64 vcc, exec, s[44:45]
	s_cbranch_vccnz .LBB33_1075
; %bb.1068:
	v_mov_b32_e32 v8, 0x800000
	v_cndmask_b32_e64 v8, |v3|, v8, s[0:1]
	v_mov_b32_e32 v9, 0x3f7ffffe
	v_cndmask_b32_e64 v9, v8, v9, s[2:3]
	s_mov_b32 s15, 0x43800000
	v_cmp_gt_u32_e32 vcc, s15, v9
	v_mov_b32_e32 v10, 0x80
	s_and_saveexec_b64 s[44:45], vcc
	s_cbranch_execz .LBB33_1074
; %bb.1069:
	s_mov_b32 s15, 0x3bffffff
	v_cmp_lt_u32_e32 vcc, s15, v9
	s_mov_b64 s[46:47], 0
                                        ; implicit-def: $vgpr8
	s_and_saveexec_b64 s[48:49], vcc
	s_xor_b64 s[48:49], exec, s[48:49]
	s_cbranch_execz .LBB33_1176
; %bb.1070:
	v_bfe_u32 v8, v2, 20, 1
	s_mov_b32 s15, 0x487ffff
	v_add3_u32 v8, v2, v8, s15
	s_mov_b64 s[46:47], exec
	v_lshrrev_b32_e32 v8, 20, v8
                                        ; implicit-def: $vgpr9
	s_or_saveexec_b64 s[48:49], s[48:49]
                                        ; implicit-def: $sgpr15
	s_xor_b64 exec, exec, s[48:49]
	s_cbranch_execnz .LBB33_1177
.LBB33_1071:
	s_or_b64 exec, exec, s[48:49]
	v_mov_b32_e32 v10, s15
	s_and_saveexec_b64 s[48:49], s[46:47]
.LBB33_1072:
	v_lshrrev_b32_e32 v9, 24, v2
	s_movk_i32 s15, 0x80
	v_and_or_b32 v10, v9, s15, v8
.LBB33_1073:
	s_or_b64 exec, exec, s[48:49]
.LBB33_1074:
	s_or_b64 exec, exec, s[44:45]
	global_store_byte v[0:1], v10, off
.LBB33_1075:
	s_mov_b64 s[44:45], -1
.LBB33_1076:
	s_mov_b64 s[46:47], 0
.LBB33_1077:
	s_and_b64 vcc, exec, s[46:47]
	s_cbranch_vccz .LBB33_1118
; %bb.1078:
	v_mov_b32_e32 v8, 22
	v_cmp_gt_i16_sdwa s[48:49], v4, v8 src0_sel:BYTE_0 src1_sel:DWORD
	s_mov_b64 s[46:47], -1
	s_and_b64 vcc, exec, s[48:49]
	s_cbranch_vccz .LBB33_1110
; %bb.1079:
	v_mov_b32_e32 v8, 24
	v_cmp_lt_i16_sdwa s[46:47], v4, v8 src0_sel:BYTE_0 src1_sel:DWORD
	s_mov_b64 s[44:45], -1
	s_and_b64 vcc, exec, s[46:47]
	s_cbranch_vccnz .LBB33_1099
; %bb.1080:
	v_cmp_gt_i16_sdwa s[46:47], v4, v8 src0_sel:BYTE_0 src1_sel:DWORD
	s_and_b64 vcc, exec, s[46:47]
	s_cbranch_vccz .LBB33_1088
; %bb.1081:
	v_mov_b32_e32 v8, 0x800000
	v_cndmask_b32_e64 v8, |v3|, v8, s[0:1]
	v_mov_b32_e32 v9, 0x3f7ffffe
	v_cndmask_b32_e64 v9, v8, v9, s[2:3]
	s_mov_b32 s15, 0x47800000
	v_cmp_gt_u32_e32 vcc, s15, v9
	v_mov_b32_e32 v10, 0x80
	s_and_saveexec_b64 s[44:45], vcc
	s_cbranch_execz .LBB33_1087
; %bb.1082:
	s_mov_b32 s15, 0x37ffffff
	v_cmp_lt_u32_e32 vcc, s15, v9
	s_mov_b64 s[46:47], 0
                                        ; implicit-def: $vgpr8
	s_and_saveexec_b64 s[48:49], vcc
	s_xor_b64 s[48:49], exec, s[48:49]
	s_cbranch_execz .LBB33_2199
; %bb.1083:
	v_bfe_u32 v8, v2, 21, 1
	s_mov_b32 s15, 0x88fffff
	v_add3_u32 v8, v2, v8, s15
	s_mov_b64 s[46:47], exec
	v_lshrrev_b32_e32 v8, 21, v8
                                        ; implicit-def: $vgpr9
	s_or_saveexec_b64 s[48:49], s[48:49]
                                        ; implicit-def: $sgpr15
	s_xor_b64 exec, exec, s[48:49]
	s_cbranch_execnz .LBB33_2200
.LBB33_1084:
	s_or_b64 exec, exec, s[48:49]
	v_mov_b32_e32 v10, s15
	s_and_saveexec_b64 s[48:49], s[46:47]
.LBB33_1085:
	v_lshrrev_b32_e32 v9, 24, v2
	s_movk_i32 s15, 0x80
	v_and_or_b32 v10, v9, s15, v8
.LBB33_1086:
	s_or_b64 exec, exec, s[48:49]
.LBB33_1087:
	s_or_b64 exec, exec, s[44:45]
	s_mov_b64 s[44:45], 0
	global_store_byte v[0:1], v10, off
.LBB33_1088:
	s_and_b64 vcc, exec, s[44:45]
	s_cbranch_vccz .LBB33_1098
; %bb.1089:
	v_mov_b32_e32 v8, 0x800000
	v_cndmask_b32_e64 v8, |v3|, v8, s[0:1]
	v_mov_b32_e32 v9, 0x3f7ffffe
	v_cndmask_b32_e64 v9, v8, v9, s[2:3]
	s_mov_b32 s15, 0x43f00000
	v_cmp_gt_u32_e32 vcc, s15, v9
                                        ; implicit-def: $vgpr8
	s_and_saveexec_b64 s[44:45], vcc
	s_xor_b64 s[44:45], exec, s[44:45]
	s_cbranch_execz .LBB33_1095
; %bb.1090:
	s_mov_b32 s15, 0x3c7fffff
	v_cmp_lt_u32_e32 vcc, s15, v9
                                        ; implicit-def: $vgpr8
	s_and_saveexec_b64 s[46:47], vcc
	s_xor_b64 s[46:47], exec, s[46:47]
; %bb.1091:
	v_bfe_u32 v8, v2, 20, 1
	s_mov_b32 s15, 0x407ffff
	v_add3_u32 v8, v2, v8, s15
	v_lshrrev_b32_e32 v9, 20, v8
	v_and_b32_e32 v8, 0xff00000, v8
	s_mov_b32 s15, 0x7f00000
	v_mov_b32_e32 v10, 0x7e
	v_cmp_ne_u32_e32 vcc, s15, v8
	v_cndmask_b32_e32 v8, v10, v9, vcc
                                        ; implicit-def: $vgpr9
; %bb.1092:
	s_andn2_saveexec_b64 s[46:47], s[46:47]
; %bb.1093:
	v_add_f32_e32 v8, 0x46800000, v9
; %bb.1094:
	s_or_b64 exec, exec, s[46:47]
                                        ; implicit-def: $vgpr9
.LBB33_1095:
	s_andn2_saveexec_b64 s[44:45], s[44:45]
; %bb.1096:
	s_mov_b32 s15, 0x7f800000
	v_mov_b32_e32 v8, 0x7e
	v_mov_b32_e32 v10, 0x7f
	v_cmp_lt_u32_e32 vcc, s15, v9
	v_cndmask_b32_e32 v8, v8, v10, vcc
; %bb.1097:
	s_or_b64 exec, exec, s[44:45]
	v_lshrrev_b32_e32 v9, 24, v2
	s_movk_i32 s15, 0x80
	v_and_or_b32 v8, v9, s15, v8
	global_store_byte v[0:1], v8, off
.LBB33_1098:
	s_mov_b64 s[44:45], 0
.LBB33_1099:
	s_andn2_b64 vcc, exec, s[44:45]
	s_cbranch_vccnz .LBB33_1109
; %bb.1100:
	v_mov_b32_e32 v8, 0x800000
	v_cndmask_b32_e64 v3, |v3|, v8, s[0:1]
	v_mov_b32_e32 v8, 0x3f7ffffe
	v_cndmask_b32_e64 v8, v3, v8, s[2:3]
	s_mov_b32 s0, 0x47800000
	v_cmp_gt_u32_e32 vcc, s0, v8
                                        ; implicit-def: $vgpr3
	s_and_saveexec_b64 s[0:1], vcc
	s_xor_b64 s[0:1], exec, s[0:1]
	s_cbranch_execz .LBB33_1106
; %bb.1101:
	s_mov_b32 s2, 0x387fffff
	v_cmp_lt_u32_e32 vcc, s2, v8
                                        ; implicit-def: $vgpr3
	s_and_saveexec_b64 s[2:3], vcc
	s_xor_b64 s[2:3], exec, s[2:3]
; %bb.1102:
	v_bfe_u32 v3, v2, 21, 1
	s_mov_b32 s15, 0x80fffff
	v_add3_u32 v3, v2, v3, s15
	v_lshrrev_b32_e32 v3, 21, v3
                                        ; implicit-def: $vgpr8
; %bb.1103:
	s_andn2_saveexec_b64 s[2:3], s[2:3]
; %bb.1104:
	v_add_f32_e32 v3, 0x43000000, v8
; %bb.1105:
	s_or_b64 exec, exec, s[2:3]
                                        ; implicit-def: $vgpr8
.LBB33_1106:
	s_andn2_saveexec_b64 s[0:1], s[0:1]
; %bb.1107:
	s_mov_b32 s2, 0x7f800000
	v_mov_b32_e32 v3, 0x7c
	v_mov_b32_e32 v9, 0x7f
	v_cmp_lt_u32_e32 vcc, s2, v8
	v_cndmask_b32_e32 v3, v3, v9, vcc
; %bb.1108:
	s_or_b64 exec, exec, s[0:1]
	v_lshrrev_b32_e32 v8, 24, v2
	s_movk_i32 s0, 0x80
	v_and_or_b32 v3, v8, s0, v3
	global_store_byte v[0:1], v3, off
.LBB33_1109:
	s_mov_b64 s[46:47], 0
	s_mov_b64 s[44:45], -1
.LBB33_1110:
	s_andn2_b64 vcc, exec, s[46:47]
	s_cbranch_vccnz .LBB33_1118
; %bb.1111:
	v_mov_b32_e32 v3, 14
	v_cmp_gt_i16_sdwa s[2:3], v4, v3 src0_sel:BYTE_0 src1_sel:DWORD
	s_mov_b64 s[0:1], -1
	s_and_b64 vcc, exec, s[2:3]
	s_cbranch_vccz .LBB33_1115
; %bb.1112:
	v_mov_b32_e32 v3, 15
	v_cmp_eq_u16_sdwa s[0:1], v4, v3 src0_sel:BYTE_0 src1_sel:DWORD
	s_mov_b64 s[4:5], -1
	s_and_b64 vcc, exec, s[0:1]
	s_cbranch_vccz .LBB33_1114
; %bb.1113:
	v_bfe_u32 v3, v2, 16, 1
	s_movk_i32 s0, 0x7fff
	v_add3_u32 v3, v2, v3, s0
	v_lshrrev_b32_e32 v3, 16, v3
	v_mov_b32_e32 v8, 0x7fc0
	v_cmp_o_f32_e32 vcc, v2, v2
	v_cndmask_b32_e32 v3, v8, v3, vcc
	global_store_short v[0:1], v3, off
	s_mov_b64 s[44:45], -1
	s_mov_b64 s[4:5], 0
.LBB33_1114:
	s_mov_b64 s[0:1], 0
.LBB33_1115:
	s_and_b64 vcc, exec, s[0:1]
	s_cbranch_vccz .LBB33_1118
; %bb.1116:
	v_mov_b32_e32 v3, 11
	v_cmp_eq_u16_sdwa s[0:1], v4, v3 src0_sel:BYTE_0 src1_sel:DWORD
	s_mov_b64 s[4:5], -1
	s_and_b64 vcc, exec, s[0:1]
	s_cbranch_vccz .LBB33_1118
; %bb.1117:
	v_mov_b32_e32 v3, 1
	s_mov_b64 s[44:45], -1
	s_mov_b64 s[4:5], 0
	global_store_byte v[0:1], v3, off
.LBB33_1118:
	s_mov_b64 s[0:1], 0
.LBB33_1119:
	s_and_b64 vcc, exec, s[0:1]
	s_cbranch_vccz .LBB33_1158
; %bb.1120:
	v_mov_b32_e32 v3, 5
	v_cmp_lt_i16_sdwa s[2:3], v4, v3 src0_sel:BYTE_0 src1_sel:DWORD
	s_mov_b64 s[0:1], -1
	s_and_b64 vcc, exec, s[2:3]
	s_cbranch_vccnz .LBB33_1141
; %bb.1121:
	v_mov_b32_e32 v3, 8
	v_cmp_lt_i16_sdwa s[2:3], v4, v3 src0_sel:BYTE_0 src1_sel:DWORD
	s_and_b64 vcc, exec, s[2:3]
	s_cbranch_vccnz .LBB33_1131
; %bb.1122:
	v_mov_b32_e32 v3, 9
	v_cmp_lt_i16_sdwa s[2:3], v4, v3 src0_sel:BYTE_0 src1_sel:DWORD
	s_and_b64 vcc, exec, s[2:3]
	s_cbranch_vccnz .LBB33_1128
; %bb.1123:
	v_cmp_gt_i16_sdwa s[2:3], v4, v3 src0_sel:BYTE_0 src1_sel:DWORD
	s_and_b64 vcc, exec, s[2:3]
	s_cbranch_vccz .LBB33_1125
; %bb.1124:
	v_mov_b32_e32 v10, 0
	v_cvt_f64_f32_e32 v[8:9], v2
	v_mov_b32_e32 v11, v10
	s_mov_b64 s[0:1], 0
	global_store_dwordx4 v[0:1], v[8:11], off
.LBB33_1125:
	s_andn2_b64 vcc, exec, s[0:1]
	s_cbranch_vccnz .LBB33_1127
; %bb.1126:
	v_mov_b32_e32 v3, 0
	global_store_dwordx2 v[0:1], v[2:3], off
.LBB33_1127:
	s_mov_b64 s[0:1], 0
.LBB33_1128:
	s_andn2_b64 vcc, exec, s[0:1]
	s_cbranch_vccnz .LBB33_1130
; %bb.1129:
	v_cvt_f16_f32_e32 v3, v2
	global_store_dword v[0:1], v3, off
.LBB33_1130:
	s_mov_b64 s[0:1], 0
.LBB33_1131:
	s_andn2_b64 vcc, exec, s[0:1]
	s_cbranch_vccnz .LBB33_1140
; %bb.1132:
	v_mov_b32_e32 v3, 6
	v_cmp_lt_i16_sdwa s[2:3], v4, v3 src0_sel:BYTE_0 src1_sel:DWORD
	s_mov_b64 s[0:1], -1
	s_and_b64 vcc, exec, s[2:3]
	s_cbranch_vccnz .LBB33_1138
; %bb.1133:
	v_cmp_gt_i16_sdwa s[2:3], v4, v3 src0_sel:BYTE_0 src1_sel:DWORD
	s_and_b64 vcc, exec, s[2:3]
	s_cbranch_vccz .LBB33_1135
; %bb.1134:
	v_cvt_f64_f32_e32 v[8:9], v2
	s_mov_b64 s[0:1], 0
	global_store_dwordx2 v[0:1], v[8:9], off
.LBB33_1135:
	s_andn2_b64 vcc, exec, s[0:1]
	s_cbranch_vccnz .LBB33_1137
; %bb.1136:
	global_store_dword v[0:1], v2, off
.LBB33_1137:
	s_mov_b64 s[0:1], 0
.LBB33_1138:
	s_andn2_b64 vcc, exec, s[0:1]
	s_cbranch_vccnz .LBB33_1140
; %bb.1139:
	v_cvt_f16_f32_e32 v3, v2
	global_store_short v[0:1], v3, off
.LBB33_1140:
	s_mov_b64 s[0:1], 0
.LBB33_1141:
	s_andn2_b64 vcc, exec, s[0:1]
	s_cbranch_vccnz .LBB33_1157
; %bb.1142:
	v_mov_b32_e32 v3, 2
	v_cmp_lt_i16_sdwa s[2:3], v4, v3 src0_sel:BYTE_0 src1_sel:DWORD
	s_mov_b64 s[0:1], -1
	s_and_b64 vcc, exec, s[2:3]
	s_cbranch_vccnz .LBB33_1152
; %bb.1143:
	v_mov_b32_e32 v3, 3
	v_cmp_lt_i16_sdwa s[2:3], v4, v3 src0_sel:BYTE_0 src1_sel:DWORD
	s_and_b64 vcc, exec, s[2:3]
	s_cbranch_vccnz .LBB33_1149
; %bb.1144:
	v_cmp_gt_i16_sdwa s[2:3], v4, v3 src0_sel:BYTE_0 src1_sel:DWORD
	s_and_b64 vcc, exec, s[2:3]
	s_cbranch_vccz .LBB33_1146
; %bb.1145:
	v_trunc_f32_e32 v3, v2
	s_mov_b32 s0, 0x2f800000
	v_mul_f32_e64 v8, |v3|, s0
	v_floor_f32_e32 v8, v8
	s_mov_b32 s0, 0xcf800000
	v_cvt_u32_f32_e32 v9, v8
	v_fma_f32 v8, v8, s0, |v3|
	v_cvt_u32_f32_e32 v8, v8
	v_ashrrev_i32_e32 v3, 31, v3
	v_xor_b32_e32 v9, v9, v3
	s_mov_b64 s[0:1], 0
	v_xor_b32_e32 v8, v8, v3
	v_sub_co_u32_e32 v8, vcc, v8, v3
	v_subb_co_u32_e32 v9, vcc, v9, v3, vcc
	global_store_dwordx2 v[0:1], v[8:9], off
.LBB33_1146:
	s_andn2_b64 vcc, exec, s[0:1]
	s_cbranch_vccnz .LBB33_1148
; %bb.1147:
	v_cvt_i32_f32_e32 v3, v2
	global_store_dword v[0:1], v3, off
.LBB33_1148:
	s_mov_b64 s[0:1], 0
.LBB33_1149:
	s_andn2_b64 vcc, exec, s[0:1]
	s_cbranch_vccnz .LBB33_1151
; %bb.1150:
	v_cvt_i32_f32_e32 v3, v2
	global_store_short v[0:1], v3, off
.LBB33_1151:
	s_mov_b64 s[0:1], 0
.LBB33_1152:
	s_andn2_b64 vcc, exec, s[0:1]
	s_cbranch_vccnz .LBB33_1157
; %bb.1153:
	v_mov_b32_e32 v3, 0
	v_cmp_gt_i16_sdwa s[2:3], v4, v3 src0_sel:BYTE_0 src1_sel:DWORD
	s_mov_b64 s[0:1], -1
	s_and_b64 vcc, exec, s[2:3]
	s_cbranch_vccz .LBB33_1155
; %bb.1154:
	v_cvt_i32_f32_e32 v3, v2
	s_mov_b64 s[0:1], 0
	global_store_byte v[0:1], v3, off
.LBB33_1155:
	s_andn2_b64 vcc, exec, s[0:1]
	s_cbranch_vccnz .LBB33_1157
; %bb.1156:
	v_trunc_f32_e32 v2, v2
	s_mov_b32 s0, 0x2f800000
	v_mul_f32_e64 v3, |v2|, s0
	v_floor_f32_e32 v3, v3
	s_mov_b32 s0, 0xcf800000
	v_fma_f32 v3, v3, s0, |v2|
	v_cvt_u32_f32_e32 v3, v3
	v_ashrrev_i32_e32 v2, 31, v2
	v_xor_b32_e32 v3, v3, v2
	v_sub_u32_e32 v2, v3, v2
	global_store_byte v[0:1], v2, off
.LBB33_1157:
	s_mov_b64 s[44:45], -1
.LBB33_1158:
	s_andn2_b64 vcc, exec, s[44:45]
	s_cbranch_vccnz .LBB33_1171
; %bb.1159:
	v_add_u32_e32 v5, 0x80, v5
	s_mov_b64 s[44:45], -1
.LBB33_1160:
	s_andn2_b64 s[0:1], s[34:35], exec
	s_and_b64 s[2:3], s[4:5], exec
	s_or_b64 s[4:5], s[0:1], s[2:3]
	s_andn2_b64 s[0:1], s[30:31], exec
	s_and_b64 s[2:3], s[42:43], exec
	s_or_b64 s[2:3], s[0:1], s[2:3]
	;; [unrolled: 3-line block ×3, first 2 shown]
	s_orn2_b64 s[46:47], s[44:45], exec
.LBB33_1161:
	s_or_b64 exec, exec, s[38:39]
	s_mov_b64 s[40:41], 0
	s_mov_b64 s[42:43], 0
	;; [unrolled: 1-line block ×3, first 2 shown]
                                        ; implicit-def: $vgpr2
                                        ; implicit-def: $vgpr0_vgpr1
                                        ; implicit-def: $vgpr3
	s_and_saveexec_b64 s[38:39], s[46:47]
	s_cbranch_execz .LBB33_1245
; %bb.1162:
	v_cmp_gt_i32_e32 vcc, s33, v5
	s_mov_b64 s[46:47], 0
	s_mov_b64 s[48:49], s[0:1]
	;; [unrolled: 1-line block ×4, first 2 shown]
                                        ; implicit-def: $vgpr2
                                        ; implicit-def: $vgpr0_vgpr1
                                        ; implicit-def: $vgpr3
	s_and_saveexec_b64 s[40:41], vcc
	s_cbranch_execz .LBB33_1244
; %bb.1163:
	v_mul_lo_u32 v0, v5, s13
	v_ashrrev_i32_e32 v1, 31, v0
	s_waitcnt vmcnt(0)
	v_mov_b32_e32 v2, s11
	v_add_co_u32_e32 v0, vcc, s10, v0
	v_addc_co_u32_e32 v1, vcc, v2, v1, vcc
	v_and_b32_e32 v2, 0xff, v7
	v_cmp_gt_i16_e32 vcc, 11, v2
	s_cbranch_vccnz .LBB33_1170
; %bb.1164:
	v_cmp_lt_i16_e32 vcc, 25, v2
	s_cbranch_vccz .LBB33_1172
; %bb.1165:
	v_cmp_lt_i16_e32 vcc, 28, v2
	s_cbranch_vccz .LBB33_1173
	;; [unrolled: 3-line block ×4, first 2 shown]
; %bb.1168:
	v_cmp_eq_u16_e32 vcc, 46, v2
	s_mov_b64 s[48:49], 0
	s_cbranch_vccz .LBB33_1178
; %bb.1169:
	global_load_dword v3, v[0:1], off
	s_mov_b64 s[46:47], -1
	s_waitcnt vmcnt(0)
	v_lshlrev_b32_e32 v3, 16, v3
	s_branch .LBB33_1180
.LBB33_1170:
	s_mov_b64 s[48:49], -1
                                        ; implicit-def: $vgpr3
	s_mov_b64 s[42:43], s[0:1]
	s_branch .LBB33_1243
.LBB33_1171:
	s_mov_b64 s[44:45], 0
	s_branch .LBB33_913
.LBB33_1172:
	s_mov_b64 s[48:49], -1
	s_mov_b64 s[42:43], s[0:1]
                                        ; implicit-def: $vgpr3
	s_branch .LBB33_1209
.LBB33_1173:
	s_mov_b64 s[48:49], -1
	s_mov_b64 s[42:43], s[0:1]
                                        ; implicit-def: $vgpr3
	s_branch .LBB33_1190
.LBB33_1174:
	s_mov_b64 s[48:49], -1
	s_mov_b64 s[42:43], s[0:1]
                                        ; implicit-def: $vgpr3
	s_branch .LBB33_1185
.LBB33_1175:
	s_mov_b64 s[48:49], -1
	s_mov_b64 s[42:43], s[0:1]
	s_branch .LBB33_1179
.LBB33_1176:
	s_or_saveexec_b64 s[48:49], s[48:49]
                                        ; implicit-def: $sgpr15
	s_xor_b64 exec, exec, s[48:49]
	s_cbranch_execz .LBB33_1071
.LBB33_1177:
	v_add_f32_e32 v8, 0x46000000, v9
	v_and_b32_e32 v8, 0xff, v8
	v_cmp_ne_u32_e32 vcc, 0, v8
	s_andn2_b64 s[46:47], s[46:47], exec
	s_and_b64 s[50:51], vcc, exec
	s_mov_b32 s15, 0
	s_or_b64 s[46:47], s[46:47], s[50:51]
	s_or_b64 exec, exec, s[48:49]
	v_mov_b32_e32 v10, s15
	s_and_saveexec_b64 s[48:49], s[46:47]
	s_cbranch_execnz .LBB33_1072
	s_branch .LBB33_1073
.LBB33_1178:
	s_mov_b64 s[42:43], -1
.LBB33_1179:
                                        ; implicit-def: $vgpr3
.LBB33_1180:
	s_and_b64 vcc, exec, s[48:49]
	s_cbranch_vccz .LBB33_1184
; %bb.1181:
	v_cmp_eq_u16_e32 vcc, 44, v2
	s_cbranch_vccz .LBB33_1183
; %bb.1182:
	global_load_ubyte v3, v[0:1], off
	s_movk_i32 s15, 0xff
	v_mov_b32_e32 v7, 0x7f800001
	v_mov_b32_e32 v8, 0x400000
	s_mov_b64 s[42:43], 0
	s_mov_b64 s[46:47], -1
	s_waitcnt vmcnt(0)
	v_lshlrev_b32_e32 v9, 23, v3
	v_cmp_ne_u32_e32 vcc, s15, v3
	v_cndmask_b32_e32 v7, v7, v9, vcc
	v_cmp_ne_u32_e32 vcc, 0, v3
	v_cndmask_b32_e32 v3, v8, v7, vcc
	s_branch .LBB33_1184
.LBB33_1183:
	s_mov_b64 s[42:43], -1
                                        ; implicit-def: $vgpr3
.LBB33_1184:
	s_mov_b64 s[48:49], 0
.LBB33_1185:
	s_and_b64 vcc, exec, s[48:49]
	s_cbranch_vccz .LBB33_1189
; %bb.1186:
	v_cmp_eq_u16_e32 vcc, 29, v2
	s_cbranch_vccz .LBB33_1188
; %bb.1187:
	global_load_dwordx2 v[8:9], v[0:1], off
	s_mov_b64 s[42:43], 0
	s_mov_b64 s[46:47], -1
	s_mov_b64 s[48:49], 0
	s_waitcnt vmcnt(0)
	v_ffbh_u32_e32 v3, v9
	v_min_u32_e32 v3, 32, v3
	v_lshlrev_b64 v[8:9], v3, v[8:9]
	v_min_u32_e32 v7, 1, v8
	v_or_b32_e32 v7, v9, v7
	v_cvt_f32_u32_e32 v7, v7
	v_sub_u32_e32 v3, 32, v3
	v_ldexp_f32 v3, v7, v3
	s_branch .LBB33_1190
.LBB33_1188:
	s_mov_b64 s[42:43], -1
                                        ; implicit-def: $vgpr3
.LBB33_1189:
	s_mov_b64 s[48:49], 0
.LBB33_1190:
	s_and_b64 vcc, exec, s[48:49]
	s_cbranch_vccz .LBB33_1208
; %bb.1191:
	v_cmp_gt_i16_e32 vcc, 27, v2
	s_cbranch_vccnz .LBB33_1194
; %bb.1192:
	v_cmp_lt_i16_e32 vcc, 27, v2
	s_cbranch_vccz .LBB33_1195
; %bb.1193:
	global_load_dword v3, v[0:1], off
	s_mov_b64 s[46:47], 0
	s_waitcnt vmcnt(0)
	v_cvt_f32_u32_e32 v3, v3
	s_branch .LBB33_1196
.LBB33_1194:
	s_mov_b64 s[46:47], -1
                                        ; implicit-def: $vgpr3
	s_branch .LBB33_1199
.LBB33_1195:
	s_mov_b64 s[46:47], -1
                                        ; implicit-def: $vgpr3
.LBB33_1196:
	s_andn2_b64 vcc, exec, s[46:47]
	s_cbranch_vccnz .LBB33_1198
; %bb.1197:
	global_load_ushort v3, v[0:1], off
	s_waitcnt vmcnt(0)
	v_cvt_f32_u32_e32 v3, v3
.LBB33_1198:
	s_mov_b64 s[46:47], 0
.LBB33_1199:
	s_andn2_b64 vcc, exec, s[46:47]
	s_cbranch_vccnz .LBB33_1207
; %bb.1200:
	global_load_ubyte v7, v[0:1], off
	s_movk_i32 s15, 0x7f
	s_mov_b64 s[46:47], 0
	s_waitcnt vmcnt(0)
	v_cmp_lt_i16_e32 vcc, s15, v7
                                        ; implicit-def: $sgpr15
	s_and_saveexec_b64 s[48:49], vcc
	s_xor_b64 s[48:49], exec, s[48:49]
	s_cbranch_execz .LBB33_1221
; %bb.1201:
	s_movk_i32 s15, 0x80
	v_cmp_eq_u16_e32 vcc, s15, v7
	s_mov_b64 s[46:47], -1
                                        ; implicit-def: $sgpr15
	s_and_saveexec_b64 s[50:51], vcc
; %bb.1202:
	s_mov_b32 s15, 0x7f800001
	s_xor_b64 s[46:47], exec, -1
; %bb.1203:
	s_or_b64 exec, exec, s[50:51]
	s_and_b64 s[46:47], s[46:47], exec
	s_or_saveexec_b64 s[48:49], s[48:49]
	v_mov_b32_e32 v3, s15
	s_xor_b64 exec, exec, s[48:49]
	s_cbranch_execnz .LBB33_1222
.LBB33_1204:
	s_or_b64 exec, exec, s[48:49]
	s_and_saveexec_b64 s[48:49], s[46:47]
	s_cbranch_execz .LBB33_1206
.LBB33_1205:
	v_lshlrev_b32_e32 v3, 24, v7
	v_and_b32_e32 v7, 0xffff, v7
	v_and_b32_e32 v8, 7, v7
	v_ffbh_u32_e32 v10, v8
	v_min_u32_e32 v10, 32, v10
	v_subrev_u32_e32 v11, 28, v10
	v_bfe_u32 v9, v7, 3, 4
	v_lshlrev_b32_e32 v7, v11, v7
	v_sub_u32_e32 v10, 29, v10
	v_and_b32_e32 v7, 7, v7
	v_cmp_eq_u32_e32 vcc, 0, v9
	v_cndmask_b32_e32 v9, v9, v10, vcc
	v_cndmask_b32_e32 v7, v8, v7, vcc
	v_mov_b32_e32 v8, 0x3b800000
	v_lshlrev_b32_e32 v7, 20, v7
	v_and_b32_e32 v3, 0x80000000, v3
	v_lshl_add_u32 v8, v9, 23, v8
	v_or3_b32 v3, v3, v8, v7
.LBB33_1206:
	s_or_b64 exec, exec, s[48:49]
.LBB33_1207:
	s_mov_b64 s[46:47], -1
.LBB33_1208:
	s_mov_b64 s[48:49], 0
.LBB33_1209:
	s_and_b64 vcc, exec, s[48:49]
	s_cbranch_vccz .LBB33_1242
; %bb.1210:
	v_cmp_lt_i16_e32 vcc, 22, v2
	s_cbranch_vccz .LBB33_1220
; %bb.1211:
	v_cmp_gt_i16_e32 vcc, 24, v2
	s_cbranch_vccnz .LBB33_1223
; %bb.1212:
	v_cmp_lt_i16_e32 vcc, 24, v2
	s_cbranch_vccz .LBB33_1224
; %bb.1213:
	global_load_ubyte v7, v[0:1], off
	s_movk_i32 s15, 0x7f
	s_waitcnt vmcnt(0)
	v_cmp_lt_i16_e32 vcc, s15, v7
                                        ; implicit-def: $sgpr15
	s_and_saveexec_b64 s[46:47], vcc
	s_xor_b64 s[46:47], exec, s[46:47]
	s_cbranch_execz .LBB33_1236
; %bb.1214:
	s_movk_i32 s15, 0x80
	v_cmp_eq_u16_e32 vcc, s15, v7
	s_mov_b64 s[44:45], -1
                                        ; implicit-def: $sgpr15
	s_and_saveexec_b64 s[48:49], vcc
; %bb.1215:
	s_mov_b32 s15, 0x7f800001
	s_xor_b64 s[44:45], exec, -1
; %bb.1216:
	s_or_b64 exec, exec, s[48:49]
	s_and_b64 s[44:45], s[44:45], exec
	s_or_saveexec_b64 s[46:47], s[46:47]
	v_mov_b32_e32 v3, s15
	s_xor_b64 exec, exec, s[46:47]
	s_cbranch_execnz .LBB33_1237
.LBB33_1217:
	s_or_b64 exec, exec, s[46:47]
	s_and_saveexec_b64 s[46:47], s[44:45]
	s_cbranch_execz .LBB33_1219
.LBB33_1218:
	v_lshlrev_b32_e32 v3, 24, v7
	v_and_b32_e32 v7, 0xffff, v7
	v_and_b32_e32 v8, 3, v7
	v_ffbh_u32_e32 v10, v8
	v_min_u32_e32 v10, 32, v10
	v_subrev_u32_e32 v11, 29, v10
	v_bfe_u32 v9, v7, 2, 5
	v_lshlrev_b32_e32 v7, v11, v7
	v_sub_u32_e32 v10, 30, v10
	v_and_b32_e32 v7, 3, v7
	v_cmp_eq_u32_e32 vcc, 0, v9
	v_cndmask_b32_e32 v9, v9, v10, vcc
	v_cndmask_b32_e32 v7, v8, v7, vcc
	v_mov_b32_e32 v8, 0x37800000
	v_lshlrev_b32_e32 v7, 21, v7
	v_and_b32_e32 v3, 0x80000000, v3
	v_lshl_add_u32 v8, v9, 23, v8
	v_or3_b32 v3, v3, v8, v7
.LBB33_1219:
	s_or_b64 exec, exec, s[46:47]
	s_mov_b64 s[44:45], 0
	s_branch .LBB33_1225
.LBB33_1220:
	s_mov_b64 s[44:45], -1
                                        ; implicit-def: $vgpr3
	s_branch .LBB33_1231
.LBB33_1221:
	s_or_saveexec_b64 s[48:49], s[48:49]
	v_mov_b32_e32 v3, s15
	s_xor_b64 exec, exec, s[48:49]
	s_cbranch_execz .LBB33_1204
.LBB33_1222:
	v_cmp_ne_u16_e32 vcc, 0, v7
	s_andn2_b64 s[46:47], s[46:47], exec
	s_and_b64 s[50:51], vcc, exec
	v_mov_b32_e32 v3, 0
	s_or_b64 s[46:47], s[46:47], s[50:51]
	s_or_b64 exec, exec, s[48:49]
	s_and_saveexec_b64 s[48:49], s[46:47]
	s_cbranch_execnz .LBB33_1205
	s_branch .LBB33_1206
.LBB33_1223:
	s_mov_b64 s[44:45], -1
                                        ; implicit-def: $vgpr3
	s_branch .LBB33_1228
.LBB33_1224:
	s_mov_b64 s[44:45], -1
                                        ; implicit-def: $vgpr3
.LBB33_1225:
	s_and_b64 vcc, exec, s[44:45]
	s_cbranch_vccz .LBB33_1227
; %bb.1226:
	global_load_ubyte v3, v[0:1], off
	s_mov_b32 s15, 0x7f800000
	s_waitcnt vmcnt(0)
	v_lshlrev_b32_e32 v3, 24, v3
	v_and_b32_e32 v7, 0x7f000000, v3
	v_ffbh_u32_e32 v8, v7
	v_min_u32_e32 v8, 32, v8
	v_sub_u32_e64 v8, v8, 4 clamp
	v_lshlrev_b32_e32 v10, v8, v7
	v_lshlrev_b32_e32 v8, 23, v8
	v_lshrrev_b32_e32 v10, 4, v10
	v_add_u32_e32 v9, 0x1000000, v7
	v_sub_u32_e32 v8, v10, v8
	v_ashrrev_i32_e32 v9, 8, v9
	v_add_u32_e32 v8, 0x3c000000, v8
	v_and_or_b32 v8, v9, s15, v8
	v_cmp_ne_u32_e32 vcc, 0, v7
	v_cndmask_b32_e32 v7, 0, v8, vcc
	s_brev_b32 s15, 1
	v_and_or_b32 v3, v3, s15, v7
.LBB33_1227:
	s_mov_b64 s[44:45], 0
.LBB33_1228:
	s_andn2_b64 vcc, exec, s[44:45]
	s_cbranch_vccnz .LBB33_1230
; %bb.1229:
	global_load_ubyte v3, v[0:1], off
	s_movk_i32 s15, 0x7f00
	s_brev_b32 s33, 16
	s_waitcnt vmcnt(0)
	v_lshlrev_b16_e32 v7, 8, v3
	v_lshlrev_b32_e32 v3, 25, v3
	v_lshrrev_b32_e32 v8, 4, v3
	v_and_or_b32 v9, v7, s15, 0.5
	v_or_b32_e32 v8, 0x70000000, v8
	v_add_f32_e32 v9, -0.5, v9
	v_mul_f32_e32 v8, 0x7800000, v8
	v_cmp_gt_u32_e32 vcc, s33, v3
	v_bfe_i32 v7, v7, 0, 16
	v_cndmask_b32_e32 v3, v8, v9, vcc
	s_brev_b32 s15, 1
	v_and_or_b32 v3, v7, s15, v3
.LBB33_1230:
	s_mov_b64 s[44:45], 0
	s_mov_b64 s[46:47], -1
.LBB33_1231:
	s_andn2_b64 vcc, exec, s[44:45]
	s_mov_b64 s[44:45], 0
	s_cbranch_vccnz .LBB33_1242
; %bb.1232:
	v_cmp_lt_i16_e32 vcc, 14, v2
	s_cbranch_vccz .LBB33_1235
; %bb.1233:
	v_cmp_eq_u16_e32 vcc, 15, v2
	s_cbranch_vccz .LBB33_1238
; %bb.1234:
	global_load_ushort v3, v[0:1], off
	s_mov_b64 s[42:43], 0
	s_mov_b64 s[46:47], -1
	s_waitcnt vmcnt(0)
	v_lshlrev_b32_e32 v3, 16, v3
	s_branch .LBB33_1239
.LBB33_1235:
	s_mov_b64 s[48:49], -1
                                        ; implicit-def: $vgpr3
	s_branch .LBB33_1240
.LBB33_1236:
	s_or_saveexec_b64 s[46:47], s[46:47]
	v_mov_b32_e32 v3, s15
	s_xor_b64 exec, exec, s[46:47]
	s_cbranch_execz .LBB33_1217
.LBB33_1237:
	v_cmp_ne_u16_e32 vcc, 0, v7
	s_andn2_b64 s[44:45], s[44:45], exec
	s_and_b64 s[48:49], vcc, exec
	v_mov_b32_e32 v3, 0
	s_or_b64 s[44:45], s[44:45], s[48:49]
	s_or_b64 exec, exec, s[46:47]
	s_and_saveexec_b64 s[46:47], s[44:45]
	s_cbranch_execnz .LBB33_1218
	s_branch .LBB33_1219
.LBB33_1238:
	s_mov_b64 s[42:43], -1
                                        ; implicit-def: $vgpr3
.LBB33_1239:
	s_mov_b64 s[48:49], 0
.LBB33_1240:
	s_and_b64 vcc, exec, s[48:49]
	s_cbranch_vccz .LBB33_1242
; %bb.1241:
	v_cmp_ne_u16_e32 vcc, 11, v2
	s_andn2_b64 s[42:43], s[42:43], exec
	s_and_b64 s[48:49], vcc, exec
	s_mov_b64 s[44:45], -1
	s_or_b64 s[42:43], s[42:43], s[48:49]
                                        ; implicit-def: $vgpr3
.LBB33_1242:
	s_mov_b64 s[48:49], 0
.LBB33_1243:
	s_and_b64 s[52:53], s[46:47], exec
	s_and_b64 s[46:47], s[44:45], exec
	s_andn2_b64 s[44:45], s[0:1], exec
	s_and_b64 s[42:43], s[42:43], exec
	s_and_b64 s[50:51], s[48:49], exec
	s_or_b64 s[48:49], s[44:45], s[42:43]
.LBB33_1244:
	s_or_b64 exec, exec, s[40:41]
	s_and_b64 s[40:41], s[46:47], exec
	s_andn2_b64 s[0:1], s[0:1], exec
	s_and_b64 s[46:47], s[48:49], exec
	s_and_b64 s[44:45], s[52:53], exec
	;; [unrolled: 1-line block ×3, first 2 shown]
	s_or_b64 s[0:1], s[0:1], s[46:47]
.LBB33_1245:
	s_or_b64 exec, exec, s[38:39]
	s_andn2_b64 s[34:35], s[34:35], exec
	s_and_b64 s[4:5], s[4:5], exec
	s_or_b64 s[34:35], s[34:35], s[4:5]
	s_andn2_b64 s[4:5], s[30:31], exec
	s_and_b64 s[2:3], s[2:3], exec
	s_andn2_b64 s[28:29], s[28:29], exec
	s_and_b64 s[0:1], s[0:1], exec
	s_or_b64 s[30:31], s[4:5], s[2:3]
	s_and_b64 s[2:3], s[44:45], exec
	s_and_b64 s[4:5], s[42:43], exec
	;; [unrolled: 1-line block ×3, first 2 shown]
	s_or_b64 s[28:29], s[28:29], s[0:1]
.LBB33_1246:
	s_or_b64 exec, exec, s[36:37]
	s_andn2_b64 s[0:1], s[20:21], exec
	s_and_b64 s[20:21], s[34:35], exec
	s_or_b64 s[20:21], s[0:1], s[20:21]
	s_andn2_b64 s[0:1], s[22:23], exec
	s_and_b64 s[22:23], s[30:31], exec
	s_or_b64 s[22:23], s[0:1], s[22:23]
	s_andn2_b64 s[0:1], s[24:25], exec
	s_and_b64 s[24:25], s[28:29], exec
	s_and_b64 s[2:3], s[2:3], exec
	;; [unrolled: 1-line block ×4, first 2 shown]
	s_or_b64 s[24:25], s[0:1], s[24:25]
	s_or_b64 exec, exec, s[26:27]
	s_mov_b64 s[26:27], 0
	s_and_saveexec_b64 s[0:1], s[24:25]
	s_cbranch_execz .LBB33_392
.LBB33_1247:
	s_mov_b64 s[26:27], exec
	s_andn2_b64 s[30:31], s[30:31], exec
	s_trap 2
                                        ; implicit-def: $vgpr3
	s_or_b64 exec, exec, s[0:1]
	s_and_saveexec_b64 s[0:1], s[30:31]
	s_xor_b64 s[0:1], exec, s[0:1]
	s_cbranch_execnz .LBB33_393
.LBB33_1248:
	s_or_b64 exec, exec, s[0:1]
	s_and_saveexec_b64 s[0:1], s[4:5]
	s_cbranch_execz .LBB33_1294
.LBB33_1249:
	s_waitcnt vmcnt(0)
	v_cmp_gt_i16_e32 vcc, 5, v2
	s_cbranch_vccnz .LBB33_1254
; %bb.1250:
	v_cmp_gt_i16_e32 vcc, 8, v2
	s_cbranch_vccnz .LBB33_1255
; %bb.1251:
	;; [unrolled: 3-line block ×3, first 2 shown]
	v_cmp_lt_i16_e32 vcc, 9, v2
	s_cbranch_vccz .LBB33_1257
; %bb.1253:
	global_load_dwordx2 v[8:9], v[0:1], off
	s_mov_b64 s[4:5], 0
	s_waitcnt vmcnt(0)
	v_cvt_f32_f64_e32 v3, v[8:9]
	s_branch .LBB33_1258
.LBB33_1254:
                                        ; implicit-def: $vgpr3
	s_branch .LBB33_1275
.LBB33_1255:
                                        ; implicit-def: $vgpr3
	s_branch .LBB33_1264
.LBB33_1256:
	s_mov_b64 s[4:5], -1
                                        ; implicit-def: $vgpr3
	s_branch .LBB33_1261
.LBB33_1257:
	s_mov_b64 s[4:5], -1
                                        ; implicit-def: $vgpr3
.LBB33_1258:
	s_andn2_b64 vcc, exec, s[4:5]
	s_cbranch_vccnz .LBB33_1260
; %bb.1259:
	global_load_dword v3, v[0:1], off
.LBB33_1260:
	s_mov_b64 s[4:5], 0
.LBB33_1261:
	s_andn2_b64 vcc, exec, s[4:5]
	s_cbranch_vccnz .LBB33_1263
; %bb.1262:
	global_load_dword v3, v[0:1], off
	s_waitcnt vmcnt(0)
	v_cvt_f32_f16_e32 v3, v3
.LBB33_1263:
	s_cbranch_execnz .LBB33_1274
.LBB33_1264:
	v_cmp_gt_i16_e32 vcc, 6, v2
	s_cbranch_vccnz .LBB33_1267
; %bb.1265:
	v_cmp_lt_i16_e32 vcc, 6, v2
	s_cbranch_vccz .LBB33_1268
; %bb.1266:
	global_load_dwordx2 v[8:9], v[0:1], off
	s_mov_b64 s[4:5], 0
	s_waitcnt vmcnt(0)
	v_cvt_f32_f64_e32 v3, v[8:9]
	s_branch .LBB33_1269
.LBB33_1267:
	s_mov_b64 s[4:5], -1
                                        ; implicit-def: $vgpr3
	s_branch .LBB33_1272
.LBB33_1268:
	s_mov_b64 s[4:5], -1
                                        ; implicit-def: $vgpr3
.LBB33_1269:
	s_andn2_b64 vcc, exec, s[4:5]
	s_cbranch_vccnz .LBB33_1271
; %bb.1270:
	global_load_dword v3, v[0:1], off
.LBB33_1271:
	s_mov_b64 s[4:5], 0
.LBB33_1272:
	s_andn2_b64 vcc, exec, s[4:5]
	s_cbranch_vccnz .LBB33_1274
; %bb.1273:
	global_load_ushort v3, v[0:1], off
	s_waitcnt vmcnt(0)
	v_cvt_f32_f16_e32 v3, v3
.LBB33_1274:
	s_cbranch_execnz .LBB33_1293
.LBB33_1275:
	v_cmp_gt_i16_e32 vcc, 2, v2
	s_cbranch_vccnz .LBB33_1279
; %bb.1276:
	v_cmp_gt_i16_e32 vcc, 3, v2
	s_cbranch_vccnz .LBB33_1280
; %bb.1277:
	v_cmp_lt_i16_e32 vcc, 3, v2
	s_cbranch_vccz .LBB33_1281
; %bb.1278:
	global_load_dwordx2 v[8:9], v[0:1], off
	s_mov_b64 s[4:5], 0
	s_waitcnt vmcnt(0)
	v_xor_b32_e32 v7, v8, v9
	v_ffbh_i32_e32 v3, v9
	v_ashrrev_i32_e32 v7, 31, v7
	v_add_u32_e32 v3, -1, v3
	v_add_u32_e32 v7, 32, v7
	v_min_u32_e32 v3, v3, v7
	v_lshlrev_b64 v[8:9], v3, v[8:9]
	v_min_u32_e32 v7, 1, v8
	v_or_b32_e32 v7, v9, v7
	v_cvt_f32_i32_e32 v7, v7
	v_sub_u32_e32 v3, 32, v3
	v_ldexp_f32 v3, v7, v3
	s_branch .LBB33_1282
.LBB33_1279:
                                        ; implicit-def: $vgpr3
	s_branch .LBB33_1288
.LBB33_1280:
	s_mov_b64 s[4:5], -1
                                        ; implicit-def: $vgpr3
	s_branch .LBB33_1285
.LBB33_1281:
	s_mov_b64 s[4:5], -1
                                        ; implicit-def: $vgpr3
.LBB33_1282:
	s_andn2_b64 vcc, exec, s[4:5]
	s_cbranch_vccnz .LBB33_1284
; %bb.1283:
	global_load_dword v3, v[0:1], off
	s_waitcnt vmcnt(0)
	v_cvt_f32_i32_e32 v3, v3
.LBB33_1284:
	s_mov_b64 s[4:5], 0
.LBB33_1285:
	s_andn2_b64 vcc, exec, s[4:5]
	s_cbranch_vccnz .LBB33_1287
; %bb.1286:
	global_load_sshort v3, v[0:1], off
	s_waitcnt vmcnt(0)
	v_cvt_f32_i32_e32 v3, v3
.LBB33_1287:
	s_cbranch_execnz .LBB33_1293
.LBB33_1288:
	v_cmp_lt_i16_e32 vcc, 0, v2
	s_cbranch_vccz .LBB33_1290
; %bb.1289:
	global_load_sbyte v2, v[0:1], off
	s_mov_b64 s[4:5], 0
	s_waitcnt vmcnt(0)
	v_cvt_f32_i32_e32 v3, v2
	s_branch .LBB33_1291
.LBB33_1290:
	s_mov_b64 s[4:5], -1
                                        ; implicit-def: $vgpr3
.LBB33_1291:
	s_andn2_b64 vcc, exec, s[4:5]
	s_cbranch_vccnz .LBB33_1293
; %bb.1292:
	global_load_ubyte v0, v[0:1], off
	s_waitcnt vmcnt(0)
	v_cvt_f32_ubyte0_e32 v3, v0
.LBB33_1293:
	s_or_b64 s[2:3], s[2:3], exec
.LBB33_1294:
	s_or_b64 exec, exec, s[0:1]
	s_mov_b64 s[4:5], 0
	s_mov_b64 s[28:29], 0
	s_mov_b64 s[24:25], 0
                                        ; implicit-def: $vgpr2
                                        ; implicit-def: $vgpr0_vgpr1
                                        ; implicit-def: $vgpr7
	s_and_saveexec_b64 s[0:1], s[2:3]
	s_cbranch_execz .LBB33_1302
; %bb.1295:
	v_mul_lo_u32 v0, v5, s14
	v_ashrrev_i32_e32 v1, 31, v0
	s_waitcnt vmcnt(0)
	v_mov_b32_e32 v2, s17
	v_add_co_u32_e32 v0, vcc, s16, v0
	v_addc_co_u32_e32 v1, vcc, v2, v1, vcc
	v_and_b32_e32 v2, 0xff, v6
	v_cmp_gt_i16_e32 vcc, 11, v2
	s_cbranch_vccnz .LBB33_1305
; %bb.1296:
	v_cmp_lt_i16_e32 vcc, 25, v2
	s_cbranch_vccz .LBB33_1306
; %bb.1297:
	v_cmp_lt_i16_e32 vcc, 28, v2
	s_cbranch_vccz .LBB33_1307
	;; [unrolled: 3-line block ×4, first 2 shown]
; %bb.1300:
	v_cmp_eq_u16_e32 vcc, 46, v2
	s_cbranch_vccz .LBB33_1310
; %bb.1301:
	global_load_dword v6, v[0:1], off
	s_mov_b64 s[2:3], 0
	s_mov_b64 s[24:25], -1
	s_waitcnt vmcnt(0)
	v_lshlrev_b32_e32 v7, 16, v6
	s_branch .LBB33_1312
.LBB33_1302:
	s_or_b64 exec, exec, s[0:1]
	s_and_saveexec_b64 s[0:1], s[22:23]
	s_cbranch_execnz .LBB33_1375
.LBB33_1303:
	s_or_b64 exec, exec, s[0:1]
	s_and_saveexec_b64 s[0:1], s[4:5]
	s_xor_b64 s[0:1], exec, s[0:1]
	s_cbranch_execz .LBB33_1376
.LBB33_1304:
	global_load_ubyte v6, v[0:1], off
	s_or_b64 s[24:25], s[24:25], exec
	s_waitcnt vmcnt(0)
	v_cmp_ne_u16_e32 vcc, 0, v6
	v_cndmask_b32_e64 v7, 0, 1.0, vcc
	s_or_b64 exec, exec, s[0:1]
	s_and_saveexec_b64 s[0:1], s[28:29]
	s_cbranch_execz .LBB33_1422
	s_branch .LBB33_1377
.LBB33_1305:
	s_mov_b64 s[28:29], -1
                                        ; implicit-def: $vgpr7
	s_mov_b64 s[2:3], s[22:23]
	s_branch .LBB33_1374
.LBB33_1306:
	s_mov_b64 s[2:3], s[22:23]
                                        ; implicit-def: $vgpr7
	s_cbranch_execnz .LBB33_1341
	s_branch .LBB33_1373
.LBB33_1307:
	s_mov_b64 s[28:29], -1
	s_mov_b64 s[2:3], s[22:23]
                                        ; implicit-def: $vgpr7
	s_branch .LBB33_1322
.LBB33_1308:
	s_mov_b64 s[28:29], -1
	s_mov_b64 s[2:3], s[22:23]
                                        ; implicit-def: $vgpr7
	s_branch .LBB33_1317
.LBB33_1309:
	s_mov_b64 s[28:29], -1
	s_mov_b64 s[2:3], s[22:23]
	s_branch .LBB33_1311
.LBB33_1310:
	s_mov_b64 s[2:3], -1
.LBB33_1311:
                                        ; implicit-def: $vgpr7
.LBB33_1312:
	s_and_b64 vcc, exec, s[28:29]
	s_cbranch_vccz .LBB33_1316
; %bb.1313:
	v_cmp_eq_u16_e32 vcc, 44, v2
	s_cbranch_vccz .LBB33_1315
; %bb.1314:
	global_load_ubyte v6, v[0:1], off
	s_movk_i32 s15, 0xff
	v_mov_b32_e32 v7, 0x7f800001
	v_mov_b32_e32 v8, 0x400000
	s_mov_b64 s[2:3], 0
	s_mov_b64 s[24:25], -1
	s_waitcnt vmcnt(0)
	v_lshlrev_b32_e32 v9, 23, v6
	v_cmp_ne_u32_e32 vcc, s15, v6
	v_cndmask_b32_e32 v7, v7, v9, vcc
	v_cmp_ne_u32_e32 vcc, 0, v6
	v_cndmask_b32_e32 v7, v8, v7, vcc
	s_branch .LBB33_1316
.LBB33_1315:
	s_mov_b64 s[2:3], -1
                                        ; implicit-def: $vgpr7
.LBB33_1316:
	s_mov_b64 s[28:29], 0
.LBB33_1317:
	s_and_b64 vcc, exec, s[28:29]
	s_cbranch_vccz .LBB33_1321
; %bb.1318:
	v_cmp_eq_u16_e32 vcc, 29, v2
	s_cbranch_vccz .LBB33_1320
; %bb.1319:
	global_load_dwordx2 v[6:7], v[0:1], off
	s_mov_b64 s[2:3], 0
	s_mov_b64 s[24:25], -1
	s_mov_b64 s[28:29], 0
	s_waitcnt vmcnt(0)
	v_ffbh_u32_e32 v8, v7
	v_min_u32_e32 v8, 32, v8
	v_lshlrev_b64 v[6:7], v8, v[6:7]
	v_min_u32_e32 v6, 1, v6
	v_or_b32_e32 v6, v7, v6
	v_cvt_f32_u32_e32 v6, v6
	v_sub_u32_e32 v7, 32, v8
	v_ldexp_f32 v7, v6, v7
	s_branch .LBB33_1322
.LBB33_1320:
	s_mov_b64 s[2:3], -1
                                        ; implicit-def: $vgpr7
.LBB33_1321:
	s_mov_b64 s[28:29], 0
.LBB33_1322:
	s_and_b64 vcc, exec, s[28:29]
	s_cbranch_vccz .LBB33_1340
; %bb.1323:
	v_cmp_gt_i16_e32 vcc, 27, v2
	s_cbranch_vccnz .LBB33_1326
; %bb.1324:
	v_cmp_lt_i16_e32 vcc, 27, v2
	s_cbranch_vccz .LBB33_1327
; %bb.1325:
	global_load_dword v6, v[0:1], off
	s_mov_b64 s[24:25], 0
	s_waitcnt vmcnt(0)
	v_cvt_f32_u32_e32 v7, v6
	s_branch .LBB33_1328
.LBB33_1326:
	s_mov_b64 s[24:25], -1
                                        ; implicit-def: $vgpr7
	s_branch .LBB33_1331
.LBB33_1327:
	s_mov_b64 s[24:25], -1
                                        ; implicit-def: $vgpr7
.LBB33_1328:
	s_andn2_b64 vcc, exec, s[24:25]
	s_cbranch_vccnz .LBB33_1330
; %bb.1329:
	global_load_ushort v6, v[0:1], off
	s_waitcnt vmcnt(0)
	v_cvt_f32_u32_e32 v7, v6
.LBB33_1330:
	s_mov_b64 s[24:25], 0
.LBB33_1331:
	s_andn2_b64 vcc, exec, s[24:25]
	s_cbranch_vccnz .LBB33_1339
; %bb.1332:
	global_load_ubyte v6, v[0:1], off
	s_movk_i32 s15, 0x7f
	s_mov_b64 s[24:25], 0
	s_waitcnt vmcnt(0)
	v_cmp_lt_i16_e32 vcc, s15, v6
                                        ; implicit-def: $sgpr15
	s_and_saveexec_b64 s[28:29], vcc
	s_xor_b64 s[28:29], exec, s[28:29]
	s_cbranch_execz .LBB33_1352
; %bb.1333:
	s_movk_i32 s15, 0x80
	v_cmp_eq_u16_e32 vcc, s15, v6
	s_mov_b64 s[24:25], -1
                                        ; implicit-def: $sgpr15
	s_and_saveexec_b64 s[30:31], vcc
; %bb.1334:
	s_mov_b32 s15, 0x7f800001
	s_xor_b64 s[24:25], exec, -1
; %bb.1335:
	s_or_b64 exec, exec, s[30:31]
	s_and_b64 s[24:25], s[24:25], exec
	s_or_saveexec_b64 s[28:29], s[28:29]
	v_mov_b32_e32 v7, s15
	s_xor_b64 exec, exec, s[28:29]
	s_cbranch_execnz .LBB33_1353
.LBB33_1336:
	s_or_b64 exec, exec, s[28:29]
	s_and_saveexec_b64 s[28:29], s[24:25]
	s_cbranch_execz .LBB33_1338
.LBB33_1337:
	v_lshlrev_b32_e32 v7, 24, v6
	v_and_b32_e32 v6, 0xffff, v6
	v_and_b32_e32 v8, 7, v6
	v_ffbh_u32_e32 v10, v8
	v_min_u32_e32 v10, 32, v10
	v_subrev_u32_e32 v11, 28, v10
	v_bfe_u32 v9, v6, 3, 4
	v_lshlrev_b32_e32 v6, v11, v6
	v_sub_u32_e32 v10, 29, v10
	v_and_b32_e32 v6, 7, v6
	v_cmp_eq_u32_e32 vcc, 0, v9
	v_cndmask_b32_e32 v9, v9, v10, vcc
	v_cndmask_b32_e32 v6, v8, v6, vcc
	v_mov_b32_e32 v8, 0x3b800000
	v_lshlrev_b32_e32 v6, 20, v6
	v_and_b32_e32 v7, 0x80000000, v7
	v_lshl_add_u32 v8, v9, 23, v8
	v_or3_b32 v7, v7, v8, v6
.LBB33_1338:
	s_or_b64 exec, exec, s[28:29]
.LBB33_1339:
	s_mov_b64 s[24:25], -1
.LBB33_1340:
	s_branch .LBB33_1373
.LBB33_1341:
	v_cmp_lt_i16_e32 vcc, 22, v2
	s_cbranch_vccz .LBB33_1351
; %bb.1342:
	v_cmp_gt_i16_e32 vcc, 24, v2
	s_cbranch_vccnz .LBB33_1354
; %bb.1343:
	v_cmp_lt_i16_e32 vcc, 24, v2
	s_cbranch_vccz .LBB33_1355
; %bb.1344:
	global_load_ubyte v6, v[0:1], off
	s_movk_i32 s4, 0x7f
                                        ; implicit-def: $sgpr15
	s_waitcnt vmcnt(0)
	v_cmp_lt_i16_e32 vcc, s4, v6
	s_mov_b64 s[4:5], 0
	s_and_saveexec_b64 s[24:25], vcc
	s_xor_b64 s[24:25], exec, s[24:25]
	s_cbranch_execz .LBB33_1367
; %bb.1345:
	s_movk_i32 s4, 0x80
	v_cmp_eq_u16_e32 vcc, s4, v6
	s_mov_b64 s[4:5], -1
                                        ; implicit-def: $sgpr15
	s_and_saveexec_b64 s[28:29], vcc
; %bb.1346:
	s_mov_b32 s15, 0x7f800001
	s_xor_b64 s[4:5], exec, -1
; %bb.1347:
	s_or_b64 exec, exec, s[28:29]
	s_and_b64 s[4:5], s[4:5], exec
	s_or_saveexec_b64 s[24:25], s[24:25]
	v_mov_b32_e32 v7, s15
	s_xor_b64 exec, exec, s[24:25]
	s_cbranch_execnz .LBB33_1368
.LBB33_1348:
	s_or_b64 exec, exec, s[24:25]
	s_and_saveexec_b64 s[24:25], s[4:5]
	s_cbranch_execz .LBB33_1350
.LBB33_1349:
	v_lshlrev_b32_e32 v7, 24, v6
	v_and_b32_e32 v6, 0xffff, v6
	v_and_b32_e32 v8, 3, v6
	v_ffbh_u32_e32 v10, v8
	v_min_u32_e32 v10, 32, v10
	v_subrev_u32_e32 v11, 29, v10
	v_bfe_u32 v9, v6, 2, 5
	v_lshlrev_b32_e32 v6, v11, v6
	v_sub_u32_e32 v10, 30, v10
	v_and_b32_e32 v6, 3, v6
	v_cmp_eq_u32_e32 vcc, 0, v9
	v_cndmask_b32_e32 v9, v9, v10, vcc
	v_cndmask_b32_e32 v6, v8, v6, vcc
	v_mov_b32_e32 v8, 0x37800000
	v_lshlrev_b32_e32 v6, 21, v6
	v_and_b32_e32 v7, 0x80000000, v7
	v_lshl_add_u32 v8, v9, 23, v8
	v_or3_b32 v7, v7, v8, v6
.LBB33_1350:
	s_or_b64 exec, exec, s[24:25]
	s_mov_b64 s[4:5], 0
	s_branch .LBB33_1356
.LBB33_1351:
	s_mov_b64 s[4:5], -1
                                        ; implicit-def: $vgpr7
	s_branch .LBB33_1362
.LBB33_1352:
	s_or_saveexec_b64 s[28:29], s[28:29]
	v_mov_b32_e32 v7, s15
	s_xor_b64 exec, exec, s[28:29]
	s_cbranch_execz .LBB33_1336
.LBB33_1353:
	v_cmp_ne_u16_e32 vcc, 0, v6
	s_andn2_b64 s[24:25], s[24:25], exec
	s_and_b64 s[30:31], vcc, exec
	v_mov_b32_e32 v7, 0
	s_or_b64 s[24:25], s[24:25], s[30:31]
	s_or_b64 exec, exec, s[28:29]
	s_and_saveexec_b64 s[28:29], s[24:25]
	s_cbranch_execnz .LBB33_1337
	s_branch .LBB33_1338
.LBB33_1354:
	s_mov_b64 s[4:5], -1
                                        ; implicit-def: $vgpr7
	s_branch .LBB33_1359
.LBB33_1355:
	s_mov_b64 s[4:5], -1
                                        ; implicit-def: $vgpr7
.LBB33_1356:
	s_and_b64 vcc, exec, s[4:5]
	s_cbranch_vccz .LBB33_1358
; %bb.1357:
	global_load_ubyte v6, v[0:1], off
	s_mov_b32 s4, 0x7f800000
	s_waitcnt vmcnt(0)
	v_lshlrev_b32_e32 v6, 24, v6
	v_and_b32_e32 v7, 0x7f000000, v6
	v_ffbh_u32_e32 v8, v7
	v_min_u32_e32 v8, 32, v8
	v_sub_u32_e64 v8, v8, 4 clamp
	v_lshlrev_b32_e32 v10, v8, v7
	v_lshlrev_b32_e32 v8, 23, v8
	v_lshrrev_b32_e32 v10, 4, v10
	v_add_u32_e32 v9, 0x1000000, v7
	v_sub_u32_e32 v8, v10, v8
	v_ashrrev_i32_e32 v9, 8, v9
	v_add_u32_e32 v8, 0x3c000000, v8
	v_and_or_b32 v8, v9, s4, v8
	v_cmp_ne_u32_e32 vcc, 0, v7
	v_cndmask_b32_e32 v7, 0, v8, vcc
	s_brev_b32 s4, 1
	v_and_or_b32 v7, v6, s4, v7
.LBB33_1358:
	s_mov_b64 s[4:5], 0
.LBB33_1359:
	s_andn2_b64 vcc, exec, s[4:5]
	s_cbranch_vccnz .LBB33_1361
; %bb.1360:
	global_load_ubyte v6, v[0:1], off
	s_movk_i32 s4, 0x7f00
	s_brev_b32 s5, 16
	s_waitcnt vmcnt(0)
	v_lshlrev_b16_e32 v7, 8, v6
	v_lshlrev_b32_e32 v6, 25, v6
	v_lshrrev_b32_e32 v8, 4, v6
	v_and_or_b32 v9, v7, s4, 0.5
	v_or_b32_e32 v8, 0x70000000, v8
	v_add_f32_e32 v9, -0.5, v9
	v_mul_f32_e32 v8, 0x7800000, v8
	v_cmp_gt_u32_e32 vcc, s5, v6
	v_bfe_i32 v7, v7, 0, 16
	v_cndmask_b32_e32 v6, v8, v9, vcc
	s_brev_b32 s4, 1
	v_and_or_b32 v7, v7, s4, v6
.LBB33_1361:
	s_mov_b64 s[4:5], 0
	s_mov_b64 s[24:25], -1
.LBB33_1362:
	s_andn2_b64 vcc, exec, s[4:5]
	s_mov_b64 s[4:5], 0
	s_cbranch_vccnz .LBB33_1373
; %bb.1363:
	v_cmp_lt_i16_e32 vcc, 14, v2
	s_cbranch_vccz .LBB33_1366
; %bb.1364:
	v_cmp_eq_u16_e32 vcc, 15, v2
	s_cbranch_vccz .LBB33_1369
; %bb.1365:
	global_load_ushort v6, v[0:1], off
	s_mov_b64 s[2:3], 0
	s_mov_b64 s[24:25], -1
	s_waitcnt vmcnt(0)
	v_lshlrev_b32_e32 v7, 16, v6
	s_branch .LBB33_1370
.LBB33_1366:
	s_mov_b64 s[28:29], -1
                                        ; implicit-def: $vgpr7
	s_branch .LBB33_1371
.LBB33_1367:
	s_or_saveexec_b64 s[24:25], s[24:25]
	v_mov_b32_e32 v7, s15
	s_xor_b64 exec, exec, s[24:25]
	s_cbranch_execz .LBB33_1348
.LBB33_1368:
	v_cmp_ne_u16_e32 vcc, 0, v6
	s_andn2_b64 s[4:5], s[4:5], exec
	s_and_b64 s[28:29], vcc, exec
	v_mov_b32_e32 v7, 0
	s_or_b64 s[4:5], s[4:5], s[28:29]
	s_or_b64 exec, exec, s[24:25]
	s_and_saveexec_b64 s[24:25], s[4:5]
	s_cbranch_execnz .LBB33_1349
	s_branch .LBB33_1350
.LBB33_1369:
	s_mov_b64 s[2:3], -1
                                        ; implicit-def: $vgpr7
.LBB33_1370:
	s_mov_b64 s[28:29], 0
.LBB33_1371:
	s_and_b64 vcc, exec, s[28:29]
	s_cbranch_vccz .LBB33_1373
; %bb.1372:
	v_cmp_ne_u16_e32 vcc, 11, v2
	s_andn2_b64 s[2:3], s[2:3], exec
	s_and_b64 s[28:29], vcc, exec
	s_mov_b64 s[4:5], -1
	s_or_b64 s[2:3], s[2:3], s[28:29]
                                        ; implicit-def: $vgpr7
.LBB33_1373:
	s_mov_b64 s[28:29], 0
.LBB33_1374:
	s_andn2_b64 s[22:23], s[22:23], exec
	s_and_b64 s[2:3], s[2:3], exec
	s_and_b64 s[24:25], s[24:25], exec
	;; [unrolled: 1-line block ×4, first 2 shown]
	s_or_b64 s[22:23], s[22:23], s[2:3]
	s_or_b64 exec, exec, s[0:1]
	s_and_saveexec_b64 s[0:1], s[22:23]
	s_cbranch_execz .LBB33_1303
.LBB33_1375:
	s_or_b64 s[26:27], s[26:27], exec
	s_andn2_b64 s[4:5], s[4:5], exec
	s_trap 2
                                        ; implicit-def: $vgpr7
	s_or_b64 exec, exec, s[0:1]
	s_and_saveexec_b64 s[0:1], s[4:5]
	s_xor_b64 s[0:1], exec, s[0:1]
	s_cbranch_execnz .LBB33_1304
.LBB33_1376:
	s_or_b64 exec, exec, s[0:1]
	s_and_saveexec_b64 s[0:1], s[28:29]
	s_cbranch_execz .LBB33_1422
.LBB33_1377:
	s_waitcnt vmcnt(0)
	v_cmp_gt_i16_e32 vcc, 5, v2
	s_cbranch_vccnz .LBB33_1382
; %bb.1378:
	v_cmp_gt_i16_e32 vcc, 8, v2
	s_cbranch_vccnz .LBB33_1383
; %bb.1379:
	;; [unrolled: 3-line block ×3, first 2 shown]
	v_cmp_lt_i16_e32 vcc, 9, v2
	s_cbranch_vccz .LBB33_1385
; %bb.1381:
	global_load_dwordx2 v[6:7], v[0:1], off
	s_mov_b64 s[2:3], 0
	s_waitcnt vmcnt(0)
	v_cvt_f32_f64_e32 v7, v[6:7]
	s_branch .LBB33_1386
.LBB33_1382:
                                        ; implicit-def: $vgpr7
	s_branch .LBB33_1403
.LBB33_1383:
                                        ; implicit-def: $vgpr7
	s_branch .LBB33_1392
.LBB33_1384:
	s_mov_b64 s[2:3], -1
                                        ; implicit-def: $vgpr7
	s_branch .LBB33_1389
.LBB33_1385:
	s_mov_b64 s[2:3], -1
                                        ; implicit-def: $vgpr7
.LBB33_1386:
	s_andn2_b64 vcc, exec, s[2:3]
	s_cbranch_vccnz .LBB33_1388
; %bb.1387:
	global_load_dword v7, v[0:1], off
.LBB33_1388:
	s_mov_b64 s[2:3], 0
.LBB33_1389:
	s_andn2_b64 vcc, exec, s[2:3]
	s_cbranch_vccnz .LBB33_1391
; %bb.1390:
	global_load_dword v6, v[0:1], off
	s_waitcnt vmcnt(0)
	v_cvt_f32_f16_e32 v7, v6
.LBB33_1391:
	s_cbranch_execnz .LBB33_1402
.LBB33_1392:
	v_cmp_gt_i16_e32 vcc, 6, v2
	s_cbranch_vccnz .LBB33_1395
; %bb.1393:
	v_cmp_lt_i16_e32 vcc, 6, v2
	s_cbranch_vccz .LBB33_1396
; %bb.1394:
	global_load_dwordx2 v[6:7], v[0:1], off
	s_mov_b64 s[2:3], 0
	s_waitcnt vmcnt(0)
	v_cvt_f32_f64_e32 v7, v[6:7]
	s_branch .LBB33_1397
.LBB33_1395:
	s_mov_b64 s[2:3], -1
                                        ; implicit-def: $vgpr7
	s_branch .LBB33_1400
.LBB33_1396:
	s_mov_b64 s[2:3], -1
                                        ; implicit-def: $vgpr7
.LBB33_1397:
	s_andn2_b64 vcc, exec, s[2:3]
	s_cbranch_vccnz .LBB33_1399
; %bb.1398:
	global_load_dword v7, v[0:1], off
.LBB33_1399:
	s_mov_b64 s[2:3], 0
.LBB33_1400:
	s_andn2_b64 vcc, exec, s[2:3]
	s_cbranch_vccnz .LBB33_1402
; %bb.1401:
	global_load_ushort v6, v[0:1], off
	s_waitcnt vmcnt(0)
	v_cvt_f32_f16_e32 v7, v6
.LBB33_1402:
	s_cbranch_execnz .LBB33_1421
.LBB33_1403:
	v_cmp_gt_i16_e32 vcc, 2, v2
	s_cbranch_vccnz .LBB33_1407
; %bb.1404:
	v_cmp_gt_i16_e32 vcc, 3, v2
	s_cbranch_vccnz .LBB33_1408
; %bb.1405:
	v_cmp_lt_i16_e32 vcc, 3, v2
	s_cbranch_vccz .LBB33_1409
; %bb.1406:
	global_load_dwordx2 v[6:7], v[0:1], off
	s_mov_b64 s[2:3], 0
	s_waitcnt vmcnt(0)
	v_xor_b32_e32 v9, v6, v7
	v_ffbh_i32_e32 v8, v7
	v_ashrrev_i32_e32 v9, 31, v9
	v_add_u32_e32 v8, -1, v8
	v_add_u32_e32 v9, 32, v9
	v_min_u32_e32 v8, v8, v9
	v_lshlrev_b64 v[6:7], v8, v[6:7]
	v_min_u32_e32 v6, 1, v6
	v_or_b32_e32 v6, v7, v6
	v_cvt_f32_i32_e32 v6, v6
	v_sub_u32_e32 v7, 32, v8
	v_ldexp_f32 v7, v6, v7
	s_branch .LBB33_1410
.LBB33_1407:
                                        ; implicit-def: $vgpr7
	s_branch .LBB33_1416
.LBB33_1408:
	s_mov_b64 s[2:3], -1
                                        ; implicit-def: $vgpr7
	s_branch .LBB33_1413
.LBB33_1409:
	s_mov_b64 s[2:3], -1
                                        ; implicit-def: $vgpr7
.LBB33_1410:
	s_andn2_b64 vcc, exec, s[2:3]
	s_cbranch_vccnz .LBB33_1412
; %bb.1411:
	global_load_dword v6, v[0:1], off
	s_waitcnt vmcnt(0)
	v_cvt_f32_i32_e32 v7, v6
.LBB33_1412:
	s_mov_b64 s[2:3], 0
.LBB33_1413:
	s_andn2_b64 vcc, exec, s[2:3]
	s_cbranch_vccnz .LBB33_1415
; %bb.1414:
	global_load_sshort v6, v[0:1], off
	s_waitcnt vmcnt(0)
	v_cvt_f32_i32_e32 v7, v6
.LBB33_1415:
	s_cbranch_execnz .LBB33_1421
.LBB33_1416:
	v_cmp_lt_i16_e32 vcc, 0, v2
	s_cbranch_vccz .LBB33_1418
; %bb.1417:
	global_load_sbyte v2, v[0:1], off
	s_mov_b64 s[2:3], 0
	s_waitcnt vmcnt(0)
	v_cvt_f32_i32_e32 v7, v2
	s_branch .LBB33_1419
.LBB33_1418:
	s_mov_b64 s[2:3], -1
                                        ; implicit-def: $vgpr7
.LBB33_1419:
	s_andn2_b64 vcc, exec, s[2:3]
	s_cbranch_vccnz .LBB33_1421
; %bb.1420:
	global_load_ubyte v0, v[0:1], off
	s_waitcnt vmcnt(0)
	v_cvt_f32_ubyte0_e32 v7, v0
.LBB33_1421:
	s_or_b64 s[24:25], s[24:25], exec
.LBB33_1422:
	s_or_b64 exec, exec, s[0:1]
	s_mov_b64 s[2:3], 0
	s_mov_b64 s[0:1], 0
                                        ; implicit-def: $vgpr6
                                        ; implicit-def: $vgpr0_vgpr1
                                        ; implicit-def: $vgpr2
	s_and_saveexec_b64 s[22:23], s[24:25]
	s_cbranch_execz .LBB33_1440
; %bb.1423:
	s_waitcnt vmcnt(0)
	v_div_scale_f32 v0, s[0:1], v7, v7, v3
	v_rcp_f32_e32 v1, v0
	v_div_scale_f32 v2, vcc, v3, v7, v3
	s_mov_b32 s0, 0x800000
	v_fma_f32 v6, -v0, v1, 1.0
	v_fmac_f32_e32 v1, v6, v1
	v_mul_f32_e32 v6, v2, v1
	v_fma_f32 v8, -v0, v6, v2
	v_fmac_f32_e32 v6, v8, v1
	v_fma_f32 v0, -v0, v6, v2
	v_div_fmas_f32 v0, v0, v1, v6
	v_div_fixup_f32 v3, v0, v7, v3
	v_mov_b32_e32 v0, 0x800000
	v_cmp_gt_f32_e64 s[0:1], s0, v3
	v_cndmask_b32_e64 v0, v3, v0, s[0:1]
	s_mov_b32 s2, 0x3f7ffffe
	v_mov_b32_e32 v1, 0x3f7ffffe
	v_cmp_lt_f32_e64 s[2:3], s2, v0
	v_cndmask_b32_e64 v2, v0, v1, s[2:3]
	v_mul_lo_u32 v0, v5, s12
	v_ashrrev_i32_e32 v1, 31, v0
	v_mov_b32_e32 v5, s9
	v_add_co_u32_e32 v0, vcc, s8, v0
	v_addc_co_u32_e32 v1, vcc, v5, v1, vcc
	v_and_b32_e32 v6, 0xff, v4
	v_cmp_gt_i16_e32 vcc, 11, v6
	s_cbranch_vccnz .LBB33_1443
; %bb.1424:
	v_cmp_lt_i16_e32 vcc, 25, v6
	s_mov_b64 s[28:29], -1
	s_mov_b64 s[4:5], s[20:21]
	s_cbranch_vccz .LBB33_1461
; %bb.1425:
	v_cmp_lt_i16_e32 vcc, 28, v6
	s_mov_b64 s[24:25], -1
	s_mov_b64 s[4:5], s[20:21]
	s_cbranch_vccz .LBB33_1445
; %bb.1426:
	v_cmp_lt_i16_e32 vcc, 43, v6
	s_mov_b64 s[4:5], s[20:21]
	s_cbranch_vccz .LBB33_1437
; %bb.1427:
	v_cmp_lt_i16_e32 vcc, 45, v6
	s_mov_b64 s[4:5], s[20:21]
	s_cbranch_vccz .LBB33_1431
; %bb.1428:
	v_cmp_eq_u16_e32 vcc, 46, v6
	s_mov_b64 s[4:5], -1
	s_cbranch_vccz .LBB33_1430
; %bb.1429:
	v_bfe_u32 v4, v2, 16, 1
	s_movk_i32 s4, 0x7fff
	v_add3_u32 v4, v2, v4, s4
	v_lshrrev_b32_e32 v4, 16, v4
	v_mov_b32_e32 v5, 0x7fc0
	v_cmp_o_f32_e32 vcc, v2, v2
	v_cndmask_b32_e32 v4, v5, v4, vcc
	global_store_dword v[0:1], v4, off
	s_mov_b64 s[4:5], 0
.LBB33_1430:
	s_mov_b64 s[24:25], 0
.LBB33_1431:
	s_and_b64 vcc, exec, s[24:25]
	s_cbranch_vccz .LBB33_1436
; %bb.1432:
	v_cmp_eq_u16_e32 vcc, 44, v6
	s_mov_b64 s[4:5], -1
	s_cbranch_vccz .LBB33_1436
; %bb.1433:
	v_bfe_u32 v4, v2, 23, 8
	s_movk_i32 s4, 0xff
	v_cmp_ne_u32_e32 vcc, s4, v4
	v_mov_b32_e32 v5, 0xff
	s_and_saveexec_b64 s[24:25], vcc
; %bb.1434:
	s_mov_b32 s4, 0x3fffff
	v_and_b32_e32 v7, 0x400000, v2
	v_and_or_b32 v4, v2, s4, v4
	v_cmp_ne_u32_e32 vcc, 0, v7
	v_cmp_ne_u32_e64 s[4:5], 0, v4
	s_and_b64 s[4:5], vcc, s[4:5]
	v_lshrrev_b32_e32 v5, 23, v2
	v_cndmask_b32_e64 v4, 0, 1, s[4:5]
	v_add_u32_e32 v5, v5, v4
; %bb.1435:
	s_or_b64 exec, exec, s[24:25]
	s_mov_b64 s[4:5], 0
	global_store_byte v[0:1], v5, off
.LBB33_1436:
	s_mov_b64 s[24:25], 0
.LBB33_1437:
	s_and_b64 vcc, exec, s[24:25]
	s_cbranch_vccz .LBB33_1444
; %bb.1438:
	v_cmp_eq_u16_e32 vcc, 29, v6
	s_mov_b64 s[4:5], -1
	s_cbranch_vccz .LBB33_1444
; %bb.1439:
	v_trunc_f32_e32 v4, v2
	v_mul_f32_e32 v5, 0x2f800000, v4
	v_floor_f32_e32 v7, v5
	v_fmac_f32_e32 v4, 0xcf800000, v7
	v_cvt_u32_f32_e32 v5, v7
	v_cvt_u32_f32_e32 v4, v4
	s_mov_b64 s[4:5], 0
	s_mov_b64 s[24:25], 0
	global_store_dwordx2 v[0:1], v[4:5], off
	s_branch .LBB33_1445
.LBB33_1440:
	s_or_b64 exec, exec, s[22:23]
	s_and_saveexec_b64 s[4:5], s[20:21]
	s_cbranch_execnz .LBB33_1503
.LBB33_1441:
	s_or_b64 exec, exec, s[4:5]
	s_and_saveexec_b64 s[4:5], s[2:3]
	s_xor_b64 s[2:3], exec, s[4:5]
	s_cbranch_execz .LBB33_1504
.LBB33_1442:
	s_waitcnt vmcnt(0)
	v_mov_b32_e32 v3, 1
	global_store_byte v[0:1], v3, off
	s_or_b64 exec, exec, s[2:3]
	s_and_saveexec_b64 s[2:3], s[0:1]
	s_xor_b64 s[0:1], exec, s[2:3]
	s_cbranch_execz .LBB33_1542
	s_branch .LBB33_1505
.LBB33_1443:
	s_mov_b64 s[2:3], 0
	s_mov_b64 s[24:25], -1
	s_mov_b64 s[4:5], s[20:21]
	s_branch .LBB33_1502
.LBB33_1444:
	s_mov_b64 s[24:25], 0
.LBB33_1445:
	s_and_b64 vcc, exec, s[24:25]
	s_cbranch_vccz .LBB33_1460
; %bb.1446:
	v_cmp_gt_i16_e32 vcc, 27, v6
	s_mov_b64 s[24:25], -1
	s_cbranch_vccnz .LBB33_1452
; %bb.1447:
	v_cvt_u32_f32_e32 v4, v2
	v_cmp_lt_i16_e32 vcc, 27, v6
	s_cbranch_vccz .LBB33_1449
; %bb.1448:
	s_mov_b64 s[24:25], 0
	global_store_dword v[0:1], v4, off
.LBB33_1449:
	s_andn2_b64 vcc, exec, s[24:25]
	s_cbranch_vccnz .LBB33_1451
; %bb.1450:
	global_store_short v[0:1], v4, off
.LBB33_1451:
	s_mov_b64 s[24:25], 0
.LBB33_1452:
	s_andn2_b64 vcc, exec, s[24:25]
	s_cbranch_vccnz .LBB33_1460
; %bb.1453:
	v_mov_b32_e32 v4, 0x800000
	v_cndmask_b32_e64 v4, |v3|, v4, s[0:1]
	v_mov_b32_e32 v5, 0x3f7ffffe
	v_cndmask_b32_e64 v5, v4, v5, s[2:3]
	s_mov_b32 s15, 0x43800000
	v_cmp_gt_u32_e32 vcc, s15, v5
	v_mov_b32_e32 v7, 0x80
	s_and_saveexec_b64 s[24:25], vcc
	s_cbranch_execz .LBB33_1459
; %bb.1454:
	s_mov_b32 s15, 0x3bffffff
	v_cmp_lt_u32_e32 vcc, s15, v5
	s_mov_b64 s[28:29], 0
                                        ; implicit-def: $vgpr4
	s_and_saveexec_b64 s[30:31], vcc
	s_xor_b64 s[30:31], exec, s[30:31]
	s_cbranch_execz .LBB33_1557
; %bb.1455:
	v_bfe_u32 v4, v2, 20, 1
	s_mov_b32 s15, 0x487ffff
	v_add3_u32 v4, v2, v4, s15
	s_mov_b64 s[28:29], exec
	v_lshrrev_b32_e32 v4, 20, v4
                                        ; implicit-def: $vgpr5
	s_or_saveexec_b64 s[30:31], s[30:31]
                                        ; implicit-def: $sgpr15
	s_xor_b64 exec, exec, s[30:31]
	s_cbranch_execnz .LBB33_1558
.LBB33_1456:
	s_or_b64 exec, exec, s[30:31]
	v_mov_b32_e32 v7, s15
	s_and_saveexec_b64 s[30:31], s[28:29]
.LBB33_1457:
	v_lshrrev_b32_e32 v5, 24, v2
	s_movk_i32 s15, 0x80
	v_and_or_b32 v7, v5, s15, v4
.LBB33_1458:
	s_or_b64 exec, exec, s[30:31]
.LBB33_1459:
	s_or_b64 exec, exec, s[24:25]
	global_store_byte v[0:1], v7, off
.LBB33_1460:
	s_mov_b64 s[28:29], 0
.LBB33_1461:
	s_mov_b64 s[24:25], 0
	s_and_b64 vcc, exec, s[28:29]
	s_cbranch_vccz .LBB33_1501
; %bb.1462:
	v_cmp_lt_i16_e32 vcc, 22, v6
	s_mov_b64 s[28:29], -1
	s_cbranch_vccz .LBB33_1494
; %bb.1463:
	v_cmp_gt_i16_e32 vcc, 24, v6
	s_cbranch_vccnz .LBB33_1483
; %bb.1464:
	v_cmp_lt_i16_e32 vcc, 24, v6
	s_cbranch_vccz .LBB33_1472
; %bb.1465:
	v_mov_b32_e32 v4, 0x800000
	v_cndmask_b32_e64 v4, |v3|, v4, s[0:1]
	v_mov_b32_e32 v5, 0x3f7ffffe
	v_cndmask_b32_e64 v5, v4, v5, s[2:3]
	s_mov_b32 s15, 0x47800000
	v_cmp_gt_u32_e32 vcc, s15, v5
	v_mov_b32_e32 v7, 0x80
	s_and_saveexec_b64 s[28:29], vcc
	s_cbranch_execz .LBB33_1471
; %bb.1466:
	s_mov_b32 s15, 0x37ffffff
	v_cmp_lt_u32_e32 vcc, s15, v5
	s_mov_b64 s[30:31], 0
                                        ; implicit-def: $vgpr4
	s_and_saveexec_b64 s[34:35], vcc
	s_xor_b64 s[34:35], exec, s[34:35]
	s_cbranch_execz .LBB33_1682
; %bb.1467:
	v_bfe_u32 v4, v2, 21, 1
	s_mov_b32 s15, 0x88fffff
	v_add3_u32 v4, v2, v4, s15
	s_mov_b64 s[30:31], exec
	v_lshrrev_b32_e32 v4, 21, v4
                                        ; implicit-def: $vgpr5
	s_or_saveexec_b64 s[34:35], s[34:35]
                                        ; implicit-def: $sgpr15
	s_xor_b64 exec, exec, s[34:35]
	s_cbranch_execnz .LBB33_1683
.LBB33_1468:
	s_or_b64 exec, exec, s[34:35]
	v_mov_b32_e32 v7, s15
	s_and_saveexec_b64 s[34:35], s[30:31]
.LBB33_1469:
	v_lshrrev_b32_e32 v5, 24, v2
	s_movk_i32 s15, 0x80
	v_and_or_b32 v7, v5, s15, v4
.LBB33_1470:
	s_or_b64 exec, exec, s[34:35]
.LBB33_1471:
	s_or_b64 exec, exec, s[28:29]
	s_mov_b64 s[28:29], 0
	global_store_byte v[0:1], v7, off
.LBB33_1472:
	s_and_b64 vcc, exec, s[28:29]
	s_cbranch_vccz .LBB33_1482
; %bb.1473:
	v_mov_b32_e32 v4, 0x800000
	v_cndmask_b32_e64 v4, |v3|, v4, s[0:1]
	v_mov_b32_e32 v5, 0x3f7ffffe
	v_cndmask_b32_e64 v5, v4, v5, s[2:3]
	s_mov_b32 s15, 0x43f00000
	v_cmp_gt_u32_e32 vcc, s15, v5
                                        ; implicit-def: $vgpr4
	s_and_saveexec_b64 s[28:29], vcc
	s_xor_b64 s[28:29], exec, s[28:29]
	s_cbranch_execz .LBB33_1479
; %bb.1474:
	s_mov_b32 s15, 0x3c7fffff
	v_cmp_lt_u32_e32 vcc, s15, v5
                                        ; implicit-def: $vgpr4
	s_and_saveexec_b64 s[30:31], vcc
	s_xor_b64 s[30:31], exec, s[30:31]
; %bb.1475:
	v_bfe_u32 v4, v2, 20, 1
	s_mov_b32 s15, 0x407ffff
	v_add3_u32 v4, v2, v4, s15
	v_lshrrev_b32_e32 v5, 20, v4
	v_and_b32_e32 v4, 0xff00000, v4
	s_mov_b32 s15, 0x7f00000
	v_mov_b32_e32 v7, 0x7e
	v_cmp_ne_u32_e32 vcc, s15, v4
	v_cndmask_b32_e32 v4, v7, v5, vcc
                                        ; implicit-def: $vgpr5
; %bb.1476:
	s_andn2_saveexec_b64 s[30:31], s[30:31]
; %bb.1477:
	v_add_f32_e32 v4, 0x46800000, v5
; %bb.1478:
	s_or_b64 exec, exec, s[30:31]
                                        ; implicit-def: $vgpr5
.LBB33_1479:
	s_andn2_saveexec_b64 s[28:29], s[28:29]
; %bb.1480:
	s_mov_b32 s15, 0x7f800000
	v_mov_b32_e32 v4, 0x7e
	v_mov_b32_e32 v7, 0x7f
	v_cmp_lt_u32_e32 vcc, s15, v5
	v_cndmask_b32_e32 v4, v4, v7, vcc
; %bb.1481:
	s_or_b64 exec, exec, s[28:29]
	v_lshrrev_b32_e32 v5, 24, v2
	s_movk_i32 s15, 0x80
	v_and_or_b32 v4, v5, s15, v4
	global_store_byte v[0:1], v4, off
.LBB33_1482:
	s_mov_b64 s[28:29], 0
.LBB33_1483:
	s_andn2_b64 vcc, exec, s[28:29]
	s_cbranch_vccnz .LBB33_1493
; %bb.1484:
	v_mov_b32_e32 v4, 0x800000
	v_cndmask_b32_e64 v3, |v3|, v4, s[0:1]
	v_mov_b32_e32 v4, 0x3f7ffffe
	v_cndmask_b32_e64 v4, v3, v4, s[2:3]
	s_mov_b32 s0, 0x47800000
	v_cmp_gt_u32_e32 vcc, s0, v4
                                        ; implicit-def: $vgpr3
	s_and_saveexec_b64 s[0:1], vcc
	s_xor_b64 s[0:1], exec, s[0:1]
	s_cbranch_execz .LBB33_1490
; %bb.1485:
	s_mov_b32 s2, 0x387fffff
	v_cmp_lt_u32_e32 vcc, s2, v4
                                        ; implicit-def: $vgpr3
	s_and_saveexec_b64 s[2:3], vcc
	s_xor_b64 s[2:3], exec, s[2:3]
; %bb.1486:
	v_bfe_u32 v3, v2, 21, 1
	s_mov_b32 s15, 0x80fffff
	v_add3_u32 v3, v2, v3, s15
	v_lshrrev_b32_e32 v3, 21, v3
                                        ; implicit-def: $vgpr4
; %bb.1487:
	s_andn2_saveexec_b64 s[2:3], s[2:3]
; %bb.1488:
	v_add_f32_e32 v3, 0x43000000, v4
; %bb.1489:
	s_or_b64 exec, exec, s[2:3]
                                        ; implicit-def: $vgpr4
.LBB33_1490:
	s_andn2_saveexec_b64 s[0:1], s[0:1]
; %bb.1491:
	s_mov_b32 s2, 0x7f800000
	v_mov_b32_e32 v3, 0x7c
	v_mov_b32_e32 v5, 0x7f
	v_cmp_lt_u32_e32 vcc, s2, v4
	v_cndmask_b32_e32 v3, v3, v5, vcc
; %bb.1492:
	s_or_b64 exec, exec, s[0:1]
	v_lshrrev_b32_e32 v4, 24, v2
	s_movk_i32 s0, 0x80
	v_and_or_b32 v3, v4, s0, v3
	global_store_byte v[0:1], v3, off
.LBB33_1493:
	s_mov_b64 s[28:29], 0
.LBB33_1494:
	s_andn2_b64 vcc, exec, s[28:29]
	s_mov_b64 s[2:3], 0
	s_cbranch_vccnz .LBB33_1502
; %bb.1495:
	v_cmp_lt_i16_e32 vcc, 14, v6
	s_mov_b64 s[0:1], -1
	s_cbranch_vccz .LBB33_1499
; %bb.1496:
	v_cmp_eq_u16_e32 vcc, 15, v6
	s_mov_b64 s[4:5], -1
	s_cbranch_vccz .LBB33_1498
; %bb.1497:
	v_bfe_u32 v3, v2, 16, 1
	s_movk_i32 s0, 0x7fff
	v_add3_u32 v3, v2, v3, s0
	v_lshrrev_b32_e32 v3, 16, v3
	v_mov_b32_e32 v4, 0x7fc0
	v_cmp_o_f32_e32 vcc, v2, v2
	v_cndmask_b32_e32 v3, v4, v3, vcc
	global_store_short v[0:1], v3, off
	s_mov_b64 s[4:5], 0
.LBB33_1498:
	s_mov_b64 s[0:1], 0
.LBB33_1499:
	s_and_b64 vcc, exec, s[0:1]
	s_cbranch_vccz .LBB33_1502
; %bb.1500:
	v_cmp_ne_u16_e32 vcc, 11, v6
	s_andn2_b64 s[0:1], s[4:5], exec
	s_and_b64 s[4:5], vcc, exec
	s_mov_b64 s[2:3], -1
	s_or_b64 s[4:5], s[0:1], s[4:5]
	s_branch .LBB33_1502
.LBB33_1501:
	s_mov_b64 s[2:3], 0
.LBB33_1502:
	s_andn2_b64 s[20:21], s[20:21], exec
	s_and_b64 s[4:5], s[4:5], exec
	s_and_b64 s[0:1], s[24:25], exec
	;; [unrolled: 1-line block ×3, first 2 shown]
	s_or_b64 s[20:21], s[20:21], s[4:5]
	s_or_b64 exec, exec, s[22:23]
	s_and_saveexec_b64 s[4:5], s[20:21]
	s_cbranch_execz .LBB33_1441
.LBB33_1503:
	s_or_b64 s[26:27], s[26:27], exec
	s_andn2_b64 s[2:3], s[2:3], exec
	s_trap 2
	s_or_b64 exec, exec, s[4:5]
	s_and_saveexec_b64 s[4:5], s[2:3]
	s_xor_b64 s[2:3], exec, s[4:5]
	s_cbranch_execnz .LBB33_1442
.LBB33_1504:
	s_or_b64 exec, exec, s[2:3]
	s_and_saveexec_b64 s[2:3], s[0:1]
	s_xor_b64 s[0:1], exec, s[2:3]
	s_cbranch_execz .LBB33_1542
.LBB33_1505:
	s_waitcnt vmcnt(0)
	v_cmp_gt_i16_e32 vcc, 5, v6
	s_mov_b64 s[2:3], -1
	s_cbranch_vccnz .LBB33_1526
; %bb.1506:
	v_cmp_gt_i16_e32 vcc, 8, v6
	s_cbranch_vccnz .LBB33_1516
; %bb.1507:
	v_cmp_gt_i16_e32 vcc, 9, v6
	s_cbranch_vccnz .LBB33_1513
; %bb.1508:
	v_cmp_lt_i16_e32 vcc, 9, v6
	s_cbranch_vccz .LBB33_1510
; %bb.1509:
	v_mov_b32_e32 v10, 0
	v_cvt_f64_f32_e32 v[8:9], v2
	v_mov_b32_e32 v11, v10
	s_mov_b64 s[2:3], 0
	global_store_dwordx4 v[0:1], v[8:11], off
.LBB33_1510:
	s_andn2_b64 vcc, exec, s[2:3]
	s_cbranch_vccnz .LBB33_1512
; %bb.1511:
	v_mov_b32_e32 v3, 0
	global_store_dwordx2 v[0:1], v[2:3], off
.LBB33_1512:
	s_mov_b64 s[2:3], 0
.LBB33_1513:
	s_andn2_b64 vcc, exec, s[2:3]
	s_cbranch_vccnz .LBB33_1515
; %bb.1514:
	v_cvt_f16_f32_e32 v3, v2
	global_store_dword v[0:1], v3, off
.LBB33_1515:
	s_mov_b64 s[2:3], 0
.LBB33_1516:
	s_andn2_b64 vcc, exec, s[2:3]
	s_cbranch_vccnz .LBB33_1525
; %bb.1517:
	v_cmp_gt_i16_e32 vcc, 6, v6
	s_mov_b64 s[2:3], -1
	s_cbranch_vccnz .LBB33_1523
; %bb.1518:
	v_cmp_lt_i16_e32 vcc, 6, v6
	s_cbranch_vccz .LBB33_1520
; %bb.1519:
	v_cvt_f64_f32_e32 v[4:5], v2
	s_mov_b64 s[2:3], 0
	global_store_dwordx2 v[0:1], v[4:5], off
.LBB33_1520:
	s_andn2_b64 vcc, exec, s[2:3]
	s_cbranch_vccnz .LBB33_1522
; %bb.1521:
	global_store_dword v[0:1], v2, off
.LBB33_1522:
	s_mov_b64 s[2:3], 0
.LBB33_1523:
	s_andn2_b64 vcc, exec, s[2:3]
	s_cbranch_vccnz .LBB33_1525
; %bb.1524:
	v_cvt_f16_f32_e32 v3, v2
	global_store_short v[0:1], v3, off
.LBB33_1525:
	s_mov_b64 s[2:3], 0
.LBB33_1526:
	s_andn2_b64 vcc, exec, s[2:3]
	s_cbranch_vccnz .LBB33_1542
; %bb.1527:
	v_cmp_gt_i16_e32 vcc, 2, v6
	s_mov_b64 s[2:3], -1
	s_cbranch_vccnz .LBB33_1537
; %bb.1528:
	v_cmp_gt_i16_e32 vcc, 3, v6
	s_cbranch_vccnz .LBB33_1534
; %bb.1529:
	v_cmp_lt_i16_e32 vcc, 3, v6
	s_cbranch_vccz .LBB33_1531
; %bb.1530:
	v_trunc_f32_e32 v3, v2
	s_mov_b32 s2, 0x2f800000
	v_mul_f32_e64 v4, |v3|, s2
	v_floor_f32_e32 v4, v4
	s_mov_b32 s2, 0xcf800000
	v_cvt_u32_f32_e32 v5, v4
	v_fma_f32 v4, v4, s2, |v3|
	v_cvt_u32_f32_e32 v4, v4
	v_ashrrev_i32_e32 v3, 31, v3
	v_xor_b32_e32 v5, v5, v3
	s_mov_b64 s[2:3], 0
	v_xor_b32_e32 v4, v4, v3
	v_sub_co_u32_e32 v4, vcc, v4, v3
	v_subb_co_u32_e32 v5, vcc, v5, v3, vcc
	global_store_dwordx2 v[0:1], v[4:5], off
.LBB33_1531:
	s_andn2_b64 vcc, exec, s[2:3]
	s_cbranch_vccnz .LBB33_1533
; %bb.1532:
	v_cvt_i32_f32_e32 v3, v2
	global_store_dword v[0:1], v3, off
.LBB33_1533:
	s_mov_b64 s[2:3], 0
.LBB33_1534:
	s_andn2_b64 vcc, exec, s[2:3]
	s_cbranch_vccnz .LBB33_1536
; %bb.1535:
	v_cvt_i32_f32_e32 v3, v2
	global_store_short v[0:1], v3, off
.LBB33_1536:
	s_mov_b64 s[2:3], 0
.LBB33_1537:
	s_andn2_b64 vcc, exec, s[2:3]
	s_cbranch_vccnz .LBB33_1542
; %bb.1538:
	v_cmp_lt_i16_e32 vcc, 0, v6
	s_mov_b64 s[2:3], -1
	s_cbranch_vccz .LBB33_1540
; %bb.1539:
	v_cvt_i32_f32_e32 v3, v2
	s_mov_b64 s[2:3], 0
	global_store_byte v[0:1], v3, off
.LBB33_1540:
	s_andn2_b64 vcc, exec, s[2:3]
	s_cbranch_vccnz .LBB33_1542
; %bb.1541:
	v_trunc_f32_e32 v2, v2
	s_mov_b32 s2, 0x2f800000
	v_mul_f32_e64 v3, |v2|, s2
	v_floor_f32_e32 v3, v3
	s_mov_b32 s2, 0xcf800000
	v_fma_f32 v3, v3, s2, |v2|
	v_cvt_u32_f32_e32 v3, v3
	v_ashrrev_i32_e32 v2, 31, v2
	v_xor_b32_e32 v3, v3, v2
	v_sub_u32_e32 v2, v3, v2
	global_store_byte v[0:1], v2, off
.LBB33_1542:
	s_or_b64 exec, exec, s[0:1]
	s_and_b64 s[20:21], s[26:27], exec
                                        ; implicit-def: $vgpr5
                                        ; implicit-def: $vgpr7
                                        ; implicit-def: $vgpr6
                                        ; implicit-def: $vgpr4
.LBB33_1543:
	s_or_saveexec_b64 s[6:7], s[6:7]
	s_mov_b64 s[0:1], 0
                                        ; implicit-def: $vgpr8
                                        ; implicit-def: $vgpr0_vgpr1
                                        ; implicit-def: $vgpr2
	s_xor_b64 exec, exec, s[6:7]
	s_cbranch_execz .LBB33_3033
; %bb.1544:
	v_mul_lo_u32 v8, s13, v5
	v_ashrrev_i32_e32 v1, 31, v8
	s_waitcnt vmcnt(0)
	v_mov_b32_e32 v2, s11
	v_add_co_u32_e32 v0, vcc, s10, v8
	v_addc_co_u32_e32 v1, vcc, v2, v1, vcc
	v_mov_b32_e32 v2, 11
	v_cmp_lt_i16_sdwa s[0:1], v7, v2 src0_sel:BYTE_0 src1_sel:DWORD
	s_and_b64 vcc, exec, s[0:1]
	s_cbranch_vccnz .LBB33_1551
; %bb.1545:
	v_mov_b32_e32 v2, 25
	v_cmp_gt_i16_sdwa s[0:1], v7, v2 src0_sel:BYTE_0 src1_sel:DWORD
	s_mov_b64 s[2:3], 0
	s_and_b64 vcc, exec, s[0:1]
	s_cbranch_vccz .LBB33_1553
; %bb.1546:
	v_mov_b32_e32 v2, 28
	v_cmp_gt_i16_sdwa s[0:1], v7, v2 src0_sel:BYTE_0 src1_sel:DWORD
	s_and_b64 vcc, exec, s[0:1]
	s_cbranch_vccz .LBB33_1554
; %bb.1547:
	v_mov_b32_e32 v2, 43
	v_cmp_gt_i16_sdwa s[0:1], v7, v2 src0_sel:BYTE_0 src1_sel:DWORD
	;; [unrolled: 5-line block ×3, first 2 shown]
	s_and_b64 vcc, exec, s[0:1]
	s_cbranch_vccz .LBB33_1556
; %bb.1549:
	v_mov_b32_e32 v2, 46
	v_cmp_eq_u16_sdwa s[0:1], v7, v2 src0_sel:BYTE_0 src1_sel:DWORD
	s_and_b64 vcc, exec, s[0:1]
	s_cbranch_vccz .LBB33_1559
; %bb.1550:
	global_load_dword v2, v[0:1], off
	s_mov_b64 s[0:1], 0
	s_mov_b64 s[4:5], -1
	s_waitcnt vmcnt(0)
	v_lshlrev_b32_e32 v2, 16, v2
	s_branch .LBB33_1560
.LBB33_1551:
	s_mov_b64 s[4:5], 0
                                        ; implicit-def: $vgpr2
	s_mov_b64 s[22:23], s[20:21]
	s_cbranch_execnz .LBB33_1623
.LBB33_1552:
	s_andn2_b64 vcc, exec, s[4:5]
	s_cbranch_vccz .LBB33_1668
	s_branch .LBB33_3031
.LBB33_1553:
	s_mov_b64 s[4:5], 0
	s_mov_b64 s[0:1], 0
                                        ; implicit-def: $vgpr2
	s_cbranch_execnz .LBB33_1588
	s_branch .LBB33_1619
.LBB33_1554:
	s_mov_b64 s[18:19], -1
	s_mov_b64 s[4:5], 0
	s_mov_b64 s[0:1], 0
                                        ; implicit-def: $vgpr2
	s_branch .LBB33_1569
.LBB33_1555:
	s_mov_b64 s[4:5], 0
	s_mov_b64 s[0:1], 0
                                        ; implicit-def: $vgpr2
	s_cbranch_execnz .LBB33_1565
	s_branch .LBB33_1568
.LBB33_1556:
	s_mov_b64 s[18:19], -1
	s_mov_b64 s[4:5], 0
	s_mov_b64 s[0:1], 0
                                        ; implicit-def: $vgpr2
	s_branch .LBB33_1560
.LBB33_1557:
	s_or_saveexec_b64 s[30:31], s[30:31]
                                        ; implicit-def: $sgpr15
	s_xor_b64 exec, exec, s[30:31]
	s_cbranch_execz .LBB33_1456
.LBB33_1558:
	v_add_f32_e32 v4, 0x46000000, v5
	v_and_b32_e32 v4, 0xff, v4
	v_cmp_ne_u32_e32 vcc, 0, v4
	s_andn2_b64 s[28:29], s[28:29], exec
	s_and_b64 s[34:35], vcc, exec
	s_mov_b32 s15, 0
	s_or_b64 s[28:29], s[28:29], s[34:35]
	s_or_b64 exec, exec, s[30:31]
	v_mov_b32_e32 v7, s15
	s_and_saveexec_b64 s[30:31], s[28:29]
	s_cbranch_execnz .LBB33_1457
	s_branch .LBB33_1458
.LBB33_1559:
	s_mov_b64 s[0:1], -1
                                        ; implicit-def: $vgpr2
	s_mov_b64 s[4:5], 0
.LBB33_1560:
	s_and_b64 vcc, exec, s[18:19]
	s_cbranch_vccz .LBB33_1563
; %bb.1561:
	v_mov_b32_e32 v2, 44
	v_cmp_eq_u16_sdwa s[0:1], v7, v2 src0_sel:BYTE_0 src1_sel:DWORD
	s_and_b64 vcc, exec, s[0:1]
	s_cbranch_vccz .LBB33_1564
; %bb.1562:
	global_load_ubyte v2, v[0:1], off
	s_movk_i32 s4, 0xff
	v_mov_b32_e32 v3, 0x7f800001
	v_mov_b32_e32 v9, 0x400000
	s_mov_b64 s[0:1], 0
	s_waitcnt vmcnt(0)
	v_lshlrev_b32_e32 v10, 23, v2
	v_cmp_ne_u32_e32 vcc, s4, v2
	v_cndmask_b32_e32 v3, v3, v10, vcc
	v_cmp_ne_u32_e32 vcc, 0, v2
	v_cndmask_b32_e32 v2, v9, v3, vcc
	s_mov_b64 s[4:5], -1
.LBB33_1563:
	s_branch .LBB33_1568
.LBB33_1564:
	s_mov_b64 s[0:1], -1
                                        ; implicit-def: $vgpr2
	s_branch .LBB33_1568
.LBB33_1565:
	v_mov_b32_e32 v2, 29
	v_cmp_eq_u16_sdwa s[0:1], v7, v2 src0_sel:BYTE_0 src1_sel:DWORD
	s_and_b64 vcc, exec, s[0:1]
	s_cbranch_vccz .LBB33_1567
; %bb.1566:
	global_load_dwordx2 v[2:3], v[0:1], off
	s_mov_b64 s[0:1], 0
	s_mov_b64 s[4:5], -1
	s_mov_b64 s[18:19], 0
	s_waitcnt vmcnt(0)
	v_ffbh_u32_e32 v9, v3
	v_min_u32_e32 v9, 32, v9
	v_lshlrev_b64 v[2:3], v9, v[2:3]
	v_min_u32_e32 v2, 1, v2
	v_or_b32_e32 v2, v3, v2
	v_cvt_f32_u32_e32 v2, v2
	v_sub_u32_e32 v3, 32, v9
	v_ldexp_f32 v2, v2, v3
	s_branch .LBB33_1569
.LBB33_1567:
	s_mov_b64 s[0:1], -1
                                        ; implicit-def: $vgpr2
.LBB33_1568:
	s_mov_b64 s[18:19], 0
.LBB33_1569:
	s_and_b64 vcc, exec, s[18:19]
	s_cbranch_vccz .LBB33_1587
; %bb.1570:
	v_mov_b32_e32 v2, 27
	v_cmp_lt_i16_sdwa s[4:5], v7, v2 src0_sel:BYTE_0 src1_sel:DWORD
	s_and_b64 vcc, exec, s[4:5]
	s_cbranch_vccnz .LBB33_1573
; %bb.1571:
	v_cmp_gt_i16_sdwa s[4:5], v7, v2 src0_sel:BYTE_0 src1_sel:DWORD
	s_and_b64 vcc, exec, s[4:5]
	s_cbranch_vccz .LBB33_1574
; %bb.1572:
	global_load_dword v2, v[0:1], off
	s_mov_b64 s[4:5], 0
	s_waitcnt vmcnt(0)
	v_cvt_f32_u32_e32 v2, v2
	s_branch .LBB33_1575
.LBB33_1573:
	s_mov_b64 s[4:5], -1
                                        ; implicit-def: $vgpr2
	s_branch .LBB33_1578
.LBB33_1574:
	s_mov_b64 s[4:5], -1
                                        ; implicit-def: $vgpr2
.LBB33_1575:
	s_andn2_b64 vcc, exec, s[4:5]
	s_cbranch_vccnz .LBB33_1577
; %bb.1576:
	global_load_ushort v2, v[0:1], off
	s_waitcnt vmcnt(0)
	v_cvt_f32_u32_e32 v2, v2
.LBB33_1577:
	s_mov_b64 s[4:5], 0
.LBB33_1578:
	s_andn2_b64 vcc, exec, s[4:5]
	s_cbranch_vccnz .LBB33_1586
; %bb.1579:
	global_load_ubyte v3, v[0:1], off
	s_movk_i32 s4, 0x7f
                                        ; implicit-def: $sgpr15
	s_waitcnt vmcnt(0)
	v_cmp_lt_i16_e32 vcc, s4, v3
	s_mov_b64 s[4:5], 0
	s_and_saveexec_b64 s[18:19], vcc
	s_xor_b64 s[18:19], exec, s[18:19]
	s_cbranch_execz .LBB33_1599
; %bb.1580:
	s_movk_i32 s4, 0x80
	v_cmp_eq_u16_e32 vcc, s4, v3
	s_mov_b64 s[4:5], -1
                                        ; implicit-def: $sgpr15
	s_and_saveexec_b64 s[22:23], vcc
; %bb.1581:
	s_mov_b32 s15, 0x7f800001
	s_xor_b64 s[4:5], exec, -1
; %bb.1582:
	s_or_b64 exec, exec, s[22:23]
	s_and_b64 s[4:5], s[4:5], exec
	s_or_saveexec_b64 s[18:19], s[18:19]
	v_mov_b32_e32 v2, s15
	s_xor_b64 exec, exec, s[18:19]
	s_cbranch_execnz .LBB33_1600
.LBB33_1583:
	s_or_b64 exec, exec, s[18:19]
	s_and_saveexec_b64 s[18:19], s[4:5]
	s_cbranch_execz .LBB33_1585
.LBB33_1584:
	v_lshlrev_b32_e32 v2, 24, v3
	v_and_b32_e32 v3, 0xffff, v3
	v_and_b32_e32 v9, 7, v3
	v_ffbh_u32_e32 v11, v9
	v_min_u32_e32 v11, 32, v11
	v_subrev_u32_e32 v12, 28, v11
	v_bfe_u32 v10, v3, 3, 4
	v_lshlrev_b32_e32 v3, v12, v3
	v_sub_u32_e32 v11, 29, v11
	v_and_b32_e32 v3, 7, v3
	v_cmp_eq_u32_e32 vcc, 0, v10
	v_cndmask_b32_e32 v10, v10, v11, vcc
	v_cndmask_b32_e32 v3, v9, v3, vcc
	v_mov_b32_e32 v9, 0x3b800000
	v_lshlrev_b32_e32 v3, 20, v3
	v_and_b32_e32 v2, 0x80000000, v2
	v_lshl_add_u32 v9, v10, 23, v9
	v_or3_b32 v2, v2, v9, v3
.LBB33_1585:
	s_or_b64 exec, exec, s[18:19]
.LBB33_1586:
	s_mov_b64 s[4:5], -1
.LBB33_1587:
	s_branch .LBB33_1619
.LBB33_1588:
	v_mov_b32_e32 v2, 22
	v_cmp_gt_i16_sdwa s[2:3], v7, v2 src0_sel:BYTE_0 src1_sel:DWORD
	s_and_b64 vcc, exec, s[2:3]
	s_cbranch_vccz .LBB33_1598
; %bb.1589:
	v_mov_b32_e32 v2, 24
	v_cmp_lt_i16_sdwa s[2:3], v7, v2 src0_sel:BYTE_0 src1_sel:DWORD
	s_and_b64 vcc, exec, s[2:3]
	s_cbranch_vccnz .LBB33_1601
; %bb.1590:
	v_cmp_gt_i16_sdwa s[2:3], v7, v2 src0_sel:BYTE_0 src1_sel:DWORD
	s_and_b64 vcc, exec, s[2:3]
	s_cbranch_vccz .LBB33_1602
; %bb.1591:
	global_load_ubyte v3, v[0:1], off
	s_movk_i32 s2, 0x7f
                                        ; implicit-def: $sgpr15
	s_waitcnt vmcnt(0)
	v_cmp_lt_i16_e32 vcc, s2, v3
	s_mov_b64 s[2:3], 0
	s_and_saveexec_b64 s[4:5], vcc
	s_xor_b64 s[4:5], exec, s[4:5]
	s_cbranch_execz .LBB33_1613
; %bb.1592:
	s_movk_i32 s2, 0x80
	v_cmp_eq_u16_e32 vcc, s2, v3
	s_mov_b64 s[2:3], -1
                                        ; implicit-def: $sgpr15
	s_and_saveexec_b64 s[18:19], vcc
; %bb.1593:
	s_mov_b32 s15, 0x7f800001
	s_xor_b64 s[2:3], exec, -1
; %bb.1594:
	s_or_b64 exec, exec, s[18:19]
	s_and_b64 s[2:3], s[2:3], exec
	s_or_saveexec_b64 s[4:5], s[4:5]
	v_mov_b32_e32 v2, s15
	s_xor_b64 exec, exec, s[4:5]
	s_cbranch_execnz .LBB33_1614
.LBB33_1595:
	s_or_b64 exec, exec, s[4:5]
	s_and_saveexec_b64 s[4:5], s[2:3]
	s_cbranch_execz .LBB33_1597
.LBB33_1596:
	v_lshlrev_b32_e32 v2, 24, v3
	v_and_b32_e32 v3, 0xffff, v3
	v_and_b32_e32 v9, 3, v3
	v_ffbh_u32_e32 v11, v9
	v_min_u32_e32 v11, 32, v11
	v_subrev_u32_e32 v12, 29, v11
	v_bfe_u32 v10, v3, 2, 5
	v_lshlrev_b32_e32 v3, v12, v3
	v_sub_u32_e32 v11, 30, v11
	v_and_b32_e32 v3, 3, v3
	v_cmp_eq_u32_e32 vcc, 0, v10
	v_cndmask_b32_e32 v10, v10, v11, vcc
	v_cndmask_b32_e32 v3, v9, v3, vcc
	v_mov_b32_e32 v9, 0x37800000
	v_lshlrev_b32_e32 v3, 21, v3
	v_and_b32_e32 v2, 0x80000000, v2
	v_lshl_add_u32 v9, v10, 23, v9
	v_or3_b32 v2, v2, v9, v3
.LBB33_1597:
	s_or_b64 exec, exec, s[4:5]
	s_mov_b64 s[2:3], 0
	s_branch .LBB33_1603
.LBB33_1598:
                                        ; implicit-def: $vgpr2
	s_mov_b64 s[2:3], 0
	s_branch .LBB33_1609
.LBB33_1599:
	s_or_saveexec_b64 s[18:19], s[18:19]
	v_mov_b32_e32 v2, s15
	s_xor_b64 exec, exec, s[18:19]
	s_cbranch_execz .LBB33_1583
.LBB33_1600:
	v_cmp_ne_u16_e32 vcc, 0, v3
	s_andn2_b64 s[4:5], s[4:5], exec
	s_and_b64 s[22:23], vcc, exec
	v_mov_b32_e32 v2, 0
	s_or_b64 s[4:5], s[4:5], s[22:23]
	s_or_b64 exec, exec, s[18:19]
	s_and_saveexec_b64 s[18:19], s[4:5]
	s_cbranch_execnz .LBB33_1584
	s_branch .LBB33_1585
.LBB33_1601:
	s_mov_b64 s[2:3], -1
                                        ; implicit-def: $vgpr2
	s_branch .LBB33_1606
.LBB33_1602:
	s_mov_b64 s[2:3], -1
                                        ; implicit-def: $vgpr2
.LBB33_1603:
	s_and_b64 vcc, exec, s[2:3]
	s_cbranch_vccz .LBB33_1605
; %bb.1604:
	global_load_ubyte v2, v[0:1], off
	s_mov_b32 s2, 0x7f800000
	s_waitcnt vmcnt(0)
	v_lshlrev_b32_e32 v2, 24, v2
	v_and_b32_e32 v3, 0x7f000000, v2
	v_ffbh_u32_e32 v9, v3
	v_min_u32_e32 v9, 32, v9
	v_sub_u32_e64 v9, v9, 4 clamp
	v_lshlrev_b32_e32 v11, v9, v3
	v_lshlrev_b32_e32 v9, 23, v9
	v_lshrrev_b32_e32 v11, 4, v11
	v_add_u32_e32 v10, 0x1000000, v3
	v_sub_u32_e32 v9, v11, v9
	v_ashrrev_i32_e32 v10, 8, v10
	v_add_u32_e32 v9, 0x3c000000, v9
	v_and_or_b32 v9, v10, s2, v9
	v_cmp_ne_u32_e32 vcc, 0, v3
	v_cndmask_b32_e32 v3, 0, v9, vcc
	s_brev_b32 s2, 1
	v_and_or_b32 v2, v2, s2, v3
.LBB33_1605:
	s_mov_b64 s[2:3], 0
.LBB33_1606:
	s_andn2_b64 vcc, exec, s[2:3]
	s_cbranch_vccnz .LBB33_1608
; %bb.1607:
	global_load_ubyte v2, v[0:1], off
	s_movk_i32 s2, 0x7f00
	s_brev_b32 s3, 16
	s_waitcnt vmcnt(0)
	v_lshlrev_b16_e32 v3, 8, v2
	v_lshlrev_b32_e32 v2, 25, v2
	v_lshrrev_b32_e32 v9, 4, v2
	v_and_or_b32 v10, v3, s2, 0.5
	v_or_b32_e32 v9, 0x70000000, v9
	v_add_f32_e32 v10, -0.5, v10
	v_mul_f32_e32 v9, 0x7800000, v9
	v_cmp_gt_u32_e32 vcc, s3, v2
	v_bfe_i32 v3, v3, 0, 16
	v_cndmask_b32_e32 v2, v9, v10, vcc
	s_brev_b32 s2, 1
	v_and_or_b32 v2, v3, s2, v2
.LBB33_1608:
	s_mov_b64 s[4:5], -1
	s_mov_b64 s[2:3], 0
	s_cbranch_execnz .LBB33_1619
.LBB33_1609:
	v_mov_b32_e32 v2, 14
	v_cmp_gt_i16_sdwa s[2:3], v7, v2 src0_sel:BYTE_0 src1_sel:DWORD
	s_and_b64 vcc, exec, s[2:3]
	s_cbranch_vccz .LBB33_1612
; %bb.1610:
	v_mov_b32_e32 v2, 15
	v_cmp_eq_u16_sdwa s[0:1], v7, v2 src0_sel:BYTE_0 src1_sel:DWORD
	s_and_b64 vcc, exec, s[0:1]
	s_cbranch_vccz .LBB33_1615
; %bb.1611:
	global_load_ushort v2, v[0:1], off
	s_mov_b64 s[0:1], 0
	s_mov_b64 s[4:5], -1
	s_waitcnt vmcnt(0)
	v_lshlrev_b32_e32 v2, 16, v2
	s_branch .LBB33_1616
.LBB33_1612:
	s_mov_b64 s[18:19], -1
                                        ; implicit-def: $vgpr2
	s_branch .LBB33_1617
.LBB33_1613:
	s_or_saveexec_b64 s[4:5], s[4:5]
	v_mov_b32_e32 v2, s15
	s_xor_b64 exec, exec, s[4:5]
	s_cbranch_execz .LBB33_1595
.LBB33_1614:
	v_cmp_ne_u16_e32 vcc, 0, v3
	s_andn2_b64 s[2:3], s[2:3], exec
	s_and_b64 s[18:19], vcc, exec
	v_mov_b32_e32 v2, 0
	s_or_b64 s[2:3], s[2:3], s[18:19]
	s_or_b64 exec, exec, s[4:5]
	s_and_saveexec_b64 s[4:5], s[2:3]
	s_cbranch_execnz .LBB33_1596
	s_branch .LBB33_1597
.LBB33_1615:
	s_mov_b64 s[0:1], -1
                                        ; implicit-def: $vgpr2
.LBB33_1616:
	s_mov_b64 s[18:19], 0
.LBB33_1617:
	s_mov_b64 s[2:3], 0
	s_and_b64 vcc, exec, s[18:19]
	s_cbranch_vccz .LBB33_1619
; %bb.1618:
	v_mov_b32_e32 v2, 11
	v_cmp_ne_u16_sdwa s[0:1], v7, v2 src0_sel:BYTE_0 src1_sel:DWORD
	s_mov_b64 s[2:3], -1
                                        ; implicit-def: $vgpr2
.LBB33_1619:
	s_and_b64 vcc, exec, s[0:1]
	s_mov_b64 s[22:23], s[20:21]
	s_cbranch_vccnz .LBB33_1680
; %bb.1620:
	s_andn2_b64 vcc, exec, s[2:3]
	s_cbranch_vccnz .LBB33_1622
.LBB33_1621:
	global_load_ubyte v2, v[0:1], off
	s_mov_b64 s[4:5], -1
	s_waitcnt vmcnt(0)
	v_cmp_ne_u16_e32 vcc, 0, v2
	v_cndmask_b32_e64 v2, 0, 1.0, vcc
.LBB33_1622:
	s_branch .LBB33_1552
.LBB33_1623:
	v_mov_b32_e32 v2, 5
	v_cmp_lt_i16_sdwa s[0:1], v7, v2 src0_sel:BYTE_0 src1_sel:DWORD
	s_and_b64 vcc, exec, s[0:1]
	s_cbranch_vccnz .LBB33_1628
; %bb.1624:
	v_mov_b32_e32 v2, 8
	v_cmp_lt_i16_sdwa s[0:1], v7, v2 src0_sel:BYTE_0 src1_sel:DWORD
	s_and_b64 vcc, exec, s[0:1]
	s_cbranch_vccnz .LBB33_1629
; %bb.1625:
	;; [unrolled: 5-line block ×3, first 2 shown]
	v_cmp_gt_i16_sdwa s[0:1], v7, v2 src0_sel:BYTE_0 src1_sel:DWORD
	s_and_b64 vcc, exec, s[0:1]
	s_cbranch_vccz .LBB33_1631
; %bb.1627:
	global_load_dwordx2 v[2:3], v[0:1], off
	s_mov_b64 s[0:1], 0
	s_waitcnt vmcnt(0)
	v_cvt_f32_f64_e32 v2, v[2:3]
	s_branch .LBB33_1632
.LBB33_1628:
                                        ; implicit-def: $vgpr2
	s_branch .LBB33_1649
.LBB33_1629:
                                        ; implicit-def: $vgpr2
	s_branch .LBB33_1638
.LBB33_1630:
	s_mov_b64 s[0:1], -1
                                        ; implicit-def: $vgpr2
	s_branch .LBB33_1635
.LBB33_1631:
	s_mov_b64 s[0:1], -1
                                        ; implicit-def: $vgpr2
.LBB33_1632:
	s_andn2_b64 vcc, exec, s[0:1]
	s_cbranch_vccnz .LBB33_1634
; %bb.1633:
	global_load_dword v2, v[0:1], off
.LBB33_1634:
	s_mov_b64 s[0:1], 0
.LBB33_1635:
	s_andn2_b64 vcc, exec, s[0:1]
	s_cbranch_vccnz .LBB33_1637
; %bb.1636:
	global_load_dword v2, v[0:1], off
	s_waitcnt vmcnt(0)
	v_cvt_f32_f16_e32 v2, v2
.LBB33_1637:
	s_cbranch_execnz .LBB33_1648
.LBB33_1638:
	s_waitcnt vmcnt(0)
	v_mov_b32_e32 v2, 6
	v_cmp_lt_i16_sdwa s[0:1], v7, v2 src0_sel:BYTE_0 src1_sel:DWORD
	s_and_b64 vcc, exec, s[0:1]
	s_cbranch_vccnz .LBB33_1641
; %bb.1639:
	v_cmp_gt_i16_sdwa s[0:1], v7, v2 src0_sel:BYTE_0 src1_sel:DWORD
	s_and_b64 vcc, exec, s[0:1]
	s_cbranch_vccz .LBB33_1642
; %bb.1640:
	global_load_dwordx2 v[2:3], v[0:1], off
	s_mov_b64 s[0:1], 0
	s_waitcnt vmcnt(0)
	v_cvt_f32_f64_e32 v2, v[2:3]
	s_branch .LBB33_1643
.LBB33_1641:
	s_mov_b64 s[0:1], -1
                                        ; implicit-def: $vgpr2
	s_branch .LBB33_1646
.LBB33_1642:
	s_mov_b64 s[0:1], -1
                                        ; implicit-def: $vgpr2
.LBB33_1643:
	s_andn2_b64 vcc, exec, s[0:1]
	s_cbranch_vccnz .LBB33_1645
; %bb.1644:
	global_load_dword v2, v[0:1], off
.LBB33_1645:
	s_mov_b64 s[0:1], 0
.LBB33_1646:
	s_andn2_b64 vcc, exec, s[0:1]
	s_cbranch_vccnz .LBB33_1648
; %bb.1647:
	global_load_ushort v2, v[0:1], off
	s_waitcnt vmcnt(0)
	v_cvt_f32_f16_e32 v2, v2
.LBB33_1648:
	s_cbranch_execnz .LBB33_1667
.LBB33_1649:
	s_waitcnt vmcnt(0)
	v_mov_b32_e32 v2, 2
	v_cmp_lt_i16_sdwa s[0:1], v7, v2 src0_sel:BYTE_0 src1_sel:DWORD
	s_and_b64 vcc, exec, s[0:1]
	s_cbranch_vccnz .LBB33_1653
; %bb.1650:
	v_mov_b32_e32 v2, 3
	v_cmp_lt_i16_sdwa s[0:1], v7, v2 src0_sel:BYTE_0 src1_sel:DWORD
	s_and_b64 vcc, exec, s[0:1]
	s_cbranch_vccnz .LBB33_1654
; %bb.1651:
	v_cmp_gt_i16_sdwa s[0:1], v7, v2 src0_sel:BYTE_0 src1_sel:DWORD
	s_and_b64 vcc, exec, s[0:1]
	s_cbranch_vccz .LBB33_1655
; %bb.1652:
	global_load_dwordx2 v[2:3], v[0:1], off
	s_mov_b64 s[0:1], 0
	s_waitcnt vmcnt(0)
	v_xor_b32_e32 v10, v2, v3
	v_ffbh_i32_e32 v9, v3
	v_ashrrev_i32_e32 v10, 31, v10
	v_add_u32_e32 v9, -1, v9
	v_add_u32_e32 v10, 32, v10
	v_min_u32_e32 v9, v9, v10
	v_lshlrev_b64 v[2:3], v9, v[2:3]
	v_min_u32_e32 v2, 1, v2
	v_or_b32_e32 v2, v3, v2
	v_cvt_f32_i32_e32 v2, v2
	v_sub_u32_e32 v3, 32, v9
	v_ldexp_f32 v2, v2, v3
	s_branch .LBB33_1656
.LBB33_1653:
                                        ; implicit-def: $vgpr2
	s_branch .LBB33_1662
.LBB33_1654:
	s_mov_b64 s[0:1], -1
                                        ; implicit-def: $vgpr2
	s_branch .LBB33_1659
.LBB33_1655:
	s_mov_b64 s[0:1], -1
                                        ; implicit-def: $vgpr2
.LBB33_1656:
	s_andn2_b64 vcc, exec, s[0:1]
	s_cbranch_vccnz .LBB33_1658
; %bb.1657:
	global_load_dword v2, v[0:1], off
	s_waitcnt vmcnt(0)
	v_cvt_f32_i32_e32 v2, v2
.LBB33_1658:
	s_mov_b64 s[0:1], 0
.LBB33_1659:
	s_andn2_b64 vcc, exec, s[0:1]
	s_cbranch_vccnz .LBB33_1661
; %bb.1660:
	global_load_sshort v2, v[0:1], off
	s_waitcnt vmcnt(0)
	v_cvt_f32_i32_e32 v2, v2
.LBB33_1661:
	s_cbranch_execnz .LBB33_1667
.LBB33_1662:
	v_mov_b32_e32 v2, 0
	v_cmp_gt_i16_sdwa s[0:1], v7, v2 src0_sel:BYTE_0 src1_sel:DWORD
	s_and_b64 vcc, exec, s[0:1]
	s_cbranch_vccz .LBB33_1664
; %bb.1663:
	global_load_sbyte v2, v[0:1], off
	s_mov_b64 s[0:1], 0
	s_waitcnt vmcnt(0)
	v_cvt_f32_i32_e32 v2, v2
	s_branch .LBB33_1665
.LBB33_1664:
	s_mov_b64 s[0:1], -1
                                        ; implicit-def: $vgpr2
.LBB33_1665:
	s_andn2_b64 vcc, exec, s[0:1]
	s_cbranch_vccnz .LBB33_1667
; %bb.1666:
	global_load_ubyte v0, v[0:1], off
	s_waitcnt vmcnt(0)
	v_cvt_f32_ubyte0_e32 v2, v0
.LBB33_1667:
.LBB33_1668:
	v_mul_lo_u32 v9, s14, v5
	v_ashrrev_i32_e32 v1, 31, v9
	v_mov_b32_e32 v3, s17
	v_add_co_u32_e32 v0, vcc, s16, v9
	v_addc_co_u32_e32 v1, vcc, v3, v1, vcc
	v_mov_b32_e32 v3, 11
	v_cmp_lt_i16_sdwa s[0:1], v6, v3 src0_sel:BYTE_0 src1_sel:DWORD
	s_and_b64 vcc, exec, s[0:1]
	s_cbranch_vccnz .LBB33_1675
; %bb.1669:
	v_mov_b32_e32 v3, 25
	v_cmp_gt_i16_sdwa s[0:1], v6, v3 src0_sel:BYTE_0 src1_sel:DWORD
	s_mov_b64 s[2:3], 0
	s_and_b64 vcc, exec, s[0:1]
	s_cbranch_vccz .LBB33_1677
; %bb.1670:
	v_mov_b32_e32 v3, 28
	v_cmp_gt_i16_sdwa s[0:1], v6, v3 src0_sel:BYTE_0 src1_sel:DWORD
	s_and_b64 vcc, exec, s[0:1]
	s_cbranch_vccz .LBB33_1678
; %bb.1671:
	v_mov_b32_e32 v3, 43
	v_cmp_gt_i16_sdwa s[0:1], v6, v3 src0_sel:BYTE_0 src1_sel:DWORD
	;; [unrolled: 5-line block ×3, first 2 shown]
	s_and_b64 vcc, exec, s[0:1]
	s_cbranch_vccz .LBB33_1681
; %bb.1673:
	v_mov_b32_e32 v3, 46
	v_cmp_eq_u16_sdwa s[0:1], v6, v3 src0_sel:BYTE_0 src1_sel:DWORD
	s_mov_b64 s[18:19], 0
	s_and_b64 vcc, exec, s[0:1]
	s_cbranch_vccz .LBB33_1684
; %bb.1674:
	global_load_dword v3, v[0:1], off
	s_mov_b64 s[0:1], 0
	s_mov_b64 s[4:5], -1
	s_waitcnt vmcnt(0)
	v_lshlrev_b32_e32 v3, 16, v3
	s_branch .LBB33_1685
.LBB33_1675:
	s_mov_b64 s[4:5], 0
                                        ; implicit-def: $vgpr3
	s_cbranch_execnz .LBB33_1750
.LBB33_1676:
	s_andn2_b64 vcc, exec, s[4:5]
	s_cbranch_vccnz .LBB33_3031
	s_branch .LBB33_1797
.LBB33_1677:
	s_mov_b64 s[4:5], 0
	s_mov_b64 s[0:1], 0
                                        ; implicit-def: $vgpr3
	s_cbranch_execnz .LBB33_1714
	s_branch .LBB33_1746
.LBB33_1678:
	s_mov_b64 s[18:19], -1
	s_mov_b64 s[4:5], 0
	s_mov_b64 s[0:1], 0
                                        ; implicit-def: $vgpr3
	s_branch .LBB33_1695
.LBB33_1679:
	s_mov_b64 s[18:19], -1
	s_mov_b64 s[4:5], 0
	s_mov_b64 s[0:1], 0
                                        ; implicit-def: $vgpr3
	s_branch .LBB33_1690
.LBB33_1680:
	s_or_b64 s[22:23], s[20:21], exec
	s_trap 2
                                        ; implicit-def: $vgpr2
	s_cbranch_execz .LBB33_1621
	s_branch .LBB33_1622
.LBB33_1681:
	s_mov_b64 s[18:19], -1
	s_mov_b64 s[4:5], 0
	s_mov_b64 s[0:1], 0
                                        ; implicit-def: $vgpr3
	s_branch .LBB33_1685
.LBB33_1682:
	s_or_saveexec_b64 s[34:35], s[34:35]
                                        ; implicit-def: $sgpr15
	s_xor_b64 exec, exec, s[34:35]
	s_cbranch_execz .LBB33_1468
.LBB33_1683:
	v_add_f32_e32 v4, 0x42800000, v5
	v_and_b32_e32 v4, 0xff, v4
	v_cmp_ne_u32_e32 vcc, 0, v4
	s_andn2_b64 s[30:31], s[30:31], exec
	s_and_b64 s[36:37], vcc, exec
	s_mov_b32 s15, 0
	s_or_b64 s[30:31], s[30:31], s[36:37]
	s_or_b64 exec, exec, s[34:35]
	v_mov_b32_e32 v7, s15
	s_and_saveexec_b64 s[34:35], s[30:31]
	s_cbranch_execnz .LBB33_1469
	s_branch .LBB33_1470
.LBB33_1684:
	s_mov_b64 s[0:1], -1
                                        ; implicit-def: $vgpr3
	s_mov_b64 s[4:5], 0
.LBB33_1685:
	s_and_b64 vcc, exec, s[18:19]
	s_cbranch_vccz .LBB33_1689
; %bb.1686:
	v_mov_b32_e32 v3, 44
	v_cmp_eq_u16_sdwa s[0:1], v6, v3 src0_sel:BYTE_0 src1_sel:DWORD
	s_and_b64 vcc, exec, s[0:1]
	s_cbranch_vccz .LBB33_1688
; %bb.1687:
	global_load_ubyte v3, v[0:1], off
	s_movk_i32 s4, 0xff
	v_mov_b32_e32 v10, 0x7f800001
	v_mov_b32_e32 v11, 0x400000
	s_mov_b64 s[0:1], 0
	s_waitcnt vmcnt(0)
	v_lshlrev_b32_e32 v12, 23, v3
	v_cmp_ne_u32_e32 vcc, s4, v3
	v_cndmask_b32_e32 v10, v10, v12, vcc
	v_cmp_ne_u32_e32 vcc, 0, v3
	v_cndmask_b32_e32 v3, v11, v10, vcc
	s_mov_b64 s[4:5], -1
	s_branch .LBB33_1689
.LBB33_1688:
	s_mov_b64 s[0:1], -1
                                        ; implicit-def: $vgpr3
.LBB33_1689:
	s_mov_b64 s[18:19], 0
.LBB33_1690:
	s_and_b64 vcc, exec, s[18:19]
	s_cbranch_vccz .LBB33_1694
; %bb.1691:
	v_mov_b32_e32 v3, 29
	v_cmp_eq_u16_sdwa s[0:1], v6, v3 src0_sel:BYTE_0 src1_sel:DWORD
	s_and_b64 vcc, exec, s[0:1]
	s_cbranch_vccz .LBB33_1693
; %bb.1692:
	global_load_dwordx2 v[10:11], v[0:1], off
	s_mov_b64 s[0:1], 0
	s_mov_b64 s[4:5], -1
	s_mov_b64 s[18:19], 0
	s_waitcnt vmcnt(0)
	v_ffbh_u32_e32 v3, v11
	v_min_u32_e32 v3, 32, v3
	v_lshlrev_b64 v[10:11], v3, v[10:11]
	v_min_u32_e32 v10, 1, v10
	v_or_b32_e32 v10, v11, v10
	v_cvt_f32_u32_e32 v10, v10
	v_sub_u32_e32 v3, 32, v3
	v_ldexp_f32 v3, v10, v3
	s_branch .LBB33_1695
.LBB33_1693:
	s_mov_b64 s[0:1], -1
                                        ; implicit-def: $vgpr3
.LBB33_1694:
	s_mov_b64 s[18:19], 0
.LBB33_1695:
	s_and_b64 vcc, exec, s[18:19]
	s_cbranch_vccz .LBB33_1713
; %bb.1696:
	v_mov_b32_e32 v3, 27
	v_cmp_lt_i16_sdwa s[4:5], v6, v3 src0_sel:BYTE_0 src1_sel:DWORD
	s_and_b64 vcc, exec, s[4:5]
	s_cbranch_vccnz .LBB33_1699
; %bb.1697:
	v_cmp_gt_i16_sdwa s[4:5], v6, v3 src0_sel:BYTE_0 src1_sel:DWORD
	s_and_b64 vcc, exec, s[4:5]
	s_cbranch_vccz .LBB33_1700
; %bb.1698:
	global_load_dword v3, v[0:1], off
	s_mov_b64 s[4:5], 0
	s_waitcnt vmcnt(0)
	v_cvt_f32_u32_e32 v3, v3
	s_branch .LBB33_1701
.LBB33_1699:
	s_mov_b64 s[4:5], -1
                                        ; implicit-def: $vgpr3
	s_branch .LBB33_1704
.LBB33_1700:
	s_mov_b64 s[4:5], -1
                                        ; implicit-def: $vgpr3
.LBB33_1701:
	s_andn2_b64 vcc, exec, s[4:5]
	s_cbranch_vccnz .LBB33_1703
; %bb.1702:
	global_load_ushort v3, v[0:1], off
	s_waitcnt vmcnt(0)
	v_cvt_f32_u32_e32 v3, v3
.LBB33_1703:
	s_mov_b64 s[4:5], 0
.LBB33_1704:
	s_andn2_b64 vcc, exec, s[4:5]
	s_cbranch_vccnz .LBB33_1712
; %bb.1705:
	global_load_ubyte v10, v[0:1], off
	s_movk_i32 s4, 0x7f
                                        ; implicit-def: $sgpr15
	s_waitcnt vmcnt(0)
	v_cmp_lt_i16_e32 vcc, s4, v10
	s_mov_b64 s[4:5], 0
	s_and_saveexec_b64 s[18:19], vcc
	s_xor_b64 s[18:19], exec, s[18:19]
	s_cbranch_execz .LBB33_1725
; %bb.1706:
	s_movk_i32 s4, 0x80
	v_cmp_eq_u16_e32 vcc, s4, v10
	s_mov_b64 s[4:5], -1
                                        ; implicit-def: $sgpr15
	s_and_saveexec_b64 s[24:25], vcc
; %bb.1707:
	s_mov_b32 s15, 0x7f800001
	s_xor_b64 s[4:5], exec, -1
; %bb.1708:
	s_or_b64 exec, exec, s[24:25]
	s_and_b64 s[4:5], s[4:5], exec
	s_or_saveexec_b64 s[18:19], s[18:19]
	v_mov_b32_e32 v3, s15
	s_xor_b64 exec, exec, s[18:19]
	s_cbranch_execnz .LBB33_1726
.LBB33_1709:
	s_or_b64 exec, exec, s[18:19]
	s_and_saveexec_b64 s[18:19], s[4:5]
	s_cbranch_execz .LBB33_1711
.LBB33_1710:
	v_lshlrev_b32_e32 v3, 24, v10
	v_and_b32_e32 v10, 0xffff, v10
	v_and_b32_e32 v11, 7, v10
	v_ffbh_u32_e32 v13, v11
	v_min_u32_e32 v13, 32, v13
	v_subrev_u32_e32 v14, 28, v13
	v_bfe_u32 v12, v10, 3, 4
	v_lshlrev_b32_e32 v10, v14, v10
	v_sub_u32_e32 v13, 29, v13
	v_and_b32_e32 v10, 7, v10
	v_cmp_eq_u32_e32 vcc, 0, v12
	v_cndmask_b32_e32 v12, v12, v13, vcc
	v_cndmask_b32_e32 v10, v11, v10, vcc
	v_mov_b32_e32 v11, 0x3b800000
	v_lshlrev_b32_e32 v10, 20, v10
	v_and_b32_e32 v3, 0x80000000, v3
	v_lshl_add_u32 v11, v12, 23, v11
	v_or3_b32 v3, v3, v11, v10
.LBB33_1711:
	s_or_b64 exec, exec, s[18:19]
.LBB33_1712:
	s_mov_b64 s[4:5], -1
.LBB33_1713:
	s_branch .LBB33_1746
.LBB33_1714:
	v_mov_b32_e32 v3, 22
	v_cmp_gt_i16_sdwa s[2:3], v6, v3 src0_sel:BYTE_0 src1_sel:DWORD
	s_and_b64 vcc, exec, s[2:3]
	s_cbranch_vccz .LBB33_1724
; %bb.1715:
	v_mov_b32_e32 v3, 24
	v_cmp_lt_i16_sdwa s[2:3], v6, v3 src0_sel:BYTE_0 src1_sel:DWORD
	s_and_b64 vcc, exec, s[2:3]
	s_cbranch_vccnz .LBB33_1727
; %bb.1716:
	v_cmp_gt_i16_sdwa s[2:3], v6, v3 src0_sel:BYTE_0 src1_sel:DWORD
	s_and_b64 vcc, exec, s[2:3]
	s_cbranch_vccz .LBB33_1728
; %bb.1717:
	global_load_ubyte v10, v[0:1], off
	s_movk_i32 s2, 0x7f
                                        ; implicit-def: $sgpr15
	s_waitcnt vmcnt(0)
	v_cmp_lt_i16_e32 vcc, s2, v10
	s_mov_b64 s[2:3], 0
	s_and_saveexec_b64 s[4:5], vcc
	s_xor_b64 s[4:5], exec, s[4:5]
	s_cbranch_execz .LBB33_1740
; %bb.1718:
	s_movk_i32 s2, 0x80
	v_cmp_eq_u16_e32 vcc, s2, v10
	s_mov_b64 s[2:3], -1
                                        ; implicit-def: $sgpr15
	s_and_saveexec_b64 s[18:19], vcc
; %bb.1719:
	s_mov_b32 s15, 0x7f800001
	s_xor_b64 s[2:3], exec, -1
; %bb.1720:
	s_or_b64 exec, exec, s[18:19]
	s_and_b64 s[2:3], s[2:3], exec
	s_or_saveexec_b64 s[4:5], s[4:5]
	v_mov_b32_e32 v3, s15
	s_xor_b64 exec, exec, s[4:5]
	s_cbranch_execnz .LBB33_1741
.LBB33_1721:
	s_or_b64 exec, exec, s[4:5]
	s_and_saveexec_b64 s[4:5], s[2:3]
	s_cbranch_execz .LBB33_1723
.LBB33_1722:
	v_lshlrev_b32_e32 v3, 24, v10
	v_and_b32_e32 v10, 0xffff, v10
	v_and_b32_e32 v11, 3, v10
	v_ffbh_u32_e32 v13, v11
	v_min_u32_e32 v13, 32, v13
	v_subrev_u32_e32 v14, 29, v13
	v_bfe_u32 v12, v10, 2, 5
	v_lshlrev_b32_e32 v10, v14, v10
	v_sub_u32_e32 v13, 30, v13
	v_and_b32_e32 v10, 3, v10
	v_cmp_eq_u32_e32 vcc, 0, v12
	v_cndmask_b32_e32 v12, v12, v13, vcc
	v_cndmask_b32_e32 v10, v11, v10, vcc
	v_mov_b32_e32 v11, 0x37800000
	v_lshlrev_b32_e32 v10, 21, v10
	v_and_b32_e32 v3, 0x80000000, v3
	v_lshl_add_u32 v11, v12, 23, v11
	v_or3_b32 v3, v3, v11, v10
.LBB33_1723:
	s_or_b64 exec, exec, s[4:5]
	s_mov_b64 s[2:3], 0
	s_branch .LBB33_1729
.LBB33_1724:
	s_mov_b64 s[2:3], -1
                                        ; implicit-def: $vgpr3
	s_branch .LBB33_1735
.LBB33_1725:
	s_or_saveexec_b64 s[18:19], s[18:19]
	v_mov_b32_e32 v3, s15
	s_xor_b64 exec, exec, s[18:19]
	s_cbranch_execz .LBB33_1709
.LBB33_1726:
	v_cmp_ne_u16_e32 vcc, 0, v10
	s_andn2_b64 s[4:5], s[4:5], exec
	s_and_b64 s[24:25], vcc, exec
	v_mov_b32_e32 v3, 0
	s_or_b64 s[4:5], s[4:5], s[24:25]
	s_or_b64 exec, exec, s[18:19]
	s_and_saveexec_b64 s[18:19], s[4:5]
	s_cbranch_execnz .LBB33_1710
	s_branch .LBB33_1711
.LBB33_1727:
	s_mov_b64 s[2:3], -1
                                        ; implicit-def: $vgpr3
	s_branch .LBB33_1732
.LBB33_1728:
	s_mov_b64 s[2:3], -1
                                        ; implicit-def: $vgpr3
.LBB33_1729:
	s_and_b64 vcc, exec, s[2:3]
	s_cbranch_vccz .LBB33_1731
; %bb.1730:
	global_load_ubyte v3, v[0:1], off
	s_mov_b32 s2, 0x7f800000
	s_waitcnt vmcnt(0)
	v_lshlrev_b32_e32 v3, 24, v3
	v_and_b32_e32 v10, 0x7f000000, v3
	v_ffbh_u32_e32 v11, v10
	v_min_u32_e32 v11, 32, v11
	v_sub_u32_e64 v11, v11, 4 clamp
	v_lshlrev_b32_e32 v13, v11, v10
	v_lshlrev_b32_e32 v11, 23, v11
	v_lshrrev_b32_e32 v13, 4, v13
	v_add_u32_e32 v12, 0x1000000, v10
	v_sub_u32_e32 v11, v13, v11
	v_ashrrev_i32_e32 v12, 8, v12
	v_add_u32_e32 v11, 0x3c000000, v11
	v_and_or_b32 v11, v12, s2, v11
	v_cmp_ne_u32_e32 vcc, 0, v10
	v_cndmask_b32_e32 v10, 0, v11, vcc
	s_brev_b32 s2, 1
	v_and_or_b32 v3, v3, s2, v10
.LBB33_1731:
	s_mov_b64 s[2:3], 0
.LBB33_1732:
	s_andn2_b64 vcc, exec, s[2:3]
	s_cbranch_vccnz .LBB33_1734
; %bb.1733:
	global_load_ubyte v3, v[0:1], off
	s_movk_i32 s2, 0x7f00
	s_brev_b32 s3, 16
	s_waitcnt vmcnt(0)
	v_lshlrev_b16_e32 v10, 8, v3
	v_lshlrev_b32_e32 v3, 25, v3
	v_lshrrev_b32_e32 v11, 4, v3
	v_and_or_b32 v12, v10, s2, 0.5
	v_or_b32_e32 v11, 0x70000000, v11
	v_add_f32_e32 v12, -0.5, v12
	v_mul_f32_e32 v11, 0x7800000, v11
	v_cmp_gt_u32_e32 vcc, s3, v3
	v_bfe_i32 v10, v10, 0, 16
	v_cndmask_b32_e32 v3, v11, v12, vcc
	s_brev_b32 s2, 1
	v_and_or_b32 v3, v10, s2, v3
.LBB33_1734:
	s_mov_b64 s[2:3], 0
	s_mov_b64 s[4:5], -1
.LBB33_1735:
	s_andn2_b64 vcc, exec, s[2:3]
	s_mov_b64 s[2:3], 0
	s_cbranch_vccnz .LBB33_1746
; %bb.1736:
	v_mov_b32_e32 v3, 14
	v_cmp_gt_i16_sdwa s[2:3], v6, v3 src0_sel:BYTE_0 src1_sel:DWORD
	s_and_b64 vcc, exec, s[2:3]
	s_cbranch_vccz .LBB33_1739
; %bb.1737:
	v_mov_b32_e32 v3, 15
	v_cmp_eq_u16_sdwa s[0:1], v6, v3 src0_sel:BYTE_0 src1_sel:DWORD
	s_and_b64 vcc, exec, s[0:1]
	s_cbranch_vccz .LBB33_1742
; %bb.1738:
	global_load_ushort v3, v[0:1], off
	s_mov_b64 s[0:1], 0
	s_mov_b64 s[4:5], -1
	s_waitcnt vmcnt(0)
	v_lshlrev_b32_e32 v3, 16, v3
	s_branch .LBB33_1743
.LBB33_1739:
	s_mov_b64 s[18:19], -1
                                        ; implicit-def: $vgpr3
	s_branch .LBB33_1744
.LBB33_1740:
	s_or_saveexec_b64 s[4:5], s[4:5]
	v_mov_b32_e32 v3, s15
	s_xor_b64 exec, exec, s[4:5]
	s_cbranch_execz .LBB33_1721
.LBB33_1741:
	v_cmp_ne_u16_e32 vcc, 0, v10
	s_andn2_b64 s[2:3], s[2:3], exec
	s_and_b64 s[18:19], vcc, exec
	v_mov_b32_e32 v3, 0
	s_or_b64 s[2:3], s[2:3], s[18:19]
	s_or_b64 exec, exec, s[4:5]
	s_and_saveexec_b64 s[4:5], s[2:3]
	s_cbranch_execnz .LBB33_1722
	s_branch .LBB33_1723
.LBB33_1742:
	s_mov_b64 s[0:1], -1
                                        ; implicit-def: $vgpr3
.LBB33_1743:
	s_mov_b64 s[18:19], 0
.LBB33_1744:
	s_mov_b64 s[2:3], 0
	s_and_b64 vcc, exec, s[18:19]
	s_cbranch_vccz .LBB33_1746
; %bb.1745:
	v_mov_b32_e32 v3, 11
	v_cmp_ne_u16_sdwa s[0:1], v6, v3 src0_sel:BYTE_0 src1_sel:DWORD
	s_mov_b64 s[2:3], -1
                                        ; implicit-def: $vgpr3
.LBB33_1746:
	s_and_b64 vcc, exec, s[0:1]
	s_cbranch_vccnz .LBB33_1809
; %bb.1747:
	s_andn2_b64 vcc, exec, s[2:3]
	s_cbranch_vccnz .LBB33_1749
.LBB33_1748:
	global_load_ubyte v3, v[0:1], off
	s_mov_b64 s[4:5], -1
	s_waitcnt vmcnt(0)
	v_cmp_ne_u16_e32 vcc, 0, v3
	v_cndmask_b32_e64 v3, 0, 1.0, vcc
.LBB33_1749:
	s_branch .LBB33_1676
.LBB33_1750:
	v_mov_b32_e32 v3, 5
	v_cmp_lt_i16_sdwa s[0:1], v6, v3 src0_sel:BYTE_0 src1_sel:DWORD
	s_and_b64 vcc, exec, s[0:1]
	s_cbranch_vccnz .LBB33_1755
; %bb.1751:
	v_mov_b32_e32 v3, 8
	v_cmp_lt_i16_sdwa s[0:1], v6, v3 src0_sel:BYTE_0 src1_sel:DWORD
	s_and_b64 vcc, exec, s[0:1]
	s_cbranch_vccnz .LBB33_1756
; %bb.1752:
	;; [unrolled: 5-line block ×3, first 2 shown]
	v_cmp_gt_i16_sdwa s[0:1], v6, v3 src0_sel:BYTE_0 src1_sel:DWORD
	s_and_b64 vcc, exec, s[0:1]
	s_cbranch_vccz .LBB33_1758
; %bb.1754:
	global_load_dwordx2 v[10:11], v[0:1], off
	s_mov_b64 s[0:1], 0
	s_waitcnt vmcnt(0)
	v_cvt_f32_f64_e32 v3, v[10:11]
	s_branch .LBB33_1759
.LBB33_1755:
                                        ; implicit-def: $vgpr3
	s_branch .LBB33_1777
.LBB33_1756:
	s_mov_b64 s[0:1], -1
                                        ; implicit-def: $vgpr3
	s_branch .LBB33_1765
.LBB33_1757:
	s_mov_b64 s[0:1], -1
                                        ; implicit-def: $vgpr3
	s_branch .LBB33_1762
.LBB33_1758:
	s_mov_b64 s[0:1], -1
                                        ; implicit-def: $vgpr3
.LBB33_1759:
	s_andn2_b64 vcc, exec, s[0:1]
	s_cbranch_vccnz .LBB33_1761
; %bb.1760:
	global_load_dword v3, v[0:1], off
.LBB33_1761:
	s_mov_b64 s[0:1], 0
.LBB33_1762:
	s_andn2_b64 vcc, exec, s[0:1]
	s_cbranch_vccnz .LBB33_1764
; %bb.1763:
	global_load_dword v3, v[0:1], off
	s_waitcnt vmcnt(0)
	v_cvt_f32_f16_e32 v3, v3
.LBB33_1764:
	s_mov_b64 s[0:1], 0
.LBB33_1765:
	s_andn2_b64 vcc, exec, s[0:1]
	s_cbranch_vccnz .LBB33_1776
; %bb.1766:
	s_waitcnt vmcnt(0)
	v_mov_b32_e32 v3, 6
	v_cmp_lt_i16_sdwa s[0:1], v6, v3 src0_sel:BYTE_0 src1_sel:DWORD
	s_and_b64 vcc, exec, s[0:1]
	s_cbranch_vccnz .LBB33_1769
; %bb.1767:
	v_cmp_gt_i16_sdwa s[0:1], v6, v3 src0_sel:BYTE_0 src1_sel:DWORD
	s_and_b64 vcc, exec, s[0:1]
	s_cbranch_vccz .LBB33_1770
; %bb.1768:
	global_load_dwordx2 v[10:11], v[0:1], off
	s_mov_b64 s[0:1], 0
	s_waitcnt vmcnt(0)
	v_cvt_f32_f64_e32 v3, v[10:11]
	s_branch .LBB33_1771
.LBB33_1769:
	s_mov_b64 s[0:1], -1
                                        ; implicit-def: $vgpr3
	s_branch .LBB33_1774
.LBB33_1770:
	s_mov_b64 s[0:1], -1
                                        ; implicit-def: $vgpr3
.LBB33_1771:
	s_andn2_b64 vcc, exec, s[0:1]
	s_cbranch_vccnz .LBB33_1773
; %bb.1772:
	global_load_dword v3, v[0:1], off
.LBB33_1773:
	s_mov_b64 s[0:1], 0
.LBB33_1774:
	s_andn2_b64 vcc, exec, s[0:1]
	s_cbranch_vccnz .LBB33_1776
; %bb.1775:
	global_load_ushort v3, v[0:1], off
	s_waitcnt vmcnt(0)
	v_cvt_f32_f16_e32 v3, v3
.LBB33_1776:
	s_cbranch_execnz .LBB33_1796
.LBB33_1777:
	s_waitcnt vmcnt(0)
	v_mov_b32_e32 v3, 2
	v_cmp_lt_i16_sdwa s[0:1], v6, v3 src0_sel:BYTE_0 src1_sel:DWORD
	s_and_b64 vcc, exec, s[0:1]
	s_cbranch_vccnz .LBB33_1781
; %bb.1778:
	v_mov_b32_e32 v3, 3
	v_cmp_lt_i16_sdwa s[0:1], v6, v3 src0_sel:BYTE_0 src1_sel:DWORD
	s_and_b64 vcc, exec, s[0:1]
	s_cbranch_vccnz .LBB33_1782
; %bb.1779:
	v_cmp_gt_i16_sdwa s[0:1], v6, v3 src0_sel:BYTE_0 src1_sel:DWORD
	s_and_b64 vcc, exec, s[0:1]
	s_cbranch_vccz .LBB33_1783
; %bb.1780:
	global_load_dwordx2 v[10:11], v[0:1], off
	s_mov_b64 s[0:1], 0
	s_waitcnt vmcnt(0)
	v_xor_b32_e32 v12, v10, v11
	v_ffbh_i32_e32 v3, v11
	v_ashrrev_i32_e32 v12, 31, v12
	v_add_u32_e32 v3, -1, v3
	v_add_u32_e32 v12, 32, v12
	v_min_u32_e32 v3, v3, v12
	v_lshlrev_b64 v[10:11], v3, v[10:11]
	v_min_u32_e32 v10, 1, v10
	v_or_b32_e32 v10, v11, v10
	v_cvt_f32_i32_e32 v10, v10
	v_sub_u32_e32 v3, 32, v3
	v_ldexp_f32 v3, v10, v3
	s_branch .LBB33_1784
.LBB33_1781:
	s_mov_b64 s[0:1], -1
                                        ; implicit-def: $vgpr3
	s_branch .LBB33_1790
.LBB33_1782:
	s_mov_b64 s[0:1], -1
                                        ; implicit-def: $vgpr3
	s_branch .LBB33_1787
.LBB33_1783:
	s_mov_b64 s[0:1], -1
                                        ; implicit-def: $vgpr3
.LBB33_1784:
	s_andn2_b64 vcc, exec, s[0:1]
	s_cbranch_vccnz .LBB33_1786
; %bb.1785:
	global_load_dword v3, v[0:1], off
	s_waitcnt vmcnt(0)
	v_cvt_f32_i32_e32 v3, v3
.LBB33_1786:
	s_mov_b64 s[0:1], 0
.LBB33_1787:
	s_andn2_b64 vcc, exec, s[0:1]
	s_cbranch_vccnz .LBB33_1789
; %bb.1788:
	global_load_sshort v3, v[0:1], off
	s_waitcnt vmcnt(0)
	v_cvt_f32_i32_e32 v3, v3
.LBB33_1789:
	s_mov_b64 s[0:1], 0
.LBB33_1790:
	s_andn2_b64 vcc, exec, s[0:1]
	s_cbranch_vccnz .LBB33_1796
; %bb.1791:
	v_mov_b32_e32 v3, 0
	v_cmp_gt_i16_sdwa s[0:1], v6, v3 src0_sel:BYTE_0 src1_sel:DWORD
	s_and_b64 vcc, exec, s[0:1]
	s_cbranch_vccz .LBB33_1793
; %bb.1792:
	global_load_sbyte v3, v[0:1], off
	s_mov_b64 s[0:1], 0
	s_waitcnt vmcnt(0)
	v_cvt_f32_i32_e32 v3, v3
	s_branch .LBB33_1794
.LBB33_1793:
	s_mov_b64 s[0:1], -1
                                        ; implicit-def: $vgpr3
.LBB33_1794:
	s_andn2_b64 vcc, exec, s[0:1]
	s_cbranch_vccnz .LBB33_1796
; %bb.1795:
	global_load_ubyte v0, v[0:1], off
	s_waitcnt vmcnt(0)
	v_cvt_f32_ubyte0_e32 v3, v0
.LBB33_1796:
.LBB33_1797:
	s_lshl_b32 s13, s13, 7
	v_add_u32_e32 v11, s13, v8
	v_ashrrev_i32_e32 v1, 31, v11
	v_mov_b32_e32 v8, s11
	v_add_co_u32_e32 v0, vcc, s10, v11
	v_addc_co_u32_e32 v1, vcc, v8, v1, vcc
	v_mov_b32_e32 v8, 11
	v_cmp_lt_i16_sdwa s[0:1], v7, v8 src0_sel:BYTE_0 src1_sel:DWORD
	s_and_b64 vcc, exec, s[0:1]
	s_cbranch_vccnz .LBB33_1804
; %bb.1798:
	v_mov_b32_e32 v8, 25
	v_cmp_gt_i16_sdwa s[0:1], v7, v8 src0_sel:BYTE_0 src1_sel:DWORD
	s_mov_b64 s[2:3], 0
	s_and_b64 vcc, exec, s[0:1]
	s_cbranch_vccz .LBB33_1806
; %bb.1799:
	v_mov_b32_e32 v8, 28
	v_cmp_gt_i16_sdwa s[0:1], v7, v8 src0_sel:BYTE_0 src1_sel:DWORD
	s_and_b64 vcc, exec, s[0:1]
	s_cbranch_vccz .LBB33_1807
; %bb.1800:
	v_mov_b32_e32 v8, 43
	v_cmp_gt_i16_sdwa s[0:1], v7, v8 src0_sel:BYTE_0 src1_sel:DWORD
	;; [unrolled: 5-line block ×3, first 2 shown]
	s_and_b64 vcc, exec, s[0:1]
	s_cbranch_vccz .LBB33_1810
; %bb.1802:
	v_mov_b32_e32 v8, 46
	v_cmp_eq_u16_sdwa s[0:1], v7, v8 src0_sel:BYTE_0 src1_sel:DWORD
	s_mov_b64 s[18:19], 0
	s_and_b64 vcc, exec, s[0:1]
	s_cbranch_vccz .LBB33_1811
; %bb.1803:
	global_load_dword v8, v[0:1], off
	s_mov_b64 s[0:1], 0
	s_mov_b64 s[4:5], -1
	s_waitcnt vmcnt(0)
	v_lshlrev_b32_e32 v8, 16, v8
	s_branch .LBB33_1812
.LBB33_1804:
	s_mov_b64 s[4:5], 0
                                        ; implicit-def: $vgpr8
	s_cbranch_execnz .LBB33_1878
.LBB33_1805:
	s_andn2_b64 vcc, exec, s[4:5]
	s_cbranch_vccnz .LBB33_3031
	s_branch .LBB33_1926
.LBB33_1806:
	s_mov_b64 s[18:19], -1
	s_mov_b64 s[4:5], 0
	s_mov_b64 s[0:1], 0
                                        ; implicit-def: $vgpr8
	s_branch .LBB33_1841
.LBB33_1807:
	s_mov_b64 s[18:19], -1
	s_mov_b64 s[4:5], 0
	s_mov_b64 s[0:1], 0
                                        ; implicit-def: $vgpr8
	s_branch .LBB33_1822
.LBB33_1808:
	s_mov_b64 s[18:19], -1
	s_mov_b64 s[4:5], 0
	s_mov_b64 s[0:1], 0
                                        ; implicit-def: $vgpr8
	s_branch .LBB33_1817
.LBB33_1809:
	s_trap 2
	s_or_b64 s[22:23], s[22:23], exec
                                        ; implicit-def: $vgpr3
	s_cbranch_execz .LBB33_1748
	s_branch .LBB33_1749
.LBB33_1810:
	s_mov_b64 s[18:19], -1
	s_mov_b64 s[4:5], 0
	s_mov_b64 s[0:1], 0
                                        ; implicit-def: $vgpr8
	s_branch .LBB33_1812
.LBB33_1811:
	s_mov_b64 s[0:1], -1
                                        ; implicit-def: $vgpr8
	s_mov_b64 s[4:5], 0
.LBB33_1812:
	s_and_b64 vcc, exec, s[18:19]
	s_cbranch_vccz .LBB33_1816
; %bb.1813:
	v_mov_b32_e32 v8, 44
	v_cmp_eq_u16_sdwa s[0:1], v7, v8 src0_sel:BYTE_0 src1_sel:DWORD
	s_and_b64 vcc, exec, s[0:1]
	s_cbranch_vccz .LBB33_1815
; %bb.1814:
	global_load_ubyte v8, v[0:1], off
	s_movk_i32 s4, 0xff
	v_mov_b32_e32 v10, 0x7f800001
	v_mov_b32_e32 v12, 0x400000
	s_mov_b64 s[0:1], 0
	s_waitcnt vmcnt(0)
	v_lshlrev_b32_e32 v13, 23, v8
	v_cmp_ne_u32_e32 vcc, s4, v8
	v_cndmask_b32_e32 v10, v10, v13, vcc
	v_cmp_ne_u32_e32 vcc, 0, v8
	v_cndmask_b32_e32 v8, v12, v10, vcc
	s_mov_b64 s[4:5], -1
	s_branch .LBB33_1816
.LBB33_1815:
	s_mov_b64 s[0:1], -1
                                        ; implicit-def: $vgpr8
.LBB33_1816:
	s_mov_b64 s[18:19], 0
.LBB33_1817:
	s_and_b64 vcc, exec, s[18:19]
	s_cbranch_vccz .LBB33_1821
; %bb.1818:
	v_mov_b32_e32 v8, 29
	v_cmp_eq_u16_sdwa s[0:1], v7, v8 src0_sel:BYTE_0 src1_sel:DWORD
	s_and_b64 vcc, exec, s[0:1]
	s_cbranch_vccz .LBB33_1820
; %bb.1819:
	global_load_dwordx2 v[12:13], v[0:1], off
	s_mov_b64 s[0:1], 0
	s_mov_b64 s[4:5], -1
	s_mov_b64 s[18:19], 0
	s_waitcnt vmcnt(0)
	v_ffbh_u32_e32 v8, v13
	v_min_u32_e32 v8, 32, v8
	v_lshlrev_b64 v[12:13], v8, v[12:13]
	v_min_u32_e32 v10, 1, v12
	v_or_b32_e32 v10, v13, v10
	v_cvt_f32_u32_e32 v10, v10
	v_sub_u32_e32 v8, 32, v8
	v_ldexp_f32 v8, v10, v8
	s_branch .LBB33_1822
.LBB33_1820:
	s_mov_b64 s[0:1], -1
                                        ; implicit-def: $vgpr8
.LBB33_1821:
	s_mov_b64 s[18:19], 0
.LBB33_1822:
	s_and_b64 vcc, exec, s[18:19]
	s_cbranch_vccz .LBB33_1840
; %bb.1823:
	v_mov_b32_e32 v8, 27
	v_cmp_lt_i16_sdwa s[4:5], v7, v8 src0_sel:BYTE_0 src1_sel:DWORD
	s_and_b64 vcc, exec, s[4:5]
	s_cbranch_vccnz .LBB33_1826
; %bb.1824:
	v_cmp_gt_i16_sdwa s[4:5], v7, v8 src0_sel:BYTE_0 src1_sel:DWORD
	s_and_b64 vcc, exec, s[4:5]
	s_cbranch_vccz .LBB33_1827
; %bb.1825:
	global_load_dword v8, v[0:1], off
	s_mov_b64 s[4:5], 0
	s_waitcnt vmcnt(0)
	v_cvt_f32_u32_e32 v8, v8
	s_branch .LBB33_1828
.LBB33_1826:
	s_mov_b64 s[4:5], -1
                                        ; implicit-def: $vgpr8
	s_branch .LBB33_1831
.LBB33_1827:
	s_mov_b64 s[4:5], -1
                                        ; implicit-def: $vgpr8
.LBB33_1828:
	s_andn2_b64 vcc, exec, s[4:5]
	s_cbranch_vccnz .LBB33_1830
; %bb.1829:
	global_load_ushort v8, v[0:1], off
	s_waitcnt vmcnt(0)
	v_cvt_f32_u32_e32 v8, v8
.LBB33_1830:
	s_mov_b64 s[4:5], 0
.LBB33_1831:
	s_andn2_b64 vcc, exec, s[4:5]
	s_cbranch_vccnz .LBB33_1839
; %bb.1832:
	global_load_ubyte v10, v[0:1], off
	s_movk_i32 s4, 0x7f
                                        ; implicit-def: $sgpr15
	s_waitcnt vmcnt(0)
	v_cmp_lt_i16_e32 vcc, s4, v10
	s_mov_b64 s[4:5], 0
	s_and_saveexec_b64 s[18:19], vcc
	s_xor_b64 s[18:19], exec, s[18:19]
	s_cbranch_execz .LBB33_1853
; %bb.1833:
	s_movk_i32 s4, 0x80
	v_cmp_eq_u16_e32 vcc, s4, v10
	s_mov_b64 s[4:5], -1
                                        ; implicit-def: $sgpr15
	s_and_saveexec_b64 s[24:25], vcc
; %bb.1834:
	s_mov_b32 s15, 0x7f800001
	s_xor_b64 s[4:5], exec, -1
; %bb.1835:
	s_or_b64 exec, exec, s[24:25]
	s_and_b64 s[4:5], s[4:5], exec
	s_or_saveexec_b64 s[18:19], s[18:19]
	v_mov_b32_e32 v8, s15
	s_xor_b64 exec, exec, s[18:19]
	s_cbranch_execnz .LBB33_1854
.LBB33_1836:
	s_or_b64 exec, exec, s[18:19]
	s_and_saveexec_b64 s[18:19], s[4:5]
	s_cbranch_execz .LBB33_1838
.LBB33_1837:
	v_lshlrev_b32_e32 v8, 24, v10
	v_and_b32_e32 v10, 0xffff, v10
	v_and_b32_e32 v12, 7, v10
	v_ffbh_u32_e32 v14, v12
	v_min_u32_e32 v14, 32, v14
	v_subrev_u32_e32 v15, 28, v14
	v_bfe_u32 v13, v10, 3, 4
	v_lshlrev_b32_e32 v10, v15, v10
	v_sub_u32_e32 v14, 29, v14
	v_and_b32_e32 v10, 7, v10
	v_cmp_eq_u32_e32 vcc, 0, v13
	v_cndmask_b32_e32 v13, v13, v14, vcc
	v_cndmask_b32_e32 v10, v12, v10, vcc
	v_mov_b32_e32 v12, 0x3b800000
	v_lshlrev_b32_e32 v10, 20, v10
	v_and_b32_e32 v8, 0x80000000, v8
	v_lshl_add_u32 v12, v13, 23, v12
	v_or3_b32 v8, v8, v12, v10
.LBB33_1838:
	s_or_b64 exec, exec, s[18:19]
.LBB33_1839:
	s_mov_b64 s[4:5], -1
.LBB33_1840:
	s_mov_b64 s[18:19], 0
.LBB33_1841:
	s_and_b64 vcc, exec, s[18:19]
	s_cbranch_vccz .LBB33_1874
; %bb.1842:
	v_mov_b32_e32 v8, 22
	v_cmp_gt_i16_sdwa s[2:3], v7, v8 src0_sel:BYTE_0 src1_sel:DWORD
	s_and_b64 vcc, exec, s[2:3]
	s_cbranch_vccz .LBB33_1852
; %bb.1843:
	v_mov_b32_e32 v8, 24
	v_cmp_lt_i16_sdwa s[2:3], v7, v8 src0_sel:BYTE_0 src1_sel:DWORD
	s_and_b64 vcc, exec, s[2:3]
	s_cbranch_vccnz .LBB33_1855
; %bb.1844:
	v_cmp_gt_i16_sdwa s[2:3], v7, v8 src0_sel:BYTE_0 src1_sel:DWORD
	s_and_b64 vcc, exec, s[2:3]
	s_cbranch_vccz .LBB33_1856
; %bb.1845:
	global_load_ubyte v10, v[0:1], off
	s_movk_i32 s2, 0x7f
                                        ; implicit-def: $sgpr15
	s_waitcnt vmcnt(0)
	v_cmp_lt_i16_e32 vcc, s2, v10
	s_mov_b64 s[2:3], 0
	s_and_saveexec_b64 s[4:5], vcc
	s_xor_b64 s[4:5], exec, s[4:5]
	s_cbranch_execz .LBB33_1868
; %bb.1846:
	s_movk_i32 s2, 0x80
	v_cmp_eq_u16_e32 vcc, s2, v10
	s_mov_b64 s[2:3], -1
                                        ; implicit-def: $sgpr15
	s_and_saveexec_b64 s[18:19], vcc
; %bb.1847:
	s_mov_b32 s15, 0x7f800001
	s_xor_b64 s[2:3], exec, -1
; %bb.1848:
	s_or_b64 exec, exec, s[18:19]
	s_and_b64 s[2:3], s[2:3], exec
	s_or_saveexec_b64 s[4:5], s[4:5]
	v_mov_b32_e32 v8, s15
	s_xor_b64 exec, exec, s[4:5]
	s_cbranch_execnz .LBB33_1869
.LBB33_1849:
	s_or_b64 exec, exec, s[4:5]
	s_and_saveexec_b64 s[4:5], s[2:3]
	s_cbranch_execz .LBB33_1851
.LBB33_1850:
	v_lshlrev_b32_e32 v8, 24, v10
	v_and_b32_e32 v10, 0xffff, v10
	v_and_b32_e32 v12, 3, v10
	v_ffbh_u32_e32 v14, v12
	v_min_u32_e32 v14, 32, v14
	v_subrev_u32_e32 v15, 29, v14
	v_bfe_u32 v13, v10, 2, 5
	v_lshlrev_b32_e32 v10, v15, v10
	v_sub_u32_e32 v14, 30, v14
	v_and_b32_e32 v10, 3, v10
	v_cmp_eq_u32_e32 vcc, 0, v13
	v_cndmask_b32_e32 v13, v13, v14, vcc
	v_cndmask_b32_e32 v10, v12, v10, vcc
	v_mov_b32_e32 v12, 0x37800000
	v_lshlrev_b32_e32 v10, 21, v10
	v_and_b32_e32 v8, 0x80000000, v8
	v_lshl_add_u32 v12, v13, 23, v12
	v_or3_b32 v8, v8, v12, v10
.LBB33_1851:
	s_or_b64 exec, exec, s[4:5]
	s_mov_b64 s[2:3], 0
	s_branch .LBB33_1857
.LBB33_1852:
	s_mov_b64 s[2:3], -1
                                        ; implicit-def: $vgpr8
	s_branch .LBB33_1863
.LBB33_1853:
	s_or_saveexec_b64 s[18:19], s[18:19]
	v_mov_b32_e32 v8, s15
	s_xor_b64 exec, exec, s[18:19]
	s_cbranch_execz .LBB33_1836
.LBB33_1854:
	v_cmp_ne_u16_e32 vcc, 0, v10
	s_andn2_b64 s[4:5], s[4:5], exec
	s_and_b64 s[24:25], vcc, exec
	v_mov_b32_e32 v8, 0
	s_or_b64 s[4:5], s[4:5], s[24:25]
	s_or_b64 exec, exec, s[18:19]
	s_and_saveexec_b64 s[18:19], s[4:5]
	s_cbranch_execnz .LBB33_1837
	s_branch .LBB33_1838
.LBB33_1855:
	s_mov_b64 s[2:3], -1
                                        ; implicit-def: $vgpr8
	s_branch .LBB33_1860
.LBB33_1856:
	s_mov_b64 s[2:3], -1
                                        ; implicit-def: $vgpr8
.LBB33_1857:
	s_and_b64 vcc, exec, s[2:3]
	s_cbranch_vccz .LBB33_1859
; %bb.1858:
	global_load_ubyte v8, v[0:1], off
	s_mov_b32 s2, 0x7f800000
	s_waitcnt vmcnt(0)
	v_lshlrev_b32_e32 v8, 24, v8
	v_and_b32_e32 v10, 0x7f000000, v8
	v_ffbh_u32_e32 v12, v10
	v_min_u32_e32 v12, 32, v12
	v_sub_u32_e64 v12, v12, 4 clamp
	v_lshlrev_b32_e32 v14, v12, v10
	v_lshlrev_b32_e32 v12, 23, v12
	v_lshrrev_b32_e32 v14, 4, v14
	v_add_u32_e32 v13, 0x1000000, v10
	v_sub_u32_e32 v12, v14, v12
	v_ashrrev_i32_e32 v13, 8, v13
	v_add_u32_e32 v12, 0x3c000000, v12
	v_and_or_b32 v12, v13, s2, v12
	v_cmp_ne_u32_e32 vcc, 0, v10
	v_cndmask_b32_e32 v10, 0, v12, vcc
	s_brev_b32 s2, 1
	v_and_or_b32 v8, v8, s2, v10
.LBB33_1859:
	s_mov_b64 s[2:3], 0
.LBB33_1860:
	s_andn2_b64 vcc, exec, s[2:3]
	s_cbranch_vccnz .LBB33_1862
; %bb.1861:
	global_load_ubyte v8, v[0:1], off
	s_movk_i32 s2, 0x7f00
	s_brev_b32 s3, 16
	s_waitcnt vmcnt(0)
	v_lshlrev_b16_e32 v10, 8, v8
	v_lshlrev_b32_e32 v8, 25, v8
	v_lshrrev_b32_e32 v12, 4, v8
	v_and_or_b32 v13, v10, s2, 0.5
	v_or_b32_e32 v12, 0x70000000, v12
	v_add_f32_e32 v13, -0.5, v13
	v_mul_f32_e32 v12, 0x7800000, v12
	v_cmp_gt_u32_e32 vcc, s3, v8
	v_bfe_i32 v10, v10, 0, 16
	v_cndmask_b32_e32 v8, v12, v13, vcc
	s_brev_b32 s2, 1
	v_and_or_b32 v8, v10, s2, v8
.LBB33_1862:
	s_mov_b64 s[2:3], 0
	s_mov_b64 s[4:5], -1
.LBB33_1863:
	s_andn2_b64 vcc, exec, s[2:3]
	s_mov_b64 s[2:3], 0
	s_cbranch_vccnz .LBB33_1874
; %bb.1864:
	v_mov_b32_e32 v8, 14
	v_cmp_gt_i16_sdwa s[2:3], v7, v8 src0_sel:BYTE_0 src1_sel:DWORD
	s_and_b64 vcc, exec, s[2:3]
	s_cbranch_vccz .LBB33_1867
; %bb.1865:
	v_mov_b32_e32 v8, 15
	v_cmp_eq_u16_sdwa s[0:1], v7, v8 src0_sel:BYTE_0 src1_sel:DWORD
	s_and_b64 vcc, exec, s[0:1]
	s_cbranch_vccz .LBB33_1870
; %bb.1866:
	global_load_ushort v8, v[0:1], off
	s_mov_b64 s[0:1], 0
	s_mov_b64 s[4:5], -1
	s_waitcnt vmcnt(0)
	v_lshlrev_b32_e32 v8, 16, v8
	s_branch .LBB33_1871
.LBB33_1867:
	s_mov_b64 s[18:19], -1
                                        ; implicit-def: $vgpr8
	s_branch .LBB33_1872
.LBB33_1868:
	s_or_saveexec_b64 s[4:5], s[4:5]
	v_mov_b32_e32 v8, s15
	s_xor_b64 exec, exec, s[4:5]
	s_cbranch_execz .LBB33_1849
.LBB33_1869:
	v_cmp_ne_u16_e32 vcc, 0, v10
	s_andn2_b64 s[2:3], s[2:3], exec
	s_and_b64 s[18:19], vcc, exec
	v_mov_b32_e32 v8, 0
	s_or_b64 s[2:3], s[2:3], s[18:19]
	s_or_b64 exec, exec, s[4:5]
	s_and_saveexec_b64 s[4:5], s[2:3]
	s_cbranch_execnz .LBB33_1850
	s_branch .LBB33_1851
.LBB33_1870:
	s_mov_b64 s[0:1], -1
                                        ; implicit-def: $vgpr8
.LBB33_1871:
	s_mov_b64 s[18:19], 0
.LBB33_1872:
	s_mov_b64 s[2:3], 0
	s_and_b64 vcc, exec, s[18:19]
	s_cbranch_vccz .LBB33_1874
; %bb.1873:
	v_mov_b32_e32 v8, 11
	v_cmp_ne_u16_sdwa s[0:1], v7, v8 src0_sel:BYTE_0 src1_sel:DWORD
	s_mov_b64 s[2:3], -1
                                        ; implicit-def: $vgpr8
.LBB33_1874:
	s_and_b64 vcc, exec, s[0:1]
	s_cbranch_vccnz .LBB33_1937
; %bb.1875:
	s_andn2_b64 vcc, exec, s[2:3]
	s_cbranch_vccnz .LBB33_1877
.LBB33_1876:
	global_load_ubyte v8, v[0:1], off
	s_mov_b64 s[4:5], -1
	s_waitcnt vmcnt(0)
	v_cmp_ne_u16_e32 vcc, 0, v8
	v_cndmask_b32_e64 v8, 0, 1.0, vcc
.LBB33_1877:
	s_branch .LBB33_1805
.LBB33_1878:
	v_mov_b32_e32 v8, 5
	v_cmp_lt_i16_sdwa s[0:1], v7, v8 src0_sel:BYTE_0 src1_sel:DWORD
	s_and_b64 vcc, exec, s[0:1]
	s_cbranch_vccnz .LBB33_1883
; %bb.1879:
	v_mov_b32_e32 v8, 8
	v_cmp_lt_i16_sdwa s[0:1], v7, v8 src0_sel:BYTE_0 src1_sel:DWORD
	s_and_b64 vcc, exec, s[0:1]
	s_cbranch_vccnz .LBB33_1884
; %bb.1880:
	;; [unrolled: 5-line block ×3, first 2 shown]
	v_cmp_gt_i16_sdwa s[0:1], v7, v8 src0_sel:BYTE_0 src1_sel:DWORD
	s_and_b64 vcc, exec, s[0:1]
	s_cbranch_vccz .LBB33_1886
; %bb.1882:
	global_load_dwordx2 v[12:13], v[0:1], off
	s_mov_b64 s[0:1], 0
	s_waitcnt vmcnt(0)
	v_cvt_f32_f64_e32 v8, v[12:13]
	s_branch .LBB33_1887
.LBB33_1883:
	s_mov_b64 s[0:1], -1
                                        ; implicit-def: $vgpr8
	s_branch .LBB33_1905
.LBB33_1884:
	s_mov_b64 s[0:1], -1
                                        ; implicit-def: $vgpr8
	s_branch .LBB33_1893
.LBB33_1885:
	s_mov_b64 s[0:1], -1
                                        ; implicit-def: $vgpr8
	s_branch .LBB33_1890
.LBB33_1886:
	s_mov_b64 s[0:1], -1
                                        ; implicit-def: $vgpr8
.LBB33_1887:
	s_andn2_b64 vcc, exec, s[0:1]
	s_cbranch_vccnz .LBB33_1889
; %bb.1888:
	global_load_dword v8, v[0:1], off
.LBB33_1889:
	s_mov_b64 s[0:1], 0
.LBB33_1890:
	s_andn2_b64 vcc, exec, s[0:1]
	s_cbranch_vccnz .LBB33_1892
; %bb.1891:
	global_load_dword v8, v[0:1], off
	s_waitcnt vmcnt(0)
	v_cvt_f32_f16_e32 v8, v8
.LBB33_1892:
	s_mov_b64 s[0:1], 0
.LBB33_1893:
	s_andn2_b64 vcc, exec, s[0:1]
	s_cbranch_vccnz .LBB33_1904
; %bb.1894:
	s_waitcnt vmcnt(0)
	v_mov_b32_e32 v8, 6
	v_cmp_lt_i16_sdwa s[0:1], v7, v8 src0_sel:BYTE_0 src1_sel:DWORD
	s_and_b64 vcc, exec, s[0:1]
	s_cbranch_vccnz .LBB33_1897
; %bb.1895:
	v_cmp_gt_i16_sdwa s[0:1], v7, v8 src0_sel:BYTE_0 src1_sel:DWORD
	s_and_b64 vcc, exec, s[0:1]
	s_cbranch_vccz .LBB33_1898
; %bb.1896:
	global_load_dwordx2 v[12:13], v[0:1], off
	s_mov_b64 s[0:1], 0
	s_waitcnt vmcnt(0)
	v_cvt_f32_f64_e32 v8, v[12:13]
	s_branch .LBB33_1899
.LBB33_1897:
	s_mov_b64 s[0:1], -1
                                        ; implicit-def: $vgpr8
	s_branch .LBB33_1902
.LBB33_1898:
	s_mov_b64 s[0:1], -1
                                        ; implicit-def: $vgpr8
.LBB33_1899:
	s_andn2_b64 vcc, exec, s[0:1]
	s_cbranch_vccnz .LBB33_1901
; %bb.1900:
	global_load_dword v8, v[0:1], off
.LBB33_1901:
	s_mov_b64 s[0:1], 0
.LBB33_1902:
	s_andn2_b64 vcc, exec, s[0:1]
	s_cbranch_vccnz .LBB33_1904
; %bb.1903:
	global_load_ushort v8, v[0:1], off
	s_waitcnt vmcnt(0)
	v_cvt_f32_f16_e32 v8, v8
.LBB33_1904:
	s_mov_b64 s[0:1], 0
.LBB33_1905:
	s_andn2_b64 vcc, exec, s[0:1]
	s_cbranch_vccnz .LBB33_1925
; %bb.1906:
	s_waitcnt vmcnt(0)
	v_mov_b32_e32 v8, 2
	v_cmp_lt_i16_sdwa s[0:1], v7, v8 src0_sel:BYTE_0 src1_sel:DWORD
	s_and_b64 vcc, exec, s[0:1]
	s_cbranch_vccnz .LBB33_1910
; %bb.1907:
	v_mov_b32_e32 v8, 3
	v_cmp_lt_i16_sdwa s[0:1], v7, v8 src0_sel:BYTE_0 src1_sel:DWORD
	s_and_b64 vcc, exec, s[0:1]
	s_cbranch_vccnz .LBB33_1911
; %bb.1908:
	v_cmp_gt_i16_sdwa s[0:1], v7, v8 src0_sel:BYTE_0 src1_sel:DWORD
	s_and_b64 vcc, exec, s[0:1]
	s_cbranch_vccz .LBB33_1912
; %bb.1909:
	global_load_dwordx2 v[12:13], v[0:1], off
	s_mov_b64 s[0:1], 0
	s_waitcnt vmcnt(0)
	v_xor_b32_e32 v10, v12, v13
	v_ffbh_i32_e32 v8, v13
	v_ashrrev_i32_e32 v10, 31, v10
	v_add_u32_e32 v8, -1, v8
	v_add_u32_e32 v10, 32, v10
	v_min_u32_e32 v8, v8, v10
	v_lshlrev_b64 v[12:13], v8, v[12:13]
	v_min_u32_e32 v10, 1, v12
	v_or_b32_e32 v10, v13, v10
	v_cvt_f32_i32_e32 v10, v10
	v_sub_u32_e32 v8, 32, v8
	v_ldexp_f32 v8, v10, v8
	s_branch .LBB33_1913
.LBB33_1910:
	s_mov_b64 s[0:1], -1
                                        ; implicit-def: $vgpr8
	s_branch .LBB33_1919
.LBB33_1911:
	s_mov_b64 s[0:1], -1
                                        ; implicit-def: $vgpr8
	s_branch .LBB33_1916
.LBB33_1912:
	s_mov_b64 s[0:1], -1
                                        ; implicit-def: $vgpr8
.LBB33_1913:
	s_andn2_b64 vcc, exec, s[0:1]
	s_cbranch_vccnz .LBB33_1915
; %bb.1914:
	global_load_dword v8, v[0:1], off
	s_waitcnt vmcnt(0)
	v_cvt_f32_i32_e32 v8, v8
.LBB33_1915:
	s_mov_b64 s[0:1], 0
.LBB33_1916:
	s_andn2_b64 vcc, exec, s[0:1]
	s_cbranch_vccnz .LBB33_1918
; %bb.1917:
	global_load_sshort v8, v[0:1], off
	s_waitcnt vmcnt(0)
	v_cvt_f32_i32_e32 v8, v8
.LBB33_1918:
	s_mov_b64 s[0:1], 0
.LBB33_1919:
	s_andn2_b64 vcc, exec, s[0:1]
	s_cbranch_vccnz .LBB33_1925
; %bb.1920:
	v_mov_b32_e32 v8, 0
	v_cmp_gt_i16_sdwa s[0:1], v7, v8 src0_sel:BYTE_0 src1_sel:DWORD
	s_and_b64 vcc, exec, s[0:1]
	s_cbranch_vccz .LBB33_1922
; %bb.1921:
	global_load_sbyte v8, v[0:1], off
	s_mov_b64 s[0:1], 0
	s_waitcnt vmcnt(0)
	v_cvt_f32_i32_e32 v8, v8
	s_branch .LBB33_1923
.LBB33_1922:
	s_mov_b64 s[0:1], -1
                                        ; implicit-def: $vgpr8
.LBB33_1923:
	s_andn2_b64 vcc, exec, s[0:1]
	s_cbranch_vccnz .LBB33_1925
; %bb.1924:
	global_load_ubyte v0, v[0:1], off
	s_waitcnt vmcnt(0)
	v_cvt_f32_ubyte0_e32 v8, v0
.LBB33_1925:
.LBB33_1926:
	s_lshl_b32 s24, s14, 7
	v_add_u32_e32 v12, s24, v9
	v_ashrrev_i32_e32 v1, 31, v12
	v_mov_b32_e32 v9, s17
	v_add_co_u32_e32 v0, vcc, s16, v12
	v_addc_co_u32_e32 v1, vcc, v9, v1, vcc
	v_mov_b32_e32 v9, 11
	v_cmp_lt_i16_sdwa s[0:1], v6, v9 src0_sel:BYTE_0 src1_sel:DWORD
	s_and_b64 vcc, exec, s[0:1]
	s_cbranch_vccnz .LBB33_1933
; %bb.1927:
	v_mov_b32_e32 v9, 25
	v_cmp_gt_i16_sdwa s[0:1], v6, v9 src0_sel:BYTE_0 src1_sel:DWORD
	s_mov_b64 s[2:3], 0
	s_and_b64 vcc, exec, s[0:1]
	s_cbranch_vccz .LBB33_1934
; %bb.1928:
	v_mov_b32_e32 v9, 28
	v_cmp_gt_i16_sdwa s[0:1], v6, v9 src0_sel:BYTE_0 src1_sel:DWORD
	s_and_b64 vcc, exec, s[0:1]
	s_cbranch_vccz .LBB33_1935
; %bb.1929:
	v_mov_b32_e32 v9, 43
	v_cmp_gt_i16_sdwa s[0:1], v6, v9 src0_sel:BYTE_0 src1_sel:DWORD
	;; [unrolled: 5-line block ×3, first 2 shown]
	s_and_b64 vcc, exec, s[0:1]
	s_cbranch_vccz .LBB33_1938
; %bb.1931:
	v_mov_b32_e32 v9, 46
	v_cmp_eq_u16_sdwa s[0:1], v6, v9 src0_sel:BYTE_0 src1_sel:DWORD
	s_mov_b64 s[14:15], 0
	s_and_b64 vcc, exec, s[0:1]
	s_cbranch_vccz .LBB33_1939
; %bb.1932:
	global_load_dword v9, v[0:1], off
	s_mov_b64 s[0:1], 0
	s_mov_b64 s[4:5], -1
	s_waitcnt vmcnt(0)
	v_lshlrev_b32_e32 v10, 16, v9
	s_branch .LBB33_1940
.LBB33_1933:
	s_mov_b64 s[0:1], -1
	s_mov_b64 s[4:5], 0
                                        ; implicit-def: $vgpr10
	s_branch .LBB33_2006
.LBB33_1934:
	s_mov_b64 s[14:15], -1
	s_mov_b64 s[4:5], 0
	s_mov_b64 s[0:1], 0
                                        ; implicit-def: $vgpr10
	s_branch .LBB33_1969
.LBB33_1935:
	s_mov_b64 s[14:15], -1
	s_mov_b64 s[4:5], 0
	s_mov_b64 s[0:1], 0
                                        ; implicit-def: $vgpr10
	s_branch .LBB33_1950
.LBB33_1936:
	s_mov_b64 s[14:15], -1
	s_mov_b64 s[4:5], 0
	s_mov_b64 s[0:1], 0
                                        ; implicit-def: $vgpr10
	s_branch .LBB33_1945
.LBB33_1937:
	s_trap 2
	s_or_b64 s[22:23], s[22:23], exec
                                        ; implicit-def: $vgpr8
	s_cbranch_execz .LBB33_1876
	s_branch .LBB33_1877
.LBB33_1938:
	s_mov_b64 s[14:15], -1
	s_mov_b64 s[4:5], 0
	s_mov_b64 s[0:1], 0
                                        ; implicit-def: $vgpr10
	s_branch .LBB33_1940
.LBB33_1939:
	s_mov_b64 s[0:1], -1
                                        ; implicit-def: $vgpr10
	s_mov_b64 s[4:5], 0
.LBB33_1940:
	s_and_b64 vcc, exec, s[14:15]
	s_cbranch_vccz .LBB33_1944
; %bb.1941:
	v_mov_b32_e32 v9, 44
	v_cmp_eq_u16_sdwa s[0:1], v6, v9 src0_sel:BYTE_0 src1_sel:DWORD
	s_and_b64 vcc, exec, s[0:1]
	s_cbranch_vccz .LBB33_1943
; %bb.1942:
	global_load_ubyte v9, v[0:1], off
	s_movk_i32 s4, 0xff
	v_mov_b32_e32 v10, 0x7f800001
	v_mov_b32_e32 v13, 0x400000
	s_mov_b64 s[0:1], 0
	s_waitcnt vmcnt(0)
	v_lshlrev_b32_e32 v14, 23, v9
	v_cmp_ne_u32_e32 vcc, s4, v9
	v_cndmask_b32_e32 v10, v10, v14, vcc
	v_cmp_ne_u32_e32 vcc, 0, v9
	v_cndmask_b32_e32 v10, v13, v10, vcc
	s_mov_b64 s[4:5], -1
	s_branch .LBB33_1944
.LBB33_1943:
	s_mov_b64 s[0:1], -1
                                        ; implicit-def: $vgpr10
.LBB33_1944:
	s_mov_b64 s[14:15], 0
.LBB33_1945:
	s_and_b64 vcc, exec, s[14:15]
	s_cbranch_vccz .LBB33_1949
; %bb.1946:
	v_mov_b32_e32 v9, 29
	v_cmp_eq_u16_sdwa s[0:1], v6, v9 src0_sel:BYTE_0 src1_sel:DWORD
	s_and_b64 vcc, exec, s[0:1]
	s_cbranch_vccz .LBB33_1948
; %bb.1947:
	global_load_dwordx2 v[14:15], v[0:1], off
	s_mov_b64 s[0:1], 0
	s_mov_b64 s[4:5], -1
	s_mov_b64 s[14:15], 0
	s_waitcnt vmcnt(0)
	v_ffbh_u32_e32 v9, v15
	v_min_u32_e32 v9, 32, v9
	v_lshlrev_b64 v[14:15], v9, v[14:15]
	v_min_u32_e32 v10, 1, v14
	v_or_b32_e32 v10, v15, v10
	v_cvt_f32_u32_e32 v10, v10
	v_sub_u32_e32 v9, 32, v9
	v_ldexp_f32 v10, v10, v9
	s_branch .LBB33_1950
.LBB33_1948:
	s_mov_b64 s[0:1], -1
                                        ; implicit-def: $vgpr10
.LBB33_1949:
	s_mov_b64 s[14:15], 0
.LBB33_1950:
	s_and_b64 vcc, exec, s[14:15]
	s_cbranch_vccz .LBB33_1968
; %bb.1951:
	v_mov_b32_e32 v9, 27
	v_cmp_lt_i16_sdwa s[4:5], v6, v9 src0_sel:BYTE_0 src1_sel:DWORD
	s_and_b64 vcc, exec, s[4:5]
	s_cbranch_vccnz .LBB33_1954
; %bb.1952:
	v_cmp_gt_i16_sdwa s[4:5], v6, v9 src0_sel:BYTE_0 src1_sel:DWORD
	s_and_b64 vcc, exec, s[4:5]
	s_cbranch_vccz .LBB33_1955
; %bb.1953:
	global_load_dword v9, v[0:1], off
	s_mov_b64 s[4:5], 0
	s_waitcnt vmcnt(0)
	v_cvt_f32_u32_e32 v10, v9
	s_branch .LBB33_1956
.LBB33_1954:
	s_mov_b64 s[4:5], -1
                                        ; implicit-def: $vgpr10
	s_branch .LBB33_1959
.LBB33_1955:
	s_mov_b64 s[4:5], -1
                                        ; implicit-def: $vgpr10
.LBB33_1956:
	s_andn2_b64 vcc, exec, s[4:5]
	s_cbranch_vccnz .LBB33_1958
; %bb.1957:
	global_load_ushort v9, v[0:1], off
	s_waitcnt vmcnt(0)
	v_cvt_f32_u32_e32 v10, v9
.LBB33_1958:
	s_mov_b64 s[4:5], 0
.LBB33_1959:
	s_andn2_b64 vcc, exec, s[4:5]
	s_cbranch_vccnz .LBB33_1967
; %bb.1960:
	global_load_ubyte v9, v[0:1], off
	s_movk_i32 s4, 0x7f
                                        ; implicit-def: $sgpr25
	s_waitcnt vmcnt(0)
	v_cmp_lt_i16_e32 vcc, s4, v9
	s_mov_b64 s[4:5], 0
	s_and_saveexec_b64 s[14:15], vcc
	s_xor_b64 s[14:15], exec, s[14:15]
	s_cbranch_execz .LBB33_1981
; %bb.1961:
	s_movk_i32 s4, 0x80
	v_cmp_eq_u16_e32 vcc, s4, v9
	s_mov_b64 s[4:5], -1
                                        ; implicit-def: $sgpr25
	s_and_saveexec_b64 s[18:19], vcc
; %bb.1962:
	s_mov_b32 s25, 0x7f800001
	s_xor_b64 s[4:5], exec, -1
; %bb.1963:
	s_or_b64 exec, exec, s[18:19]
	s_and_b64 s[4:5], s[4:5], exec
	s_or_saveexec_b64 s[14:15], s[14:15]
	v_mov_b32_e32 v10, s25
	s_xor_b64 exec, exec, s[14:15]
	s_cbranch_execnz .LBB33_1982
.LBB33_1964:
	s_or_b64 exec, exec, s[14:15]
	s_and_saveexec_b64 s[14:15], s[4:5]
	s_cbranch_execz .LBB33_1966
.LBB33_1965:
	v_lshlrev_b32_e32 v10, 24, v9
	v_and_b32_e32 v9, 0xffff, v9
	v_and_b32_e32 v13, 7, v9
	v_ffbh_u32_e32 v15, v13
	v_min_u32_e32 v15, 32, v15
	v_subrev_u32_e32 v16, 28, v15
	v_bfe_u32 v14, v9, 3, 4
	v_lshlrev_b32_e32 v9, v16, v9
	v_sub_u32_e32 v15, 29, v15
	v_and_b32_e32 v9, 7, v9
	v_cmp_eq_u32_e32 vcc, 0, v14
	v_cndmask_b32_e32 v14, v14, v15, vcc
	v_cndmask_b32_e32 v9, v13, v9, vcc
	v_mov_b32_e32 v13, 0x3b800000
	v_lshlrev_b32_e32 v9, 20, v9
	v_and_b32_e32 v10, 0x80000000, v10
	v_lshl_add_u32 v13, v14, 23, v13
	v_or3_b32 v10, v10, v13, v9
.LBB33_1966:
	s_or_b64 exec, exec, s[14:15]
.LBB33_1967:
	s_mov_b64 s[4:5], -1
.LBB33_1968:
	s_mov_b64 s[14:15], 0
.LBB33_1969:
	s_and_b64 vcc, exec, s[14:15]
	s_cbranch_vccz .LBB33_2002
; %bb.1970:
	v_mov_b32_e32 v9, 22
	v_cmp_gt_i16_sdwa s[2:3], v6, v9 src0_sel:BYTE_0 src1_sel:DWORD
	s_and_b64 vcc, exec, s[2:3]
	s_cbranch_vccz .LBB33_1980
; %bb.1971:
	v_mov_b32_e32 v9, 24
	v_cmp_lt_i16_sdwa s[2:3], v6, v9 src0_sel:BYTE_0 src1_sel:DWORD
	s_and_b64 vcc, exec, s[2:3]
	s_cbranch_vccnz .LBB33_1983
; %bb.1972:
	v_cmp_gt_i16_sdwa s[2:3], v6, v9 src0_sel:BYTE_0 src1_sel:DWORD
	s_and_b64 vcc, exec, s[2:3]
	s_cbranch_vccz .LBB33_1984
; %bb.1973:
	global_load_ubyte v9, v[0:1], off
	s_movk_i32 s2, 0x7f
                                        ; implicit-def: $sgpr18
	s_waitcnt vmcnt(0)
	v_cmp_lt_i16_e32 vcc, s2, v9
	s_mov_b64 s[2:3], 0
	s_and_saveexec_b64 s[4:5], vcc
	s_xor_b64 s[4:5], exec, s[4:5]
	s_cbranch_execz .LBB33_1996
; %bb.1974:
	s_movk_i32 s2, 0x80
	v_cmp_eq_u16_e32 vcc, s2, v9
	s_mov_b64 s[2:3], -1
                                        ; implicit-def: $sgpr18
	s_and_saveexec_b64 s[14:15], vcc
; %bb.1975:
	s_mov_b32 s18, 0x7f800001
	s_xor_b64 s[2:3], exec, -1
; %bb.1976:
	s_or_b64 exec, exec, s[14:15]
	s_and_b64 s[2:3], s[2:3], exec
	s_or_saveexec_b64 s[4:5], s[4:5]
	v_mov_b32_e32 v10, s18
	s_xor_b64 exec, exec, s[4:5]
	s_cbranch_execnz .LBB33_1997
.LBB33_1977:
	s_or_b64 exec, exec, s[4:5]
	s_and_saveexec_b64 s[4:5], s[2:3]
	s_cbranch_execz .LBB33_1979
.LBB33_1978:
	v_lshlrev_b32_e32 v10, 24, v9
	v_and_b32_e32 v9, 0xffff, v9
	v_and_b32_e32 v13, 3, v9
	v_ffbh_u32_e32 v15, v13
	v_min_u32_e32 v15, 32, v15
	v_subrev_u32_e32 v16, 29, v15
	v_bfe_u32 v14, v9, 2, 5
	v_lshlrev_b32_e32 v9, v16, v9
	v_sub_u32_e32 v15, 30, v15
	v_and_b32_e32 v9, 3, v9
	v_cmp_eq_u32_e32 vcc, 0, v14
	v_cndmask_b32_e32 v14, v14, v15, vcc
	v_cndmask_b32_e32 v9, v13, v9, vcc
	v_mov_b32_e32 v13, 0x37800000
	v_lshlrev_b32_e32 v9, 21, v9
	v_and_b32_e32 v10, 0x80000000, v10
	v_lshl_add_u32 v13, v14, 23, v13
	v_or3_b32 v10, v10, v13, v9
.LBB33_1979:
	s_or_b64 exec, exec, s[4:5]
	s_mov_b64 s[2:3], 0
	s_branch .LBB33_1985
.LBB33_1980:
	s_mov_b64 s[2:3], -1
                                        ; implicit-def: $vgpr10
	s_branch .LBB33_1991
.LBB33_1981:
	s_or_saveexec_b64 s[14:15], s[14:15]
	v_mov_b32_e32 v10, s25
	s_xor_b64 exec, exec, s[14:15]
	s_cbranch_execz .LBB33_1964
.LBB33_1982:
	v_cmp_ne_u16_e32 vcc, 0, v9
	s_andn2_b64 s[4:5], s[4:5], exec
	s_and_b64 s[18:19], vcc, exec
	v_mov_b32_e32 v10, 0
	s_or_b64 s[4:5], s[4:5], s[18:19]
	s_or_b64 exec, exec, s[14:15]
	s_and_saveexec_b64 s[14:15], s[4:5]
	s_cbranch_execnz .LBB33_1965
	s_branch .LBB33_1966
.LBB33_1983:
	s_mov_b64 s[2:3], -1
                                        ; implicit-def: $vgpr10
	s_branch .LBB33_1988
.LBB33_1984:
	s_mov_b64 s[2:3], -1
                                        ; implicit-def: $vgpr10
.LBB33_1985:
	s_and_b64 vcc, exec, s[2:3]
	s_cbranch_vccz .LBB33_1987
; %bb.1986:
	global_load_ubyte v9, v[0:1], off
	s_mov_b32 s2, 0x7f800000
	s_waitcnt vmcnt(0)
	v_lshlrev_b32_e32 v9, 24, v9
	v_and_b32_e32 v10, 0x7f000000, v9
	v_ffbh_u32_e32 v13, v10
	v_min_u32_e32 v13, 32, v13
	v_sub_u32_e64 v13, v13, 4 clamp
	v_lshlrev_b32_e32 v15, v13, v10
	v_lshlrev_b32_e32 v13, 23, v13
	v_lshrrev_b32_e32 v15, 4, v15
	v_add_u32_e32 v14, 0x1000000, v10
	v_sub_u32_e32 v13, v15, v13
	v_ashrrev_i32_e32 v14, 8, v14
	v_add_u32_e32 v13, 0x3c000000, v13
	v_and_or_b32 v13, v14, s2, v13
	v_cmp_ne_u32_e32 vcc, 0, v10
	v_cndmask_b32_e32 v10, 0, v13, vcc
	s_brev_b32 s2, 1
	v_and_or_b32 v10, v9, s2, v10
.LBB33_1987:
	s_mov_b64 s[2:3], 0
.LBB33_1988:
	s_andn2_b64 vcc, exec, s[2:3]
	s_cbranch_vccnz .LBB33_1990
; %bb.1989:
	global_load_ubyte v9, v[0:1], off
	s_movk_i32 s2, 0x7f00
	s_brev_b32 s3, 16
	s_waitcnt vmcnt(0)
	v_lshlrev_b16_e32 v10, 8, v9
	v_lshlrev_b32_e32 v9, 25, v9
	v_lshrrev_b32_e32 v13, 4, v9
	v_and_or_b32 v14, v10, s2, 0.5
	v_or_b32_e32 v13, 0x70000000, v13
	v_add_f32_e32 v14, -0.5, v14
	v_mul_f32_e32 v13, 0x7800000, v13
	v_cmp_gt_u32_e32 vcc, s3, v9
	v_bfe_i32 v10, v10, 0, 16
	v_cndmask_b32_e32 v9, v13, v14, vcc
	s_brev_b32 s2, 1
	v_and_or_b32 v10, v10, s2, v9
.LBB33_1990:
	s_mov_b64 s[2:3], 0
	s_mov_b64 s[4:5], -1
.LBB33_1991:
	s_andn2_b64 vcc, exec, s[2:3]
	s_mov_b64 s[2:3], 0
	s_cbranch_vccnz .LBB33_2002
; %bb.1992:
	v_mov_b32_e32 v9, 14
	v_cmp_gt_i16_sdwa s[2:3], v6, v9 src0_sel:BYTE_0 src1_sel:DWORD
	s_and_b64 vcc, exec, s[2:3]
	s_cbranch_vccz .LBB33_1995
; %bb.1993:
	v_mov_b32_e32 v9, 15
	v_cmp_eq_u16_sdwa s[0:1], v6, v9 src0_sel:BYTE_0 src1_sel:DWORD
	s_and_b64 vcc, exec, s[0:1]
	s_cbranch_vccz .LBB33_1998
; %bb.1994:
	global_load_ushort v9, v[0:1], off
	s_mov_b64 s[0:1], 0
	s_mov_b64 s[4:5], -1
	s_waitcnt vmcnt(0)
	v_lshlrev_b32_e32 v10, 16, v9
	s_branch .LBB33_1999
.LBB33_1995:
	s_mov_b64 s[14:15], -1
                                        ; implicit-def: $vgpr10
	s_branch .LBB33_2000
.LBB33_1996:
	s_or_saveexec_b64 s[4:5], s[4:5]
	v_mov_b32_e32 v10, s18
	s_xor_b64 exec, exec, s[4:5]
	s_cbranch_execz .LBB33_1977
.LBB33_1997:
	v_cmp_ne_u16_e32 vcc, 0, v9
	s_andn2_b64 s[2:3], s[2:3], exec
	s_and_b64 s[14:15], vcc, exec
	v_mov_b32_e32 v10, 0
	s_or_b64 s[2:3], s[2:3], s[14:15]
	s_or_b64 exec, exec, s[4:5]
	s_and_saveexec_b64 s[4:5], s[2:3]
	s_cbranch_execnz .LBB33_1978
	s_branch .LBB33_1979
.LBB33_1998:
	s_mov_b64 s[0:1], -1
                                        ; implicit-def: $vgpr10
.LBB33_1999:
	s_mov_b64 s[14:15], 0
.LBB33_2000:
	s_mov_b64 s[2:3], 0
	s_and_b64 vcc, exec, s[14:15]
	s_cbranch_vccz .LBB33_2002
; %bb.2001:
	v_mov_b32_e32 v9, 11
	v_cmp_ne_u16_sdwa s[0:1], v6, v9 src0_sel:BYTE_0 src1_sel:DWORD
	s_mov_b64 s[2:3], -1
                                        ; implicit-def: $vgpr10
.LBB33_2002:
	s_and_b64 vcc, exec, s[0:1]
	s_cbranch_vccnz .LBB33_2067
; %bb.2003:
	s_andn2_b64 vcc, exec, s[2:3]
	s_cbranch_vccnz .LBB33_2005
.LBB33_2004:
	global_load_ubyte v9, v[0:1], off
	s_mov_b64 s[4:5], -1
	s_waitcnt vmcnt(0)
	v_cmp_ne_u16_e32 vcc, 0, v9
	v_cndmask_b32_e64 v10, 0, 1.0, vcc
.LBB33_2005:
	s_mov_b64 s[0:1], 0
.LBB33_2006:
	s_and_b64 vcc, exec, s[0:1]
	s_cbranch_vccz .LBB33_2055
; %bb.2007:
	v_mov_b32_e32 v9, 5
	v_cmp_lt_i16_sdwa s[0:1], v6, v9 src0_sel:BYTE_0 src1_sel:DWORD
	s_and_b64 vcc, exec, s[0:1]
	s_cbranch_vccnz .LBB33_2012
; %bb.2008:
	v_mov_b32_e32 v9, 8
	v_cmp_lt_i16_sdwa s[0:1], v6, v9 src0_sel:BYTE_0 src1_sel:DWORD
	s_and_b64 vcc, exec, s[0:1]
	s_cbranch_vccnz .LBB33_2013
	;; [unrolled: 5-line block ×3, first 2 shown]
; %bb.2010:
	v_cmp_gt_i16_sdwa s[0:1], v6, v9 src0_sel:BYTE_0 src1_sel:DWORD
	s_and_b64 vcc, exec, s[0:1]
	s_cbranch_vccz .LBB33_2015
; %bb.2011:
	global_load_dwordx2 v[14:15], v[0:1], off
	s_mov_b64 s[0:1], 0
	s_waitcnt vmcnt(0)
	v_cvt_f32_f64_e32 v10, v[14:15]
	s_branch .LBB33_2016
.LBB33_2012:
	s_mov_b64 s[0:1], -1
                                        ; implicit-def: $vgpr10
	s_branch .LBB33_2034
.LBB33_2013:
	s_mov_b64 s[0:1], -1
                                        ; implicit-def: $vgpr10
	s_branch .LBB33_2022
.LBB33_2014:
	s_mov_b64 s[0:1], -1
                                        ; implicit-def: $vgpr10
	s_branch .LBB33_2019
.LBB33_2015:
	s_mov_b64 s[0:1], -1
                                        ; implicit-def: $vgpr10
.LBB33_2016:
	s_andn2_b64 vcc, exec, s[0:1]
	s_cbranch_vccnz .LBB33_2018
; %bb.2017:
	global_load_dword v10, v[0:1], off
.LBB33_2018:
	s_mov_b64 s[0:1], 0
.LBB33_2019:
	s_andn2_b64 vcc, exec, s[0:1]
	s_cbranch_vccnz .LBB33_2021
; %bb.2020:
	global_load_dword v9, v[0:1], off
	s_waitcnt vmcnt(0)
	v_cvt_f32_f16_e32 v10, v9
.LBB33_2021:
	s_mov_b64 s[0:1], 0
.LBB33_2022:
	s_andn2_b64 vcc, exec, s[0:1]
	s_cbranch_vccnz .LBB33_2033
; %bb.2023:
	v_mov_b32_e32 v9, 6
	v_cmp_lt_i16_sdwa s[0:1], v6, v9 src0_sel:BYTE_0 src1_sel:DWORD
	s_and_b64 vcc, exec, s[0:1]
	s_cbranch_vccnz .LBB33_2026
; %bb.2024:
	v_cmp_gt_i16_sdwa s[0:1], v6, v9 src0_sel:BYTE_0 src1_sel:DWORD
	s_and_b64 vcc, exec, s[0:1]
	s_cbranch_vccz .LBB33_2027
; %bb.2025:
	global_load_dwordx2 v[14:15], v[0:1], off
	s_mov_b64 s[0:1], 0
	s_waitcnt vmcnt(0)
	v_cvt_f32_f64_e32 v10, v[14:15]
	s_branch .LBB33_2028
.LBB33_2026:
	s_mov_b64 s[0:1], -1
                                        ; implicit-def: $vgpr10
	s_branch .LBB33_2031
.LBB33_2027:
	s_mov_b64 s[0:1], -1
                                        ; implicit-def: $vgpr10
.LBB33_2028:
	s_andn2_b64 vcc, exec, s[0:1]
	s_cbranch_vccnz .LBB33_2030
; %bb.2029:
	global_load_dword v10, v[0:1], off
.LBB33_2030:
	s_mov_b64 s[0:1], 0
.LBB33_2031:
	s_andn2_b64 vcc, exec, s[0:1]
	s_cbranch_vccnz .LBB33_2033
; %bb.2032:
	global_load_ushort v9, v[0:1], off
	s_waitcnt vmcnt(0)
	v_cvt_f32_f16_e32 v10, v9
.LBB33_2033:
	s_mov_b64 s[0:1], 0
.LBB33_2034:
	s_andn2_b64 vcc, exec, s[0:1]
	s_cbranch_vccnz .LBB33_2054
; %bb.2035:
	v_mov_b32_e32 v9, 2
	v_cmp_lt_i16_sdwa s[0:1], v6, v9 src0_sel:BYTE_0 src1_sel:DWORD
	s_and_b64 vcc, exec, s[0:1]
	s_cbranch_vccnz .LBB33_2039
; %bb.2036:
	v_mov_b32_e32 v9, 3
	v_cmp_lt_i16_sdwa s[0:1], v6, v9 src0_sel:BYTE_0 src1_sel:DWORD
	s_and_b64 vcc, exec, s[0:1]
	s_cbranch_vccnz .LBB33_2040
; %bb.2037:
	v_cmp_gt_i16_sdwa s[0:1], v6, v9 src0_sel:BYTE_0 src1_sel:DWORD
	s_and_b64 vcc, exec, s[0:1]
	s_cbranch_vccz .LBB33_2041
; %bb.2038:
	global_load_dwordx2 v[14:15], v[0:1], off
	s_mov_b64 s[0:1], 0
	s_waitcnt vmcnt(0)
	v_xor_b32_e32 v10, v14, v15
	v_ffbh_i32_e32 v9, v15
	v_ashrrev_i32_e32 v10, 31, v10
	v_add_u32_e32 v9, -1, v9
	v_add_u32_e32 v10, 32, v10
	v_min_u32_e32 v9, v9, v10
	v_lshlrev_b64 v[14:15], v9, v[14:15]
	v_min_u32_e32 v10, 1, v14
	v_or_b32_e32 v10, v15, v10
	v_cvt_f32_i32_e32 v10, v10
	v_sub_u32_e32 v9, 32, v9
	v_ldexp_f32 v10, v10, v9
	s_branch .LBB33_2042
.LBB33_2039:
	s_mov_b64 s[0:1], -1
                                        ; implicit-def: $vgpr10
	s_branch .LBB33_2048
.LBB33_2040:
	s_mov_b64 s[0:1], -1
                                        ; implicit-def: $vgpr10
	s_branch .LBB33_2045
.LBB33_2041:
	s_mov_b64 s[0:1], -1
                                        ; implicit-def: $vgpr10
.LBB33_2042:
	s_andn2_b64 vcc, exec, s[0:1]
	s_cbranch_vccnz .LBB33_2044
; %bb.2043:
	global_load_dword v9, v[0:1], off
	s_waitcnt vmcnt(0)
	v_cvt_f32_i32_e32 v10, v9
.LBB33_2044:
	s_mov_b64 s[0:1], 0
.LBB33_2045:
	s_andn2_b64 vcc, exec, s[0:1]
	s_cbranch_vccnz .LBB33_2047
; %bb.2046:
	global_load_sshort v9, v[0:1], off
	s_waitcnt vmcnt(0)
	v_cvt_f32_i32_e32 v10, v9
.LBB33_2047:
	s_mov_b64 s[0:1], 0
.LBB33_2048:
	s_andn2_b64 vcc, exec, s[0:1]
	s_cbranch_vccnz .LBB33_2054
; %bb.2049:
	v_mov_b32_e32 v9, 0
	v_cmp_gt_i16_sdwa s[0:1], v6, v9 src0_sel:BYTE_0 src1_sel:DWORD
	s_and_b64 vcc, exec, s[0:1]
	s_cbranch_vccz .LBB33_2051
; %bb.2050:
	global_load_sbyte v9, v[0:1], off
	s_mov_b64 s[0:1], 0
	s_waitcnt vmcnt(0)
	v_cvt_f32_i32_e32 v10, v9
	s_branch .LBB33_2052
.LBB33_2051:
	s_mov_b64 s[0:1], -1
                                        ; implicit-def: $vgpr10
.LBB33_2052:
	s_andn2_b64 vcc, exec, s[0:1]
	s_cbranch_vccnz .LBB33_2054
; %bb.2053:
	global_load_ubyte v0, v[0:1], off
	s_waitcnt vmcnt(0)
	v_cvt_f32_ubyte0_e32 v10, v0
.LBB33_2054:
	s_mov_b64 s[4:5], -1
.LBB33_2055:
	s_andn2_b64 vcc, exec, s[4:5]
	s_cbranch_vccnz .LBB33_3031
; %bb.2056:
	v_add_u32_e32 v11, s13, v11
	v_ashrrev_i32_e32 v1, 31, v11
	v_mov_b32_e32 v9, s11
	v_add_co_u32_e32 v0, vcc, s10, v11
	v_addc_co_u32_e32 v1, vcc, v9, v1, vcc
	v_mov_b32_e32 v9, 11
	v_cmp_lt_i16_sdwa s[0:1], v7, v9 src0_sel:BYTE_0 src1_sel:DWORD
	s_and_b64 vcc, exec, s[0:1]
	s_cbranch_vccnz .LBB33_2063
; %bb.2057:
	v_mov_b32_e32 v9, 25
	v_cmp_gt_i16_sdwa s[0:1], v7, v9 src0_sel:BYTE_0 src1_sel:DWORD
	s_mov_b64 s[2:3], 0
	s_and_b64 vcc, exec, s[0:1]
	s_cbranch_vccz .LBB33_2064
; %bb.2058:
	v_mov_b32_e32 v9, 28
	v_cmp_gt_i16_sdwa s[0:1], v7, v9 src0_sel:BYTE_0 src1_sel:DWORD
	s_and_b64 vcc, exec, s[0:1]
	s_cbranch_vccz .LBB33_2065
; %bb.2059:
	v_mov_b32_e32 v9, 43
	v_cmp_gt_i16_sdwa s[0:1], v7, v9 src0_sel:BYTE_0 src1_sel:DWORD
	;; [unrolled: 5-line block ×3, first 2 shown]
	s_and_b64 vcc, exec, s[0:1]
	s_cbranch_vccz .LBB33_2068
; %bb.2061:
	v_mov_b32_e32 v9, 46
	v_cmp_eq_u16_sdwa s[0:1], v7, v9 src0_sel:BYTE_0 src1_sel:DWORD
	s_mov_b64 s[14:15], 0
	s_and_b64 vcc, exec, s[0:1]
	s_cbranch_vccz .LBB33_2069
; %bb.2062:
	global_load_dword v9, v[0:1], off
	s_mov_b64 s[0:1], 0
	s_mov_b64 s[4:5], -1
	s_waitcnt vmcnt(0)
	v_lshlrev_b32_e32 v9, 16, v9
	s_branch .LBB33_2070
.LBB33_2063:
	s_mov_b64 s[0:1], -1
	s_mov_b64 s[4:5], 0
                                        ; implicit-def: $vgpr9
	s_branch .LBB33_2136
.LBB33_2064:
	s_mov_b64 s[14:15], -1
	s_mov_b64 s[4:5], 0
	s_mov_b64 s[0:1], 0
                                        ; implicit-def: $vgpr9
	s_branch .LBB33_2099
.LBB33_2065:
	s_mov_b64 s[14:15], -1
	s_mov_b64 s[4:5], 0
	s_mov_b64 s[0:1], 0
                                        ; implicit-def: $vgpr9
	s_branch .LBB33_2080
.LBB33_2066:
	s_mov_b64 s[14:15], -1
	s_mov_b64 s[4:5], 0
	s_mov_b64 s[0:1], 0
                                        ; implicit-def: $vgpr9
	s_branch .LBB33_2075
.LBB33_2067:
	s_trap 2
	s_or_b64 s[22:23], s[22:23], exec
                                        ; implicit-def: $vgpr10
	s_cbranch_execz .LBB33_2004
	s_branch .LBB33_2005
.LBB33_2068:
	s_mov_b64 s[14:15], -1
	s_mov_b64 s[4:5], 0
	s_mov_b64 s[0:1], 0
                                        ; implicit-def: $vgpr9
	s_branch .LBB33_2070
.LBB33_2069:
	s_mov_b64 s[0:1], -1
                                        ; implicit-def: $vgpr9
	s_mov_b64 s[4:5], 0
.LBB33_2070:
	s_and_b64 vcc, exec, s[14:15]
	s_cbranch_vccz .LBB33_2074
; %bb.2071:
	v_mov_b32_e32 v9, 44
	v_cmp_eq_u16_sdwa s[0:1], v7, v9 src0_sel:BYTE_0 src1_sel:DWORD
	s_and_b64 vcc, exec, s[0:1]
	s_cbranch_vccz .LBB33_2073
; %bb.2072:
	global_load_ubyte v9, v[0:1], off
	s_movk_i32 s4, 0xff
	v_mov_b32_e32 v13, 0x7f800001
	v_mov_b32_e32 v14, 0x400000
	s_mov_b64 s[0:1], 0
	s_waitcnt vmcnt(0)
	v_lshlrev_b32_e32 v15, 23, v9
	v_cmp_ne_u32_e32 vcc, s4, v9
	v_cndmask_b32_e32 v13, v13, v15, vcc
	v_cmp_ne_u32_e32 vcc, 0, v9
	v_cndmask_b32_e32 v9, v14, v13, vcc
	s_mov_b64 s[4:5], -1
	s_branch .LBB33_2074
.LBB33_2073:
	s_mov_b64 s[0:1], -1
                                        ; implicit-def: $vgpr9
.LBB33_2074:
	s_mov_b64 s[14:15], 0
.LBB33_2075:
	s_and_b64 vcc, exec, s[14:15]
	s_cbranch_vccz .LBB33_2079
; %bb.2076:
	v_mov_b32_e32 v9, 29
	v_cmp_eq_u16_sdwa s[0:1], v7, v9 src0_sel:BYTE_0 src1_sel:DWORD
	s_and_b64 vcc, exec, s[0:1]
	s_cbranch_vccz .LBB33_2078
; %bb.2077:
	global_load_dwordx2 v[14:15], v[0:1], off
	s_mov_b64 s[0:1], 0
	s_mov_b64 s[4:5], -1
	s_mov_b64 s[14:15], 0
	s_waitcnt vmcnt(0)
	v_ffbh_u32_e32 v9, v15
	v_min_u32_e32 v9, 32, v9
	v_lshlrev_b64 v[14:15], v9, v[14:15]
	v_min_u32_e32 v13, 1, v14
	v_or_b32_e32 v13, v15, v13
	v_cvt_f32_u32_e32 v13, v13
	v_sub_u32_e32 v9, 32, v9
	v_ldexp_f32 v9, v13, v9
	s_branch .LBB33_2080
.LBB33_2078:
	s_mov_b64 s[0:1], -1
                                        ; implicit-def: $vgpr9
.LBB33_2079:
	s_mov_b64 s[14:15], 0
.LBB33_2080:
	s_and_b64 vcc, exec, s[14:15]
	s_cbranch_vccz .LBB33_2098
; %bb.2081:
	v_mov_b32_e32 v9, 27
	v_cmp_lt_i16_sdwa s[4:5], v7, v9 src0_sel:BYTE_0 src1_sel:DWORD
	s_and_b64 vcc, exec, s[4:5]
	s_cbranch_vccnz .LBB33_2084
; %bb.2082:
	v_cmp_gt_i16_sdwa s[4:5], v7, v9 src0_sel:BYTE_0 src1_sel:DWORD
	s_and_b64 vcc, exec, s[4:5]
	s_cbranch_vccz .LBB33_2085
; %bb.2083:
	global_load_dword v9, v[0:1], off
	s_mov_b64 s[4:5], 0
	s_waitcnt vmcnt(0)
	v_cvt_f32_u32_e32 v9, v9
	s_branch .LBB33_2086
.LBB33_2084:
	s_mov_b64 s[4:5], -1
                                        ; implicit-def: $vgpr9
	s_branch .LBB33_2089
.LBB33_2085:
	s_mov_b64 s[4:5], -1
                                        ; implicit-def: $vgpr9
.LBB33_2086:
	s_andn2_b64 vcc, exec, s[4:5]
	s_cbranch_vccnz .LBB33_2088
; %bb.2087:
	global_load_ushort v9, v[0:1], off
	s_waitcnt vmcnt(0)
	v_cvt_f32_u32_e32 v9, v9
.LBB33_2088:
	s_mov_b64 s[4:5], 0
.LBB33_2089:
	s_andn2_b64 vcc, exec, s[4:5]
	s_cbranch_vccnz .LBB33_2097
; %bb.2090:
	global_load_ubyte v13, v[0:1], off
	s_movk_i32 s4, 0x7f
                                        ; implicit-def: $sgpr25
	s_waitcnt vmcnt(0)
	v_cmp_lt_i16_e32 vcc, s4, v13
	s_mov_b64 s[4:5], 0
	s_and_saveexec_b64 s[14:15], vcc
	s_xor_b64 s[14:15], exec, s[14:15]
	s_cbranch_execz .LBB33_2111
; %bb.2091:
	s_movk_i32 s4, 0x80
	v_cmp_eq_u16_e32 vcc, s4, v13
	s_mov_b64 s[4:5], -1
                                        ; implicit-def: $sgpr25
	s_and_saveexec_b64 s[18:19], vcc
; %bb.2092:
	s_mov_b32 s25, 0x7f800001
	s_xor_b64 s[4:5], exec, -1
; %bb.2093:
	s_or_b64 exec, exec, s[18:19]
	s_and_b64 s[4:5], s[4:5], exec
	s_or_saveexec_b64 s[14:15], s[14:15]
	v_mov_b32_e32 v9, s25
	s_xor_b64 exec, exec, s[14:15]
	s_cbranch_execnz .LBB33_2112
.LBB33_2094:
	s_or_b64 exec, exec, s[14:15]
	s_and_saveexec_b64 s[14:15], s[4:5]
	s_cbranch_execz .LBB33_2096
.LBB33_2095:
	v_lshlrev_b32_e32 v9, 24, v13
	v_and_b32_e32 v13, 0xffff, v13
	v_and_b32_e32 v14, 7, v13
	v_ffbh_u32_e32 v16, v14
	v_min_u32_e32 v16, 32, v16
	v_subrev_u32_e32 v17, 28, v16
	v_bfe_u32 v15, v13, 3, 4
	v_lshlrev_b32_e32 v13, v17, v13
	v_sub_u32_e32 v16, 29, v16
	v_and_b32_e32 v13, 7, v13
	v_cmp_eq_u32_e32 vcc, 0, v15
	v_cndmask_b32_e32 v15, v15, v16, vcc
	v_cndmask_b32_e32 v13, v14, v13, vcc
	v_mov_b32_e32 v14, 0x3b800000
	v_lshlrev_b32_e32 v13, 20, v13
	v_and_b32_e32 v9, 0x80000000, v9
	v_lshl_add_u32 v14, v15, 23, v14
	v_or3_b32 v9, v9, v14, v13
.LBB33_2096:
	s_or_b64 exec, exec, s[14:15]
.LBB33_2097:
	s_mov_b64 s[4:5], -1
.LBB33_2098:
	s_mov_b64 s[14:15], 0
.LBB33_2099:
	s_and_b64 vcc, exec, s[14:15]
	s_cbranch_vccz .LBB33_2132
; %bb.2100:
	v_mov_b32_e32 v9, 22
	v_cmp_gt_i16_sdwa s[2:3], v7, v9 src0_sel:BYTE_0 src1_sel:DWORD
	s_and_b64 vcc, exec, s[2:3]
	s_cbranch_vccz .LBB33_2110
; %bb.2101:
	v_mov_b32_e32 v9, 24
	v_cmp_lt_i16_sdwa s[2:3], v7, v9 src0_sel:BYTE_0 src1_sel:DWORD
	s_and_b64 vcc, exec, s[2:3]
	s_cbranch_vccnz .LBB33_2113
; %bb.2102:
	v_cmp_gt_i16_sdwa s[2:3], v7, v9 src0_sel:BYTE_0 src1_sel:DWORD
	s_and_b64 vcc, exec, s[2:3]
	s_cbranch_vccz .LBB33_2114
; %bb.2103:
	global_load_ubyte v13, v[0:1], off
	s_movk_i32 s2, 0x7f
                                        ; implicit-def: $sgpr18
	s_waitcnt vmcnt(0)
	v_cmp_lt_i16_e32 vcc, s2, v13
	s_mov_b64 s[2:3], 0
	s_and_saveexec_b64 s[4:5], vcc
	s_xor_b64 s[4:5], exec, s[4:5]
	s_cbranch_execz .LBB33_2126
; %bb.2104:
	s_movk_i32 s2, 0x80
	v_cmp_eq_u16_e32 vcc, s2, v13
	s_mov_b64 s[2:3], -1
                                        ; implicit-def: $sgpr18
	s_and_saveexec_b64 s[14:15], vcc
; %bb.2105:
	s_mov_b32 s18, 0x7f800001
	s_xor_b64 s[2:3], exec, -1
; %bb.2106:
	s_or_b64 exec, exec, s[14:15]
	s_and_b64 s[2:3], s[2:3], exec
	s_or_saveexec_b64 s[4:5], s[4:5]
	v_mov_b32_e32 v9, s18
	s_xor_b64 exec, exec, s[4:5]
	s_cbranch_execnz .LBB33_2127
.LBB33_2107:
	s_or_b64 exec, exec, s[4:5]
	s_and_saveexec_b64 s[4:5], s[2:3]
	s_cbranch_execz .LBB33_2109
.LBB33_2108:
	v_lshlrev_b32_e32 v9, 24, v13
	v_and_b32_e32 v13, 0xffff, v13
	v_and_b32_e32 v14, 3, v13
	v_ffbh_u32_e32 v16, v14
	v_min_u32_e32 v16, 32, v16
	v_subrev_u32_e32 v17, 29, v16
	v_bfe_u32 v15, v13, 2, 5
	v_lshlrev_b32_e32 v13, v17, v13
	v_sub_u32_e32 v16, 30, v16
	v_and_b32_e32 v13, 3, v13
	v_cmp_eq_u32_e32 vcc, 0, v15
	v_cndmask_b32_e32 v15, v15, v16, vcc
	v_cndmask_b32_e32 v13, v14, v13, vcc
	v_mov_b32_e32 v14, 0x37800000
	v_lshlrev_b32_e32 v13, 21, v13
	v_and_b32_e32 v9, 0x80000000, v9
	v_lshl_add_u32 v14, v15, 23, v14
	v_or3_b32 v9, v9, v14, v13
.LBB33_2109:
	s_or_b64 exec, exec, s[4:5]
	s_mov_b64 s[2:3], 0
	s_branch .LBB33_2115
.LBB33_2110:
	s_mov_b64 s[2:3], -1
                                        ; implicit-def: $vgpr9
	s_branch .LBB33_2121
.LBB33_2111:
	s_or_saveexec_b64 s[14:15], s[14:15]
	v_mov_b32_e32 v9, s25
	s_xor_b64 exec, exec, s[14:15]
	s_cbranch_execz .LBB33_2094
.LBB33_2112:
	v_cmp_ne_u16_e32 vcc, 0, v13
	s_andn2_b64 s[4:5], s[4:5], exec
	s_and_b64 s[18:19], vcc, exec
	v_mov_b32_e32 v9, 0
	s_or_b64 s[4:5], s[4:5], s[18:19]
	s_or_b64 exec, exec, s[14:15]
	s_and_saveexec_b64 s[14:15], s[4:5]
	s_cbranch_execnz .LBB33_2095
	s_branch .LBB33_2096
.LBB33_2113:
	s_mov_b64 s[2:3], -1
                                        ; implicit-def: $vgpr9
	s_branch .LBB33_2118
.LBB33_2114:
	s_mov_b64 s[2:3], -1
                                        ; implicit-def: $vgpr9
.LBB33_2115:
	s_and_b64 vcc, exec, s[2:3]
	s_cbranch_vccz .LBB33_2117
; %bb.2116:
	global_load_ubyte v9, v[0:1], off
	s_mov_b32 s2, 0x7f800000
	s_waitcnt vmcnt(0)
	v_lshlrev_b32_e32 v9, 24, v9
	v_and_b32_e32 v13, 0x7f000000, v9
	v_ffbh_u32_e32 v14, v13
	v_min_u32_e32 v14, 32, v14
	v_sub_u32_e64 v14, v14, 4 clamp
	v_lshlrev_b32_e32 v16, v14, v13
	v_lshlrev_b32_e32 v14, 23, v14
	v_lshrrev_b32_e32 v16, 4, v16
	v_add_u32_e32 v15, 0x1000000, v13
	v_sub_u32_e32 v14, v16, v14
	v_ashrrev_i32_e32 v15, 8, v15
	v_add_u32_e32 v14, 0x3c000000, v14
	v_and_or_b32 v14, v15, s2, v14
	v_cmp_ne_u32_e32 vcc, 0, v13
	v_cndmask_b32_e32 v13, 0, v14, vcc
	s_brev_b32 s2, 1
	v_and_or_b32 v9, v9, s2, v13
.LBB33_2117:
	s_mov_b64 s[2:3], 0
.LBB33_2118:
	s_andn2_b64 vcc, exec, s[2:3]
	s_cbranch_vccnz .LBB33_2120
; %bb.2119:
	global_load_ubyte v9, v[0:1], off
	s_movk_i32 s2, 0x7f00
	s_brev_b32 s3, 16
	s_waitcnt vmcnt(0)
	v_lshlrev_b16_e32 v13, 8, v9
	v_lshlrev_b32_e32 v9, 25, v9
	v_lshrrev_b32_e32 v14, 4, v9
	v_and_or_b32 v15, v13, s2, 0.5
	v_or_b32_e32 v14, 0x70000000, v14
	v_add_f32_e32 v15, -0.5, v15
	v_mul_f32_e32 v14, 0x7800000, v14
	v_cmp_gt_u32_e32 vcc, s3, v9
	v_bfe_i32 v13, v13, 0, 16
	v_cndmask_b32_e32 v9, v14, v15, vcc
	s_brev_b32 s2, 1
	v_and_or_b32 v9, v13, s2, v9
.LBB33_2120:
	s_mov_b64 s[2:3], 0
	s_mov_b64 s[4:5], -1
.LBB33_2121:
	s_andn2_b64 vcc, exec, s[2:3]
	s_mov_b64 s[2:3], 0
	s_cbranch_vccnz .LBB33_2132
; %bb.2122:
	v_mov_b32_e32 v9, 14
	v_cmp_gt_i16_sdwa s[2:3], v7, v9 src0_sel:BYTE_0 src1_sel:DWORD
	s_and_b64 vcc, exec, s[2:3]
	s_cbranch_vccz .LBB33_2125
; %bb.2123:
	v_mov_b32_e32 v9, 15
	v_cmp_eq_u16_sdwa s[0:1], v7, v9 src0_sel:BYTE_0 src1_sel:DWORD
	s_and_b64 vcc, exec, s[0:1]
	s_cbranch_vccz .LBB33_2128
; %bb.2124:
	global_load_ushort v9, v[0:1], off
	s_mov_b64 s[0:1], 0
	s_mov_b64 s[4:5], -1
	s_waitcnt vmcnt(0)
	v_lshlrev_b32_e32 v9, 16, v9
	s_branch .LBB33_2129
.LBB33_2125:
	s_mov_b64 s[14:15], -1
                                        ; implicit-def: $vgpr9
	s_branch .LBB33_2130
.LBB33_2126:
	s_or_saveexec_b64 s[4:5], s[4:5]
	v_mov_b32_e32 v9, s18
	s_xor_b64 exec, exec, s[4:5]
	s_cbranch_execz .LBB33_2107
.LBB33_2127:
	v_cmp_ne_u16_e32 vcc, 0, v13
	s_andn2_b64 s[2:3], s[2:3], exec
	s_and_b64 s[14:15], vcc, exec
	v_mov_b32_e32 v9, 0
	s_or_b64 s[2:3], s[2:3], s[14:15]
	s_or_b64 exec, exec, s[4:5]
	s_and_saveexec_b64 s[4:5], s[2:3]
	s_cbranch_execnz .LBB33_2108
	s_branch .LBB33_2109
.LBB33_2128:
	s_mov_b64 s[0:1], -1
                                        ; implicit-def: $vgpr9
.LBB33_2129:
	s_mov_b64 s[14:15], 0
.LBB33_2130:
	s_mov_b64 s[2:3], 0
	s_and_b64 vcc, exec, s[14:15]
	s_cbranch_vccz .LBB33_2132
; %bb.2131:
	v_mov_b32_e32 v9, 11
	v_cmp_ne_u16_sdwa s[0:1], v7, v9 src0_sel:BYTE_0 src1_sel:DWORD
	s_mov_b64 s[2:3], -1
                                        ; implicit-def: $vgpr9
.LBB33_2132:
	s_and_b64 vcc, exec, s[0:1]
	s_cbranch_vccnz .LBB33_2197
; %bb.2133:
	s_andn2_b64 vcc, exec, s[2:3]
	s_cbranch_vccnz .LBB33_2135
.LBB33_2134:
	global_load_ubyte v9, v[0:1], off
	s_mov_b64 s[4:5], -1
	s_waitcnt vmcnt(0)
	v_cmp_ne_u16_e32 vcc, 0, v9
	v_cndmask_b32_e64 v9, 0, 1.0, vcc
.LBB33_2135:
	s_mov_b64 s[0:1], 0
.LBB33_2136:
	s_and_b64 vcc, exec, s[0:1]
	s_cbranch_vccz .LBB33_2185
; %bb.2137:
	v_mov_b32_e32 v9, 5
	v_cmp_lt_i16_sdwa s[0:1], v7, v9 src0_sel:BYTE_0 src1_sel:DWORD
	s_and_b64 vcc, exec, s[0:1]
	s_cbranch_vccnz .LBB33_2142
; %bb.2138:
	v_mov_b32_e32 v9, 8
	v_cmp_lt_i16_sdwa s[0:1], v7, v9 src0_sel:BYTE_0 src1_sel:DWORD
	s_and_b64 vcc, exec, s[0:1]
	s_cbranch_vccnz .LBB33_2143
; %bb.2139:
	v_mov_b32_e32 v9, 9
	v_cmp_lt_i16_sdwa s[0:1], v7, v9 src0_sel:BYTE_0 src1_sel:DWORD
	s_and_b64 vcc, exec, s[0:1]
	s_cbranch_vccnz .LBB33_2144
; %bb.2140:
	v_cmp_gt_i16_sdwa s[0:1], v7, v9 src0_sel:BYTE_0 src1_sel:DWORD
	s_and_b64 vcc, exec, s[0:1]
	s_cbranch_vccz .LBB33_2145
; %bb.2141:
	global_load_dwordx2 v[14:15], v[0:1], off
	s_mov_b64 s[0:1], 0
	s_waitcnt vmcnt(0)
	v_cvt_f32_f64_e32 v9, v[14:15]
	s_branch .LBB33_2146
.LBB33_2142:
	s_mov_b64 s[0:1], -1
                                        ; implicit-def: $vgpr9
	s_branch .LBB33_2164
.LBB33_2143:
	s_mov_b64 s[0:1], -1
                                        ; implicit-def: $vgpr9
	s_branch .LBB33_2152
.LBB33_2144:
	s_mov_b64 s[0:1], -1
                                        ; implicit-def: $vgpr9
	s_branch .LBB33_2149
.LBB33_2145:
	s_mov_b64 s[0:1], -1
                                        ; implicit-def: $vgpr9
.LBB33_2146:
	s_andn2_b64 vcc, exec, s[0:1]
	s_cbranch_vccnz .LBB33_2148
; %bb.2147:
	global_load_dword v9, v[0:1], off
.LBB33_2148:
	s_mov_b64 s[0:1], 0
.LBB33_2149:
	s_andn2_b64 vcc, exec, s[0:1]
	s_cbranch_vccnz .LBB33_2151
; %bb.2150:
	global_load_dword v9, v[0:1], off
	s_waitcnt vmcnt(0)
	v_cvt_f32_f16_e32 v9, v9
.LBB33_2151:
	s_mov_b64 s[0:1], 0
.LBB33_2152:
	s_andn2_b64 vcc, exec, s[0:1]
	s_cbranch_vccnz .LBB33_2163
; %bb.2153:
	s_waitcnt vmcnt(0)
	v_mov_b32_e32 v9, 6
	v_cmp_lt_i16_sdwa s[0:1], v7, v9 src0_sel:BYTE_0 src1_sel:DWORD
	s_and_b64 vcc, exec, s[0:1]
	s_cbranch_vccnz .LBB33_2156
; %bb.2154:
	v_cmp_gt_i16_sdwa s[0:1], v7, v9 src0_sel:BYTE_0 src1_sel:DWORD
	s_and_b64 vcc, exec, s[0:1]
	s_cbranch_vccz .LBB33_2157
; %bb.2155:
	global_load_dwordx2 v[14:15], v[0:1], off
	s_mov_b64 s[0:1], 0
	s_waitcnt vmcnt(0)
	v_cvt_f32_f64_e32 v9, v[14:15]
	s_branch .LBB33_2158
.LBB33_2156:
	s_mov_b64 s[0:1], -1
                                        ; implicit-def: $vgpr9
	s_branch .LBB33_2161
.LBB33_2157:
	s_mov_b64 s[0:1], -1
                                        ; implicit-def: $vgpr9
.LBB33_2158:
	s_andn2_b64 vcc, exec, s[0:1]
	s_cbranch_vccnz .LBB33_2160
; %bb.2159:
	global_load_dword v9, v[0:1], off
.LBB33_2160:
	s_mov_b64 s[0:1], 0
.LBB33_2161:
	s_andn2_b64 vcc, exec, s[0:1]
	s_cbranch_vccnz .LBB33_2163
; %bb.2162:
	global_load_ushort v9, v[0:1], off
	s_waitcnt vmcnt(0)
	v_cvt_f32_f16_e32 v9, v9
.LBB33_2163:
	s_mov_b64 s[0:1], 0
.LBB33_2164:
	s_andn2_b64 vcc, exec, s[0:1]
	s_cbranch_vccnz .LBB33_2184
; %bb.2165:
	s_waitcnt vmcnt(0)
	v_mov_b32_e32 v9, 2
	v_cmp_lt_i16_sdwa s[0:1], v7, v9 src0_sel:BYTE_0 src1_sel:DWORD
	s_and_b64 vcc, exec, s[0:1]
	s_cbranch_vccnz .LBB33_2169
; %bb.2166:
	v_mov_b32_e32 v9, 3
	v_cmp_lt_i16_sdwa s[0:1], v7, v9 src0_sel:BYTE_0 src1_sel:DWORD
	s_and_b64 vcc, exec, s[0:1]
	s_cbranch_vccnz .LBB33_2170
; %bb.2167:
	v_cmp_gt_i16_sdwa s[0:1], v7, v9 src0_sel:BYTE_0 src1_sel:DWORD
	s_and_b64 vcc, exec, s[0:1]
	s_cbranch_vccz .LBB33_2171
; %bb.2168:
	global_load_dwordx2 v[14:15], v[0:1], off
	s_mov_b64 s[0:1], 0
	s_waitcnt vmcnt(0)
	v_xor_b32_e32 v13, v14, v15
	v_ffbh_i32_e32 v9, v15
	v_ashrrev_i32_e32 v13, 31, v13
	v_add_u32_e32 v9, -1, v9
	v_add_u32_e32 v13, 32, v13
	v_min_u32_e32 v9, v9, v13
	v_lshlrev_b64 v[14:15], v9, v[14:15]
	v_min_u32_e32 v13, 1, v14
	v_or_b32_e32 v13, v15, v13
	v_cvt_f32_i32_e32 v13, v13
	v_sub_u32_e32 v9, 32, v9
	v_ldexp_f32 v9, v13, v9
	s_branch .LBB33_2172
.LBB33_2169:
	s_mov_b64 s[0:1], -1
                                        ; implicit-def: $vgpr9
	s_branch .LBB33_2178
.LBB33_2170:
	s_mov_b64 s[0:1], -1
                                        ; implicit-def: $vgpr9
	s_branch .LBB33_2175
.LBB33_2171:
	s_mov_b64 s[0:1], -1
                                        ; implicit-def: $vgpr9
.LBB33_2172:
	s_andn2_b64 vcc, exec, s[0:1]
	s_cbranch_vccnz .LBB33_2174
; %bb.2173:
	global_load_dword v9, v[0:1], off
	s_waitcnt vmcnt(0)
	v_cvt_f32_i32_e32 v9, v9
.LBB33_2174:
	s_mov_b64 s[0:1], 0
.LBB33_2175:
	s_andn2_b64 vcc, exec, s[0:1]
	s_cbranch_vccnz .LBB33_2177
; %bb.2176:
	global_load_sshort v9, v[0:1], off
	s_waitcnt vmcnt(0)
	v_cvt_f32_i32_e32 v9, v9
.LBB33_2177:
	s_mov_b64 s[0:1], 0
.LBB33_2178:
	s_andn2_b64 vcc, exec, s[0:1]
	s_cbranch_vccnz .LBB33_2184
; %bb.2179:
	v_mov_b32_e32 v9, 0
	v_cmp_gt_i16_sdwa s[0:1], v7, v9 src0_sel:BYTE_0 src1_sel:DWORD
	s_and_b64 vcc, exec, s[0:1]
	s_cbranch_vccz .LBB33_2181
; %bb.2180:
	global_load_sbyte v9, v[0:1], off
	s_mov_b64 s[0:1], 0
	s_waitcnt vmcnt(0)
	v_cvt_f32_i32_e32 v9, v9
	s_branch .LBB33_2182
.LBB33_2181:
	s_mov_b64 s[0:1], -1
                                        ; implicit-def: $vgpr9
.LBB33_2182:
	s_andn2_b64 vcc, exec, s[0:1]
	s_cbranch_vccnz .LBB33_2184
; %bb.2183:
	global_load_ubyte v0, v[0:1], off
	s_waitcnt vmcnt(0)
	v_cvt_f32_ubyte0_e32 v9, v0
.LBB33_2184:
	s_mov_b64 s[4:5], -1
.LBB33_2185:
	s_andn2_b64 vcc, exec, s[4:5]
	s_cbranch_vccnz .LBB33_3031
; %bb.2186:
	v_add_u32_e32 v13, s24, v12
	v_ashrrev_i32_e32 v1, 31, v13
	v_mov_b32_e32 v12, s17
	v_add_co_u32_e32 v0, vcc, s16, v13
	v_addc_co_u32_e32 v1, vcc, v12, v1, vcc
	v_mov_b32_e32 v12, 11
	v_cmp_lt_i16_sdwa s[0:1], v6, v12 src0_sel:BYTE_0 src1_sel:DWORD
	s_and_b64 vcc, exec, s[0:1]
	s_cbranch_vccnz .LBB33_2193
; %bb.2187:
	v_mov_b32_e32 v12, 25
	v_cmp_gt_i16_sdwa s[0:1], v6, v12 src0_sel:BYTE_0 src1_sel:DWORD
	s_mov_b64 s[2:3], 0
	s_and_b64 vcc, exec, s[0:1]
	s_cbranch_vccz .LBB33_2194
; %bb.2188:
	v_mov_b32_e32 v12, 28
	v_cmp_gt_i16_sdwa s[0:1], v6, v12 src0_sel:BYTE_0 src1_sel:DWORD
	s_and_b64 vcc, exec, s[0:1]
	s_cbranch_vccz .LBB33_2195
; %bb.2189:
	v_mov_b32_e32 v12, 43
	v_cmp_gt_i16_sdwa s[0:1], v6, v12 src0_sel:BYTE_0 src1_sel:DWORD
	;; [unrolled: 5-line block ×3, first 2 shown]
	s_and_b64 vcc, exec, s[0:1]
	s_cbranch_vccz .LBB33_2198
; %bb.2191:
	v_mov_b32_e32 v12, 46
	v_cmp_eq_u16_sdwa s[0:1], v6, v12 src0_sel:BYTE_0 src1_sel:DWORD
	s_mov_b64 s[14:15], 0
	s_and_b64 vcc, exec, s[0:1]
	s_cbranch_vccz .LBB33_2201
; %bb.2192:
	global_load_dword v12, v[0:1], off
	s_mov_b64 s[0:1], 0
	s_mov_b64 s[4:5], -1
	s_waitcnt vmcnt(0)
	v_lshlrev_b32_e32 v12, 16, v12
	s_branch .LBB33_2202
.LBB33_2193:
	s_mov_b64 s[0:1], -1
	s_mov_b64 s[4:5], 0
                                        ; implicit-def: $vgpr12
	s_branch .LBB33_2268
.LBB33_2194:
	s_mov_b64 s[14:15], -1
	s_mov_b64 s[4:5], 0
	s_mov_b64 s[0:1], 0
                                        ; implicit-def: $vgpr12
	s_branch .LBB33_2231
.LBB33_2195:
	s_mov_b64 s[14:15], -1
	s_mov_b64 s[4:5], 0
	s_mov_b64 s[0:1], 0
                                        ; implicit-def: $vgpr12
	s_branch .LBB33_2212
.LBB33_2196:
	s_mov_b64 s[14:15], -1
	s_mov_b64 s[4:5], 0
	s_mov_b64 s[0:1], 0
                                        ; implicit-def: $vgpr12
	s_branch .LBB33_2207
.LBB33_2197:
	s_trap 2
	s_or_b64 s[22:23], s[22:23], exec
                                        ; implicit-def: $vgpr9
	s_cbranch_execz .LBB33_2134
	s_branch .LBB33_2135
.LBB33_2198:
	s_mov_b64 s[14:15], -1
	s_mov_b64 s[4:5], 0
	s_mov_b64 s[0:1], 0
                                        ; implicit-def: $vgpr12
	s_branch .LBB33_2202
.LBB33_2199:
	s_or_saveexec_b64 s[48:49], s[48:49]
                                        ; implicit-def: $sgpr15
	s_xor_b64 exec, exec, s[48:49]
	s_cbranch_execz .LBB33_1084
.LBB33_2200:
	v_add_f32_e32 v8, 0x42800000, v9
	v_and_b32_e32 v8, 0xff, v8
	v_cmp_ne_u32_e32 vcc, 0, v8
	s_andn2_b64 s[46:47], s[46:47], exec
	s_and_b64 s[50:51], vcc, exec
	s_mov_b32 s15, 0
	s_or_b64 s[46:47], s[46:47], s[50:51]
	s_or_b64 exec, exec, s[48:49]
	v_mov_b32_e32 v10, s15
	s_and_saveexec_b64 s[48:49], s[46:47]
	s_cbranch_execnz .LBB33_1085
	s_branch .LBB33_1086
.LBB33_2201:
	s_mov_b64 s[0:1], -1
                                        ; implicit-def: $vgpr12
	s_mov_b64 s[4:5], 0
.LBB33_2202:
	s_and_b64 vcc, exec, s[14:15]
	s_cbranch_vccz .LBB33_2206
; %bb.2203:
	v_mov_b32_e32 v12, 44
	v_cmp_eq_u16_sdwa s[0:1], v6, v12 src0_sel:BYTE_0 src1_sel:DWORD
	s_and_b64 vcc, exec, s[0:1]
	s_cbranch_vccz .LBB33_2205
; %bb.2204:
	global_load_ubyte v12, v[0:1], off
	s_movk_i32 s4, 0xff
	v_mov_b32_e32 v14, 0x7f800001
	v_mov_b32_e32 v15, 0x400000
	s_mov_b64 s[0:1], 0
	s_waitcnt vmcnt(0)
	v_lshlrev_b32_e32 v16, 23, v12
	v_cmp_ne_u32_e32 vcc, s4, v12
	v_cndmask_b32_e32 v14, v14, v16, vcc
	v_cmp_ne_u32_e32 vcc, 0, v12
	v_cndmask_b32_e32 v12, v15, v14, vcc
	s_mov_b64 s[4:5], -1
	s_branch .LBB33_2206
.LBB33_2205:
	s_mov_b64 s[0:1], -1
                                        ; implicit-def: $vgpr12
.LBB33_2206:
	s_mov_b64 s[14:15], 0
.LBB33_2207:
	s_and_b64 vcc, exec, s[14:15]
	s_cbranch_vccz .LBB33_2211
; %bb.2208:
	v_mov_b32_e32 v12, 29
	v_cmp_eq_u16_sdwa s[0:1], v6, v12 src0_sel:BYTE_0 src1_sel:DWORD
	s_and_b64 vcc, exec, s[0:1]
	s_cbranch_vccz .LBB33_2210
; %bb.2209:
	global_load_dwordx2 v[14:15], v[0:1], off
	s_mov_b64 s[0:1], 0
	s_mov_b64 s[4:5], -1
	s_mov_b64 s[14:15], 0
	s_waitcnt vmcnt(0)
	v_ffbh_u32_e32 v12, v15
	v_min_u32_e32 v12, 32, v12
	v_lshlrev_b64 v[14:15], v12, v[14:15]
	v_min_u32_e32 v14, 1, v14
	v_or_b32_e32 v14, v15, v14
	v_cvt_f32_u32_e32 v14, v14
	v_sub_u32_e32 v12, 32, v12
	v_ldexp_f32 v12, v14, v12
	s_branch .LBB33_2212
.LBB33_2210:
	s_mov_b64 s[0:1], -1
                                        ; implicit-def: $vgpr12
.LBB33_2211:
	s_mov_b64 s[14:15], 0
.LBB33_2212:
	s_and_b64 vcc, exec, s[14:15]
	s_cbranch_vccz .LBB33_2230
; %bb.2213:
	v_mov_b32_e32 v12, 27
	v_cmp_lt_i16_sdwa s[4:5], v6, v12 src0_sel:BYTE_0 src1_sel:DWORD
	s_and_b64 vcc, exec, s[4:5]
	s_cbranch_vccnz .LBB33_2216
; %bb.2214:
	v_cmp_gt_i16_sdwa s[4:5], v6, v12 src0_sel:BYTE_0 src1_sel:DWORD
	s_and_b64 vcc, exec, s[4:5]
	s_cbranch_vccz .LBB33_2217
; %bb.2215:
	global_load_dword v12, v[0:1], off
	s_mov_b64 s[4:5], 0
	s_waitcnt vmcnt(0)
	v_cvt_f32_u32_e32 v12, v12
	s_branch .LBB33_2218
.LBB33_2216:
	s_mov_b64 s[4:5], -1
                                        ; implicit-def: $vgpr12
	s_branch .LBB33_2221
.LBB33_2217:
	s_mov_b64 s[4:5], -1
                                        ; implicit-def: $vgpr12
.LBB33_2218:
	s_andn2_b64 vcc, exec, s[4:5]
	s_cbranch_vccnz .LBB33_2220
; %bb.2219:
	global_load_ushort v12, v[0:1], off
	s_waitcnt vmcnt(0)
	v_cvt_f32_u32_e32 v12, v12
.LBB33_2220:
	s_mov_b64 s[4:5], 0
.LBB33_2221:
	s_andn2_b64 vcc, exec, s[4:5]
	s_cbranch_vccnz .LBB33_2229
; %bb.2222:
	global_load_ubyte v14, v[0:1], off
	s_movk_i32 s4, 0x7f
                                        ; implicit-def: $sgpr25
	s_waitcnt vmcnt(0)
	v_cmp_lt_i16_e32 vcc, s4, v14
	s_mov_b64 s[4:5], 0
	s_and_saveexec_b64 s[14:15], vcc
	s_xor_b64 s[14:15], exec, s[14:15]
	s_cbranch_execz .LBB33_2243
; %bb.2223:
	s_movk_i32 s4, 0x80
	v_cmp_eq_u16_e32 vcc, s4, v14
	s_mov_b64 s[4:5], -1
                                        ; implicit-def: $sgpr25
	s_and_saveexec_b64 s[18:19], vcc
; %bb.2224:
	s_mov_b32 s25, 0x7f800001
	s_xor_b64 s[4:5], exec, -1
; %bb.2225:
	s_or_b64 exec, exec, s[18:19]
	s_and_b64 s[4:5], s[4:5], exec
	s_or_saveexec_b64 s[14:15], s[14:15]
	v_mov_b32_e32 v12, s25
	s_xor_b64 exec, exec, s[14:15]
	s_cbranch_execnz .LBB33_2244
.LBB33_2226:
	s_or_b64 exec, exec, s[14:15]
	s_and_saveexec_b64 s[14:15], s[4:5]
	s_cbranch_execz .LBB33_2228
.LBB33_2227:
	v_lshlrev_b32_e32 v12, 24, v14
	v_and_b32_e32 v14, 0xffff, v14
	v_and_b32_e32 v15, 7, v14
	v_ffbh_u32_e32 v17, v15
	v_min_u32_e32 v17, 32, v17
	v_subrev_u32_e32 v18, 28, v17
	v_bfe_u32 v16, v14, 3, 4
	v_lshlrev_b32_e32 v14, v18, v14
	v_sub_u32_e32 v17, 29, v17
	v_and_b32_e32 v14, 7, v14
	v_cmp_eq_u32_e32 vcc, 0, v16
	v_cndmask_b32_e32 v16, v16, v17, vcc
	v_cndmask_b32_e32 v14, v15, v14, vcc
	v_mov_b32_e32 v15, 0x3b800000
	v_lshlrev_b32_e32 v14, 20, v14
	v_and_b32_e32 v12, 0x80000000, v12
	v_lshl_add_u32 v15, v16, 23, v15
	v_or3_b32 v12, v12, v15, v14
.LBB33_2228:
	s_or_b64 exec, exec, s[14:15]
.LBB33_2229:
	s_mov_b64 s[4:5], -1
.LBB33_2230:
	s_mov_b64 s[14:15], 0
.LBB33_2231:
	s_and_b64 vcc, exec, s[14:15]
	s_cbranch_vccz .LBB33_2264
; %bb.2232:
	v_mov_b32_e32 v12, 22
	v_cmp_gt_i16_sdwa s[2:3], v6, v12 src0_sel:BYTE_0 src1_sel:DWORD
	s_and_b64 vcc, exec, s[2:3]
	s_cbranch_vccz .LBB33_2242
; %bb.2233:
	v_mov_b32_e32 v12, 24
	v_cmp_lt_i16_sdwa s[2:3], v6, v12 src0_sel:BYTE_0 src1_sel:DWORD
	s_and_b64 vcc, exec, s[2:3]
	s_cbranch_vccnz .LBB33_2245
; %bb.2234:
	v_cmp_gt_i16_sdwa s[2:3], v6, v12 src0_sel:BYTE_0 src1_sel:DWORD
	s_and_b64 vcc, exec, s[2:3]
	s_cbranch_vccz .LBB33_2246
; %bb.2235:
	global_load_ubyte v14, v[0:1], off
	s_movk_i32 s2, 0x7f
                                        ; implicit-def: $sgpr18
	s_waitcnt vmcnt(0)
	v_cmp_lt_i16_e32 vcc, s2, v14
	s_mov_b64 s[2:3], 0
	s_and_saveexec_b64 s[4:5], vcc
	s_xor_b64 s[4:5], exec, s[4:5]
	s_cbranch_execz .LBB33_2258
; %bb.2236:
	s_movk_i32 s2, 0x80
	v_cmp_eq_u16_e32 vcc, s2, v14
	s_mov_b64 s[2:3], -1
                                        ; implicit-def: $sgpr18
	s_and_saveexec_b64 s[14:15], vcc
; %bb.2237:
	s_mov_b32 s18, 0x7f800001
	s_xor_b64 s[2:3], exec, -1
; %bb.2238:
	s_or_b64 exec, exec, s[14:15]
	s_and_b64 s[2:3], s[2:3], exec
	s_or_saveexec_b64 s[4:5], s[4:5]
	v_mov_b32_e32 v12, s18
	s_xor_b64 exec, exec, s[4:5]
	s_cbranch_execnz .LBB33_2259
.LBB33_2239:
	s_or_b64 exec, exec, s[4:5]
	s_and_saveexec_b64 s[4:5], s[2:3]
	s_cbranch_execz .LBB33_2241
.LBB33_2240:
	v_lshlrev_b32_e32 v12, 24, v14
	v_and_b32_e32 v14, 0xffff, v14
	v_and_b32_e32 v15, 3, v14
	v_ffbh_u32_e32 v17, v15
	v_min_u32_e32 v17, 32, v17
	v_subrev_u32_e32 v18, 29, v17
	v_bfe_u32 v16, v14, 2, 5
	v_lshlrev_b32_e32 v14, v18, v14
	v_sub_u32_e32 v17, 30, v17
	v_and_b32_e32 v14, 3, v14
	v_cmp_eq_u32_e32 vcc, 0, v16
	v_cndmask_b32_e32 v16, v16, v17, vcc
	v_cndmask_b32_e32 v14, v15, v14, vcc
	v_mov_b32_e32 v15, 0x37800000
	v_lshlrev_b32_e32 v14, 21, v14
	v_and_b32_e32 v12, 0x80000000, v12
	v_lshl_add_u32 v15, v16, 23, v15
	v_or3_b32 v12, v12, v15, v14
.LBB33_2241:
	s_or_b64 exec, exec, s[4:5]
	s_mov_b64 s[2:3], 0
	s_branch .LBB33_2247
.LBB33_2242:
	s_mov_b64 s[2:3], -1
                                        ; implicit-def: $vgpr12
	s_branch .LBB33_2253
.LBB33_2243:
	s_or_saveexec_b64 s[14:15], s[14:15]
	v_mov_b32_e32 v12, s25
	s_xor_b64 exec, exec, s[14:15]
	s_cbranch_execz .LBB33_2226
.LBB33_2244:
	v_cmp_ne_u16_e32 vcc, 0, v14
	s_andn2_b64 s[4:5], s[4:5], exec
	s_and_b64 s[18:19], vcc, exec
	v_mov_b32_e32 v12, 0
	s_or_b64 s[4:5], s[4:5], s[18:19]
	s_or_b64 exec, exec, s[14:15]
	s_and_saveexec_b64 s[14:15], s[4:5]
	s_cbranch_execnz .LBB33_2227
	s_branch .LBB33_2228
.LBB33_2245:
	s_mov_b64 s[2:3], -1
                                        ; implicit-def: $vgpr12
	s_branch .LBB33_2250
.LBB33_2246:
	s_mov_b64 s[2:3], -1
                                        ; implicit-def: $vgpr12
.LBB33_2247:
	s_and_b64 vcc, exec, s[2:3]
	s_cbranch_vccz .LBB33_2249
; %bb.2248:
	global_load_ubyte v12, v[0:1], off
	s_mov_b32 s2, 0x7f800000
	s_waitcnt vmcnt(0)
	v_lshlrev_b32_e32 v12, 24, v12
	v_and_b32_e32 v14, 0x7f000000, v12
	v_ffbh_u32_e32 v15, v14
	v_min_u32_e32 v15, 32, v15
	v_sub_u32_e64 v15, v15, 4 clamp
	v_lshlrev_b32_e32 v17, v15, v14
	v_lshlrev_b32_e32 v15, 23, v15
	v_lshrrev_b32_e32 v17, 4, v17
	v_add_u32_e32 v16, 0x1000000, v14
	v_sub_u32_e32 v15, v17, v15
	v_ashrrev_i32_e32 v16, 8, v16
	v_add_u32_e32 v15, 0x3c000000, v15
	v_and_or_b32 v15, v16, s2, v15
	v_cmp_ne_u32_e32 vcc, 0, v14
	v_cndmask_b32_e32 v14, 0, v15, vcc
	s_brev_b32 s2, 1
	v_and_or_b32 v12, v12, s2, v14
.LBB33_2249:
	s_mov_b64 s[2:3], 0
.LBB33_2250:
	s_andn2_b64 vcc, exec, s[2:3]
	s_cbranch_vccnz .LBB33_2252
; %bb.2251:
	global_load_ubyte v12, v[0:1], off
	s_movk_i32 s2, 0x7f00
	s_brev_b32 s3, 16
	s_waitcnt vmcnt(0)
	v_lshlrev_b16_e32 v14, 8, v12
	v_lshlrev_b32_e32 v12, 25, v12
	v_lshrrev_b32_e32 v15, 4, v12
	v_and_or_b32 v16, v14, s2, 0.5
	v_or_b32_e32 v15, 0x70000000, v15
	v_add_f32_e32 v16, -0.5, v16
	v_mul_f32_e32 v15, 0x7800000, v15
	v_cmp_gt_u32_e32 vcc, s3, v12
	v_bfe_i32 v14, v14, 0, 16
	v_cndmask_b32_e32 v12, v15, v16, vcc
	s_brev_b32 s2, 1
	v_and_or_b32 v12, v14, s2, v12
.LBB33_2252:
	s_mov_b64 s[2:3], 0
	s_mov_b64 s[4:5], -1
.LBB33_2253:
	s_andn2_b64 vcc, exec, s[2:3]
	s_mov_b64 s[2:3], 0
	s_cbranch_vccnz .LBB33_2264
; %bb.2254:
	v_mov_b32_e32 v12, 14
	v_cmp_gt_i16_sdwa s[2:3], v6, v12 src0_sel:BYTE_0 src1_sel:DWORD
	s_and_b64 vcc, exec, s[2:3]
	s_cbranch_vccz .LBB33_2257
; %bb.2255:
	v_mov_b32_e32 v12, 15
	v_cmp_eq_u16_sdwa s[0:1], v6, v12 src0_sel:BYTE_0 src1_sel:DWORD
	s_and_b64 vcc, exec, s[0:1]
	s_cbranch_vccz .LBB33_2260
; %bb.2256:
	global_load_ushort v12, v[0:1], off
	s_mov_b64 s[0:1], 0
	s_mov_b64 s[4:5], -1
	s_waitcnt vmcnt(0)
	v_lshlrev_b32_e32 v12, 16, v12
	s_branch .LBB33_2261
.LBB33_2257:
	s_mov_b64 s[14:15], -1
                                        ; implicit-def: $vgpr12
	s_branch .LBB33_2262
.LBB33_2258:
	s_or_saveexec_b64 s[4:5], s[4:5]
	v_mov_b32_e32 v12, s18
	s_xor_b64 exec, exec, s[4:5]
	s_cbranch_execz .LBB33_2239
.LBB33_2259:
	v_cmp_ne_u16_e32 vcc, 0, v14
	s_andn2_b64 s[2:3], s[2:3], exec
	s_and_b64 s[14:15], vcc, exec
	v_mov_b32_e32 v12, 0
	s_or_b64 s[2:3], s[2:3], s[14:15]
	s_or_b64 exec, exec, s[4:5]
	s_and_saveexec_b64 s[4:5], s[2:3]
	s_cbranch_execnz .LBB33_2240
	s_branch .LBB33_2241
.LBB33_2260:
	s_mov_b64 s[0:1], -1
                                        ; implicit-def: $vgpr12
.LBB33_2261:
	s_mov_b64 s[14:15], 0
.LBB33_2262:
	s_mov_b64 s[2:3], 0
	s_and_b64 vcc, exec, s[14:15]
	s_cbranch_vccz .LBB33_2264
; %bb.2263:
	v_mov_b32_e32 v12, 11
	v_cmp_ne_u16_sdwa s[0:1], v6, v12 src0_sel:BYTE_0 src1_sel:DWORD
	s_mov_b64 s[2:3], -1
                                        ; implicit-def: $vgpr12
.LBB33_2264:
	s_and_b64 vcc, exec, s[0:1]
	s_cbranch_vccnz .LBB33_2329
; %bb.2265:
	s_andn2_b64 vcc, exec, s[2:3]
	s_cbranch_vccnz .LBB33_2267
.LBB33_2266:
	global_load_ubyte v12, v[0:1], off
	s_mov_b64 s[4:5], -1
	s_waitcnt vmcnt(0)
	v_cmp_ne_u16_e32 vcc, 0, v12
	v_cndmask_b32_e64 v12, 0, 1.0, vcc
.LBB33_2267:
	s_mov_b64 s[0:1], 0
.LBB33_2268:
	s_and_b64 vcc, exec, s[0:1]
	s_cbranch_vccz .LBB33_2317
; %bb.2269:
	v_mov_b32_e32 v12, 5
	v_cmp_lt_i16_sdwa s[0:1], v6, v12 src0_sel:BYTE_0 src1_sel:DWORD
	s_and_b64 vcc, exec, s[0:1]
	s_cbranch_vccnz .LBB33_2274
; %bb.2270:
	v_mov_b32_e32 v12, 8
	v_cmp_lt_i16_sdwa s[0:1], v6, v12 src0_sel:BYTE_0 src1_sel:DWORD
	s_and_b64 vcc, exec, s[0:1]
	s_cbranch_vccnz .LBB33_2275
	;; [unrolled: 5-line block ×3, first 2 shown]
; %bb.2272:
	v_cmp_gt_i16_sdwa s[0:1], v6, v12 src0_sel:BYTE_0 src1_sel:DWORD
	s_and_b64 vcc, exec, s[0:1]
	s_cbranch_vccz .LBB33_2277
; %bb.2273:
	global_load_dwordx2 v[14:15], v[0:1], off
	s_mov_b64 s[0:1], 0
	s_waitcnt vmcnt(0)
	v_cvt_f32_f64_e32 v12, v[14:15]
	s_branch .LBB33_2278
.LBB33_2274:
	s_mov_b64 s[0:1], -1
                                        ; implicit-def: $vgpr12
	s_branch .LBB33_2296
.LBB33_2275:
	s_mov_b64 s[0:1], -1
                                        ; implicit-def: $vgpr12
	s_branch .LBB33_2284
.LBB33_2276:
	s_mov_b64 s[0:1], -1
                                        ; implicit-def: $vgpr12
	s_branch .LBB33_2281
.LBB33_2277:
	s_mov_b64 s[0:1], -1
                                        ; implicit-def: $vgpr12
.LBB33_2278:
	s_andn2_b64 vcc, exec, s[0:1]
	s_cbranch_vccnz .LBB33_2280
; %bb.2279:
	global_load_dword v12, v[0:1], off
.LBB33_2280:
	s_mov_b64 s[0:1], 0
.LBB33_2281:
	s_andn2_b64 vcc, exec, s[0:1]
	s_cbranch_vccnz .LBB33_2283
; %bb.2282:
	global_load_dword v12, v[0:1], off
	s_waitcnt vmcnt(0)
	v_cvt_f32_f16_e32 v12, v12
.LBB33_2283:
	s_mov_b64 s[0:1], 0
.LBB33_2284:
	s_andn2_b64 vcc, exec, s[0:1]
	s_cbranch_vccnz .LBB33_2295
; %bb.2285:
	s_waitcnt vmcnt(0)
	v_mov_b32_e32 v12, 6
	v_cmp_lt_i16_sdwa s[0:1], v6, v12 src0_sel:BYTE_0 src1_sel:DWORD
	s_and_b64 vcc, exec, s[0:1]
	s_cbranch_vccnz .LBB33_2288
; %bb.2286:
	v_cmp_gt_i16_sdwa s[0:1], v6, v12 src0_sel:BYTE_0 src1_sel:DWORD
	s_and_b64 vcc, exec, s[0:1]
	s_cbranch_vccz .LBB33_2289
; %bb.2287:
	global_load_dwordx2 v[14:15], v[0:1], off
	s_mov_b64 s[0:1], 0
	s_waitcnt vmcnt(0)
	v_cvt_f32_f64_e32 v12, v[14:15]
	s_branch .LBB33_2290
.LBB33_2288:
	s_mov_b64 s[0:1], -1
                                        ; implicit-def: $vgpr12
	s_branch .LBB33_2293
.LBB33_2289:
	s_mov_b64 s[0:1], -1
                                        ; implicit-def: $vgpr12
.LBB33_2290:
	s_andn2_b64 vcc, exec, s[0:1]
	s_cbranch_vccnz .LBB33_2292
; %bb.2291:
	global_load_dword v12, v[0:1], off
.LBB33_2292:
	s_mov_b64 s[0:1], 0
.LBB33_2293:
	s_andn2_b64 vcc, exec, s[0:1]
	s_cbranch_vccnz .LBB33_2295
; %bb.2294:
	global_load_ushort v12, v[0:1], off
	s_waitcnt vmcnt(0)
	v_cvt_f32_f16_e32 v12, v12
.LBB33_2295:
	s_mov_b64 s[0:1], 0
.LBB33_2296:
	s_andn2_b64 vcc, exec, s[0:1]
	s_cbranch_vccnz .LBB33_2316
; %bb.2297:
	s_waitcnt vmcnt(0)
	v_mov_b32_e32 v12, 2
	v_cmp_lt_i16_sdwa s[0:1], v6, v12 src0_sel:BYTE_0 src1_sel:DWORD
	s_and_b64 vcc, exec, s[0:1]
	s_cbranch_vccnz .LBB33_2301
; %bb.2298:
	v_mov_b32_e32 v12, 3
	v_cmp_lt_i16_sdwa s[0:1], v6, v12 src0_sel:BYTE_0 src1_sel:DWORD
	s_and_b64 vcc, exec, s[0:1]
	s_cbranch_vccnz .LBB33_2302
; %bb.2299:
	v_cmp_gt_i16_sdwa s[0:1], v6, v12 src0_sel:BYTE_0 src1_sel:DWORD
	s_and_b64 vcc, exec, s[0:1]
	s_cbranch_vccz .LBB33_2303
; %bb.2300:
	global_load_dwordx2 v[14:15], v[0:1], off
	s_mov_b64 s[0:1], 0
	s_waitcnt vmcnt(0)
	v_xor_b32_e32 v16, v14, v15
	v_ffbh_i32_e32 v12, v15
	v_ashrrev_i32_e32 v16, 31, v16
	v_add_u32_e32 v12, -1, v12
	v_add_u32_e32 v16, 32, v16
	v_min_u32_e32 v12, v12, v16
	v_lshlrev_b64 v[14:15], v12, v[14:15]
	v_min_u32_e32 v14, 1, v14
	v_or_b32_e32 v14, v15, v14
	v_cvt_f32_i32_e32 v14, v14
	v_sub_u32_e32 v12, 32, v12
	v_ldexp_f32 v12, v14, v12
	s_branch .LBB33_2304
.LBB33_2301:
	s_mov_b64 s[0:1], -1
                                        ; implicit-def: $vgpr12
	s_branch .LBB33_2310
.LBB33_2302:
	s_mov_b64 s[0:1], -1
                                        ; implicit-def: $vgpr12
	s_branch .LBB33_2307
.LBB33_2303:
	s_mov_b64 s[0:1], -1
                                        ; implicit-def: $vgpr12
.LBB33_2304:
	s_andn2_b64 vcc, exec, s[0:1]
	s_cbranch_vccnz .LBB33_2306
; %bb.2305:
	global_load_dword v12, v[0:1], off
	s_waitcnt vmcnt(0)
	v_cvt_f32_i32_e32 v12, v12
.LBB33_2306:
	s_mov_b64 s[0:1], 0
.LBB33_2307:
	s_andn2_b64 vcc, exec, s[0:1]
	s_cbranch_vccnz .LBB33_2309
; %bb.2308:
	global_load_sshort v12, v[0:1], off
	s_waitcnt vmcnt(0)
	v_cvt_f32_i32_e32 v12, v12
.LBB33_2309:
	s_mov_b64 s[0:1], 0
.LBB33_2310:
	s_andn2_b64 vcc, exec, s[0:1]
	s_cbranch_vccnz .LBB33_2316
; %bb.2311:
	v_mov_b32_e32 v12, 0
	v_cmp_gt_i16_sdwa s[0:1], v6, v12 src0_sel:BYTE_0 src1_sel:DWORD
	s_and_b64 vcc, exec, s[0:1]
	s_cbranch_vccz .LBB33_2313
; %bb.2312:
	global_load_sbyte v12, v[0:1], off
	s_mov_b64 s[0:1], 0
	s_waitcnt vmcnt(0)
	v_cvt_f32_i32_e32 v12, v12
	s_branch .LBB33_2314
.LBB33_2313:
	s_mov_b64 s[0:1], -1
                                        ; implicit-def: $vgpr12
.LBB33_2314:
	s_andn2_b64 vcc, exec, s[0:1]
	s_cbranch_vccnz .LBB33_2316
; %bb.2315:
	global_load_ubyte v0, v[0:1], off
	s_waitcnt vmcnt(0)
	v_cvt_f32_ubyte0_e32 v12, v0
.LBB33_2316:
	s_mov_b64 s[4:5], -1
.LBB33_2317:
	s_andn2_b64 vcc, exec, s[4:5]
	s_cbranch_vccnz .LBB33_3031
; %bb.2318:
	v_add_u32_e32 v0, s13, v11
	v_ashrrev_i32_e32 v1, 31, v0
	v_mov_b32_e32 v11, s11
	v_add_co_u32_e32 v0, vcc, s10, v0
	v_addc_co_u32_e32 v1, vcc, v11, v1, vcc
	v_mov_b32_e32 v11, 11
	v_cmp_lt_i16_sdwa s[0:1], v7, v11 src0_sel:BYTE_0 src1_sel:DWORD
	s_and_b64 vcc, exec, s[0:1]
	s_cbranch_vccnz .LBB33_2325
; %bb.2319:
	v_mov_b32_e32 v11, 25
	v_cmp_gt_i16_sdwa s[0:1], v7, v11 src0_sel:BYTE_0 src1_sel:DWORD
	s_mov_b64 s[2:3], 0
	s_and_b64 vcc, exec, s[0:1]
	s_cbranch_vccz .LBB33_2326
; %bb.2320:
	v_mov_b32_e32 v11, 28
	v_cmp_gt_i16_sdwa s[0:1], v7, v11 src0_sel:BYTE_0 src1_sel:DWORD
	s_and_b64 vcc, exec, s[0:1]
	s_cbranch_vccz .LBB33_2327
; %bb.2321:
	v_mov_b32_e32 v11, 43
	v_cmp_gt_i16_sdwa s[0:1], v7, v11 src0_sel:BYTE_0 src1_sel:DWORD
	;; [unrolled: 5-line block ×3, first 2 shown]
	s_and_b64 vcc, exec, s[0:1]
	s_cbranch_vccz .LBB33_2330
; %bb.2323:
	v_mov_b32_e32 v11, 46
	v_cmp_eq_u16_sdwa s[0:1], v7, v11 src0_sel:BYTE_0 src1_sel:DWORD
	s_mov_b64 s[10:11], 0
	s_and_b64 vcc, exec, s[0:1]
	s_cbranch_vccz .LBB33_2331
; %bb.2324:
	global_load_dword v11, v[0:1], off
	s_mov_b64 s[0:1], 0
	s_mov_b64 s[4:5], -1
	s_waitcnt vmcnt(0)
	v_lshlrev_b32_e32 v11, 16, v11
	s_branch .LBB33_2332
.LBB33_2325:
	s_mov_b64 s[0:1], -1
	s_mov_b64 s[4:5], 0
                                        ; implicit-def: $vgpr11
	s_branch .LBB33_2398
.LBB33_2326:
	s_mov_b64 s[10:11], -1
	s_mov_b64 s[4:5], 0
	s_mov_b64 s[0:1], 0
                                        ; implicit-def: $vgpr11
	s_branch .LBB33_2361
.LBB33_2327:
	s_mov_b64 s[10:11], -1
	s_mov_b64 s[4:5], 0
	s_mov_b64 s[0:1], 0
                                        ; implicit-def: $vgpr11
	s_branch .LBB33_2342
.LBB33_2328:
	s_mov_b64 s[10:11], -1
	s_mov_b64 s[4:5], 0
	s_mov_b64 s[0:1], 0
                                        ; implicit-def: $vgpr11
	s_branch .LBB33_2337
.LBB33_2329:
	s_trap 2
	s_or_b64 s[22:23], s[22:23], exec
                                        ; implicit-def: $vgpr12
	s_cbranch_execz .LBB33_2266
	s_branch .LBB33_2267
.LBB33_2330:
	s_mov_b64 s[10:11], -1
	s_mov_b64 s[4:5], 0
	s_mov_b64 s[0:1], 0
                                        ; implicit-def: $vgpr11
	s_branch .LBB33_2332
.LBB33_2331:
	s_mov_b64 s[0:1], -1
                                        ; implicit-def: $vgpr11
	s_mov_b64 s[4:5], 0
.LBB33_2332:
	s_and_b64 vcc, exec, s[10:11]
	s_cbranch_vccz .LBB33_2336
; %bb.2333:
	v_mov_b32_e32 v11, 44
	v_cmp_eq_u16_sdwa s[0:1], v7, v11 src0_sel:BYTE_0 src1_sel:DWORD
	s_and_b64 vcc, exec, s[0:1]
	s_cbranch_vccz .LBB33_2335
; %bb.2334:
	global_load_ubyte v11, v[0:1], off
	s_movk_i32 s4, 0xff
	v_mov_b32_e32 v14, 0x7f800001
	v_mov_b32_e32 v15, 0x400000
	s_mov_b64 s[0:1], 0
	s_waitcnt vmcnt(0)
	v_lshlrev_b32_e32 v16, 23, v11
	v_cmp_ne_u32_e32 vcc, s4, v11
	v_cndmask_b32_e32 v14, v14, v16, vcc
	v_cmp_ne_u32_e32 vcc, 0, v11
	v_cndmask_b32_e32 v11, v15, v14, vcc
	s_mov_b64 s[4:5], -1
	s_branch .LBB33_2336
.LBB33_2335:
	s_mov_b64 s[0:1], -1
                                        ; implicit-def: $vgpr11
.LBB33_2336:
	s_mov_b64 s[10:11], 0
.LBB33_2337:
	s_and_b64 vcc, exec, s[10:11]
	s_cbranch_vccz .LBB33_2341
; %bb.2338:
	v_mov_b32_e32 v11, 29
	v_cmp_eq_u16_sdwa s[0:1], v7, v11 src0_sel:BYTE_0 src1_sel:DWORD
	s_and_b64 vcc, exec, s[0:1]
	s_cbranch_vccz .LBB33_2340
; %bb.2339:
	global_load_dwordx2 v[14:15], v[0:1], off
	s_mov_b64 s[0:1], 0
	s_mov_b64 s[4:5], -1
	s_mov_b64 s[10:11], 0
	s_waitcnt vmcnt(0)
	v_ffbh_u32_e32 v11, v15
	v_min_u32_e32 v11, 32, v11
	v_lshlrev_b64 v[14:15], v11, v[14:15]
	v_min_u32_e32 v14, 1, v14
	v_or_b32_e32 v14, v15, v14
	v_cvt_f32_u32_e32 v14, v14
	v_sub_u32_e32 v11, 32, v11
	v_ldexp_f32 v11, v14, v11
	s_branch .LBB33_2342
.LBB33_2340:
	s_mov_b64 s[0:1], -1
                                        ; implicit-def: $vgpr11
.LBB33_2341:
	s_mov_b64 s[10:11], 0
.LBB33_2342:
	s_and_b64 vcc, exec, s[10:11]
	s_cbranch_vccz .LBB33_2360
; %bb.2343:
	v_mov_b32_e32 v11, 27
	v_cmp_lt_i16_sdwa s[4:5], v7, v11 src0_sel:BYTE_0 src1_sel:DWORD
	s_and_b64 vcc, exec, s[4:5]
	s_cbranch_vccnz .LBB33_2346
; %bb.2344:
	v_cmp_gt_i16_sdwa s[4:5], v7, v11 src0_sel:BYTE_0 src1_sel:DWORD
	s_and_b64 vcc, exec, s[4:5]
	s_cbranch_vccz .LBB33_2347
; %bb.2345:
	global_load_dword v11, v[0:1], off
	s_mov_b64 s[4:5], 0
	s_waitcnt vmcnt(0)
	v_cvt_f32_u32_e32 v11, v11
	s_branch .LBB33_2348
.LBB33_2346:
	s_mov_b64 s[4:5], -1
                                        ; implicit-def: $vgpr11
	s_branch .LBB33_2351
.LBB33_2347:
	s_mov_b64 s[4:5], -1
                                        ; implicit-def: $vgpr11
.LBB33_2348:
	s_andn2_b64 vcc, exec, s[4:5]
	s_cbranch_vccnz .LBB33_2350
; %bb.2349:
	global_load_ushort v11, v[0:1], off
	s_waitcnt vmcnt(0)
	v_cvt_f32_u32_e32 v11, v11
.LBB33_2350:
	s_mov_b64 s[4:5], 0
.LBB33_2351:
	s_andn2_b64 vcc, exec, s[4:5]
	s_cbranch_vccnz .LBB33_2359
; %bb.2352:
	global_load_ubyte v14, v[0:1], off
	s_movk_i32 s4, 0x7f
                                        ; implicit-def: $sgpr13
	s_waitcnt vmcnt(0)
	v_cmp_lt_i16_e32 vcc, s4, v14
	s_mov_b64 s[4:5], 0
	s_and_saveexec_b64 s[10:11], vcc
	s_xor_b64 s[10:11], exec, s[10:11]
	s_cbranch_execz .LBB33_2373
; %bb.2353:
	s_movk_i32 s4, 0x80
	v_cmp_eq_u16_e32 vcc, s4, v14
	s_mov_b64 s[4:5], -1
                                        ; implicit-def: $sgpr13
	s_and_saveexec_b64 s[14:15], vcc
; %bb.2354:
	s_mov_b32 s13, 0x7f800001
	s_xor_b64 s[4:5], exec, -1
; %bb.2355:
	s_or_b64 exec, exec, s[14:15]
	s_and_b64 s[4:5], s[4:5], exec
	s_or_saveexec_b64 s[10:11], s[10:11]
	v_mov_b32_e32 v11, s13
	s_xor_b64 exec, exec, s[10:11]
	s_cbranch_execnz .LBB33_2374
.LBB33_2356:
	s_or_b64 exec, exec, s[10:11]
	s_and_saveexec_b64 s[10:11], s[4:5]
	s_cbranch_execz .LBB33_2358
.LBB33_2357:
	v_lshlrev_b32_e32 v11, 24, v14
	v_and_b32_e32 v14, 0xffff, v14
	v_and_b32_e32 v15, 7, v14
	v_ffbh_u32_e32 v17, v15
	v_min_u32_e32 v17, 32, v17
	v_subrev_u32_e32 v18, 28, v17
	v_bfe_u32 v16, v14, 3, 4
	v_lshlrev_b32_e32 v14, v18, v14
	v_sub_u32_e32 v17, 29, v17
	v_and_b32_e32 v14, 7, v14
	v_cmp_eq_u32_e32 vcc, 0, v16
	v_cndmask_b32_e32 v16, v16, v17, vcc
	v_cndmask_b32_e32 v14, v15, v14, vcc
	v_mov_b32_e32 v15, 0x3b800000
	v_lshlrev_b32_e32 v14, 20, v14
	v_and_b32_e32 v11, 0x80000000, v11
	v_lshl_add_u32 v15, v16, 23, v15
	v_or3_b32 v11, v11, v15, v14
.LBB33_2358:
	s_or_b64 exec, exec, s[10:11]
.LBB33_2359:
	s_mov_b64 s[4:5], -1
.LBB33_2360:
	s_mov_b64 s[10:11], 0
.LBB33_2361:
	s_and_b64 vcc, exec, s[10:11]
	s_cbranch_vccz .LBB33_2394
; %bb.2362:
	v_mov_b32_e32 v11, 22
	v_cmp_gt_i16_sdwa s[2:3], v7, v11 src0_sel:BYTE_0 src1_sel:DWORD
	s_and_b64 vcc, exec, s[2:3]
	s_cbranch_vccz .LBB33_2372
; %bb.2363:
	v_mov_b32_e32 v11, 24
	v_cmp_lt_i16_sdwa s[2:3], v7, v11 src0_sel:BYTE_0 src1_sel:DWORD
	s_and_b64 vcc, exec, s[2:3]
	s_cbranch_vccnz .LBB33_2375
; %bb.2364:
	v_cmp_gt_i16_sdwa s[2:3], v7, v11 src0_sel:BYTE_0 src1_sel:DWORD
	s_and_b64 vcc, exec, s[2:3]
	s_cbranch_vccz .LBB33_2376
; %bb.2365:
	global_load_ubyte v14, v[0:1], off
	s_movk_i32 s2, 0x7f
                                        ; implicit-def: $sgpr13
	s_waitcnt vmcnt(0)
	v_cmp_lt_i16_e32 vcc, s2, v14
	s_mov_b64 s[2:3], 0
	s_and_saveexec_b64 s[4:5], vcc
	s_xor_b64 s[4:5], exec, s[4:5]
	s_cbranch_execz .LBB33_2388
; %bb.2366:
	s_movk_i32 s2, 0x80
	v_cmp_eq_u16_e32 vcc, s2, v14
	s_mov_b64 s[2:3], -1
                                        ; implicit-def: $sgpr13
	s_and_saveexec_b64 s[10:11], vcc
; %bb.2367:
	s_mov_b32 s13, 0x7f800001
	s_xor_b64 s[2:3], exec, -1
; %bb.2368:
	s_or_b64 exec, exec, s[10:11]
	s_and_b64 s[2:3], s[2:3], exec
	s_or_saveexec_b64 s[4:5], s[4:5]
	v_mov_b32_e32 v11, s13
	s_xor_b64 exec, exec, s[4:5]
	s_cbranch_execnz .LBB33_2389
.LBB33_2369:
	s_or_b64 exec, exec, s[4:5]
	s_and_saveexec_b64 s[4:5], s[2:3]
	s_cbranch_execz .LBB33_2371
.LBB33_2370:
	v_lshlrev_b32_e32 v11, 24, v14
	v_and_b32_e32 v14, 0xffff, v14
	v_and_b32_e32 v15, 3, v14
	v_ffbh_u32_e32 v17, v15
	v_min_u32_e32 v17, 32, v17
	v_subrev_u32_e32 v18, 29, v17
	v_bfe_u32 v16, v14, 2, 5
	v_lshlrev_b32_e32 v14, v18, v14
	v_sub_u32_e32 v17, 30, v17
	v_and_b32_e32 v14, 3, v14
	v_cmp_eq_u32_e32 vcc, 0, v16
	v_cndmask_b32_e32 v16, v16, v17, vcc
	v_cndmask_b32_e32 v14, v15, v14, vcc
	v_mov_b32_e32 v15, 0x37800000
	v_lshlrev_b32_e32 v14, 21, v14
	v_and_b32_e32 v11, 0x80000000, v11
	v_lshl_add_u32 v15, v16, 23, v15
	v_or3_b32 v11, v11, v15, v14
.LBB33_2371:
	s_or_b64 exec, exec, s[4:5]
	s_mov_b64 s[2:3], 0
	s_branch .LBB33_2377
.LBB33_2372:
	s_mov_b64 s[2:3], -1
                                        ; implicit-def: $vgpr11
	s_branch .LBB33_2383
.LBB33_2373:
	s_or_saveexec_b64 s[10:11], s[10:11]
	v_mov_b32_e32 v11, s13
	s_xor_b64 exec, exec, s[10:11]
	s_cbranch_execz .LBB33_2356
.LBB33_2374:
	v_cmp_ne_u16_e32 vcc, 0, v14
	s_andn2_b64 s[4:5], s[4:5], exec
	s_and_b64 s[14:15], vcc, exec
	v_mov_b32_e32 v11, 0
	s_or_b64 s[4:5], s[4:5], s[14:15]
	s_or_b64 exec, exec, s[10:11]
	s_and_saveexec_b64 s[10:11], s[4:5]
	s_cbranch_execnz .LBB33_2357
	s_branch .LBB33_2358
.LBB33_2375:
	s_mov_b64 s[2:3], -1
                                        ; implicit-def: $vgpr11
	s_branch .LBB33_2380
.LBB33_2376:
	s_mov_b64 s[2:3], -1
                                        ; implicit-def: $vgpr11
.LBB33_2377:
	s_and_b64 vcc, exec, s[2:3]
	s_cbranch_vccz .LBB33_2379
; %bb.2378:
	global_load_ubyte v11, v[0:1], off
	s_mov_b32 s2, 0x7f800000
	s_waitcnt vmcnt(0)
	v_lshlrev_b32_e32 v11, 24, v11
	v_and_b32_e32 v14, 0x7f000000, v11
	v_ffbh_u32_e32 v15, v14
	v_min_u32_e32 v15, 32, v15
	v_sub_u32_e64 v15, v15, 4 clamp
	v_lshlrev_b32_e32 v17, v15, v14
	v_lshlrev_b32_e32 v15, 23, v15
	v_lshrrev_b32_e32 v17, 4, v17
	v_add_u32_e32 v16, 0x1000000, v14
	v_sub_u32_e32 v15, v17, v15
	v_ashrrev_i32_e32 v16, 8, v16
	v_add_u32_e32 v15, 0x3c000000, v15
	v_and_or_b32 v15, v16, s2, v15
	v_cmp_ne_u32_e32 vcc, 0, v14
	v_cndmask_b32_e32 v14, 0, v15, vcc
	s_brev_b32 s2, 1
	v_and_or_b32 v11, v11, s2, v14
.LBB33_2379:
	s_mov_b64 s[2:3], 0
.LBB33_2380:
	s_andn2_b64 vcc, exec, s[2:3]
	s_cbranch_vccnz .LBB33_2382
; %bb.2381:
	global_load_ubyte v11, v[0:1], off
	s_movk_i32 s2, 0x7f00
	s_brev_b32 s3, 16
	s_waitcnt vmcnt(0)
	v_lshlrev_b16_e32 v14, 8, v11
	v_lshlrev_b32_e32 v11, 25, v11
	v_lshrrev_b32_e32 v15, 4, v11
	v_and_or_b32 v16, v14, s2, 0.5
	v_or_b32_e32 v15, 0x70000000, v15
	v_add_f32_e32 v16, -0.5, v16
	v_mul_f32_e32 v15, 0x7800000, v15
	v_cmp_gt_u32_e32 vcc, s3, v11
	v_bfe_i32 v14, v14, 0, 16
	v_cndmask_b32_e32 v11, v15, v16, vcc
	s_brev_b32 s2, 1
	v_and_or_b32 v11, v14, s2, v11
.LBB33_2382:
	s_mov_b64 s[2:3], 0
	s_mov_b64 s[4:5], -1
.LBB33_2383:
	s_andn2_b64 vcc, exec, s[2:3]
	s_mov_b64 s[2:3], 0
	s_cbranch_vccnz .LBB33_2394
; %bb.2384:
	v_mov_b32_e32 v11, 14
	v_cmp_gt_i16_sdwa s[2:3], v7, v11 src0_sel:BYTE_0 src1_sel:DWORD
	s_and_b64 vcc, exec, s[2:3]
	s_cbranch_vccz .LBB33_2387
; %bb.2385:
	v_mov_b32_e32 v11, 15
	v_cmp_eq_u16_sdwa s[0:1], v7, v11 src0_sel:BYTE_0 src1_sel:DWORD
	s_and_b64 vcc, exec, s[0:1]
	s_cbranch_vccz .LBB33_2390
; %bb.2386:
	global_load_ushort v11, v[0:1], off
	s_mov_b64 s[0:1], 0
	s_mov_b64 s[4:5], -1
	s_waitcnt vmcnt(0)
	v_lshlrev_b32_e32 v11, 16, v11
	s_branch .LBB33_2391
.LBB33_2387:
	s_mov_b64 s[10:11], -1
                                        ; implicit-def: $vgpr11
	s_branch .LBB33_2392
.LBB33_2388:
	s_or_saveexec_b64 s[4:5], s[4:5]
	v_mov_b32_e32 v11, s13
	s_xor_b64 exec, exec, s[4:5]
	s_cbranch_execz .LBB33_2369
.LBB33_2389:
	v_cmp_ne_u16_e32 vcc, 0, v14
	s_andn2_b64 s[2:3], s[2:3], exec
	s_and_b64 s[10:11], vcc, exec
	v_mov_b32_e32 v11, 0
	s_or_b64 s[2:3], s[2:3], s[10:11]
	s_or_b64 exec, exec, s[4:5]
	s_and_saveexec_b64 s[4:5], s[2:3]
	s_cbranch_execnz .LBB33_2370
	s_branch .LBB33_2371
.LBB33_2390:
	s_mov_b64 s[0:1], -1
                                        ; implicit-def: $vgpr11
.LBB33_2391:
	s_mov_b64 s[10:11], 0
.LBB33_2392:
	s_mov_b64 s[2:3], 0
	s_and_b64 vcc, exec, s[10:11]
	s_cbranch_vccz .LBB33_2394
; %bb.2393:
	v_mov_b32_e32 v11, 11
	v_cmp_ne_u16_sdwa s[0:1], v7, v11 src0_sel:BYTE_0 src1_sel:DWORD
	s_mov_b64 s[2:3], -1
                                        ; implicit-def: $vgpr11
.LBB33_2394:
	s_and_b64 vcc, exec, s[0:1]
	s_cbranch_vccnz .LBB33_2459
; %bb.2395:
	s_andn2_b64 vcc, exec, s[2:3]
	s_cbranch_vccnz .LBB33_2397
.LBB33_2396:
	global_load_ubyte v11, v[0:1], off
	s_mov_b64 s[4:5], -1
	s_waitcnt vmcnt(0)
	v_cmp_ne_u16_e32 vcc, 0, v11
	v_cndmask_b32_e64 v11, 0, 1.0, vcc
.LBB33_2397:
	s_mov_b64 s[0:1], 0
.LBB33_2398:
	s_and_b64 vcc, exec, s[0:1]
	s_cbranch_vccz .LBB33_2447
; %bb.2399:
	v_mov_b32_e32 v11, 5
	v_cmp_lt_i16_sdwa s[0:1], v7, v11 src0_sel:BYTE_0 src1_sel:DWORD
	s_and_b64 vcc, exec, s[0:1]
	s_cbranch_vccnz .LBB33_2404
; %bb.2400:
	v_mov_b32_e32 v11, 8
	v_cmp_lt_i16_sdwa s[0:1], v7, v11 src0_sel:BYTE_0 src1_sel:DWORD
	s_and_b64 vcc, exec, s[0:1]
	s_cbranch_vccnz .LBB33_2405
	;; [unrolled: 5-line block ×3, first 2 shown]
; %bb.2402:
	v_cmp_gt_i16_sdwa s[0:1], v7, v11 src0_sel:BYTE_0 src1_sel:DWORD
	s_and_b64 vcc, exec, s[0:1]
	s_cbranch_vccz .LBB33_2407
; %bb.2403:
	global_load_dwordx2 v[14:15], v[0:1], off
	s_mov_b64 s[0:1], 0
	s_waitcnt vmcnt(0)
	v_cvt_f32_f64_e32 v11, v[14:15]
	s_branch .LBB33_2408
.LBB33_2404:
	s_mov_b64 s[0:1], -1
                                        ; implicit-def: $vgpr11
	s_branch .LBB33_2426
.LBB33_2405:
	s_mov_b64 s[0:1], -1
                                        ; implicit-def: $vgpr11
	s_branch .LBB33_2414
.LBB33_2406:
	s_mov_b64 s[0:1], -1
                                        ; implicit-def: $vgpr11
	s_branch .LBB33_2411
.LBB33_2407:
	s_mov_b64 s[0:1], -1
                                        ; implicit-def: $vgpr11
.LBB33_2408:
	s_andn2_b64 vcc, exec, s[0:1]
	s_cbranch_vccnz .LBB33_2410
; %bb.2409:
	global_load_dword v11, v[0:1], off
.LBB33_2410:
	s_mov_b64 s[0:1], 0
.LBB33_2411:
	s_andn2_b64 vcc, exec, s[0:1]
	s_cbranch_vccnz .LBB33_2413
; %bb.2412:
	global_load_dword v11, v[0:1], off
	s_waitcnt vmcnt(0)
	v_cvt_f32_f16_e32 v11, v11
.LBB33_2413:
	s_mov_b64 s[0:1], 0
.LBB33_2414:
	s_andn2_b64 vcc, exec, s[0:1]
	s_cbranch_vccnz .LBB33_2425
; %bb.2415:
	s_waitcnt vmcnt(0)
	v_mov_b32_e32 v11, 6
	v_cmp_lt_i16_sdwa s[0:1], v7, v11 src0_sel:BYTE_0 src1_sel:DWORD
	s_and_b64 vcc, exec, s[0:1]
	s_cbranch_vccnz .LBB33_2418
; %bb.2416:
	v_cmp_gt_i16_sdwa s[0:1], v7, v11 src0_sel:BYTE_0 src1_sel:DWORD
	s_and_b64 vcc, exec, s[0:1]
	s_cbranch_vccz .LBB33_2419
; %bb.2417:
	global_load_dwordx2 v[14:15], v[0:1], off
	s_mov_b64 s[0:1], 0
	s_waitcnt vmcnt(0)
	v_cvt_f32_f64_e32 v11, v[14:15]
	s_branch .LBB33_2420
.LBB33_2418:
	s_mov_b64 s[0:1], -1
                                        ; implicit-def: $vgpr11
	s_branch .LBB33_2423
.LBB33_2419:
	s_mov_b64 s[0:1], -1
                                        ; implicit-def: $vgpr11
.LBB33_2420:
	s_andn2_b64 vcc, exec, s[0:1]
	s_cbranch_vccnz .LBB33_2422
; %bb.2421:
	global_load_dword v11, v[0:1], off
.LBB33_2422:
	s_mov_b64 s[0:1], 0
.LBB33_2423:
	s_andn2_b64 vcc, exec, s[0:1]
	s_cbranch_vccnz .LBB33_2425
; %bb.2424:
	global_load_ushort v11, v[0:1], off
	s_waitcnt vmcnt(0)
	v_cvt_f32_f16_e32 v11, v11
.LBB33_2425:
	s_mov_b64 s[0:1], 0
.LBB33_2426:
	s_andn2_b64 vcc, exec, s[0:1]
	s_cbranch_vccnz .LBB33_2446
; %bb.2427:
	s_waitcnt vmcnt(0)
	v_mov_b32_e32 v11, 2
	v_cmp_lt_i16_sdwa s[0:1], v7, v11 src0_sel:BYTE_0 src1_sel:DWORD
	s_and_b64 vcc, exec, s[0:1]
	s_cbranch_vccnz .LBB33_2431
; %bb.2428:
	v_mov_b32_e32 v11, 3
	v_cmp_lt_i16_sdwa s[0:1], v7, v11 src0_sel:BYTE_0 src1_sel:DWORD
	s_and_b64 vcc, exec, s[0:1]
	s_cbranch_vccnz .LBB33_2432
; %bb.2429:
	v_cmp_gt_i16_sdwa s[0:1], v7, v11 src0_sel:BYTE_0 src1_sel:DWORD
	s_and_b64 vcc, exec, s[0:1]
	s_cbranch_vccz .LBB33_2433
; %bb.2430:
	global_load_dwordx2 v[14:15], v[0:1], off
	s_mov_b64 s[0:1], 0
	s_waitcnt vmcnt(0)
	v_xor_b32_e32 v16, v14, v15
	v_ffbh_i32_e32 v11, v15
	v_ashrrev_i32_e32 v16, 31, v16
	v_add_u32_e32 v11, -1, v11
	v_add_u32_e32 v16, 32, v16
	v_min_u32_e32 v11, v11, v16
	v_lshlrev_b64 v[14:15], v11, v[14:15]
	v_min_u32_e32 v14, 1, v14
	v_or_b32_e32 v14, v15, v14
	v_cvt_f32_i32_e32 v14, v14
	v_sub_u32_e32 v11, 32, v11
	v_ldexp_f32 v11, v14, v11
	s_branch .LBB33_2434
.LBB33_2431:
	s_mov_b64 s[0:1], -1
                                        ; implicit-def: $vgpr11
	s_branch .LBB33_2440
.LBB33_2432:
	s_mov_b64 s[0:1], -1
                                        ; implicit-def: $vgpr11
	s_branch .LBB33_2437
.LBB33_2433:
	s_mov_b64 s[0:1], -1
                                        ; implicit-def: $vgpr11
.LBB33_2434:
	s_andn2_b64 vcc, exec, s[0:1]
	s_cbranch_vccnz .LBB33_2436
; %bb.2435:
	global_load_dword v11, v[0:1], off
	s_waitcnt vmcnt(0)
	v_cvt_f32_i32_e32 v11, v11
.LBB33_2436:
	s_mov_b64 s[0:1], 0
.LBB33_2437:
	s_andn2_b64 vcc, exec, s[0:1]
	s_cbranch_vccnz .LBB33_2439
; %bb.2438:
	global_load_sshort v11, v[0:1], off
	s_waitcnt vmcnt(0)
	v_cvt_f32_i32_e32 v11, v11
.LBB33_2439:
	s_mov_b64 s[0:1], 0
.LBB33_2440:
	s_andn2_b64 vcc, exec, s[0:1]
	s_cbranch_vccnz .LBB33_2446
; %bb.2441:
	v_mov_b32_e32 v11, 0
	v_cmp_gt_i16_sdwa s[0:1], v7, v11 src0_sel:BYTE_0 src1_sel:DWORD
	s_and_b64 vcc, exec, s[0:1]
	s_cbranch_vccz .LBB33_2443
; %bb.2442:
	global_load_sbyte v7, v[0:1], off
	s_mov_b64 s[0:1], 0
	s_waitcnt vmcnt(0)
	v_cvt_f32_i32_e32 v11, v7
	s_branch .LBB33_2444
.LBB33_2443:
	s_mov_b64 s[0:1], -1
                                        ; implicit-def: $vgpr11
.LBB33_2444:
	s_andn2_b64 vcc, exec, s[0:1]
	s_cbranch_vccnz .LBB33_2446
; %bb.2445:
	global_load_ubyte v0, v[0:1], off
	s_waitcnt vmcnt(0)
	v_cvt_f32_ubyte0_e32 v11, v0
.LBB33_2446:
	s_mov_b64 s[4:5], -1
.LBB33_2447:
	s_andn2_b64 vcc, exec, s[4:5]
	s_cbranch_vccnz .LBB33_3031
; %bb.2448:
	v_add_u32_e32 v0, s24, v13
	v_ashrrev_i32_e32 v1, 31, v0
	v_mov_b32_e32 v7, s17
	v_add_co_u32_e32 v0, vcc, s16, v0
	v_addc_co_u32_e32 v1, vcc, v7, v1, vcc
	v_mov_b32_e32 v7, 11
	v_cmp_lt_i16_sdwa s[0:1], v6, v7 src0_sel:BYTE_0 src1_sel:DWORD
	s_and_b64 vcc, exec, s[0:1]
	s_cbranch_vccnz .LBB33_2455
; %bb.2449:
	v_mov_b32_e32 v7, 25
	v_cmp_gt_i16_sdwa s[0:1], v6, v7 src0_sel:BYTE_0 src1_sel:DWORD
	s_mov_b64 s[2:3], 0
	s_and_b64 vcc, exec, s[0:1]
	s_cbranch_vccz .LBB33_2456
; %bb.2450:
	v_mov_b32_e32 v7, 28
	v_cmp_gt_i16_sdwa s[0:1], v6, v7 src0_sel:BYTE_0 src1_sel:DWORD
	s_and_b64 vcc, exec, s[0:1]
	s_cbranch_vccz .LBB33_2457
; %bb.2451:
	v_mov_b32_e32 v7, 43
	v_cmp_gt_i16_sdwa s[0:1], v6, v7 src0_sel:BYTE_0 src1_sel:DWORD
	;; [unrolled: 5-line block ×3, first 2 shown]
	s_and_b64 vcc, exec, s[0:1]
	s_cbranch_vccz .LBB33_2460
; %bb.2453:
	v_mov_b32_e32 v7, 46
	v_cmp_eq_u16_sdwa s[0:1], v6, v7 src0_sel:BYTE_0 src1_sel:DWORD
	s_mov_b64 s[10:11], 0
	s_and_b64 vcc, exec, s[0:1]
	s_cbranch_vccz .LBB33_2461
; %bb.2454:
	global_load_dword v7, v[0:1], off
	s_mov_b64 s[0:1], 0
	s_mov_b64 s[4:5], -1
	s_waitcnt vmcnt(0)
	v_lshlrev_b32_e32 v7, 16, v7
	s_branch .LBB33_2462
.LBB33_2455:
	s_mov_b64 s[0:1], -1
	s_mov_b64 s[4:5], 0
                                        ; implicit-def: $vgpr7
	s_branch .LBB33_2528
.LBB33_2456:
	s_mov_b64 s[10:11], -1
	s_mov_b64 s[4:5], 0
	s_mov_b64 s[0:1], 0
                                        ; implicit-def: $vgpr7
	s_branch .LBB33_2491
.LBB33_2457:
	s_mov_b64 s[10:11], -1
	s_mov_b64 s[4:5], 0
	s_mov_b64 s[0:1], 0
                                        ; implicit-def: $vgpr7
	s_branch .LBB33_2472
.LBB33_2458:
	s_mov_b64 s[10:11], -1
	s_mov_b64 s[4:5], 0
	s_mov_b64 s[0:1], 0
                                        ; implicit-def: $vgpr7
	s_branch .LBB33_2467
.LBB33_2459:
	s_trap 2
	s_or_b64 s[22:23], s[22:23], exec
                                        ; implicit-def: $vgpr11
	s_cbranch_execz .LBB33_2396
	s_branch .LBB33_2397
.LBB33_2460:
	s_mov_b64 s[10:11], -1
	s_mov_b64 s[4:5], 0
	s_mov_b64 s[0:1], 0
                                        ; implicit-def: $vgpr7
	s_branch .LBB33_2462
.LBB33_2461:
	s_mov_b64 s[0:1], -1
                                        ; implicit-def: $vgpr7
	s_mov_b64 s[4:5], 0
.LBB33_2462:
	s_and_b64 vcc, exec, s[10:11]
	s_cbranch_vccz .LBB33_2466
; %bb.2463:
	v_mov_b32_e32 v7, 44
	v_cmp_eq_u16_sdwa s[0:1], v6, v7 src0_sel:BYTE_0 src1_sel:DWORD
	s_and_b64 vcc, exec, s[0:1]
	s_cbranch_vccz .LBB33_2465
; %bb.2464:
	global_load_ubyte v7, v[0:1], off
	s_movk_i32 s4, 0xff
	v_mov_b32_e32 v13, 0x7f800001
	v_mov_b32_e32 v14, 0x400000
	s_mov_b64 s[0:1], 0
	s_waitcnt vmcnt(0)
	v_lshlrev_b32_e32 v15, 23, v7
	v_cmp_ne_u32_e32 vcc, s4, v7
	v_cndmask_b32_e32 v13, v13, v15, vcc
	v_cmp_ne_u32_e32 vcc, 0, v7
	v_cndmask_b32_e32 v7, v14, v13, vcc
	s_mov_b64 s[4:5], -1
	s_branch .LBB33_2466
.LBB33_2465:
	s_mov_b64 s[0:1], -1
                                        ; implicit-def: $vgpr7
.LBB33_2466:
	s_mov_b64 s[10:11], 0
.LBB33_2467:
	s_and_b64 vcc, exec, s[10:11]
	s_cbranch_vccz .LBB33_2471
; %bb.2468:
	v_mov_b32_e32 v7, 29
	v_cmp_eq_u16_sdwa s[0:1], v6, v7 src0_sel:BYTE_0 src1_sel:DWORD
	s_and_b64 vcc, exec, s[0:1]
	s_cbranch_vccz .LBB33_2470
; %bb.2469:
	global_load_dwordx2 v[14:15], v[0:1], off
	s_mov_b64 s[0:1], 0
	s_mov_b64 s[4:5], -1
	s_mov_b64 s[10:11], 0
	s_waitcnt vmcnt(0)
	v_ffbh_u32_e32 v7, v15
	v_min_u32_e32 v7, 32, v7
	v_lshlrev_b64 v[14:15], v7, v[14:15]
	v_min_u32_e32 v13, 1, v14
	v_or_b32_e32 v13, v15, v13
	v_cvt_f32_u32_e32 v13, v13
	v_sub_u32_e32 v7, 32, v7
	v_ldexp_f32 v7, v13, v7
	s_branch .LBB33_2472
.LBB33_2470:
	s_mov_b64 s[0:1], -1
                                        ; implicit-def: $vgpr7
.LBB33_2471:
	s_mov_b64 s[10:11], 0
.LBB33_2472:
	s_and_b64 vcc, exec, s[10:11]
	s_cbranch_vccz .LBB33_2490
; %bb.2473:
	v_mov_b32_e32 v7, 27
	v_cmp_lt_i16_sdwa s[4:5], v6, v7 src0_sel:BYTE_0 src1_sel:DWORD
	s_and_b64 vcc, exec, s[4:5]
	s_cbranch_vccnz .LBB33_2476
; %bb.2474:
	v_cmp_gt_i16_sdwa s[4:5], v6, v7 src0_sel:BYTE_0 src1_sel:DWORD
	s_and_b64 vcc, exec, s[4:5]
	s_cbranch_vccz .LBB33_2477
; %bb.2475:
	global_load_dword v7, v[0:1], off
	s_mov_b64 s[4:5], 0
	s_waitcnt vmcnt(0)
	v_cvt_f32_u32_e32 v7, v7
	s_branch .LBB33_2478
.LBB33_2476:
	s_mov_b64 s[4:5], -1
                                        ; implicit-def: $vgpr7
	s_branch .LBB33_2481
.LBB33_2477:
	s_mov_b64 s[4:5], -1
                                        ; implicit-def: $vgpr7
.LBB33_2478:
	s_andn2_b64 vcc, exec, s[4:5]
	s_cbranch_vccnz .LBB33_2480
; %bb.2479:
	global_load_ushort v7, v[0:1], off
	s_waitcnt vmcnt(0)
	v_cvt_f32_u32_e32 v7, v7
.LBB33_2480:
	s_mov_b64 s[4:5], 0
.LBB33_2481:
	s_andn2_b64 vcc, exec, s[4:5]
	s_cbranch_vccnz .LBB33_2489
; %bb.2482:
	global_load_ubyte v13, v[0:1], off
	s_movk_i32 s4, 0x7f
                                        ; implicit-def: $sgpr13
	s_waitcnt vmcnt(0)
	v_cmp_lt_i16_e32 vcc, s4, v13
	s_mov_b64 s[4:5], 0
	s_and_saveexec_b64 s[10:11], vcc
	s_xor_b64 s[10:11], exec, s[10:11]
	s_cbranch_execz .LBB33_2503
; %bb.2483:
	s_movk_i32 s4, 0x80
	v_cmp_eq_u16_e32 vcc, s4, v13
	s_mov_b64 s[4:5], -1
                                        ; implicit-def: $sgpr13
	s_and_saveexec_b64 s[14:15], vcc
; %bb.2484:
	s_mov_b32 s13, 0x7f800001
	s_xor_b64 s[4:5], exec, -1
; %bb.2485:
	s_or_b64 exec, exec, s[14:15]
	s_and_b64 s[4:5], s[4:5], exec
	s_or_saveexec_b64 s[10:11], s[10:11]
	v_mov_b32_e32 v7, s13
	s_xor_b64 exec, exec, s[10:11]
	s_cbranch_execnz .LBB33_2504
.LBB33_2486:
	s_or_b64 exec, exec, s[10:11]
	s_and_saveexec_b64 s[10:11], s[4:5]
	s_cbranch_execz .LBB33_2488
.LBB33_2487:
	v_lshlrev_b32_e32 v7, 24, v13
	v_and_b32_e32 v13, 0xffff, v13
	v_and_b32_e32 v14, 7, v13
	v_ffbh_u32_e32 v16, v14
	v_min_u32_e32 v16, 32, v16
	v_subrev_u32_e32 v17, 28, v16
	v_bfe_u32 v15, v13, 3, 4
	v_lshlrev_b32_e32 v13, v17, v13
	v_sub_u32_e32 v16, 29, v16
	v_and_b32_e32 v13, 7, v13
	v_cmp_eq_u32_e32 vcc, 0, v15
	v_cndmask_b32_e32 v15, v15, v16, vcc
	v_cndmask_b32_e32 v13, v14, v13, vcc
	v_mov_b32_e32 v14, 0x3b800000
	v_lshlrev_b32_e32 v13, 20, v13
	v_and_b32_e32 v7, 0x80000000, v7
	v_lshl_add_u32 v14, v15, 23, v14
	v_or3_b32 v7, v7, v14, v13
.LBB33_2488:
	s_or_b64 exec, exec, s[10:11]
.LBB33_2489:
	s_mov_b64 s[4:5], -1
.LBB33_2490:
	s_mov_b64 s[10:11], 0
.LBB33_2491:
	s_and_b64 vcc, exec, s[10:11]
	s_cbranch_vccz .LBB33_2524
; %bb.2492:
	v_mov_b32_e32 v7, 22
	v_cmp_gt_i16_sdwa s[2:3], v6, v7 src0_sel:BYTE_0 src1_sel:DWORD
	s_and_b64 vcc, exec, s[2:3]
	s_cbranch_vccz .LBB33_2502
; %bb.2493:
	v_mov_b32_e32 v7, 24
	v_cmp_lt_i16_sdwa s[2:3], v6, v7 src0_sel:BYTE_0 src1_sel:DWORD
	s_and_b64 vcc, exec, s[2:3]
	s_cbranch_vccnz .LBB33_2505
; %bb.2494:
	v_cmp_gt_i16_sdwa s[2:3], v6, v7 src0_sel:BYTE_0 src1_sel:DWORD
	s_and_b64 vcc, exec, s[2:3]
	s_cbranch_vccz .LBB33_2506
; %bb.2495:
	global_load_ubyte v13, v[0:1], off
	s_movk_i32 s2, 0x7f
                                        ; implicit-def: $sgpr13
	s_waitcnt vmcnt(0)
	v_cmp_lt_i16_e32 vcc, s2, v13
	s_mov_b64 s[2:3], 0
	s_and_saveexec_b64 s[4:5], vcc
	s_xor_b64 s[4:5], exec, s[4:5]
	s_cbranch_execz .LBB33_2518
; %bb.2496:
	s_movk_i32 s2, 0x80
	v_cmp_eq_u16_e32 vcc, s2, v13
	s_mov_b64 s[2:3], -1
                                        ; implicit-def: $sgpr13
	s_and_saveexec_b64 s[10:11], vcc
; %bb.2497:
	s_mov_b32 s13, 0x7f800001
	s_xor_b64 s[2:3], exec, -1
; %bb.2498:
	s_or_b64 exec, exec, s[10:11]
	s_and_b64 s[2:3], s[2:3], exec
	s_or_saveexec_b64 s[4:5], s[4:5]
	v_mov_b32_e32 v7, s13
	s_xor_b64 exec, exec, s[4:5]
	s_cbranch_execnz .LBB33_2519
.LBB33_2499:
	s_or_b64 exec, exec, s[4:5]
	s_and_saveexec_b64 s[4:5], s[2:3]
	s_cbranch_execz .LBB33_2501
.LBB33_2500:
	v_lshlrev_b32_e32 v7, 24, v13
	v_and_b32_e32 v13, 0xffff, v13
	v_and_b32_e32 v14, 3, v13
	v_ffbh_u32_e32 v16, v14
	v_min_u32_e32 v16, 32, v16
	v_subrev_u32_e32 v17, 29, v16
	v_bfe_u32 v15, v13, 2, 5
	v_lshlrev_b32_e32 v13, v17, v13
	v_sub_u32_e32 v16, 30, v16
	v_and_b32_e32 v13, 3, v13
	v_cmp_eq_u32_e32 vcc, 0, v15
	v_cndmask_b32_e32 v15, v15, v16, vcc
	v_cndmask_b32_e32 v13, v14, v13, vcc
	v_mov_b32_e32 v14, 0x37800000
	v_lshlrev_b32_e32 v13, 21, v13
	v_and_b32_e32 v7, 0x80000000, v7
	v_lshl_add_u32 v14, v15, 23, v14
	v_or3_b32 v7, v7, v14, v13
.LBB33_2501:
	s_or_b64 exec, exec, s[4:5]
	s_mov_b64 s[2:3], 0
	s_branch .LBB33_2507
.LBB33_2502:
	s_mov_b64 s[2:3], -1
                                        ; implicit-def: $vgpr7
	s_branch .LBB33_2513
.LBB33_2503:
	s_or_saveexec_b64 s[10:11], s[10:11]
	v_mov_b32_e32 v7, s13
	s_xor_b64 exec, exec, s[10:11]
	s_cbranch_execz .LBB33_2486
.LBB33_2504:
	v_cmp_ne_u16_e32 vcc, 0, v13
	s_andn2_b64 s[4:5], s[4:5], exec
	s_and_b64 s[14:15], vcc, exec
	v_mov_b32_e32 v7, 0
	s_or_b64 s[4:5], s[4:5], s[14:15]
	s_or_b64 exec, exec, s[10:11]
	s_and_saveexec_b64 s[10:11], s[4:5]
	s_cbranch_execnz .LBB33_2487
	s_branch .LBB33_2488
.LBB33_2505:
	s_mov_b64 s[2:3], -1
                                        ; implicit-def: $vgpr7
	s_branch .LBB33_2510
.LBB33_2506:
	s_mov_b64 s[2:3], -1
                                        ; implicit-def: $vgpr7
.LBB33_2507:
	s_and_b64 vcc, exec, s[2:3]
	s_cbranch_vccz .LBB33_2509
; %bb.2508:
	global_load_ubyte v7, v[0:1], off
	s_mov_b32 s2, 0x7f800000
	s_waitcnt vmcnt(0)
	v_lshlrev_b32_e32 v7, 24, v7
	v_and_b32_e32 v13, 0x7f000000, v7
	v_ffbh_u32_e32 v14, v13
	v_min_u32_e32 v14, 32, v14
	v_sub_u32_e64 v14, v14, 4 clamp
	v_lshlrev_b32_e32 v16, v14, v13
	v_lshlrev_b32_e32 v14, 23, v14
	v_lshrrev_b32_e32 v16, 4, v16
	v_add_u32_e32 v15, 0x1000000, v13
	v_sub_u32_e32 v14, v16, v14
	v_ashrrev_i32_e32 v15, 8, v15
	v_add_u32_e32 v14, 0x3c000000, v14
	v_and_or_b32 v14, v15, s2, v14
	v_cmp_ne_u32_e32 vcc, 0, v13
	v_cndmask_b32_e32 v13, 0, v14, vcc
	s_brev_b32 s2, 1
	v_and_or_b32 v7, v7, s2, v13
.LBB33_2509:
	s_mov_b64 s[2:3], 0
.LBB33_2510:
	s_andn2_b64 vcc, exec, s[2:3]
	s_cbranch_vccnz .LBB33_2512
; %bb.2511:
	global_load_ubyte v7, v[0:1], off
	s_movk_i32 s2, 0x7f00
	s_brev_b32 s3, 16
	s_waitcnt vmcnt(0)
	v_lshlrev_b16_e32 v13, 8, v7
	v_lshlrev_b32_e32 v7, 25, v7
	v_lshrrev_b32_e32 v14, 4, v7
	v_and_or_b32 v15, v13, s2, 0.5
	v_or_b32_e32 v14, 0x70000000, v14
	v_add_f32_e32 v15, -0.5, v15
	v_mul_f32_e32 v14, 0x7800000, v14
	v_cmp_gt_u32_e32 vcc, s3, v7
	v_bfe_i32 v13, v13, 0, 16
	v_cndmask_b32_e32 v7, v14, v15, vcc
	s_brev_b32 s2, 1
	v_and_or_b32 v7, v13, s2, v7
.LBB33_2512:
	s_mov_b64 s[2:3], 0
	s_mov_b64 s[4:5], -1
.LBB33_2513:
	s_andn2_b64 vcc, exec, s[2:3]
	s_mov_b64 s[2:3], 0
	s_cbranch_vccnz .LBB33_2524
; %bb.2514:
	v_mov_b32_e32 v7, 14
	v_cmp_gt_i16_sdwa s[2:3], v6, v7 src0_sel:BYTE_0 src1_sel:DWORD
	s_and_b64 vcc, exec, s[2:3]
	s_cbranch_vccz .LBB33_2517
; %bb.2515:
	v_mov_b32_e32 v7, 15
	v_cmp_eq_u16_sdwa s[0:1], v6, v7 src0_sel:BYTE_0 src1_sel:DWORD
	s_and_b64 vcc, exec, s[0:1]
	s_cbranch_vccz .LBB33_2520
; %bb.2516:
	global_load_ushort v7, v[0:1], off
	s_mov_b64 s[0:1], 0
	s_mov_b64 s[4:5], -1
	s_waitcnt vmcnt(0)
	v_lshlrev_b32_e32 v7, 16, v7
	s_branch .LBB33_2521
.LBB33_2517:
	s_mov_b64 s[10:11], -1
                                        ; implicit-def: $vgpr7
	s_branch .LBB33_2522
.LBB33_2518:
	s_or_saveexec_b64 s[4:5], s[4:5]
	v_mov_b32_e32 v7, s13
	s_xor_b64 exec, exec, s[4:5]
	s_cbranch_execz .LBB33_2499
.LBB33_2519:
	v_cmp_ne_u16_e32 vcc, 0, v13
	s_andn2_b64 s[2:3], s[2:3], exec
	s_and_b64 s[10:11], vcc, exec
	v_mov_b32_e32 v7, 0
	s_or_b64 s[2:3], s[2:3], s[10:11]
	s_or_b64 exec, exec, s[4:5]
	s_and_saveexec_b64 s[4:5], s[2:3]
	s_cbranch_execnz .LBB33_2500
	s_branch .LBB33_2501
.LBB33_2520:
	s_mov_b64 s[0:1], -1
                                        ; implicit-def: $vgpr7
.LBB33_2521:
	s_mov_b64 s[10:11], 0
.LBB33_2522:
	s_mov_b64 s[2:3], 0
	s_and_b64 vcc, exec, s[10:11]
	s_cbranch_vccz .LBB33_2524
; %bb.2523:
	v_mov_b32_e32 v7, 11
	v_cmp_ne_u16_sdwa s[0:1], v6, v7 src0_sel:BYTE_0 src1_sel:DWORD
	s_mov_b64 s[2:3], -1
                                        ; implicit-def: $vgpr7
.LBB33_2524:
	s_and_b64 vcc, exec, s[0:1]
	s_cbranch_vccnz .LBB33_2588
; %bb.2525:
	s_andn2_b64 vcc, exec, s[2:3]
	s_cbranch_vccnz .LBB33_2527
.LBB33_2526:
	global_load_ubyte v7, v[0:1], off
	s_mov_b64 s[4:5], -1
	s_waitcnt vmcnt(0)
	v_cmp_ne_u16_e32 vcc, 0, v7
	v_cndmask_b32_e64 v7, 0, 1.0, vcc
.LBB33_2527:
	s_mov_b64 s[0:1], 0
.LBB33_2528:
	s_and_b64 vcc, exec, s[0:1]
	s_cbranch_vccz .LBB33_2577
; %bb.2529:
	v_mov_b32_e32 v7, 5
	v_cmp_lt_i16_sdwa s[0:1], v6, v7 src0_sel:BYTE_0 src1_sel:DWORD
	s_and_b64 vcc, exec, s[0:1]
	s_cbranch_vccnz .LBB33_2534
; %bb.2530:
	v_mov_b32_e32 v7, 8
	v_cmp_lt_i16_sdwa s[0:1], v6, v7 src0_sel:BYTE_0 src1_sel:DWORD
	s_and_b64 vcc, exec, s[0:1]
	s_cbranch_vccnz .LBB33_2535
	;; [unrolled: 5-line block ×3, first 2 shown]
; %bb.2532:
	v_cmp_gt_i16_sdwa s[0:1], v6, v7 src0_sel:BYTE_0 src1_sel:DWORD
	s_and_b64 vcc, exec, s[0:1]
	s_cbranch_vccz .LBB33_2537
; %bb.2533:
	global_load_dwordx2 v[14:15], v[0:1], off
	s_mov_b64 s[0:1], 0
	s_waitcnt vmcnt(0)
	v_cvt_f32_f64_e32 v7, v[14:15]
	s_branch .LBB33_2538
.LBB33_2534:
	s_mov_b64 s[0:1], -1
                                        ; implicit-def: $vgpr7
	s_branch .LBB33_2556
.LBB33_2535:
	s_mov_b64 s[0:1], -1
                                        ; implicit-def: $vgpr7
	s_branch .LBB33_2544
.LBB33_2536:
	s_mov_b64 s[0:1], -1
                                        ; implicit-def: $vgpr7
	s_branch .LBB33_2541
.LBB33_2537:
	s_mov_b64 s[0:1], -1
                                        ; implicit-def: $vgpr7
.LBB33_2538:
	s_andn2_b64 vcc, exec, s[0:1]
	s_cbranch_vccnz .LBB33_2540
; %bb.2539:
	global_load_dword v7, v[0:1], off
.LBB33_2540:
	s_mov_b64 s[0:1], 0
.LBB33_2541:
	s_andn2_b64 vcc, exec, s[0:1]
	s_cbranch_vccnz .LBB33_2543
; %bb.2542:
	global_load_dword v7, v[0:1], off
	s_waitcnt vmcnt(0)
	v_cvt_f32_f16_e32 v7, v7
.LBB33_2543:
	s_mov_b64 s[0:1], 0
.LBB33_2544:
	s_andn2_b64 vcc, exec, s[0:1]
	s_cbranch_vccnz .LBB33_2555
; %bb.2545:
	s_waitcnt vmcnt(0)
	v_mov_b32_e32 v7, 6
	v_cmp_lt_i16_sdwa s[0:1], v6, v7 src0_sel:BYTE_0 src1_sel:DWORD
	s_and_b64 vcc, exec, s[0:1]
	s_cbranch_vccnz .LBB33_2548
; %bb.2546:
	v_cmp_gt_i16_sdwa s[0:1], v6, v7 src0_sel:BYTE_0 src1_sel:DWORD
	s_and_b64 vcc, exec, s[0:1]
	s_cbranch_vccz .LBB33_2549
; %bb.2547:
	global_load_dwordx2 v[14:15], v[0:1], off
	s_mov_b64 s[0:1], 0
	s_waitcnt vmcnt(0)
	v_cvt_f32_f64_e32 v7, v[14:15]
	s_branch .LBB33_2550
.LBB33_2548:
	s_mov_b64 s[0:1], -1
                                        ; implicit-def: $vgpr7
	s_branch .LBB33_2553
.LBB33_2549:
	s_mov_b64 s[0:1], -1
                                        ; implicit-def: $vgpr7
.LBB33_2550:
	s_andn2_b64 vcc, exec, s[0:1]
	s_cbranch_vccnz .LBB33_2552
; %bb.2551:
	global_load_dword v7, v[0:1], off
.LBB33_2552:
	s_mov_b64 s[0:1], 0
.LBB33_2553:
	s_andn2_b64 vcc, exec, s[0:1]
	s_cbranch_vccnz .LBB33_2555
; %bb.2554:
	global_load_ushort v7, v[0:1], off
	s_waitcnt vmcnt(0)
	v_cvt_f32_f16_e32 v7, v7
.LBB33_2555:
	s_mov_b64 s[0:1], 0
.LBB33_2556:
	s_andn2_b64 vcc, exec, s[0:1]
	s_cbranch_vccnz .LBB33_2576
; %bb.2557:
	s_waitcnt vmcnt(0)
	v_mov_b32_e32 v7, 2
	v_cmp_lt_i16_sdwa s[0:1], v6, v7 src0_sel:BYTE_0 src1_sel:DWORD
	s_and_b64 vcc, exec, s[0:1]
	s_cbranch_vccnz .LBB33_2561
; %bb.2558:
	v_mov_b32_e32 v7, 3
	v_cmp_lt_i16_sdwa s[0:1], v6, v7 src0_sel:BYTE_0 src1_sel:DWORD
	s_and_b64 vcc, exec, s[0:1]
	s_cbranch_vccnz .LBB33_2562
; %bb.2559:
	v_cmp_gt_i16_sdwa s[0:1], v6, v7 src0_sel:BYTE_0 src1_sel:DWORD
	s_and_b64 vcc, exec, s[0:1]
	s_cbranch_vccz .LBB33_2563
; %bb.2560:
	global_load_dwordx2 v[14:15], v[0:1], off
	s_mov_b64 s[0:1], 0
	s_waitcnt vmcnt(0)
	v_xor_b32_e32 v13, v14, v15
	v_ffbh_i32_e32 v7, v15
	v_ashrrev_i32_e32 v13, 31, v13
	v_add_u32_e32 v7, -1, v7
	v_add_u32_e32 v13, 32, v13
	v_min_u32_e32 v7, v7, v13
	v_lshlrev_b64 v[14:15], v7, v[14:15]
	v_min_u32_e32 v13, 1, v14
	v_or_b32_e32 v13, v15, v13
	v_cvt_f32_i32_e32 v13, v13
	v_sub_u32_e32 v7, 32, v7
	v_ldexp_f32 v7, v13, v7
	s_branch .LBB33_2564
.LBB33_2561:
	s_mov_b64 s[0:1], -1
                                        ; implicit-def: $vgpr7
	s_branch .LBB33_2570
.LBB33_2562:
	s_mov_b64 s[0:1], -1
                                        ; implicit-def: $vgpr7
	s_branch .LBB33_2567
.LBB33_2563:
	s_mov_b64 s[0:1], -1
                                        ; implicit-def: $vgpr7
.LBB33_2564:
	s_andn2_b64 vcc, exec, s[0:1]
	s_cbranch_vccnz .LBB33_2566
; %bb.2565:
	global_load_dword v7, v[0:1], off
	s_waitcnt vmcnt(0)
	v_cvt_f32_i32_e32 v7, v7
.LBB33_2566:
	s_mov_b64 s[0:1], 0
.LBB33_2567:
	s_andn2_b64 vcc, exec, s[0:1]
	s_cbranch_vccnz .LBB33_2569
; %bb.2568:
	global_load_sshort v7, v[0:1], off
	s_waitcnt vmcnt(0)
	v_cvt_f32_i32_e32 v7, v7
.LBB33_2569:
	s_mov_b64 s[0:1], 0
.LBB33_2570:
	s_andn2_b64 vcc, exec, s[0:1]
	s_cbranch_vccnz .LBB33_2576
; %bb.2571:
	v_mov_b32_e32 v7, 0
	v_cmp_gt_i16_sdwa s[0:1], v6, v7 src0_sel:BYTE_0 src1_sel:DWORD
	s_and_b64 vcc, exec, s[0:1]
	s_cbranch_vccz .LBB33_2573
; %bb.2572:
	global_load_sbyte v6, v[0:1], off
	s_mov_b64 s[0:1], 0
	s_waitcnt vmcnt(0)
	v_cvt_f32_i32_e32 v7, v6
	s_branch .LBB33_2574
.LBB33_2573:
	s_mov_b64 s[0:1], -1
                                        ; implicit-def: $vgpr7
.LBB33_2574:
	s_andn2_b64 vcc, exec, s[0:1]
	s_cbranch_vccnz .LBB33_2576
; %bb.2575:
	global_load_ubyte v0, v[0:1], off
	s_waitcnt vmcnt(0)
	v_cvt_f32_ubyte0_e32 v7, v0
.LBB33_2576:
	s_mov_b64 s[4:5], -1
.LBB33_2577:
	s_andn2_b64 vcc, exec, s[4:5]
	s_cbranch_vccnz .LBB33_3031
; %bb.2578:
	s_waitcnt vmcnt(0)
	v_div_scale_f32 v0, s[0:1], v3, v3, v2
	v_rcp_f32_e32 v1, v0
	v_div_scale_f32 v6, vcc, v2, v3, v2
	s_mov_b32 s0, 0x800000
	v_fma_f32 v13, -v0, v1, 1.0
	v_fmac_f32_e32 v1, v13, v1
	v_mul_f32_e32 v13, v6, v1
	v_fma_f32 v14, -v0, v13, v6
	v_fmac_f32_e32 v13, v14, v1
	v_fma_f32 v0, -v0, v13, v6
	v_div_fmas_f32 v0, v0, v1, v13
	v_div_fixup_f32 v3, v0, v3, v2
	v_mov_b32_e32 v0, 0x800000
	v_cmp_gt_f32_e64 s[0:1], s0, v3
	v_cndmask_b32_e64 v0, v3, v0, s[0:1]
	s_mov_b32 s2, 0x3f7ffffe
	v_mov_b32_e32 v1, 0x3f7ffffe
	v_cmp_lt_f32_e64 s[2:3], s2, v0
	v_mul_lo_u32 v5, s12, v5
	v_cndmask_b32_e64 v2, v0, v1, s[2:3]
	v_ashrrev_i32_e32 v1, 31, v5
	v_mov_b32_e32 v6, s9
	v_add_co_u32_e32 v0, vcc, s8, v5
	v_addc_co_u32_e32 v1, vcc, v6, v1, vcc
	v_mov_b32_e32 v6, 11
	v_cmp_lt_i16_sdwa s[4:5], v4, v6 src0_sel:BYTE_0 src1_sel:DWORD
	s_and_b64 vcc, exec, s[4:5]
	s_cbranch_vccnz .LBB33_2585
; %bb.2579:
	v_mov_b32_e32 v6, 25
	v_cmp_gt_i16_sdwa s[4:5], v4, v6 src0_sel:BYTE_0 src1_sel:DWORD
	s_mov_b64 s[16:17], -1
	s_mov_b64 s[10:11], 0
	s_and_b64 vcc, exec, s[4:5]
	s_mov_b64 s[14:15], 0
	s_mov_b64 s[4:5], 0
	s_cbranch_vccz .LBB33_2617
; %bb.2580:
	v_mov_b32_e32 v6, 28
	v_cmp_gt_i16_sdwa s[4:5], v4, v6 src0_sel:BYTE_0 src1_sel:DWORD
	s_and_b64 vcc, exec, s[4:5]
	s_cbranch_vccz .LBB33_2586
; %bb.2581:
	v_mov_b32_e32 v6, 43
	v_cmp_gt_i16_sdwa s[4:5], v4, v6 src0_sel:BYTE_0 src1_sel:DWORD
	s_and_b64 vcc, exec, s[4:5]
	;; [unrolled: 5-line block ×3, first 2 shown]
	s_cbranch_vccz .LBB33_2589
; %bb.2583:
	v_mov_b32_e32 v6, 46
	v_cmp_eq_u16_sdwa s[14:15], v4, v6 src0_sel:BYTE_0 src1_sel:DWORD
	s_mov_b64 s[4:5], -1
	s_mov_b64 s[16:17], 0
	s_and_b64 vcc, exec, s[14:15]
	s_mov_b64 s[14:15], 0
	s_cbranch_vccz .LBB33_2590
; %bb.2584:
	v_bfe_u32 v6, v2, 16, 1
	s_movk_i32 s4, 0x7fff
	v_add3_u32 v6, v2, v6, s4
	v_lshrrev_b32_e32 v6, 16, v6
	v_mov_b32_e32 v13, 0x7fc0
	v_cmp_o_f32_e32 vcc, v2, v2
	v_cndmask_b32_e32 v6, v13, v6, vcc
	global_store_dword v[0:1], v6, off
	s_mov_b64 s[4:5], 0
	s_mov_b64 s[14:15], -1
	s_branch .LBB33_2590
.LBB33_2585:
	s_mov_b64 s[0:1], -1
	s_mov_b64 s[14:15], 0
	s_branch .LBB33_2661
.LBB33_2586:
	s_mov_b64 s[4:5], 0
	s_branch .LBB33_2600
.LBB33_2587:
	s_mov_b64 s[4:5], 0
	s_branch .LBB33_2596
.LBB33_2588:
	s_trap 2
	s_or_b64 s[22:23], s[22:23], exec
                                        ; implicit-def: $vgpr7
	s_cbranch_execz .LBB33_2526
	s_branch .LBB33_2527
.LBB33_2589:
	s_mov_b64 s[4:5], 0
.LBB33_2590:
	s_and_b64 vcc, exec, s[16:17]
	s_cbranch_vccz .LBB33_2595
; %bb.2591:
	v_mov_b32_e32 v6, 44
	v_cmp_eq_u16_sdwa s[16:17], v4, v6 src0_sel:BYTE_0 src1_sel:DWORD
	s_mov_b64 s[4:5], -1
	s_and_b64 vcc, exec, s[16:17]
	s_cbranch_vccz .LBB33_2595
; %bb.2592:
	v_bfe_u32 v6, v2, 23, 8
	s_movk_i32 s4, 0xff
	v_cmp_ne_u32_e32 vcc, s4, v6
	v_mov_b32_e32 v13, 0xff
	s_and_saveexec_b64 s[14:15], vcc
; %bb.2593:
	s_mov_b32 s4, 0x3fffff
	v_and_b32_e32 v14, 0x400000, v2
	v_and_or_b32 v6, v2, s4, v6
	v_cmp_ne_u32_e32 vcc, 0, v14
	v_cmp_ne_u32_e64 s[4:5], 0, v6
	s_and_b64 s[4:5], vcc, s[4:5]
	v_lshrrev_b32_e32 v13, 23, v2
	v_cndmask_b32_e64 v6, 0, 1, s[4:5]
	v_add_u32_e32 v13, v13, v6
; %bb.2594:
	s_or_b64 exec, exec, s[14:15]
	s_mov_b64 s[4:5], 0
	s_mov_b64 s[14:15], -1
	global_store_byte v[0:1], v13, off
.LBB33_2595:
	s_mov_b64 s[16:17], 0
.LBB33_2596:
	s_and_b64 vcc, exec, s[16:17]
	s_cbranch_vccz .LBB33_2599
; %bb.2597:
	v_mov_b32_e32 v6, 29
	v_cmp_eq_u16_sdwa s[16:17], v4, v6 src0_sel:BYTE_0 src1_sel:DWORD
	s_mov_b64 s[4:5], -1
	s_and_b64 vcc, exec, s[16:17]
	s_cbranch_vccz .LBB33_2599
; %bb.2598:
	v_trunc_f32_e32 v6, v2
	v_mul_f32_e32 v13, 0x2f800000, v6
	v_floor_f32_e32 v13, v13
	v_fmac_f32_e32 v6, 0xcf800000, v13
	v_cvt_u32_f32_e32 v15, v13
	v_cvt_u32_f32_e32 v14, v6
	s_mov_b64 s[4:5], 0
	s_mov_b64 s[14:15], -1
	s_mov_b64 s[16:17], 0
	global_store_dwordx2 v[0:1], v[14:15], off
	s_branch .LBB33_2600
.LBB33_2599:
	s_mov_b64 s[16:17], 0
.LBB33_2600:
	s_and_b64 vcc, exec, s[16:17]
	s_cbranch_vccz .LBB33_2616
; %bb.2601:
	v_mov_b32_e32 v6, 27
	v_cmp_lt_i16_sdwa s[16:17], v4, v6 src0_sel:BYTE_0 src1_sel:DWORD
	s_mov_b64 s[14:15], -1
	s_and_b64 vcc, exec, s[16:17]
	s_cbranch_vccnz .LBB33_2607
; %bb.2602:
	v_cmp_gt_i16_sdwa s[16:17], v4, v6 src0_sel:BYTE_0 src1_sel:DWORD
	v_cvt_u32_f32_e32 v6, v2
	s_and_b64 vcc, exec, s[16:17]
	s_cbranch_vccz .LBB33_2604
; %bb.2603:
	s_mov_b64 s[14:15], 0
	global_store_dword v[0:1], v6, off
.LBB33_2604:
	s_andn2_b64 vcc, exec, s[14:15]
	s_cbranch_vccnz .LBB33_2606
; %bb.2605:
	global_store_short v[0:1], v6, off
.LBB33_2606:
	s_mov_b64 s[14:15], 0
.LBB33_2607:
	s_andn2_b64 vcc, exec, s[14:15]
	s_cbranch_vccnz .LBB33_2615
; %bb.2608:
	v_mov_b32_e32 v6, 0x800000
	v_cndmask_b32_e64 v6, |v3|, v6, s[0:1]
	v_mov_b32_e32 v13, 0x3f7ffffe
	v_cndmask_b32_e64 v13, v6, v13, s[2:3]
	s_mov_b32 s13, 0x43800000
	v_cmp_gt_u32_e32 vcc, s13, v13
	v_mov_b32_e32 v14, 0x80
	s_and_saveexec_b64 s[14:15], vcc
	s_cbranch_execz .LBB33_2614
; %bb.2609:
	s_mov_b32 s13, 0x3bffffff
	v_cmp_lt_u32_e32 vcc, s13, v13
	s_mov_b64 s[16:17], 0
                                        ; implicit-def: $vgpr6
	s_and_saveexec_b64 s[18:19], vcc
	s_xor_b64 s[18:19], exec, s[18:19]
	s_cbranch_execz .LBB33_2710
; %bb.2610:
	v_bfe_u32 v6, v2, 20, 1
	s_mov_b32 s13, 0x487ffff
	v_add3_u32 v6, v2, v6, s13
	s_mov_b64 s[16:17], exec
	v_lshrrev_b32_e32 v6, 20, v6
                                        ; implicit-def: $vgpr13
	s_or_saveexec_b64 s[18:19], s[18:19]
                                        ; implicit-def: $sgpr13
	s_xor_b64 exec, exec, s[18:19]
	s_cbranch_execnz .LBB33_2711
.LBB33_2611:
	s_or_b64 exec, exec, s[18:19]
	v_mov_b32_e32 v14, s13
	s_and_saveexec_b64 s[18:19], s[16:17]
.LBB33_2612:
	v_lshrrev_b32_e32 v13, 24, v2
	s_movk_i32 s13, 0x80
	v_and_or_b32 v14, v13, s13, v6
.LBB33_2613:
	s_or_b64 exec, exec, s[18:19]
.LBB33_2614:
	s_or_b64 exec, exec, s[14:15]
	global_store_byte v[0:1], v14, off
.LBB33_2615:
	s_mov_b64 s[14:15], -1
.LBB33_2616:
	s_mov_b64 s[16:17], 0
.LBB33_2617:
	s_and_b64 vcc, exec, s[16:17]
	s_cbranch_vccz .LBB33_2657
; %bb.2618:
	v_mov_b32_e32 v6, 22
	v_cmp_gt_i16_sdwa s[16:17], v4, v6 src0_sel:BYTE_0 src1_sel:DWORD
	s_mov_b64 s[10:11], -1
	s_and_b64 vcc, exec, s[16:17]
	s_cbranch_vccz .LBB33_2650
; %bb.2619:
	v_mov_b32_e32 v6, 24
	v_cmp_lt_i16_sdwa s[14:15], v4, v6 src0_sel:BYTE_0 src1_sel:DWORD
	s_and_b64 vcc, exec, s[14:15]
	s_cbranch_vccnz .LBB33_2639
; %bb.2620:
	v_cmp_gt_i16_sdwa s[14:15], v4, v6 src0_sel:BYTE_0 src1_sel:DWORD
	s_and_b64 vcc, exec, s[14:15]
	s_cbranch_vccz .LBB33_2628
; %bb.2621:
	v_mov_b32_e32 v6, 0x800000
	v_cndmask_b32_e64 v6, |v3|, v6, s[0:1]
	v_mov_b32_e32 v13, 0x3f7ffffe
	v_cndmask_b32_e64 v13, v6, v13, s[2:3]
	s_mov_b32 s10, 0x47800000
	v_cmp_gt_u32_e32 vcc, s10, v13
	v_mov_b32_e32 v14, 0x80
	s_and_saveexec_b64 s[10:11], vcc
	s_cbranch_execz .LBB33_2627
; %bb.2622:
	s_mov_b32 s13, 0x37ffffff
	v_cmp_lt_u32_e32 vcc, s13, v13
	s_mov_b64 s[14:15], 0
                                        ; implicit-def: $vgpr6
	s_and_saveexec_b64 s[16:17], vcc
	s_xor_b64 s[16:17], exec, s[16:17]
	s_cbranch_execz .LBB33_2714
; %bb.2623:
	v_bfe_u32 v6, v2, 21, 1
	s_mov_b32 s13, 0x88fffff
	v_add3_u32 v6, v2, v6, s13
	s_mov_b64 s[14:15], exec
	v_lshrrev_b32_e32 v6, 21, v6
                                        ; implicit-def: $vgpr13
	s_or_saveexec_b64 s[16:17], s[16:17]
                                        ; implicit-def: $sgpr13
	s_xor_b64 exec, exec, s[16:17]
	s_cbranch_execnz .LBB33_2715
.LBB33_2624:
	s_or_b64 exec, exec, s[16:17]
	v_mov_b32_e32 v14, s13
	s_and_saveexec_b64 s[16:17], s[14:15]
.LBB33_2625:
	v_lshrrev_b32_e32 v13, 24, v2
	s_movk_i32 s13, 0x80
	v_and_or_b32 v14, v13, s13, v6
.LBB33_2626:
	s_or_b64 exec, exec, s[16:17]
.LBB33_2627:
	s_or_b64 exec, exec, s[10:11]
	s_mov_b64 s[10:11], 0
	global_store_byte v[0:1], v14, off
.LBB33_2628:
	s_and_b64 vcc, exec, s[10:11]
	s_cbranch_vccz .LBB33_2638
; %bb.2629:
	v_mov_b32_e32 v6, 0x800000
	v_cndmask_b32_e64 v6, |v3|, v6, s[0:1]
	v_mov_b32_e32 v13, 0x3f7ffffe
	v_cndmask_b32_e64 v13, v6, v13, s[2:3]
	s_mov_b32 s10, 0x43f00000
	v_cmp_gt_u32_e32 vcc, s10, v13
                                        ; implicit-def: $vgpr6
	s_and_saveexec_b64 s[10:11], vcc
	s_xor_b64 s[10:11], exec, s[10:11]
	s_cbranch_execz .LBB33_2635
; %bb.2630:
	s_mov_b32 s13, 0x3c7fffff
	v_cmp_lt_u32_e32 vcc, s13, v13
                                        ; implicit-def: $vgpr6
	s_and_saveexec_b64 s[14:15], vcc
	s_xor_b64 s[14:15], exec, s[14:15]
; %bb.2631:
	v_bfe_u32 v6, v2, 20, 1
	s_mov_b32 s13, 0x407ffff
	v_add3_u32 v6, v2, v6, s13
	v_lshrrev_b32_e32 v13, 20, v6
	v_and_b32_e32 v6, 0xff00000, v6
	s_mov_b32 s13, 0x7f00000
	v_mov_b32_e32 v14, 0x7e
	v_cmp_ne_u32_e32 vcc, s13, v6
	v_cndmask_b32_e32 v6, v14, v13, vcc
                                        ; implicit-def: $vgpr13
; %bb.2632:
	s_andn2_saveexec_b64 s[14:15], s[14:15]
; %bb.2633:
	v_add_f32_e32 v6, 0x46800000, v13
; %bb.2634:
	s_or_b64 exec, exec, s[14:15]
                                        ; implicit-def: $vgpr13
.LBB33_2635:
	s_andn2_saveexec_b64 s[10:11], s[10:11]
; %bb.2636:
	s_mov_b32 s13, 0x7f800000
	v_mov_b32_e32 v6, 0x7e
	v_mov_b32_e32 v14, 0x7f
	v_cmp_lt_u32_e32 vcc, s13, v13
	v_cndmask_b32_e32 v6, v6, v14, vcc
; %bb.2637:
	s_or_b64 exec, exec, s[10:11]
	v_lshrrev_b32_e32 v13, 24, v2
	s_movk_i32 s10, 0x80
	v_and_or_b32 v6, v13, s10, v6
	global_store_byte v[0:1], v6, off
.LBB33_2638:
	s_mov_b64 s[10:11], 0
.LBB33_2639:
	s_andn2_b64 vcc, exec, s[10:11]
	s_cbranch_vccnz .LBB33_2649
; %bb.2640:
	v_mov_b32_e32 v6, 0x800000
	v_cndmask_b32_e64 v3, |v3|, v6, s[0:1]
	v_mov_b32_e32 v6, 0x3f7ffffe
	v_cndmask_b32_e64 v6, v3, v6, s[2:3]
	s_mov_b32 s0, 0x47800000
	v_cmp_gt_u32_e32 vcc, s0, v6
                                        ; implicit-def: $vgpr3
	s_and_saveexec_b64 s[0:1], vcc
	s_xor_b64 s[0:1], exec, s[0:1]
	s_cbranch_execz .LBB33_2646
; %bb.2641:
	s_mov_b32 s2, 0x387fffff
	v_cmp_lt_u32_e32 vcc, s2, v6
                                        ; implicit-def: $vgpr3
	s_and_saveexec_b64 s[2:3], vcc
	s_xor_b64 s[2:3], exec, s[2:3]
; %bb.2642:
	v_bfe_u32 v3, v2, 21, 1
	s_mov_b32 s10, 0x80fffff
	v_add3_u32 v3, v2, v3, s10
	v_lshrrev_b32_e32 v3, 21, v3
                                        ; implicit-def: $vgpr6
; %bb.2643:
	s_andn2_saveexec_b64 s[2:3], s[2:3]
; %bb.2644:
	v_add_f32_e32 v3, 0x43000000, v6
; %bb.2645:
	s_or_b64 exec, exec, s[2:3]
                                        ; implicit-def: $vgpr6
.LBB33_2646:
	s_andn2_saveexec_b64 s[0:1], s[0:1]
; %bb.2647:
	s_mov_b32 s2, 0x7f800000
	v_mov_b32_e32 v3, 0x7c
	v_mov_b32_e32 v13, 0x7f
	v_cmp_lt_u32_e32 vcc, s2, v6
	v_cndmask_b32_e32 v3, v3, v13, vcc
; %bb.2648:
	s_or_b64 exec, exec, s[0:1]
	v_lshrrev_b32_e32 v6, 24, v2
	s_movk_i32 s0, 0x80
	v_and_or_b32 v3, v6, s0, v3
	global_store_byte v[0:1], v3, off
.LBB33_2649:
	s_mov_b64 s[10:11], 0
	s_mov_b64 s[14:15], -1
.LBB33_2650:
	s_andn2_b64 vcc, exec, s[10:11]
	s_mov_b64 s[10:11], 0
	s_cbranch_vccnz .LBB33_2657
; %bb.2651:
	v_mov_b32_e32 v3, 14
	v_cmp_gt_i16_sdwa s[2:3], v4, v3 src0_sel:BYTE_0 src1_sel:DWORD
	s_mov_b64 s[0:1], -1
	s_and_b64 vcc, exec, s[2:3]
	s_cbranch_vccz .LBB33_2655
; %bb.2652:
	v_mov_b32_e32 v3, 15
	v_cmp_eq_u16_sdwa s[0:1], v4, v3 src0_sel:BYTE_0 src1_sel:DWORD
	s_mov_b64 s[4:5], -1
	s_and_b64 vcc, exec, s[0:1]
	s_cbranch_vccz .LBB33_2654
; %bb.2653:
	v_bfe_u32 v3, v2, 16, 1
	s_movk_i32 s0, 0x7fff
	v_add3_u32 v3, v2, v3, s0
	v_lshrrev_b32_e32 v3, 16, v3
	v_mov_b32_e32 v6, 0x7fc0
	v_cmp_o_f32_e32 vcc, v2, v2
	v_cndmask_b32_e32 v3, v6, v3, vcc
	global_store_short v[0:1], v3, off
	s_mov_b64 s[4:5], 0
	s_mov_b64 s[14:15], -1
.LBB33_2654:
	s_mov_b64 s[0:1], 0
.LBB33_2655:
	s_and_b64 vcc, exec, s[0:1]
	s_cbranch_vccz .LBB33_2657
; %bb.2656:
	v_mov_b32_e32 v3, 11
	v_cmp_ne_u16_sdwa s[4:5], v4, v3 src0_sel:BYTE_0 src1_sel:DWORD
	s_mov_b64 s[10:11], -1
.LBB33_2657:
	s_and_b64 vcc, exec, s[4:5]
	s_cbranch_vccnz .LBB33_2713
; %bb.2658:
	s_andn2_b64 vcc, exec, s[10:11]
	s_cbranch_vccnz .LBB33_2660
.LBB33_2659:
	v_mov_b32_e32 v3, 1
	s_mov_b64 s[14:15], -1
	global_store_byte v[0:1], v3, off
.LBB33_2660:
	s_mov_b64 s[0:1], 0
.LBB33_2661:
	s_and_b64 vcc, exec, s[0:1]
	s_cbranch_vccz .LBB33_2700
; %bb.2662:
	v_mov_b32_e32 v3, 5
	v_cmp_lt_i16_sdwa s[2:3], v4, v3 src0_sel:BYTE_0 src1_sel:DWORD
	s_mov_b64 s[0:1], -1
	s_and_b64 vcc, exec, s[2:3]
	s_cbranch_vccnz .LBB33_2683
; %bb.2663:
	v_mov_b32_e32 v3, 8
	v_cmp_lt_i16_sdwa s[2:3], v4, v3 src0_sel:BYTE_0 src1_sel:DWORD
	s_and_b64 vcc, exec, s[2:3]
	s_cbranch_vccnz .LBB33_2673
; %bb.2664:
	v_mov_b32_e32 v3, 9
	v_cmp_lt_i16_sdwa s[2:3], v4, v3 src0_sel:BYTE_0 src1_sel:DWORD
	s_and_b64 vcc, exec, s[2:3]
	s_cbranch_vccnz .LBB33_2670
; %bb.2665:
	v_cmp_gt_i16_sdwa s[2:3], v4, v3 src0_sel:BYTE_0 src1_sel:DWORD
	s_and_b64 vcc, exec, s[2:3]
	s_cbranch_vccz .LBB33_2667
; %bb.2666:
	v_mov_b32_e32 v16, 0
	v_cvt_f64_f32_e32 v[14:15], v2
	v_mov_b32_e32 v17, v16
	global_store_dwordx4 v[0:1], v[14:17], off
	s_mov_b64 s[0:1], 0
.LBB33_2667:
	s_andn2_b64 vcc, exec, s[0:1]
	s_cbranch_vccnz .LBB33_2669
; %bb.2668:
	v_mov_b32_e32 v3, 0
	global_store_dwordx2 v[0:1], v[2:3], off
.LBB33_2669:
	s_mov_b64 s[0:1], 0
.LBB33_2670:
	s_andn2_b64 vcc, exec, s[0:1]
	s_cbranch_vccnz .LBB33_2672
; %bb.2671:
	v_cvt_f16_f32_e32 v3, v2
	global_store_dword v[0:1], v3, off
.LBB33_2672:
	s_mov_b64 s[0:1], 0
.LBB33_2673:
	s_andn2_b64 vcc, exec, s[0:1]
	s_cbranch_vccnz .LBB33_2682
; %bb.2674:
	v_mov_b32_e32 v3, 6
	v_cmp_lt_i16_sdwa s[2:3], v4, v3 src0_sel:BYTE_0 src1_sel:DWORD
	s_mov_b64 s[0:1], -1
	s_and_b64 vcc, exec, s[2:3]
	s_cbranch_vccnz .LBB33_2680
; %bb.2675:
	v_cmp_gt_i16_sdwa s[2:3], v4, v3 src0_sel:BYTE_0 src1_sel:DWORD
	s_and_b64 vcc, exec, s[2:3]
	s_cbranch_vccz .LBB33_2677
; %bb.2676:
	v_cvt_f64_f32_e32 v[14:15], v2
	global_store_dwordx2 v[0:1], v[14:15], off
	s_mov_b64 s[0:1], 0
.LBB33_2677:
	s_andn2_b64 vcc, exec, s[0:1]
	s_cbranch_vccnz .LBB33_2679
; %bb.2678:
	global_store_dword v[0:1], v2, off
.LBB33_2679:
	s_mov_b64 s[0:1], 0
.LBB33_2680:
	s_andn2_b64 vcc, exec, s[0:1]
	s_cbranch_vccnz .LBB33_2682
; %bb.2681:
	v_cvt_f16_f32_e32 v3, v2
	global_store_short v[0:1], v3, off
.LBB33_2682:
	s_mov_b64 s[0:1], 0
.LBB33_2683:
	s_andn2_b64 vcc, exec, s[0:1]
	s_cbranch_vccnz .LBB33_2699
; %bb.2684:
	v_mov_b32_e32 v3, 2
	v_cmp_lt_i16_sdwa s[2:3], v4, v3 src0_sel:BYTE_0 src1_sel:DWORD
	s_mov_b64 s[0:1], -1
	s_and_b64 vcc, exec, s[2:3]
	s_cbranch_vccnz .LBB33_2694
; %bb.2685:
	v_mov_b32_e32 v3, 3
	v_cmp_lt_i16_sdwa s[2:3], v4, v3 src0_sel:BYTE_0 src1_sel:DWORD
	s_and_b64 vcc, exec, s[2:3]
	s_cbranch_vccnz .LBB33_2691
; %bb.2686:
	v_cmp_gt_i16_sdwa s[2:3], v4, v3 src0_sel:BYTE_0 src1_sel:DWORD
	s_and_b64 vcc, exec, s[2:3]
	s_cbranch_vccz .LBB33_2688
; %bb.2687:
	v_trunc_f32_e32 v3, v2
	s_mov_b32 s0, 0x2f800000
	v_mul_f32_e64 v6, |v3|, s0
	v_floor_f32_e32 v6, v6
	s_mov_b32 s0, 0xcf800000
	v_cvt_u32_f32_e32 v13, v6
	v_fma_f32 v6, v6, s0, |v3|
	v_cvt_u32_f32_e32 v6, v6
	v_ashrrev_i32_e32 v3, 31, v3
	v_xor_b32_e32 v13, v13, v3
	s_mov_b64 s[0:1], 0
	v_xor_b32_e32 v6, v6, v3
	v_sub_co_u32_e32 v14, vcc, v6, v3
	v_subb_co_u32_e32 v15, vcc, v13, v3, vcc
	global_store_dwordx2 v[0:1], v[14:15], off
.LBB33_2688:
	s_andn2_b64 vcc, exec, s[0:1]
	s_cbranch_vccnz .LBB33_2690
; %bb.2689:
	v_cvt_i32_f32_e32 v3, v2
	global_store_dword v[0:1], v3, off
.LBB33_2690:
	s_mov_b64 s[0:1], 0
.LBB33_2691:
	s_andn2_b64 vcc, exec, s[0:1]
	s_cbranch_vccnz .LBB33_2693
; %bb.2692:
	v_cvt_i32_f32_e32 v3, v2
	global_store_short v[0:1], v3, off
.LBB33_2693:
	s_mov_b64 s[0:1], 0
.LBB33_2694:
	s_andn2_b64 vcc, exec, s[0:1]
	s_cbranch_vccnz .LBB33_2699
; %bb.2695:
	v_mov_b32_e32 v3, 0
	v_cmp_gt_i16_sdwa s[2:3], v4, v3 src0_sel:BYTE_0 src1_sel:DWORD
	s_mov_b64 s[0:1], -1
	s_and_b64 vcc, exec, s[2:3]
	s_cbranch_vccz .LBB33_2697
; %bb.2696:
	v_cvt_i32_f32_e32 v3, v2
	s_mov_b64 s[0:1], 0
	global_store_byte v[0:1], v3, off
.LBB33_2697:
	s_andn2_b64 vcc, exec, s[0:1]
	s_cbranch_vccnz .LBB33_2699
; %bb.2698:
	v_trunc_f32_e32 v2, v2
	s_mov_b32 s0, 0x2f800000
	v_mul_f32_e64 v3, |v2|, s0
	v_floor_f32_e32 v3, v3
	s_mov_b32 s0, 0xcf800000
	v_fma_f32 v3, v3, s0, |v2|
	v_cvt_u32_f32_e32 v3, v3
	v_ashrrev_i32_e32 v2, 31, v2
	v_xor_b32_e32 v3, v3, v2
	v_sub_u32_e32 v2, v3, v2
	global_store_byte v[0:1], v2, off
.LBB33_2699:
	s_mov_b64 s[14:15], -1
.LBB33_2700:
	s_andn2_b64 vcc, exec, s[14:15]
	s_cbranch_vccnz .LBB33_3031
; %bb.2701:
	v_div_scale_f32 v0, s[0:1], v10, v10, v8
	v_rcp_f32_e32 v1, v0
	v_div_scale_f32 v2, vcc, v8, v10, v8
	s_mov_b32 s0, 0x800000
	v_fma_f32 v3, -v0, v1, 1.0
	v_fmac_f32_e32 v1, v3, v1
	v_mul_f32_e32 v3, v2, v1
	v_fma_f32 v6, -v0, v3, v2
	v_fmac_f32_e32 v3, v6, v1
	v_fma_f32 v0, -v0, v3, v2
	v_div_fmas_f32 v0, v0, v1, v3
	v_div_fixup_f32 v3, v0, v10, v8
	v_mov_b32_e32 v0, 0x800000
	v_cmp_gt_f32_e64 s[0:1], s0, v3
	v_cndmask_b32_e64 v0, v3, v0, s[0:1]
	s_mov_b32 s2, 0x3f7ffffe
	s_lshl_b32 s18, s12, 7
	v_mov_b32_e32 v1, 0x3f7ffffe
	v_cmp_lt_f32_e64 s[2:3], s2, v0
	v_add_u32_e32 v5, s18, v5
	v_cndmask_b32_e64 v2, v0, v1, s[2:3]
	v_ashrrev_i32_e32 v1, 31, v5
	v_mov_b32_e32 v6, s9
	v_add_co_u32_e32 v0, vcc, s8, v5
	v_addc_co_u32_e32 v1, vcc, v6, v1, vcc
	v_mov_b32_e32 v6, 11
	v_cmp_lt_i16_sdwa s[4:5], v4, v6 src0_sel:BYTE_0 src1_sel:DWORD
	s_and_b64 vcc, exec, s[4:5]
	s_cbranch_vccnz .LBB33_2708
; %bb.2702:
	v_mov_b32_e32 v6, 25
	v_cmp_gt_i16_sdwa s[4:5], v4, v6 src0_sel:BYTE_0 src1_sel:DWORD
	s_mov_b64 s[14:15], -1
	s_mov_b64 s[10:11], 0
	s_and_b64 vcc, exec, s[4:5]
	s_mov_b64 s[12:13], 0
	s_mov_b64 s[4:5], 0
	s_cbranch_vccz .LBB33_2744
; %bb.2703:
	v_mov_b32_e32 v6, 28
	v_cmp_gt_i16_sdwa s[4:5], v4, v6 src0_sel:BYTE_0 src1_sel:DWORD
	s_and_b64 vcc, exec, s[4:5]
	s_cbranch_vccz .LBB33_2709
; %bb.2704:
	v_mov_b32_e32 v6, 43
	v_cmp_gt_i16_sdwa s[4:5], v4, v6 src0_sel:BYTE_0 src1_sel:DWORD
	s_and_b64 vcc, exec, s[4:5]
	;; [unrolled: 5-line block ×3, first 2 shown]
	s_cbranch_vccz .LBB33_2716
; %bb.2706:
	v_mov_b32_e32 v6, 46
	v_cmp_eq_u16_sdwa s[12:13], v4, v6 src0_sel:BYTE_0 src1_sel:DWORD
	s_mov_b64 s[4:5], -1
	s_mov_b64 s[14:15], 0
	s_and_b64 vcc, exec, s[12:13]
	s_mov_b64 s[12:13], 0
	s_cbranch_vccz .LBB33_2717
; %bb.2707:
	v_bfe_u32 v6, v2, 16, 1
	s_movk_i32 s4, 0x7fff
	v_add3_u32 v6, v2, v6, s4
	v_lshrrev_b32_e32 v6, 16, v6
	v_mov_b32_e32 v8, 0x7fc0
	v_cmp_o_f32_e32 vcc, v2, v2
	v_cndmask_b32_e32 v6, v8, v6, vcc
	global_store_dword v[0:1], v6, off
	s_mov_b64 s[4:5], 0
	s_mov_b64 s[12:13], -1
	s_branch .LBB33_2717
.LBB33_2708:
	s_mov_b64 s[0:1], -1
	s_mov_b64 s[12:13], 0
	s_branch .LBB33_2788
.LBB33_2709:
	s_mov_b64 s[4:5], 0
	s_branch .LBB33_2727
.LBB33_2710:
	s_or_saveexec_b64 s[18:19], s[18:19]
                                        ; implicit-def: $sgpr13
	s_xor_b64 exec, exec, s[18:19]
	s_cbranch_execz .LBB33_2611
.LBB33_2711:
	v_add_f32_e32 v6, 0x46000000, v13
	v_and_b32_e32 v6, 0xff, v6
	v_cmp_ne_u32_e32 vcc, 0, v6
	s_andn2_b64 s[16:17], s[16:17], exec
	s_and_b64 s[24:25], vcc, exec
	s_mov_b32 s13, 0
	s_or_b64 s[16:17], s[16:17], s[24:25]
	s_or_b64 exec, exec, s[18:19]
	v_mov_b32_e32 v14, s13
	s_and_saveexec_b64 s[18:19], s[16:17]
	s_cbranch_execnz .LBB33_2612
	s_branch .LBB33_2613
.LBB33_2712:
	s_mov_b64 s[4:5], 0
	s_branch .LBB33_2723
.LBB33_2713:
	s_trap 2
	s_or_b64 s[22:23], s[22:23], exec
	s_cbranch_execz .LBB33_2659
	s_branch .LBB33_2660
.LBB33_2714:
	s_or_saveexec_b64 s[16:17], s[16:17]
                                        ; implicit-def: $sgpr13
	s_xor_b64 exec, exec, s[16:17]
	s_cbranch_execz .LBB33_2624
.LBB33_2715:
	v_add_f32_e32 v6, 0x42800000, v13
	v_and_b32_e32 v6, 0xff, v6
	v_cmp_ne_u32_e32 vcc, 0, v6
	s_andn2_b64 s[14:15], s[14:15], exec
	s_and_b64 s[18:19], vcc, exec
	s_mov_b32 s13, 0
	s_or_b64 s[14:15], s[14:15], s[18:19]
	s_or_b64 exec, exec, s[16:17]
	v_mov_b32_e32 v14, s13
	s_and_saveexec_b64 s[16:17], s[14:15]
	s_cbranch_execnz .LBB33_2625
	s_branch .LBB33_2626
.LBB33_2716:
	s_mov_b64 s[4:5], 0
.LBB33_2717:
	s_and_b64 vcc, exec, s[14:15]
	s_cbranch_vccz .LBB33_2722
; %bb.2718:
	v_mov_b32_e32 v6, 44
	v_cmp_eq_u16_sdwa s[14:15], v4, v6 src0_sel:BYTE_0 src1_sel:DWORD
	s_mov_b64 s[4:5], -1
	s_and_b64 vcc, exec, s[14:15]
	s_cbranch_vccz .LBB33_2722
; %bb.2719:
	v_bfe_u32 v6, v2, 23, 8
	s_movk_i32 s4, 0xff
	v_cmp_ne_u32_e32 vcc, s4, v6
	v_mov_b32_e32 v8, 0xff
	s_and_saveexec_b64 s[12:13], vcc
; %bb.2720:
	s_mov_b32 s4, 0x3fffff
	v_and_b32_e32 v10, 0x400000, v2
	v_and_or_b32 v6, v2, s4, v6
	v_cmp_ne_u32_e32 vcc, 0, v10
	v_cmp_ne_u32_e64 s[4:5], 0, v6
	s_and_b64 s[4:5], vcc, s[4:5]
	v_lshrrev_b32_e32 v8, 23, v2
	v_cndmask_b32_e64 v6, 0, 1, s[4:5]
	v_add_u32_e32 v8, v8, v6
; %bb.2721:
	s_or_b64 exec, exec, s[12:13]
	s_mov_b64 s[4:5], 0
	s_mov_b64 s[12:13], -1
	global_store_byte v[0:1], v8, off
.LBB33_2722:
	s_mov_b64 s[14:15], 0
.LBB33_2723:
	s_and_b64 vcc, exec, s[14:15]
	s_cbranch_vccz .LBB33_2726
; %bb.2724:
	v_mov_b32_e32 v6, 29
	v_cmp_eq_u16_sdwa s[14:15], v4, v6 src0_sel:BYTE_0 src1_sel:DWORD
	s_mov_b64 s[4:5], -1
	s_and_b64 vcc, exec, s[14:15]
	s_cbranch_vccz .LBB33_2726
; %bb.2725:
	v_trunc_f32_e32 v6, v2
	v_mul_f32_e32 v8, 0x2f800000, v6
	v_floor_f32_e32 v8, v8
	v_fmac_f32_e32 v6, 0xcf800000, v8
	v_cvt_u32_f32_e32 v15, v8
	v_cvt_u32_f32_e32 v14, v6
	s_mov_b64 s[4:5], 0
	s_mov_b64 s[12:13], -1
	s_mov_b64 s[14:15], 0
	global_store_dwordx2 v[0:1], v[14:15], off
	s_branch .LBB33_2727
.LBB33_2726:
	s_mov_b64 s[14:15], 0
.LBB33_2727:
	s_and_b64 vcc, exec, s[14:15]
	s_cbranch_vccz .LBB33_2743
; %bb.2728:
	v_mov_b32_e32 v6, 27
	v_cmp_lt_i16_sdwa s[14:15], v4, v6 src0_sel:BYTE_0 src1_sel:DWORD
	s_mov_b64 s[12:13], -1
	s_and_b64 vcc, exec, s[14:15]
	s_cbranch_vccnz .LBB33_2734
; %bb.2729:
	v_cmp_gt_i16_sdwa s[14:15], v4, v6 src0_sel:BYTE_0 src1_sel:DWORD
	v_cvt_u32_f32_e32 v6, v2
	s_and_b64 vcc, exec, s[14:15]
	s_cbranch_vccz .LBB33_2731
; %bb.2730:
	s_mov_b64 s[12:13], 0
	global_store_dword v[0:1], v6, off
.LBB33_2731:
	s_andn2_b64 vcc, exec, s[12:13]
	s_cbranch_vccnz .LBB33_2733
; %bb.2732:
	global_store_short v[0:1], v6, off
.LBB33_2733:
	s_mov_b64 s[12:13], 0
.LBB33_2734:
	s_andn2_b64 vcc, exec, s[12:13]
	s_cbranch_vccnz .LBB33_2742
; %bb.2735:
	v_mov_b32_e32 v6, 0x800000
	v_cndmask_b32_e64 v6, |v3|, v6, s[0:1]
	v_mov_b32_e32 v8, 0x3f7ffffe
	v_cndmask_b32_e64 v8, v6, v8, s[2:3]
	s_mov_b32 s12, 0x43800000
	v_cmp_gt_u32_e32 vcc, s12, v8
	v_mov_b32_e32 v10, 0x80
	s_and_saveexec_b64 s[12:13], vcc
	s_cbranch_execz .LBB33_2741
; %bb.2736:
	s_mov_b32 s14, 0x3bffffff
	v_cmp_lt_u32_e32 vcc, s14, v8
	s_mov_b64 s[14:15], 0
                                        ; implicit-def: $vgpr6
	s_and_saveexec_b64 s[16:17], vcc
	s_xor_b64 s[16:17], exec, s[16:17]
	s_cbranch_execz .LBB33_2837
; %bb.2737:
	v_bfe_u32 v6, v2, 20, 1
	s_mov_b32 s19, 0x487ffff
	v_add3_u32 v6, v2, v6, s19
	s_mov_b64 s[14:15], exec
	v_lshrrev_b32_e32 v6, 20, v6
                                        ; implicit-def: $vgpr8
	s_or_saveexec_b64 s[16:17], s[16:17]
                                        ; implicit-def: $sgpr19
	s_xor_b64 exec, exec, s[16:17]
	s_cbranch_execnz .LBB33_2838
.LBB33_2738:
	s_or_b64 exec, exec, s[16:17]
	v_mov_b32_e32 v10, s19
	s_and_saveexec_b64 s[16:17], s[14:15]
.LBB33_2739:
	v_lshrrev_b32_e32 v8, 24, v2
	s_movk_i32 s14, 0x80
	v_and_or_b32 v10, v8, s14, v6
.LBB33_2740:
	s_or_b64 exec, exec, s[16:17]
.LBB33_2741:
	s_or_b64 exec, exec, s[12:13]
	global_store_byte v[0:1], v10, off
.LBB33_2742:
	s_mov_b64 s[12:13], -1
.LBB33_2743:
	s_mov_b64 s[14:15], 0
.LBB33_2744:
	s_and_b64 vcc, exec, s[14:15]
	s_cbranch_vccz .LBB33_2784
; %bb.2745:
	v_mov_b32_e32 v6, 22
	v_cmp_gt_i16_sdwa s[14:15], v4, v6 src0_sel:BYTE_0 src1_sel:DWORD
	s_mov_b64 s[10:11], -1
	s_and_b64 vcc, exec, s[14:15]
	s_cbranch_vccz .LBB33_2777
; %bb.2746:
	v_mov_b32_e32 v6, 24
	v_cmp_lt_i16_sdwa s[12:13], v4, v6 src0_sel:BYTE_0 src1_sel:DWORD
	s_and_b64 vcc, exec, s[12:13]
	s_cbranch_vccnz .LBB33_2766
; %bb.2747:
	v_cmp_gt_i16_sdwa s[12:13], v4, v6 src0_sel:BYTE_0 src1_sel:DWORD
	s_and_b64 vcc, exec, s[12:13]
	s_cbranch_vccz .LBB33_2755
; %bb.2748:
	v_mov_b32_e32 v6, 0x800000
	v_cndmask_b32_e64 v6, |v3|, v6, s[0:1]
	v_mov_b32_e32 v8, 0x3f7ffffe
	v_cndmask_b32_e64 v8, v6, v8, s[2:3]
	s_mov_b32 s10, 0x47800000
	v_cmp_gt_u32_e32 vcc, s10, v8
	v_mov_b32_e32 v10, 0x80
	s_and_saveexec_b64 s[10:11], vcc
	s_cbranch_execz .LBB33_2754
; %bb.2749:
	s_mov_b32 s12, 0x37ffffff
	v_cmp_lt_u32_e32 vcc, s12, v8
	s_mov_b64 s[12:13], 0
                                        ; implicit-def: $vgpr6
	s_and_saveexec_b64 s[14:15], vcc
	s_xor_b64 s[14:15], exec, s[14:15]
	s_cbranch_execz .LBB33_2841
; %bb.2750:
	v_bfe_u32 v6, v2, 21, 1
	s_mov_b32 s16, 0x88fffff
	v_add3_u32 v6, v2, v6, s16
	s_mov_b64 s[12:13], exec
	v_lshrrev_b32_e32 v6, 21, v6
                                        ; implicit-def: $vgpr8
	s_or_saveexec_b64 s[14:15], s[14:15]
                                        ; implicit-def: $sgpr16
	s_xor_b64 exec, exec, s[14:15]
	s_cbranch_execnz .LBB33_2842
.LBB33_2751:
	s_or_b64 exec, exec, s[14:15]
	v_mov_b32_e32 v10, s16
	s_and_saveexec_b64 s[14:15], s[12:13]
.LBB33_2752:
	v_lshrrev_b32_e32 v8, 24, v2
	s_movk_i32 s12, 0x80
	v_and_or_b32 v10, v8, s12, v6
.LBB33_2753:
	s_or_b64 exec, exec, s[14:15]
.LBB33_2754:
	s_or_b64 exec, exec, s[10:11]
	s_mov_b64 s[10:11], 0
	global_store_byte v[0:1], v10, off
.LBB33_2755:
	s_and_b64 vcc, exec, s[10:11]
	s_cbranch_vccz .LBB33_2765
; %bb.2756:
	v_mov_b32_e32 v6, 0x800000
	v_cndmask_b32_e64 v6, |v3|, v6, s[0:1]
	v_mov_b32_e32 v8, 0x3f7ffffe
	v_cndmask_b32_e64 v8, v6, v8, s[2:3]
	s_mov_b32 s10, 0x43f00000
	v_cmp_gt_u32_e32 vcc, s10, v8
                                        ; implicit-def: $vgpr6
	s_and_saveexec_b64 s[10:11], vcc
	s_xor_b64 s[10:11], exec, s[10:11]
	s_cbranch_execz .LBB33_2762
; %bb.2757:
	s_mov_b32 s12, 0x3c7fffff
	v_cmp_lt_u32_e32 vcc, s12, v8
                                        ; implicit-def: $vgpr6
	s_and_saveexec_b64 s[12:13], vcc
	s_xor_b64 s[12:13], exec, s[12:13]
; %bb.2758:
	v_bfe_u32 v6, v2, 20, 1
	s_mov_b32 s14, 0x407ffff
	v_add3_u32 v6, v2, v6, s14
	v_lshrrev_b32_e32 v8, 20, v6
	v_and_b32_e32 v6, 0xff00000, v6
	s_mov_b32 s14, 0x7f00000
	v_mov_b32_e32 v10, 0x7e
	v_cmp_ne_u32_e32 vcc, s14, v6
	v_cndmask_b32_e32 v6, v10, v8, vcc
                                        ; implicit-def: $vgpr8
; %bb.2759:
	s_andn2_saveexec_b64 s[12:13], s[12:13]
; %bb.2760:
	v_add_f32_e32 v6, 0x46800000, v8
; %bb.2761:
	s_or_b64 exec, exec, s[12:13]
                                        ; implicit-def: $vgpr8
.LBB33_2762:
	s_andn2_saveexec_b64 s[10:11], s[10:11]
; %bb.2763:
	s_mov_b32 s12, 0x7f800000
	v_mov_b32_e32 v6, 0x7e
	v_mov_b32_e32 v10, 0x7f
	v_cmp_lt_u32_e32 vcc, s12, v8
	v_cndmask_b32_e32 v6, v6, v10, vcc
; %bb.2764:
	s_or_b64 exec, exec, s[10:11]
	v_lshrrev_b32_e32 v8, 24, v2
	s_movk_i32 s10, 0x80
	v_and_or_b32 v6, v8, s10, v6
	global_store_byte v[0:1], v6, off
.LBB33_2765:
	s_mov_b64 s[10:11], 0
.LBB33_2766:
	s_andn2_b64 vcc, exec, s[10:11]
	s_cbranch_vccnz .LBB33_2776
; %bb.2767:
	v_mov_b32_e32 v6, 0x800000
	v_cndmask_b32_e64 v3, |v3|, v6, s[0:1]
	v_mov_b32_e32 v6, 0x3f7ffffe
	v_cndmask_b32_e64 v6, v3, v6, s[2:3]
	s_mov_b32 s0, 0x47800000
	v_cmp_gt_u32_e32 vcc, s0, v6
                                        ; implicit-def: $vgpr3
	s_and_saveexec_b64 s[0:1], vcc
	s_xor_b64 s[0:1], exec, s[0:1]
	s_cbranch_execz .LBB33_2773
; %bb.2768:
	s_mov_b32 s2, 0x387fffff
	v_cmp_lt_u32_e32 vcc, s2, v6
                                        ; implicit-def: $vgpr3
	s_and_saveexec_b64 s[2:3], vcc
	s_xor_b64 s[2:3], exec, s[2:3]
; %bb.2769:
	v_bfe_u32 v3, v2, 21, 1
	s_mov_b32 s10, 0x80fffff
	v_add3_u32 v3, v2, v3, s10
	v_lshrrev_b32_e32 v3, 21, v3
                                        ; implicit-def: $vgpr6
; %bb.2770:
	s_andn2_saveexec_b64 s[2:3], s[2:3]
; %bb.2771:
	v_add_f32_e32 v3, 0x43000000, v6
; %bb.2772:
	s_or_b64 exec, exec, s[2:3]
                                        ; implicit-def: $vgpr6
.LBB33_2773:
	s_andn2_saveexec_b64 s[0:1], s[0:1]
; %bb.2774:
	s_mov_b32 s2, 0x7f800000
	v_mov_b32_e32 v3, 0x7c
	v_mov_b32_e32 v8, 0x7f
	v_cmp_lt_u32_e32 vcc, s2, v6
	v_cndmask_b32_e32 v3, v3, v8, vcc
; %bb.2775:
	s_or_b64 exec, exec, s[0:1]
	v_lshrrev_b32_e32 v6, 24, v2
	s_movk_i32 s0, 0x80
	v_and_or_b32 v3, v6, s0, v3
	global_store_byte v[0:1], v3, off
.LBB33_2776:
	s_mov_b64 s[10:11], 0
	s_mov_b64 s[12:13], -1
.LBB33_2777:
	s_andn2_b64 vcc, exec, s[10:11]
	s_mov_b64 s[10:11], 0
	s_cbranch_vccnz .LBB33_2784
; %bb.2778:
	v_mov_b32_e32 v3, 14
	v_cmp_gt_i16_sdwa s[2:3], v4, v3 src0_sel:BYTE_0 src1_sel:DWORD
	s_mov_b64 s[0:1], -1
	s_and_b64 vcc, exec, s[2:3]
	s_cbranch_vccz .LBB33_2782
; %bb.2779:
	v_mov_b32_e32 v3, 15
	v_cmp_eq_u16_sdwa s[0:1], v4, v3 src0_sel:BYTE_0 src1_sel:DWORD
	s_mov_b64 s[4:5], -1
	s_and_b64 vcc, exec, s[0:1]
	s_cbranch_vccz .LBB33_2781
; %bb.2780:
	v_bfe_u32 v3, v2, 16, 1
	s_movk_i32 s0, 0x7fff
	v_add3_u32 v3, v2, v3, s0
	v_lshrrev_b32_e32 v3, 16, v3
	v_mov_b32_e32 v6, 0x7fc0
	v_cmp_o_f32_e32 vcc, v2, v2
	v_cndmask_b32_e32 v3, v6, v3, vcc
	global_store_short v[0:1], v3, off
	s_mov_b64 s[4:5], 0
	s_mov_b64 s[12:13], -1
.LBB33_2781:
	s_mov_b64 s[0:1], 0
.LBB33_2782:
	s_and_b64 vcc, exec, s[0:1]
	s_cbranch_vccz .LBB33_2784
; %bb.2783:
	v_mov_b32_e32 v3, 11
	v_cmp_ne_u16_sdwa s[4:5], v4, v3 src0_sel:BYTE_0 src1_sel:DWORD
	s_mov_b64 s[10:11], -1
.LBB33_2784:
	s_and_b64 vcc, exec, s[4:5]
	s_cbranch_vccnz .LBB33_2840
; %bb.2785:
	s_andn2_b64 vcc, exec, s[10:11]
	s_cbranch_vccnz .LBB33_2787
.LBB33_2786:
	v_mov_b32_e32 v3, 1
	s_mov_b64 s[12:13], -1
	global_store_byte v[0:1], v3, off
.LBB33_2787:
	s_mov_b64 s[0:1], 0
.LBB33_2788:
	s_and_b64 vcc, exec, s[0:1]
	s_cbranch_vccz .LBB33_2827
; %bb.2789:
	v_mov_b32_e32 v3, 5
	v_cmp_lt_i16_sdwa s[2:3], v4, v3 src0_sel:BYTE_0 src1_sel:DWORD
	s_mov_b64 s[0:1], -1
	s_and_b64 vcc, exec, s[2:3]
	s_cbranch_vccnz .LBB33_2810
; %bb.2790:
	v_mov_b32_e32 v3, 8
	v_cmp_lt_i16_sdwa s[2:3], v4, v3 src0_sel:BYTE_0 src1_sel:DWORD
	s_and_b64 vcc, exec, s[2:3]
	s_cbranch_vccnz .LBB33_2800
; %bb.2791:
	v_mov_b32_e32 v3, 9
	v_cmp_lt_i16_sdwa s[2:3], v4, v3 src0_sel:BYTE_0 src1_sel:DWORD
	s_and_b64 vcc, exec, s[2:3]
	s_cbranch_vccnz .LBB33_2797
; %bb.2792:
	v_cmp_gt_i16_sdwa s[2:3], v4, v3 src0_sel:BYTE_0 src1_sel:DWORD
	s_and_b64 vcc, exec, s[2:3]
	s_cbranch_vccz .LBB33_2794
; %bb.2793:
	v_mov_b32_e32 v16, 0
	v_cvt_f64_f32_e32 v[14:15], v2
	v_mov_b32_e32 v17, v16
	global_store_dwordx4 v[0:1], v[14:17], off
	s_mov_b64 s[0:1], 0
.LBB33_2794:
	s_andn2_b64 vcc, exec, s[0:1]
	s_cbranch_vccnz .LBB33_2796
; %bb.2795:
	v_mov_b32_e32 v3, 0
	global_store_dwordx2 v[0:1], v[2:3], off
.LBB33_2796:
	s_mov_b64 s[0:1], 0
.LBB33_2797:
	s_andn2_b64 vcc, exec, s[0:1]
	s_cbranch_vccnz .LBB33_2799
; %bb.2798:
	v_cvt_f16_f32_e32 v3, v2
	global_store_dword v[0:1], v3, off
.LBB33_2799:
	s_mov_b64 s[0:1], 0
.LBB33_2800:
	s_andn2_b64 vcc, exec, s[0:1]
	s_cbranch_vccnz .LBB33_2809
; %bb.2801:
	v_mov_b32_e32 v3, 6
	v_cmp_lt_i16_sdwa s[2:3], v4, v3 src0_sel:BYTE_0 src1_sel:DWORD
	s_mov_b64 s[0:1], -1
	s_and_b64 vcc, exec, s[2:3]
	s_cbranch_vccnz .LBB33_2807
; %bb.2802:
	v_cmp_gt_i16_sdwa s[2:3], v4, v3 src0_sel:BYTE_0 src1_sel:DWORD
	s_and_b64 vcc, exec, s[2:3]
	s_cbranch_vccz .LBB33_2804
; %bb.2803:
	v_cvt_f64_f32_e32 v[14:15], v2
	global_store_dwordx2 v[0:1], v[14:15], off
	s_mov_b64 s[0:1], 0
.LBB33_2804:
	s_andn2_b64 vcc, exec, s[0:1]
	s_cbranch_vccnz .LBB33_2806
; %bb.2805:
	global_store_dword v[0:1], v2, off
.LBB33_2806:
	s_mov_b64 s[0:1], 0
.LBB33_2807:
	s_andn2_b64 vcc, exec, s[0:1]
	s_cbranch_vccnz .LBB33_2809
; %bb.2808:
	v_cvt_f16_f32_e32 v3, v2
	global_store_short v[0:1], v3, off
.LBB33_2809:
	s_mov_b64 s[0:1], 0
.LBB33_2810:
	s_andn2_b64 vcc, exec, s[0:1]
	s_cbranch_vccnz .LBB33_2826
; %bb.2811:
	v_mov_b32_e32 v3, 2
	v_cmp_lt_i16_sdwa s[2:3], v4, v3 src0_sel:BYTE_0 src1_sel:DWORD
	s_mov_b64 s[0:1], -1
	s_and_b64 vcc, exec, s[2:3]
	s_cbranch_vccnz .LBB33_2821
; %bb.2812:
	v_mov_b32_e32 v3, 3
	v_cmp_lt_i16_sdwa s[2:3], v4, v3 src0_sel:BYTE_0 src1_sel:DWORD
	s_and_b64 vcc, exec, s[2:3]
	s_cbranch_vccnz .LBB33_2818
; %bb.2813:
	v_cmp_gt_i16_sdwa s[2:3], v4, v3 src0_sel:BYTE_0 src1_sel:DWORD
	s_and_b64 vcc, exec, s[2:3]
	s_cbranch_vccz .LBB33_2815
; %bb.2814:
	v_trunc_f32_e32 v3, v2
	s_mov_b32 s0, 0x2f800000
	v_mul_f32_e64 v6, |v3|, s0
	v_floor_f32_e32 v6, v6
	s_mov_b32 s0, 0xcf800000
	v_cvt_u32_f32_e32 v8, v6
	v_fma_f32 v6, v6, s0, |v3|
	v_cvt_u32_f32_e32 v6, v6
	v_ashrrev_i32_e32 v3, 31, v3
	v_xor_b32_e32 v8, v8, v3
	s_mov_b64 s[0:1], 0
	v_xor_b32_e32 v6, v6, v3
	v_sub_co_u32_e32 v14, vcc, v6, v3
	v_subb_co_u32_e32 v15, vcc, v8, v3, vcc
	global_store_dwordx2 v[0:1], v[14:15], off
.LBB33_2815:
	s_andn2_b64 vcc, exec, s[0:1]
	s_cbranch_vccnz .LBB33_2817
; %bb.2816:
	v_cvt_i32_f32_e32 v3, v2
	global_store_dword v[0:1], v3, off
.LBB33_2817:
	s_mov_b64 s[0:1], 0
.LBB33_2818:
	s_andn2_b64 vcc, exec, s[0:1]
	s_cbranch_vccnz .LBB33_2820
; %bb.2819:
	v_cvt_i32_f32_e32 v3, v2
	global_store_short v[0:1], v3, off
.LBB33_2820:
	s_mov_b64 s[0:1], 0
.LBB33_2821:
	s_andn2_b64 vcc, exec, s[0:1]
	s_cbranch_vccnz .LBB33_2826
; %bb.2822:
	v_mov_b32_e32 v3, 0
	v_cmp_gt_i16_sdwa s[2:3], v4, v3 src0_sel:BYTE_0 src1_sel:DWORD
	s_mov_b64 s[0:1], -1
	s_and_b64 vcc, exec, s[2:3]
	s_cbranch_vccz .LBB33_2824
; %bb.2823:
	v_cvt_i32_f32_e32 v3, v2
	s_mov_b64 s[0:1], 0
	global_store_byte v[0:1], v3, off
.LBB33_2824:
	s_andn2_b64 vcc, exec, s[0:1]
	s_cbranch_vccnz .LBB33_2826
; %bb.2825:
	v_trunc_f32_e32 v2, v2
	s_mov_b32 s0, 0x2f800000
	v_mul_f32_e64 v3, |v2|, s0
	v_floor_f32_e32 v3, v3
	s_mov_b32 s0, 0xcf800000
	v_fma_f32 v3, v3, s0, |v2|
	v_cvt_u32_f32_e32 v3, v3
	v_ashrrev_i32_e32 v2, 31, v2
	v_xor_b32_e32 v3, v3, v2
	v_sub_u32_e32 v2, v3, v2
	global_store_byte v[0:1], v2, off
.LBB33_2826:
	s_mov_b64 s[12:13], -1
.LBB33_2827:
	s_andn2_b64 vcc, exec, s[12:13]
	s_cbranch_vccnz .LBB33_3031
; %bb.2828:
	v_div_scale_f32 v0, s[0:1], v12, v12, v9
	v_rcp_f32_e32 v1, v0
	v_div_scale_f32 v2, vcc, v9, v12, v9
	s_mov_b32 s0, 0x800000
	v_fma_f32 v3, -v0, v1, 1.0
	v_fmac_f32_e32 v1, v3, v1
	v_mul_f32_e32 v3, v2, v1
	v_fma_f32 v6, -v0, v3, v2
	v_fmac_f32_e32 v3, v6, v1
	v_fma_f32 v0, -v0, v3, v2
	v_div_fmas_f32 v0, v0, v1, v3
	v_div_fixup_f32 v3, v0, v12, v9
	v_mov_b32_e32 v0, 0x800000
	v_cmp_gt_f32_e64 s[0:1], s0, v3
	v_cndmask_b32_e64 v0, v3, v0, s[0:1]
	s_mov_b32 s2, 0x3f7ffffe
	v_mov_b32_e32 v1, 0x3f7ffffe
	v_cmp_lt_f32_e64 s[2:3], s2, v0
	v_add_u32_e32 v5, s18, v5
	v_cndmask_b32_e64 v2, v0, v1, s[2:3]
	v_ashrrev_i32_e32 v1, 31, v5
	v_mov_b32_e32 v6, s9
	v_add_co_u32_e32 v0, vcc, s8, v5
	v_addc_co_u32_e32 v1, vcc, v6, v1, vcc
	v_mov_b32_e32 v6, 11
	v_cmp_lt_i16_sdwa s[4:5], v4, v6 src0_sel:BYTE_0 src1_sel:DWORD
	s_and_b64 vcc, exec, s[4:5]
	s_cbranch_vccnz .LBB33_2835
; %bb.2829:
	v_mov_b32_e32 v6, 25
	v_cmp_gt_i16_sdwa s[4:5], v4, v6 src0_sel:BYTE_0 src1_sel:DWORD
	s_mov_b64 s[14:15], -1
	s_mov_b64 s[10:11], 0
	s_and_b64 vcc, exec, s[4:5]
	s_mov_b64 s[12:13], 0
	s_mov_b64 s[4:5], 0
	s_cbranch_vccz .LBB33_2871
; %bb.2830:
	v_mov_b32_e32 v6, 28
	v_cmp_gt_i16_sdwa s[4:5], v4, v6 src0_sel:BYTE_0 src1_sel:DWORD
	s_and_b64 vcc, exec, s[4:5]
	s_cbranch_vccz .LBB33_2836
; %bb.2831:
	v_mov_b32_e32 v6, 43
	v_cmp_gt_i16_sdwa s[4:5], v4, v6 src0_sel:BYTE_0 src1_sel:DWORD
	s_and_b64 vcc, exec, s[4:5]
	;; [unrolled: 5-line block ×3, first 2 shown]
	s_cbranch_vccz .LBB33_2843
; %bb.2833:
	v_mov_b32_e32 v6, 46
	v_cmp_eq_u16_sdwa s[12:13], v4, v6 src0_sel:BYTE_0 src1_sel:DWORD
	s_mov_b64 s[4:5], -1
	s_mov_b64 s[14:15], 0
	s_and_b64 vcc, exec, s[12:13]
	s_mov_b64 s[12:13], 0
	s_cbranch_vccz .LBB33_2844
; %bb.2834:
	v_bfe_u32 v6, v2, 16, 1
	s_movk_i32 s4, 0x7fff
	v_add3_u32 v6, v2, v6, s4
	v_lshrrev_b32_e32 v6, 16, v6
	v_mov_b32_e32 v8, 0x7fc0
	v_cmp_o_f32_e32 vcc, v2, v2
	v_cndmask_b32_e32 v6, v8, v6, vcc
	global_store_dword v[0:1], v6, off
	s_mov_b64 s[4:5], 0
	s_mov_b64 s[12:13], -1
	s_branch .LBB33_2844
.LBB33_2835:
	s_mov_b64 s[0:1], -1
	s_mov_b64 s[12:13], 0
	s_branch .LBB33_2915
.LBB33_2836:
	s_mov_b64 s[4:5], 0
	s_branch .LBB33_2854
.LBB33_2837:
	s_or_saveexec_b64 s[16:17], s[16:17]
                                        ; implicit-def: $sgpr19
	s_xor_b64 exec, exec, s[16:17]
	s_cbranch_execz .LBB33_2738
.LBB33_2838:
	v_add_f32_e32 v6, 0x46000000, v8
	v_and_b32_e32 v6, 0xff, v6
	v_cmp_ne_u32_e32 vcc, 0, v6
	s_andn2_b64 s[14:15], s[14:15], exec
	s_and_b64 s[24:25], vcc, exec
	s_mov_b32 s19, 0
	s_or_b64 s[14:15], s[14:15], s[24:25]
	s_or_b64 exec, exec, s[16:17]
	v_mov_b32_e32 v10, s19
	s_and_saveexec_b64 s[16:17], s[14:15]
	s_cbranch_execnz .LBB33_2739
	s_branch .LBB33_2740
.LBB33_2839:
	s_mov_b64 s[4:5], 0
	s_branch .LBB33_2850
.LBB33_2840:
	s_trap 2
	s_or_b64 s[22:23], s[22:23], exec
	s_cbranch_execz .LBB33_2786
	s_branch .LBB33_2787
.LBB33_2841:
	s_or_saveexec_b64 s[14:15], s[14:15]
                                        ; implicit-def: $sgpr16
	s_xor_b64 exec, exec, s[14:15]
	s_cbranch_execz .LBB33_2751
.LBB33_2842:
	v_add_f32_e32 v6, 0x42800000, v8
	v_and_b32_e32 v6, 0xff, v6
	v_cmp_ne_u32_e32 vcc, 0, v6
	s_andn2_b64 s[12:13], s[12:13], exec
	s_and_b64 s[24:25], vcc, exec
	s_mov_b32 s16, 0
	s_or_b64 s[12:13], s[12:13], s[24:25]
	s_or_b64 exec, exec, s[14:15]
	v_mov_b32_e32 v10, s16
	s_and_saveexec_b64 s[14:15], s[12:13]
	s_cbranch_execnz .LBB33_2752
	s_branch .LBB33_2753
.LBB33_2843:
	s_mov_b64 s[4:5], 0
.LBB33_2844:
	s_and_b64 vcc, exec, s[14:15]
	s_cbranch_vccz .LBB33_2849
; %bb.2845:
	v_mov_b32_e32 v6, 44
	v_cmp_eq_u16_sdwa s[14:15], v4, v6 src0_sel:BYTE_0 src1_sel:DWORD
	s_mov_b64 s[4:5], -1
	s_and_b64 vcc, exec, s[14:15]
	s_cbranch_vccz .LBB33_2849
; %bb.2846:
	v_bfe_u32 v6, v2, 23, 8
	s_movk_i32 s4, 0xff
	v_cmp_ne_u32_e32 vcc, s4, v6
	v_mov_b32_e32 v8, 0xff
	s_and_saveexec_b64 s[12:13], vcc
; %bb.2847:
	s_mov_b32 s4, 0x3fffff
	v_and_b32_e32 v9, 0x400000, v2
	v_and_or_b32 v6, v2, s4, v6
	v_cmp_ne_u32_e32 vcc, 0, v9
	v_cmp_ne_u32_e64 s[4:5], 0, v6
	s_and_b64 s[4:5], vcc, s[4:5]
	v_lshrrev_b32_e32 v8, 23, v2
	v_cndmask_b32_e64 v6, 0, 1, s[4:5]
	v_add_u32_e32 v8, v8, v6
; %bb.2848:
	s_or_b64 exec, exec, s[12:13]
	s_mov_b64 s[4:5], 0
	s_mov_b64 s[12:13], -1
	global_store_byte v[0:1], v8, off
.LBB33_2849:
	s_mov_b64 s[14:15], 0
.LBB33_2850:
	s_and_b64 vcc, exec, s[14:15]
	s_cbranch_vccz .LBB33_2853
; %bb.2851:
	v_mov_b32_e32 v6, 29
	v_cmp_eq_u16_sdwa s[14:15], v4, v6 src0_sel:BYTE_0 src1_sel:DWORD
	s_mov_b64 s[4:5], -1
	s_and_b64 vcc, exec, s[14:15]
	s_cbranch_vccz .LBB33_2853
; %bb.2852:
	v_trunc_f32_e32 v6, v2
	v_mul_f32_e32 v8, 0x2f800000, v6
	v_floor_f32_e32 v8, v8
	v_fmac_f32_e32 v6, 0xcf800000, v8
	v_cvt_u32_f32_e32 v9, v8
	v_cvt_u32_f32_e32 v8, v6
	s_mov_b64 s[4:5], 0
	s_mov_b64 s[12:13], -1
	s_mov_b64 s[14:15], 0
	global_store_dwordx2 v[0:1], v[8:9], off
	s_branch .LBB33_2854
.LBB33_2853:
	s_mov_b64 s[14:15], 0
.LBB33_2854:
	s_and_b64 vcc, exec, s[14:15]
	s_cbranch_vccz .LBB33_2870
; %bb.2855:
	v_mov_b32_e32 v6, 27
	v_cmp_lt_i16_sdwa s[14:15], v4, v6 src0_sel:BYTE_0 src1_sel:DWORD
	s_mov_b64 s[12:13], -1
	s_and_b64 vcc, exec, s[14:15]
	s_cbranch_vccnz .LBB33_2861
; %bb.2856:
	v_cmp_gt_i16_sdwa s[14:15], v4, v6 src0_sel:BYTE_0 src1_sel:DWORD
	v_cvt_u32_f32_e32 v6, v2
	s_and_b64 vcc, exec, s[14:15]
	s_cbranch_vccz .LBB33_2858
; %bb.2857:
	s_mov_b64 s[12:13], 0
	global_store_dword v[0:1], v6, off
.LBB33_2858:
	s_andn2_b64 vcc, exec, s[12:13]
	s_cbranch_vccnz .LBB33_2860
; %bb.2859:
	global_store_short v[0:1], v6, off
.LBB33_2860:
	s_mov_b64 s[12:13], 0
.LBB33_2861:
	s_andn2_b64 vcc, exec, s[12:13]
	s_cbranch_vccnz .LBB33_2869
; %bb.2862:
	v_mov_b32_e32 v6, 0x800000
	v_cndmask_b32_e64 v6, |v3|, v6, s[0:1]
	v_mov_b32_e32 v8, 0x3f7ffffe
	v_cndmask_b32_e64 v8, v6, v8, s[2:3]
	s_mov_b32 s12, 0x43800000
	v_cmp_gt_u32_e32 vcc, s12, v8
	v_mov_b32_e32 v9, 0x80
	s_and_saveexec_b64 s[12:13], vcc
	s_cbranch_execz .LBB33_2868
; %bb.2863:
	s_mov_b32 s14, 0x3bffffff
	v_cmp_lt_u32_e32 vcc, s14, v8
	s_mov_b64 s[14:15], 0
                                        ; implicit-def: $vgpr6
	s_and_saveexec_b64 s[16:17], vcc
	s_xor_b64 s[16:17], exec, s[16:17]
	s_cbranch_execz .LBB33_3077
; %bb.2864:
	v_bfe_u32 v6, v2, 20, 1
	s_mov_b32 s19, 0x487ffff
	v_add3_u32 v6, v2, v6, s19
	s_mov_b64 s[14:15], exec
	v_lshrrev_b32_e32 v6, 20, v6
                                        ; implicit-def: $vgpr8
	s_or_saveexec_b64 s[16:17], s[16:17]
                                        ; implicit-def: $sgpr19
	s_xor_b64 exec, exec, s[16:17]
	s_cbranch_execnz .LBB33_3078
.LBB33_2865:
	s_or_b64 exec, exec, s[16:17]
	v_mov_b32_e32 v9, s19
	s_and_saveexec_b64 s[16:17], s[14:15]
.LBB33_2866:
	v_lshrrev_b32_e32 v8, 24, v2
	s_movk_i32 s14, 0x80
	v_and_or_b32 v9, v8, s14, v6
.LBB33_2867:
	s_or_b64 exec, exec, s[16:17]
.LBB33_2868:
	s_or_b64 exec, exec, s[12:13]
	global_store_byte v[0:1], v9, off
.LBB33_2869:
	s_mov_b64 s[12:13], -1
.LBB33_2870:
	s_mov_b64 s[14:15], 0
.LBB33_2871:
	s_and_b64 vcc, exec, s[14:15]
	s_cbranch_vccz .LBB33_2911
; %bb.2872:
	v_mov_b32_e32 v6, 22
	v_cmp_gt_i16_sdwa s[14:15], v4, v6 src0_sel:BYTE_0 src1_sel:DWORD
	s_mov_b64 s[10:11], -1
	s_and_b64 vcc, exec, s[14:15]
	s_cbranch_vccz .LBB33_2904
; %bb.2873:
	v_mov_b32_e32 v6, 24
	v_cmp_lt_i16_sdwa s[12:13], v4, v6 src0_sel:BYTE_0 src1_sel:DWORD
	s_and_b64 vcc, exec, s[12:13]
	s_cbranch_vccnz .LBB33_2893
; %bb.2874:
	v_cmp_gt_i16_sdwa s[12:13], v4, v6 src0_sel:BYTE_0 src1_sel:DWORD
	s_and_b64 vcc, exec, s[12:13]
	s_cbranch_vccz .LBB33_2882
; %bb.2875:
	v_mov_b32_e32 v6, 0x800000
	v_cndmask_b32_e64 v6, |v3|, v6, s[0:1]
	v_mov_b32_e32 v8, 0x3f7ffffe
	v_cndmask_b32_e64 v8, v6, v8, s[2:3]
	s_mov_b32 s10, 0x47800000
	v_cmp_gt_u32_e32 vcc, s10, v8
	v_mov_b32_e32 v9, 0x80
	s_and_saveexec_b64 s[10:11], vcc
	s_cbranch_execz .LBB33_2881
; %bb.2876:
	s_mov_b32 s12, 0x37ffffff
	v_cmp_lt_u32_e32 vcc, s12, v8
	s_mov_b64 s[12:13], 0
                                        ; implicit-def: $vgpr6
	s_and_saveexec_b64 s[14:15], vcc
	s_xor_b64 s[14:15], exec, s[14:15]
	s_cbranch_execz .LBB33_3080
; %bb.2877:
	v_bfe_u32 v6, v2, 21, 1
	s_mov_b32 s16, 0x88fffff
	v_add3_u32 v6, v2, v6, s16
	s_mov_b64 s[12:13], exec
	v_lshrrev_b32_e32 v6, 21, v6
                                        ; implicit-def: $vgpr8
	s_or_saveexec_b64 s[14:15], s[14:15]
                                        ; implicit-def: $sgpr16
	s_xor_b64 exec, exec, s[14:15]
	s_cbranch_execnz .LBB33_3081
.LBB33_2878:
	s_or_b64 exec, exec, s[14:15]
	v_mov_b32_e32 v9, s16
	s_and_saveexec_b64 s[14:15], s[12:13]
.LBB33_2879:
	v_lshrrev_b32_e32 v8, 24, v2
	s_movk_i32 s12, 0x80
	v_and_or_b32 v9, v8, s12, v6
.LBB33_2880:
	s_or_b64 exec, exec, s[14:15]
.LBB33_2881:
	s_or_b64 exec, exec, s[10:11]
	s_mov_b64 s[10:11], 0
	global_store_byte v[0:1], v9, off
.LBB33_2882:
	s_and_b64 vcc, exec, s[10:11]
	s_cbranch_vccz .LBB33_2892
; %bb.2883:
	v_mov_b32_e32 v6, 0x800000
	v_cndmask_b32_e64 v6, |v3|, v6, s[0:1]
	v_mov_b32_e32 v8, 0x3f7ffffe
	v_cndmask_b32_e64 v8, v6, v8, s[2:3]
	s_mov_b32 s10, 0x43f00000
	v_cmp_gt_u32_e32 vcc, s10, v8
                                        ; implicit-def: $vgpr6
	s_and_saveexec_b64 s[10:11], vcc
	s_xor_b64 s[10:11], exec, s[10:11]
	s_cbranch_execz .LBB33_2889
; %bb.2884:
	s_mov_b32 s12, 0x3c7fffff
	v_cmp_lt_u32_e32 vcc, s12, v8
                                        ; implicit-def: $vgpr6
	s_and_saveexec_b64 s[12:13], vcc
	s_xor_b64 s[12:13], exec, s[12:13]
; %bb.2885:
	v_bfe_u32 v6, v2, 20, 1
	s_mov_b32 s14, 0x407ffff
	v_add3_u32 v6, v2, v6, s14
	v_lshrrev_b32_e32 v8, 20, v6
	v_and_b32_e32 v6, 0xff00000, v6
	s_mov_b32 s14, 0x7f00000
	v_mov_b32_e32 v9, 0x7e
	v_cmp_ne_u32_e32 vcc, s14, v6
	v_cndmask_b32_e32 v6, v9, v8, vcc
                                        ; implicit-def: $vgpr8
; %bb.2886:
	s_andn2_saveexec_b64 s[12:13], s[12:13]
; %bb.2887:
	v_add_f32_e32 v6, 0x46800000, v8
; %bb.2888:
	s_or_b64 exec, exec, s[12:13]
                                        ; implicit-def: $vgpr8
.LBB33_2889:
	s_andn2_saveexec_b64 s[10:11], s[10:11]
; %bb.2890:
	s_mov_b32 s12, 0x7f800000
	v_mov_b32_e32 v6, 0x7e
	v_mov_b32_e32 v9, 0x7f
	v_cmp_lt_u32_e32 vcc, s12, v8
	v_cndmask_b32_e32 v6, v6, v9, vcc
; %bb.2891:
	s_or_b64 exec, exec, s[10:11]
	v_lshrrev_b32_e32 v8, 24, v2
	s_movk_i32 s10, 0x80
	v_and_or_b32 v6, v8, s10, v6
	global_store_byte v[0:1], v6, off
.LBB33_2892:
	s_mov_b64 s[10:11], 0
.LBB33_2893:
	s_andn2_b64 vcc, exec, s[10:11]
	s_cbranch_vccnz .LBB33_2903
; %bb.2894:
	v_mov_b32_e32 v6, 0x800000
	v_cndmask_b32_e64 v3, |v3|, v6, s[0:1]
	v_mov_b32_e32 v6, 0x3f7ffffe
	v_cndmask_b32_e64 v6, v3, v6, s[2:3]
	s_mov_b32 s0, 0x47800000
	v_cmp_gt_u32_e32 vcc, s0, v6
                                        ; implicit-def: $vgpr3
	s_and_saveexec_b64 s[0:1], vcc
	s_xor_b64 s[0:1], exec, s[0:1]
	s_cbranch_execz .LBB33_2900
; %bb.2895:
	s_mov_b32 s2, 0x387fffff
	v_cmp_lt_u32_e32 vcc, s2, v6
                                        ; implicit-def: $vgpr3
	s_and_saveexec_b64 s[2:3], vcc
	s_xor_b64 s[2:3], exec, s[2:3]
; %bb.2896:
	v_bfe_u32 v3, v2, 21, 1
	s_mov_b32 s10, 0x80fffff
	v_add3_u32 v3, v2, v3, s10
	v_lshrrev_b32_e32 v3, 21, v3
                                        ; implicit-def: $vgpr6
; %bb.2897:
	s_andn2_saveexec_b64 s[2:3], s[2:3]
; %bb.2898:
	v_add_f32_e32 v3, 0x43000000, v6
; %bb.2899:
	s_or_b64 exec, exec, s[2:3]
                                        ; implicit-def: $vgpr6
.LBB33_2900:
	s_andn2_saveexec_b64 s[0:1], s[0:1]
; %bb.2901:
	s_mov_b32 s2, 0x7f800000
	v_mov_b32_e32 v3, 0x7c
	v_mov_b32_e32 v8, 0x7f
	v_cmp_lt_u32_e32 vcc, s2, v6
	v_cndmask_b32_e32 v3, v3, v8, vcc
; %bb.2902:
	s_or_b64 exec, exec, s[0:1]
	v_lshrrev_b32_e32 v6, 24, v2
	s_movk_i32 s0, 0x80
	v_and_or_b32 v3, v6, s0, v3
	global_store_byte v[0:1], v3, off
.LBB33_2903:
	s_mov_b64 s[10:11], 0
	s_mov_b64 s[12:13], -1
.LBB33_2904:
	s_andn2_b64 vcc, exec, s[10:11]
	s_mov_b64 s[10:11], 0
	s_cbranch_vccnz .LBB33_2911
; %bb.2905:
	v_mov_b32_e32 v3, 14
	v_cmp_gt_i16_sdwa s[2:3], v4, v3 src0_sel:BYTE_0 src1_sel:DWORD
	s_mov_b64 s[0:1], -1
	s_and_b64 vcc, exec, s[2:3]
	s_cbranch_vccz .LBB33_2909
; %bb.2906:
	v_mov_b32_e32 v3, 15
	v_cmp_eq_u16_sdwa s[0:1], v4, v3 src0_sel:BYTE_0 src1_sel:DWORD
	s_mov_b64 s[4:5], -1
	s_and_b64 vcc, exec, s[0:1]
	s_cbranch_vccz .LBB33_2908
; %bb.2907:
	v_bfe_u32 v3, v2, 16, 1
	s_movk_i32 s0, 0x7fff
	v_add3_u32 v3, v2, v3, s0
	v_lshrrev_b32_e32 v3, 16, v3
	v_mov_b32_e32 v6, 0x7fc0
	v_cmp_o_f32_e32 vcc, v2, v2
	v_cndmask_b32_e32 v3, v6, v3, vcc
	global_store_short v[0:1], v3, off
	s_mov_b64 s[4:5], 0
	s_mov_b64 s[12:13], -1
.LBB33_2908:
	s_mov_b64 s[0:1], 0
.LBB33_2909:
	s_and_b64 vcc, exec, s[0:1]
	s_cbranch_vccz .LBB33_2911
; %bb.2910:
	v_mov_b32_e32 v3, 11
	v_cmp_ne_u16_sdwa s[4:5], v4, v3 src0_sel:BYTE_0 src1_sel:DWORD
	s_mov_b64 s[10:11], -1
.LBB33_2911:
	s_and_b64 vcc, exec, s[4:5]
	s_cbranch_vccnz .LBB33_3079
; %bb.2912:
	s_andn2_b64 vcc, exec, s[10:11]
	s_cbranch_vccnz .LBB33_2914
.LBB33_2913:
	v_mov_b32_e32 v3, 1
	s_mov_b64 s[12:13], -1
	global_store_byte v[0:1], v3, off
.LBB33_2914:
	s_mov_b64 s[0:1], 0
.LBB33_2915:
	s_and_b64 vcc, exec, s[0:1]
	s_cbranch_vccz .LBB33_2954
; %bb.2916:
	v_mov_b32_e32 v3, 5
	v_cmp_lt_i16_sdwa s[2:3], v4, v3 src0_sel:BYTE_0 src1_sel:DWORD
	s_mov_b64 s[0:1], -1
	s_and_b64 vcc, exec, s[2:3]
	s_cbranch_vccnz .LBB33_2937
; %bb.2917:
	v_mov_b32_e32 v3, 8
	v_cmp_lt_i16_sdwa s[2:3], v4, v3 src0_sel:BYTE_0 src1_sel:DWORD
	s_and_b64 vcc, exec, s[2:3]
	s_cbranch_vccnz .LBB33_2927
; %bb.2918:
	v_mov_b32_e32 v3, 9
	v_cmp_lt_i16_sdwa s[2:3], v4, v3 src0_sel:BYTE_0 src1_sel:DWORD
	s_and_b64 vcc, exec, s[2:3]
	s_cbranch_vccnz .LBB33_2924
; %bb.2919:
	v_cmp_gt_i16_sdwa s[2:3], v4, v3 src0_sel:BYTE_0 src1_sel:DWORD
	s_and_b64 vcc, exec, s[2:3]
	s_cbranch_vccz .LBB33_2921
; %bb.2920:
	v_mov_b32_e32 v14, 0
	v_cvt_f64_f32_e32 v[12:13], v2
	v_mov_b32_e32 v15, v14
	global_store_dwordx4 v[0:1], v[12:15], off
	s_mov_b64 s[0:1], 0
.LBB33_2921:
	s_andn2_b64 vcc, exec, s[0:1]
	s_cbranch_vccnz .LBB33_2923
; %bb.2922:
	v_mov_b32_e32 v3, 0
	global_store_dwordx2 v[0:1], v[2:3], off
.LBB33_2923:
	s_mov_b64 s[0:1], 0
.LBB33_2924:
	s_andn2_b64 vcc, exec, s[0:1]
	s_cbranch_vccnz .LBB33_2926
; %bb.2925:
	v_cvt_f16_f32_e32 v3, v2
	global_store_dword v[0:1], v3, off
.LBB33_2926:
	s_mov_b64 s[0:1], 0
.LBB33_2927:
	s_andn2_b64 vcc, exec, s[0:1]
	s_cbranch_vccnz .LBB33_2936
; %bb.2928:
	v_mov_b32_e32 v3, 6
	v_cmp_lt_i16_sdwa s[2:3], v4, v3 src0_sel:BYTE_0 src1_sel:DWORD
	s_mov_b64 s[0:1], -1
	s_and_b64 vcc, exec, s[2:3]
	s_cbranch_vccnz .LBB33_2934
; %bb.2929:
	v_cmp_gt_i16_sdwa s[2:3], v4, v3 src0_sel:BYTE_0 src1_sel:DWORD
	s_and_b64 vcc, exec, s[2:3]
	s_cbranch_vccz .LBB33_2931
; %bb.2930:
	v_cvt_f64_f32_e32 v[8:9], v2
	global_store_dwordx2 v[0:1], v[8:9], off
	s_mov_b64 s[0:1], 0
.LBB33_2931:
	s_andn2_b64 vcc, exec, s[0:1]
	s_cbranch_vccnz .LBB33_2933
; %bb.2932:
	global_store_dword v[0:1], v2, off
.LBB33_2933:
	s_mov_b64 s[0:1], 0
.LBB33_2934:
	s_andn2_b64 vcc, exec, s[0:1]
	s_cbranch_vccnz .LBB33_2936
; %bb.2935:
	v_cvt_f16_f32_e32 v3, v2
	global_store_short v[0:1], v3, off
.LBB33_2936:
	s_mov_b64 s[0:1], 0
.LBB33_2937:
	s_andn2_b64 vcc, exec, s[0:1]
	s_cbranch_vccnz .LBB33_2953
; %bb.2938:
	v_mov_b32_e32 v3, 2
	v_cmp_lt_i16_sdwa s[2:3], v4, v3 src0_sel:BYTE_0 src1_sel:DWORD
	s_mov_b64 s[0:1], -1
	s_and_b64 vcc, exec, s[2:3]
	s_cbranch_vccnz .LBB33_2948
; %bb.2939:
	v_mov_b32_e32 v3, 3
	v_cmp_lt_i16_sdwa s[2:3], v4, v3 src0_sel:BYTE_0 src1_sel:DWORD
	s_and_b64 vcc, exec, s[2:3]
	s_cbranch_vccnz .LBB33_2945
; %bb.2940:
	v_cmp_gt_i16_sdwa s[2:3], v4, v3 src0_sel:BYTE_0 src1_sel:DWORD
	s_and_b64 vcc, exec, s[2:3]
	s_cbranch_vccz .LBB33_2942
; %bb.2941:
	v_trunc_f32_e32 v3, v2
	s_mov_b32 s0, 0x2f800000
	v_mul_f32_e64 v6, |v3|, s0
	v_floor_f32_e32 v6, v6
	s_mov_b32 s0, 0xcf800000
	v_cvt_u32_f32_e32 v8, v6
	v_fma_f32 v6, v6, s0, |v3|
	v_cvt_u32_f32_e32 v6, v6
	v_ashrrev_i32_e32 v3, 31, v3
	v_xor_b32_e32 v9, v8, v3
	s_mov_b64 s[0:1], 0
	v_xor_b32_e32 v6, v6, v3
	v_sub_co_u32_e32 v8, vcc, v6, v3
	v_subb_co_u32_e32 v9, vcc, v9, v3, vcc
	global_store_dwordx2 v[0:1], v[8:9], off
.LBB33_2942:
	s_andn2_b64 vcc, exec, s[0:1]
	s_cbranch_vccnz .LBB33_2944
; %bb.2943:
	v_cvt_i32_f32_e32 v3, v2
	global_store_dword v[0:1], v3, off
.LBB33_2944:
	s_mov_b64 s[0:1], 0
.LBB33_2945:
	s_andn2_b64 vcc, exec, s[0:1]
	s_cbranch_vccnz .LBB33_2947
; %bb.2946:
	v_cvt_i32_f32_e32 v3, v2
	global_store_short v[0:1], v3, off
.LBB33_2947:
	s_mov_b64 s[0:1], 0
.LBB33_2948:
	s_andn2_b64 vcc, exec, s[0:1]
	s_cbranch_vccnz .LBB33_2953
; %bb.2949:
	v_mov_b32_e32 v3, 0
	v_cmp_gt_i16_sdwa s[2:3], v4, v3 src0_sel:BYTE_0 src1_sel:DWORD
	s_mov_b64 s[0:1], -1
	s_and_b64 vcc, exec, s[2:3]
	s_cbranch_vccz .LBB33_2951
; %bb.2950:
	v_cvt_i32_f32_e32 v3, v2
	s_mov_b64 s[0:1], 0
	global_store_byte v[0:1], v3, off
.LBB33_2951:
	s_andn2_b64 vcc, exec, s[0:1]
	s_cbranch_vccnz .LBB33_2953
; %bb.2952:
	v_trunc_f32_e32 v2, v2
	s_mov_b32 s0, 0x2f800000
	v_mul_f32_e64 v3, |v2|, s0
	v_floor_f32_e32 v3, v3
	s_mov_b32 s0, 0xcf800000
	v_fma_f32 v3, v3, s0, |v2|
	v_cvt_u32_f32_e32 v3, v3
	v_ashrrev_i32_e32 v2, 31, v2
	v_xor_b32_e32 v3, v3, v2
	v_sub_u32_e32 v2, v3, v2
	global_store_byte v[0:1], v2, off
.LBB33_2953:
	s_mov_b64 s[12:13], -1
.LBB33_2954:
	s_andn2_b64 vcc, exec, s[12:13]
	s_cbranch_vccnz .LBB33_3031
; %bb.2955:
	v_div_scale_f32 v0, s[0:1], v7, v7, v11
	v_rcp_f32_e32 v1, v0
	v_div_scale_f32 v2, vcc, v11, v7, v11
	s_mov_b32 s0, 0x800000
	v_fma_f32 v3, -v0, v1, 1.0
	v_fmac_f32_e32 v1, v3, v1
	v_mul_f32_e32 v3, v2, v1
	v_fma_f32 v6, -v0, v3, v2
	v_fmac_f32_e32 v3, v6, v1
	v_fma_f32 v0, -v0, v3, v2
	v_div_fmas_f32 v0, v0, v1, v3
	v_div_fixup_f32 v3, v0, v7, v11
	v_mov_b32_e32 v0, 0x800000
	v_cmp_gt_f32_e64 s[0:1], s0, v3
	v_cndmask_b32_e64 v0, v3, v0, s[0:1]
	s_mov_b32 s2, 0x3f7ffffe
	v_mov_b32_e32 v1, 0x3f7ffffe
	v_cmp_lt_f32_e64 s[2:3], s2, v0
	v_cndmask_b32_e64 v2, v0, v1, s[2:3]
	v_add_u32_e32 v0, s18, v5
	v_ashrrev_i32_e32 v1, 31, v0
	v_mov_b32_e32 v5, s9
	v_add_co_u32_e32 v0, vcc, s8, v0
	v_addc_co_u32_e32 v1, vcc, v5, v1, vcc
	v_and_b32_e32 v8, 0xff, v4
	v_cmp_gt_i16_e32 vcc, 11, v8
	s_cbranch_vccnz .LBB33_3076
; %bb.2956:
	v_cmp_lt_i16_e32 vcc, 25, v8
	s_mov_b64 s[10:11], -1
	s_mov_b64 s[8:9], 0
	s_mov_b64 s[4:5], 0
	s_cbranch_vccz .LBB33_2989
; %bb.2957:
	v_cmp_lt_i16_e32 vcc, 28, v8
	s_cbranch_vccz .LBB33_2973
; %bb.2958:
	v_cmp_lt_i16_e32 vcc, 43, v8
	s_cbranch_vccz .LBB33_2969
; %bb.2959:
	v_cmp_lt_i16_e32 vcc, 45, v8
	s_cbranch_vccz .LBB33_2963
; %bb.2960:
	v_cmp_eq_u16_e32 vcc, 46, v8
	s_mov_b64 s[4:5], -1
	s_cbranch_vccz .LBB33_2962
; %bb.2961:
	v_bfe_u32 v4, v2, 16, 1
	s_movk_i32 s4, 0x7fff
	v_add3_u32 v4, v2, v4, s4
	v_lshrrev_b32_e32 v4, 16, v4
	v_mov_b32_e32 v5, 0x7fc0
	v_cmp_o_f32_e32 vcc, v2, v2
	v_cndmask_b32_e32 v4, v5, v4, vcc
	global_store_dword v[0:1], v4, off
	s_mov_b64 s[4:5], 0
.LBB33_2962:
	s_mov_b64 s[10:11], 0
.LBB33_2963:
	s_and_b64 vcc, exec, s[10:11]
	s_cbranch_vccz .LBB33_2968
; %bb.2964:
	v_cmp_eq_u16_e32 vcc, 44, v8
	s_mov_b64 s[4:5], -1
	s_cbranch_vccz .LBB33_2968
; %bb.2965:
	v_bfe_u32 v4, v2, 23, 8
	s_movk_i32 s4, 0xff
	v_cmp_ne_u32_e32 vcc, s4, v4
	v_mov_b32_e32 v5, 0xff
	s_and_saveexec_b64 s[10:11], vcc
; %bb.2966:
	s_mov_b32 s4, 0x3fffff
	v_and_b32_e32 v6, 0x400000, v2
	v_and_or_b32 v4, v2, s4, v4
	v_cmp_ne_u32_e32 vcc, 0, v6
	v_cmp_ne_u32_e64 s[4:5], 0, v4
	s_and_b64 s[4:5], vcc, s[4:5]
	v_lshrrev_b32_e32 v5, 23, v2
	v_cndmask_b32_e64 v4, 0, 1, s[4:5]
	v_add_u32_e32 v5, v5, v4
; %bb.2967:
	s_or_b64 exec, exec, s[10:11]
	s_mov_b64 s[4:5], 0
	global_store_byte v[0:1], v5, off
.LBB33_2968:
	s_mov_b64 s[10:11], 0
.LBB33_2969:
	s_and_b64 vcc, exec, s[10:11]
	s_cbranch_vccz .LBB33_2972
; %bb.2970:
	v_cmp_eq_u16_e32 vcc, 29, v8
	s_mov_b64 s[4:5], -1
	s_cbranch_vccz .LBB33_2972
; %bb.2971:
	v_trunc_f32_e32 v4, v2
	v_mul_f32_e32 v5, 0x2f800000, v4
	v_floor_f32_e32 v6, v5
	v_fmac_f32_e32 v4, 0xcf800000, v6
	v_cvt_u32_f32_e32 v5, v6
	v_cvt_u32_f32_e32 v4, v4
	s_mov_b64 s[4:5], 0
	global_store_dwordx2 v[0:1], v[4:5], off
.LBB33_2972:
	s_mov_b64 s[10:11], 0
.LBB33_2973:
	s_and_b64 vcc, exec, s[10:11]
	s_cbranch_vccz .LBB33_2988
; %bb.2974:
	v_cmp_gt_i16_e32 vcc, 27, v8
	s_mov_b64 s[10:11], -1
	s_cbranch_vccnz .LBB33_2980
; %bb.2975:
	v_cvt_u32_f32_e32 v4, v2
	v_cmp_lt_i16_e32 vcc, 27, v8
	s_cbranch_vccz .LBB33_2977
; %bb.2976:
	global_store_dword v[0:1], v4, off
	s_mov_b64 s[10:11], 0
.LBB33_2977:
	s_andn2_b64 vcc, exec, s[10:11]
	s_cbranch_vccnz .LBB33_2979
; %bb.2978:
	global_store_short v[0:1], v4, off
.LBB33_2979:
	s_mov_b64 s[10:11], 0
.LBB33_2980:
	s_andn2_b64 vcc, exec, s[10:11]
	s_cbranch_vccnz .LBB33_2988
; %bb.2981:
	v_mov_b32_e32 v4, 0x800000
	v_cndmask_b32_e64 v4, |v3|, v4, s[0:1]
	v_mov_b32_e32 v5, 0x3f7ffffe
	v_cndmask_b32_e64 v5, v4, v5, s[2:3]
	s_mov_b32 s10, 0x43800000
	v_cmp_gt_u32_e32 vcc, s10, v5
	v_mov_b32_e32 v6, 0x80
	s_and_saveexec_b64 s[10:11], vcc
	s_cbranch_execz .LBB33_2987
; %bb.2982:
	s_mov_b32 s12, 0x3bffffff
	v_cmp_lt_u32_e32 vcc, s12, v5
	s_mov_b64 s[12:13], 0
                                        ; implicit-def: $vgpr4
	s_and_saveexec_b64 s[14:15], vcc
	s_xor_b64 s[14:15], exec, s[14:15]
	s_cbranch_execz .LBB33_3082
; %bb.2983:
	v_bfe_u32 v4, v2, 20, 1
	s_mov_b32 s16, 0x487ffff
	v_add3_u32 v4, v2, v4, s16
	s_mov_b64 s[12:13], exec
	v_lshrrev_b32_e32 v4, 20, v4
                                        ; implicit-def: $vgpr5
	s_or_saveexec_b64 s[14:15], s[14:15]
                                        ; implicit-def: $sgpr16
	s_xor_b64 exec, exec, s[14:15]
	s_cbranch_execnz .LBB33_3083
.LBB33_2984:
	s_or_b64 exec, exec, s[14:15]
	v_mov_b32_e32 v6, s16
	s_and_saveexec_b64 s[14:15], s[12:13]
.LBB33_2985:
	v_lshrrev_b32_e32 v5, 24, v2
	s_movk_i32 s12, 0x80
	v_and_or_b32 v6, v5, s12, v4
.LBB33_2986:
	s_or_b64 exec, exec, s[14:15]
.LBB33_2987:
	s_or_b64 exec, exec, s[10:11]
	global_store_byte v[0:1], v6, off
.LBB33_2988:
	s_mov_b64 s[10:11], 0
.LBB33_2989:
	s_and_b64 vcc, exec, s[10:11]
	s_cbranch_vccz .LBB33_3029
; %bb.2990:
	v_cmp_lt_i16_e32 vcc, 22, v8
	s_mov_b64 s[8:9], -1
	s_cbranch_vccz .LBB33_3022
; %bb.2991:
	v_cmp_gt_i16_e32 vcc, 24, v8
	s_cbranch_vccnz .LBB33_3011
; %bb.2992:
	v_cmp_lt_i16_e32 vcc, 24, v8
	s_cbranch_vccz .LBB33_3000
; %bb.2993:
	v_mov_b32_e32 v4, 0x800000
	v_cndmask_b32_e64 v4, |v3|, v4, s[0:1]
	v_mov_b32_e32 v5, 0x3f7ffffe
	v_cndmask_b32_e64 v5, v4, v5, s[2:3]
	s_mov_b32 s8, 0x47800000
	v_cmp_gt_u32_e32 vcc, s8, v5
	v_mov_b32_e32 v6, 0x80
	s_and_saveexec_b64 s[8:9], vcc
	s_cbranch_execz .LBB33_2999
; %bb.2994:
	s_mov_b32 s10, 0x37ffffff
	v_cmp_lt_u32_e32 vcc, s10, v5
	s_mov_b64 s[10:11], 0
                                        ; implicit-def: $vgpr4
	s_and_saveexec_b64 s[12:13], vcc
	s_xor_b64 s[12:13], exec, s[12:13]
	s_cbranch_execz .LBB33_3085
; %bb.2995:
	v_bfe_u32 v4, v2, 21, 1
	s_mov_b32 s14, 0x88fffff
	v_add3_u32 v4, v2, v4, s14
	s_mov_b64 s[10:11], exec
	v_lshrrev_b32_e32 v4, 21, v4
                                        ; implicit-def: $vgpr5
	s_or_saveexec_b64 s[12:13], s[12:13]
                                        ; implicit-def: $sgpr14
	s_xor_b64 exec, exec, s[12:13]
	s_cbranch_execnz .LBB33_3086
.LBB33_2996:
	s_or_b64 exec, exec, s[12:13]
	v_mov_b32_e32 v6, s14
	s_and_saveexec_b64 s[12:13], s[10:11]
.LBB33_2997:
	v_lshrrev_b32_e32 v5, 24, v2
	s_movk_i32 s10, 0x80
	v_and_or_b32 v6, v5, s10, v4
.LBB33_2998:
	s_or_b64 exec, exec, s[12:13]
.LBB33_2999:
	s_or_b64 exec, exec, s[8:9]
	s_mov_b64 s[8:9], 0
	global_store_byte v[0:1], v6, off
.LBB33_3000:
	s_and_b64 vcc, exec, s[8:9]
	s_cbranch_vccz .LBB33_3010
; %bb.3001:
	v_mov_b32_e32 v4, 0x800000
	v_cndmask_b32_e64 v4, |v3|, v4, s[0:1]
	v_mov_b32_e32 v5, 0x3f7ffffe
	v_cndmask_b32_e64 v5, v4, v5, s[2:3]
	s_mov_b32 s8, 0x43f00000
	v_cmp_gt_u32_e32 vcc, s8, v5
                                        ; implicit-def: $vgpr4
	s_and_saveexec_b64 s[8:9], vcc
	s_xor_b64 s[8:9], exec, s[8:9]
	s_cbranch_execz .LBB33_3007
; %bb.3002:
	s_mov_b32 s10, 0x3c7fffff
	v_cmp_lt_u32_e32 vcc, s10, v5
                                        ; implicit-def: $vgpr4
	s_and_saveexec_b64 s[10:11], vcc
	s_xor_b64 s[10:11], exec, s[10:11]
; %bb.3003:
	v_bfe_u32 v4, v2, 20, 1
	s_mov_b32 s12, 0x407ffff
	v_add3_u32 v4, v2, v4, s12
	v_lshrrev_b32_e32 v5, 20, v4
	v_and_b32_e32 v4, 0xff00000, v4
	s_mov_b32 s12, 0x7f00000
	v_mov_b32_e32 v6, 0x7e
	v_cmp_ne_u32_e32 vcc, s12, v4
	v_cndmask_b32_e32 v4, v6, v5, vcc
                                        ; implicit-def: $vgpr5
; %bb.3004:
	s_andn2_saveexec_b64 s[10:11], s[10:11]
; %bb.3005:
	v_add_f32_e32 v4, 0x46800000, v5
; %bb.3006:
	s_or_b64 exec, exec, s[10:11]
                                        ; implicit-def: $vgpr5
.LBB33_3007:
	s_andn2_saveexec_b64 s[8:9], s[8:9]
; %bb.3008:
	s_mov_b32 s10, 0x7f800000
	v_mov_b32_e32 v4, 0x7e
	v_mov_b32_e32 v6, 0x7f
	v_cmp_lt_u32_e32 vcc, s10, v5
	v_cndmask_b32_e32 v4, v4, v6, vcc
; %bb.3009:
	s_or_b64 exec, exec, s[8:9]
	v_lshrrev_b32_e32 v5, 24, v2
	s_movk_i32 s8, 0x80
	v_and_or_b32 v4, v5, s8, v4
	global_store_byte v[0:1], v4, off
.LBB33_3010:
	s_mov_b64 s[8:9], 0
.LBB33_3011:
	s_andn2_b64 vcc, exec, s[8:9]
	s_cbranch_vccnz .LBB33_3021
; %bb.3012:
	v_mov_b32_e32 v4, 0x800000
	v_cndmask_b32_e64 v3, |v3|, v4, s[0:1]
	v_mov_b32_e32 v4, 0x3f7ffffe
	v_cndmask_b32_e64 v4, v3, v4, s[2:3]
	s_mov_b32 s0, 0x47800000
	v_cmp_gt_u32_e32 vcc, s0, v4
                                        ; implicit-def: $vgpr3
	s_and_saveexec_b64 s[0:1], vcc
	s_xor_b64 s[0:1], exec, s[0:1]
	s_cbranch_execz .LBB33_3018
; %bb.3013:
	s_mov_b32 s2, 0x387fffff
	v_cmp_lt_u32_e32 vcc, s2, v4
                                        ; implicit-def: $vgpr3
	s_and_saveexec_b64 s[2:3], vcc
	s_xor_b64 s[2:3], exec, s[2:3]
; %bb.3014:
	v_bfe_u32 v3, v2, 21, 1
	s_mov_b32 s8, 0x80fffff
	v_add3_u32 v3, v2, v3, s8
	v_lshrrev_b32_e32 v3, 21, v3
                                        ; implicit-def: $vgpr4
; %bb.3015:
	s_andn2_saveexec_b64 s[2:3], s[2:3]
; %bb.3016:
	v_add_f32_e32 v3, 0x43000000, v4
; %bb.3017:
	s_or_b64 exec, exec, s[2:3]
                                        ; implicit-def: $vgpr4
.LBB33_3018:
	s_andn2_saveexec_b64 s[0:1], s[0:1]
; %bb.3019:
	s_mov_b32 s2, 0x7f800000
	v_mov_b32_e32 v3, 0x7c
	v_mov_b32_e32 v5, 0x7f
	v_cmp_lt_u32_e32 vcc, s2, v4
	v_cndmask_b32_e32 v3, v3, v5, vcc
; %bb.3020:
	s_or_b64 exec, exec, s[0:1]
	v_lshrrev_b32_e32 v4, 24, v2
	s_movk_i32 s0, 0x80
	v_and_or_b32 v3, v4, s0, v3
	global_store_byte v[0:1], v3, off
.LBB33_3021:
	s_mov_b64 s[8:9], 0
.LBB33_3022:
	s_andn2_b64 vcc, exec, s[8:9]
	s_mov_b64 s[8:9], 0
	s_cbranch_vccnz .LBB33_3029
; %bb.3023:
	v_cmp_lt_i16_e32 vcc, 14, v8
	s_mov_b64 s[0:1], -1
	s_cbranch_vccz .LBB33_3027
; %bb.3024:
	v_cmp_eq_u16_e32 vcc, 15, v8
	s_mov_b64 s[4:5], -1
	s_cbranch_vccz .LBB33_3026
; %bb.3025:
	v_bfe_u32 v3, v2, 16, 1
	s_movk_i32 s0, 0x7fff
	v_add3_u32 v3, v2, v3, s0
	v_lshrrev_b32_e32 v3, 16, v3
	v_mov_b32_e32 v4, 0x7fc0
	v_cmp_o_f32_e32 vcc, v2, v2
	v_cndmask_b32_e32 v3, v4, v3, vcc
	global_store_short v[0:1], v3, off
	s_mov_b64 s[4:5], 0
.LBB33_3026:
	s_mov_b64 s[0:1], 0
.LBB33_3027:
	s_and_b64 vcc, exec, s[0:1]
	s_cbranch_vccz .LBB33_3029
; %bb.3028:
	v_cmp_ne_u16_e64 s[4:5], 11, v8
	s_mov_b64 s[8:9], -1
.LBB33_3029:
	s_and_b64 vcc, exec, s[4:5]
	s_cbranch_vccnz .LBB33_3084
.LBB33_3030:
	s_mov_b64 s[0:1], 0
	s_branch .LBB33_3032
.LBB33_3031:
	s_mov_b64 s[0:1], 0
	s_mov_b64 s[8:9], 0
                                        ; implicit-def: $vgpr8
                                        ; implicit-def: $vgpr0_vgpr1
                                        ; implicit-def: $vgpr2
.LBB33_3032:
	s_andn2_b64 s[2:3], s[20:21], exec
	s_and_b64 s[4:5], s[22:23], exec
	s_and_b64 s[0:1], s[0:1], exec
	;; [unrolled: 1-line block ×3, first 2 shown]
	s_or_b64 s[20:21], s[2:3], s[4:5]
.LBB33_3033:
	s_or_b64 exec, exec, s[6:7]
	s_and_saveexec_b64 s[2:3], s[20:21]
	s_cbranch_execz .LBB33_3036
; %bb.3034:
	; divergent unreachable
	s_or_b64 exec, exec, s[2:3]
	s_and_saveexec_b64 s[2:3], s[18:19]
	s_xor_b64 s[2:3], exec, s[2:3]
	s_cbranch_execnz .LBB33_3037
.LBB33_3035:
	s_or_b64 exec, exec, s[2:3]
	s_and_saveexec_b64 s[2:3], s[0:1]
	s_cbranch_execnz .LBB33_3038
	s_branch .LBB33_3075
.LBB33_3036:
	s_or_b64 exec, exec, s[2:3]
	s_and_saveexec_b64 s[2:3], s[18:19]
	s_xor_b64 s[2:3], exec, s[2:3]
	s_cbranch_execz .LBB33_3035
.LBB33_3037:
	s_waitcnt vmcnt(0)
	v_mov_b32_e32 v3, 1
	global_store_byte v[0:1], v3, off
	s_or_b64 exec, exec, s[2:3]
	s_and_saveexec_b64 s[2:3], s[0:1]
	s_cbranch_execz .LBB33_3075
.LBB33_3038:
	s_waitcnt vmcnt(0)
	v_cmp_gt_i16_e32 vcc, 5, v8
	s_mov_b64 s[0:1], -1
	s_cbranch_vccnz .LBB33_3059
; %bb.3039:
	v_cmp_gt_i16_e32 vcc, 8, v8
	s_cbranch_vccnz .LBB33_3049
; %bb.3040:
	v_cmp_gt_i16_e32 vcc, 9, v8
	s_cbranch_vccnz .LBB33_3046
; %bb.3041:
	v_cmp_lt_i16_e32 vcc, 9, v8
	s_cbranch_vccz .LBB33_3043
; %bb.3042:
	v_mov_b32_e32 v6, 0
	v_cvt_f64_f32_e32 v[4:5], v2
	v_mov_b32_e32 v7, v6
	global_store_dwordx4 v[0:1], v[4:7], off
	s_mov_b64 s[0:1], 0
.LBB33_3043:
	s_andn2_b64 vcc, exec, s[0:1]
	s_cbranch_vccnz .LBB33_3045
; %bb.3044:
	v_mov_b32_e32 v3, 0
	global_store_dwordx2 v[0:1], v[2:3], off
.LBB33_3045:
	s_mov_b64 s[0:1], 0
.LBB33_3046:
	s_andn2_b64 vcc, exec, s[0:1]
	s_cbranch_vccnz .LBB33_3048
; %bb.3047:
	v_cvt_f16_f32_e32 v3, v2
	global_store_dword v[0:1], v3, off
.LBB33_3048:
	s_mov_b64 s[0:1], 0
.LBB33_3049:
	s_andn2_b64 vcc, exec, s[0:1]
	s_cbranch_vccnz .LBB33_3058
; %bb.3050:
	v_cmp_gt_i16_e32 vcc, 6, v8
	s_mov_b64 s[0:1], -1
	s_cbranch_vccnz .LBB33_3056
; %bb.3051:
	v_cmp_lt_i16_e32 vcc, 6, v8
	s_cbranch_vccz .LBB33_3053
; %bb.3052:
	v_cvt_f64_f32_e32 v[4:5], v2
	global_store_dwordx2 v[0:1], v[4:5], off
	s_mov_b64 s[0:1], 0
.LBB33_3053:
	s_andn2_b64 vcc, exec, s[0:1]
	s_cbranch_vccnz .LBB33_3055
; %bb.3054:
	global_store_dword v[0:1], v2, off
.LBB33_3055:
	s_mov_b64 s[0:1], 0
.LBB33_3056:
	s_andn2_b64 vcc, exec, s[0:1]
	s_cbranch_vccnz .LBB33_3058
; %bb.3057:
	v_cvt_f16_f32_e32 v3, v2
	global_store_short v[0:1], v3, off
.LBB33_3058:
	s_mov_b64 s[0:1], 0
.LBB33_3059:
	s_andn2_b64 vcc, exec, s[0:1]
	s_cbranch_vccnz .LBB33_3075
; %bb.3060:
	v_cmp_gt_i16_e32 vcc, 2, v8
	s_mov_b64 s[0:1], -1
	s_cbranch_vccnz .LBB33_3070
; %bb.3061:
	v_cmp_gt_i16_e32 vcc, 3, v8
	s_cbranch_vccnz .LBB33_3067
; %bb.3062:
	v_cmp_lt_i16_e32 vcc, 3, v8
	s_cbranch_vccz .LBB33_3064
; %bb.3063:
	v_trunc_f32_e32 v3, v2
	s_mov_b32 s0, 0x2f800000
	v_mul_f32_e64 v4, |v3|, s0
	v_floor_f32_e32 v4, v4
	s_mov_b32 s0, 0xcf800000
	v_cvt_u32_f32_e32 v5, v4
	v_fma_f32 v4, v4, s0, |v3|
	v_cvt_u32_f32_e32 v4, v4
	v_ashrrev_i32_e32 v3, 31, v3
	v_xor_b32_e32 v5, v5, v3
	s_mov_b64 s[0:1], 0
	v_xor_b32_e32 v4, v4, v3
	v_sub_co_u32_e32 v4, vcc, v4, v3
	v_subb_co_u32_e32 v5, vcc, v5, v3, vcc
	global_store_dwordx2 v[0:1], v[4:5], off
.LBB33_3064:
	s_andn2_b64 vcc, exec, s[0:1]
	s_cbranch_vccnz .LBB33_3066
; %bb.3065:
	v_cvt_i32_f32_e32 v3, v2
	global_store_dword v[0:1], v3, off
.LBB33_3066:
	s_mov_b64 s[0:1], 0
.LBB33_3067:
	s_andn2_b64 vcc, exec, s[0:1]
	s_cbranch_vccnz .LBB33_3069
; %bb.3068:
	v_cvt_i32_f32_e32 v3, v2
	global_store_short v[0:1], v3, off
.LBB33_3069:
	s_mov_b64 s[0:1], 0
.LBB33_3070:
	s_andn2_b64 vcc, exec, s[0:1]
	s_cbranch_vccnz .LBB33_3075
; %bb.3071:
	v_cmp_lt_i16_e32 vcc, 0, v8
	s_mov_b64 s[0:1], -1
	s_cbranch_vccz .LBB33_3073
; %bb.3072:
	v_cvt_i32_f32_e32 v3, v2
	s_mov_b64 s[0:1], 0
	global_store_byte v[0:1], v3, off
.LBB33_3073:
	s_andn2_b64 vcc, exec, s[0:1]
	s_cbranch_vccnz .LBB33_3075
; %bb.3074:
	v_trunc_f32_e32 v2, v2
	s_mov_b32 s0, 0x2f800000
	v_mul_f32_e64 v3, |v2|, s0
	v_floor_f32_e32 v3, v3
	s_mov_b32 s0, 0xcf800000
	v_fma_f32 v3, v3, s0, |v2|
	v_cvt_u32_f32_e32 v3, v3
	v_ashrrev_i32_e32 v2, 31, v2
	v_xor_b32_e32 v3, v3, v2
	v_sub_u32_e32 v2, v3, v2
	global_store_byte v[0:1], v2, off
	s_endpgm
.LBB33_3075:
	s_endpgm
.LBB33_3076:
	s_mov_b64 s[8:9], 0
	s_mov_b64 s[0:1], -1
	s_branch .LBB33_3032
.LBB33_3077:
	s_or_saveexec_b64 s[16:17], s[16:17]
                                        ; implicit-def: $sgpr19
	s_xor_b64 exec, exec, s[16:17]
	s_cbranch_execz .LBB33_2865
.LBB33_3078:
	v_add_f32_e32 v6, 0x46000000, v8
	v_and_b32_e32 v6, 0xff, v6
	v_cmp_ne_u32_e32 vcc, 0, v6
	s_andn2_b64 s[14:15], s[14:15], exec
	s_and_b64 s[24:25], vcc, exec
	s_mov_b32 s19, 0
	s_or_b64 s[14:15], s[14:15], s[24:25]
	s_or_b64 exec, exec, s[16:17]
	v_mov_b32_e32 v9, s19
	s_and_saveexec_b64 s[16:17], s[14:15]
	s_cbranch_execnz .LBB33_2866
	s_branch .LBB33_2867
.LBB33_3079:
	s_trap 2
	s_or_b64 s[22:23], s[22:23], exec
	s_cbranch_execz .LBB33_2913
	s_branch .LBB33_2914
.LBB33_3080:
	s_or_saveexec_b64 s[14:15], s[14:15]
                                        ; implicit-def: $sgpr16
	s_xor_b64 exec, exec, s[14:15]
	s_cbranch_execz .LBB33_2878
.LBB33_3081:
	v_add_f32_e32 v6, 0x42800000, v8
	v_and_b32_e32 v6, 0xff, v6
	v_cmp_ne_u32_e32 vcc, 0, v6
	s_andn2_b64 s[12:13], s[12:13], exec
	s_and_b64 s[24:25], vcc, exec
	s_mov_b32 s16, 0
	s_or_b64 s[12:13], s[12:13], s[24:25]
	s_or_b64 exec, exec, s[14:15]
	v_mov_b32_e32 v9, s16
	s_and_saveexec_b64 s[14:15], s[12:13]
	s_cbranch_execnz .LBB33_2879
	s_branch .LBB33_2880
.LBB33_3082:
	s_or_saveexec_b64 s[14:15], s[14:15]
                                        ; implicit-def: $sgpr16
	s_xor_b64 exec, exec, s[14:15]
	s_cbranch_execz .LBB33_2984
.LBB33_3083:
	v_add_f32_e32 v4, 0x46000000, v5
	v_and_b32_e32 v4, 0xff, v4
	v_cmp_ne_u32_e32 vcc, 0, v4
	s_andn2_b64 s[12:13], s[12:13], exec
	s_and_b64 s[18:19], vcc, exec
	s_mov_b32 s16, 0
	s_or_b64 s[12:13], s[12:13], s[18:19]
	s_or_b64 exec, exec, s[14:15]
	v_mov_b32_e32 v6, s16
	s_and_saveexec_b64 s[14:15], s[12:13]
	s_cbranch_execnz .LBB33_2985
	s_branch .LBB33_2986
.LBB33_3084:
	s_mov_b64 s[8:9], 0
	s_or_b64 s[22:23], s[22:23], exec
	s_trap 2
	s_branch .LBB33_3030
.LBB33_3085:
	s_or_saveexec_b64 s[12:13], s[12:13]
                                        ; implicit-def: $sgpr14
	s_xor_b64 exec, exec, s[12:13]
	s_cbranch_execz .LBB33_2996
.LBB33_3086:
	v_add_f32_e32 v4, 0x42800000, v5
	v_and_b32_e32 v4, 0xff, v4
	v_cmp_ne_u32_e32 vcc, 0, v4
	s_andn2_b64 s[10:11], s[10:11], exec
	s_and_b64 s[16:17], vcc, exec
	s_mov_b32 s14, 0
	s_or_b64 s[10:11], s[10:11], s[16:17]
	s_or_b64 exec, exec, s[12:13]
	v_mov_b32_e32 v6, s14
	s_and_saveexec_b64 s[12:13], s[10:11]
	s_cbranch_execnz .LBB33_2997
	s_branch .LBB33_2998
	.section	.rodata,"a",@progbits
	.p2align	6, 0x0
	.amdhsa_kernel _ZN2at6native32elementwise_kernel_manual_unrollILi128ELi4EZNS0_15gpu_kernel_implIZZZNS0_23launch_dirichlet_kernelERNS_18TensorIteratorBaseEENKUlvE_clEvENKUlvE0_clEvEUlffE_EEvS4_RKT_EUlibE_EEviT1_
		.amdhsa_group_segment_fixed_size 0
		.amdhsa_private_segment_fixed_size 0
		.amdhsa_kernarg_size 48
		.amdhsa_user_sgpr_count 6
		.amdhsa_user_sgpr_private_segment_buffer 1
		.amdhsa_user_sgpr_dispatch_ptr 0
		.amdhsa_user_sgpr_queue_ptr 0
		.amdhsa_user_sgpr_kernarg_segment_ptr 1
		.amdhsa_user_sgpr_dispatch_id 0
		.amdhsa_user_sgpr_flat_scratch_init 0
		.amdhsa_user_sgpr_kernarg_preload_length 0
		.amdhsa_user_sgpr_kernarg_preload_offset 0
		.amdhsa_user_sgpr_private_segment_size 0
		.amdhsa_uses_dynamic_stack 0
		.amdhsa_system_sgpr_private_segment_wavefront_offset 0
		.amdhsa_system_sgpr_workgroup_id_x 1
		.amdhsa_system_sgpr_workgroup_id_y 0
		.amdhsa_system_sgpr_workgroup_id_z 0
		.amdhsa_system_sgpr_workgroup_info 0
		.amdhsa_system_vgpr_workitem_id 0
		.amdhsa_next_free_vgpr 19
		.amdhsa_next_free_sgpr 54
		.amdhsa_accum_offset 20
		.amdhsa_reserve_vcc 1
		.amdhsa_reserve_flat_scratch 0
		.amdhsa_float_round_mode_32 0
		.amdhsa_float_round_mode_16_64 0
		.amdhsa_float_denorm_mode_32 3
		.amdhsa_float_denorm_mode_16_64 3
		.amdhsa_dx10_clamp 1
		.amdhsa_ieee_mode 1
		.amdhsa_fp16_overflow 0
		.amdhsa_tg_split 0
		.amdhsa_exception_fp_ieee_invalid_op 0
		.amdhsa_exception_fp_denorm_src 0
		.amdhsa_exception_fp_ieee_div_zero 0
		.amdhsa_exception_fp_ieee_overflow 0
		.amdhsa_exception_fp_ieee_underflow 0
		.amdhsa_exception_fp_ieee_inexact 0
		.amdhsa_exception_int_div_zero 0
	.end_amdhsa_kernel
	.section	.text._ZN2at6native32elementwise_kernel_manual_unrollILi128ELi4EZNS0_15gpu_kernel_implIZZZNS0_23launch_dirichlet_kernelERNS_18TensorIteratorBaseEENKUlvE_clEvENKUlvE0_clEvEUlffE_EEvS4_RKT_EUlibE_EEviT1_,"axG",@progbits,_ZN2at6native32elementwise_kernel_manual_unrollILi128ELi4EZNS0_15gpu_kernel_implIZZZNS0_23launch_dirichlet_kernelERNS_18TensorIteratorBaseEENKUlvE_clEvENKUlvE0_clEvEUlffE_EEvS4_RKT_EUlibE_EEviT1_,comdat
.Lfunc_end33:
	.size	_ZN2at6native32elementwise_kernel_manual_unrollILi128ELi4EZNS0_15gpu_kernel_implIZZZNS0_23launch_dirichlet_kernelERNS_18TensorIteratorBaseEENKUlvE_clEvENKUlvE0_clEvEUlffE_EEvS4_RKT_EUlibE_EEviT1_, .Lfunc_end33-_ZN2at6native32elementwise_kernel_manual_unrollILi128ELi4EZNS0_15gpu_kernel_implIZZZNS0_23launch_dirichlet_kernelERNS_18TensorIteratorBaseEENKUlvE_clEvENKUlvE0_clEvEUlffE_EEvS4_RKT_EUlibE_EEviT1_
                                        ; -- End function
	.section	.AMDGPU.csdata,"",@progbits
; Kernel info:
; codeLenInByte = 55116
; NumSgprs: 58
; NumVgprs: 19
; NumAgprs: 0
; TotalNumVgprs: 19
; ScratchSize: 0
; MemoryBound: 1
; FloatMode: 240
; IeeeMode: 1
; LDSByteSize: 0 bytes/workgroup (compile time only)
; SGPRBlocks: 7
; VGPRBlocks: 2
; NumSGPRsForWavesPerEU: 58
; NumVGPRsForWavesPerEU: 19
; AccumOffset: 20
; Occupancy: 8
; WaveLimiterHint : 0
; COMPUTE_PGM_RSRC2:SCRATCH_EN: 0
; COMPUTE_PGM_RSRC2:USER_SGPR: 6
; COMPUTE_PGM_RSRC2:TRAP_HANDLER: 0
; COMPUTE_PGM_RSRC2:TGID_X_EN: 1
; COMPUTE_PGM_RSRC2:TGID_Y_EN: 0
; COMPUTE_PGM_RSRC2:TGID_Z_EN: 0
; COMPUTE_PGM_RSRC2:TIDIG_COMP_CNT: 0
; COMPUTE_PGM_RSRC3_GFX90A:ACCUM_OFFSET: 4
; COMPUTE_PGM_RSRC3_GFX90A:TG_SPLIT: 0
	.section	.text._ZN2at6native32elementwise_kernel_manual_unrollILi128ELi4EZNS0_12_GLOBAL__N_142type_specialized_broadcast_kernel_launcherILi0EE5applyIZZZNS0_23launch_dirichlet_kernelERNS_18TensorIteratorBaseEENKUlvE_clEvENKUlvE0_clEvEUlffE_St5arrayIPcLm3EESB_IN3c1010ScalarTypeELm3EE16OffsetCalculatorILi3EjLb0EEEEvlT_T0_T1_T2_EUlibE_EEviSL_,"axG",@progbits,_ZN2at6native32elementwise_kernel_manual_unrollILi128ELi4EZNS0_12_GLOBAL__N_142type_specialized_broadcast_kernel_launcherILi0EE5applyIZZZNS0_23launch_dirichlet_kernelERNS_18TensorIteratorBaseEENKUlvE_clEvENKUlvE0_clEvEUlffE_St5arrayIPcLm3EESB_IN3c1010ScalarTypeELm3EE16OffsetCalculatorILi3EjLb0EEEEvlT_T0_T1_T2_EUlibE_EEviSL_,comdat
	.globl	_ZN2at6native32elementwise_kernel_manual_unrollILi128ELi4EZNS0_12_GLOBAL__N_142type_specialized_broadcast_kernel_launcherILi0EE5applyIZZZNS0_23launch_dirichlet_kernelERNS_18TensorIteratorBaseEENKUlvE_clEvENKUlvE0_clEvEUlffE_St5arrayIPcLm3EESB_IN3c1010ScalarTypeELm3EE16OffsetCalculatorILi3EjLb0EEEEvlT_T0_T1_T2_EUlibE_EEviSL_ ; -- Begin function _ZN2at6native32elementwise_kernel_manual_unrollILi128ELi4EZNS0_12_GLOBAL__N_142type_specialized_broadcast_kernel_launcherILi0EE5applyIZZZNS0_23launch_dirichlet_kernelERNS_18TensorIteratorBaseEENKUlvE_clEvENKUlvE0_clEvEUlffE_St5arrayIPcLm3EESB_IN3c1010ScalarTypeELm3EE16OffsetCalculatorILi3EjLb0EEEEvlT_T0_T1_T2_EUlibE_EEviSL_
	.p2align	8
	.type	_ZN2at6native32elementwise_kernel_manual_unrollILi128ELi4EZNS0_12_GLOBAL__N_142type_specialized_broadcast_kernel_launcherILi0EE5applyIZZZNS0_23launch_dirichlet_kernelERNS_18TensorIteratorBaseEENKUlvE_clEvENKUlvE0_clEvEUlffE_St5arrayIPcLm3EESB_IN3c1010ScalarTypeELm3EE16OffsetCalculatorILi3EjLb0EEEEvlT_T0_T1_T2_EUlibE_EEviSL_,@function
_ZN2at6native32elementwise_kernel_manual_unrollILi128ELi4EZNS0_12_GLOBAL__N_142type_specialized_broadcast_kernel_launcherILi0EE5applyIZZZNS0_23launch_dirichlet_kernelERNS_18TensorIteratorBaseEENKUlvE_clEvENKUlvE0_clEvEUlffE_St5arrayIPcLm3EESB_IN3c1010ScalarTypeELm3EE16OffsetCalculatorILi3EjLb0EEEEvlT_T0_T1_T2_EUlibE_EEviSL_: ; @_ZN2at6native32elementwise_kernel_manual_unrollILi128ELi4EZNS0_12_GLOBAL__N_142type_specialized_broadcast_kernel_launcherILi0EE5applyIZZZNS0_23launch_dirichlet_kernelERNS_18TensorIteratorBaseEENKUlvE_clEvENKUlvE0_clEvEUlffE_St5arrayIPcLm3EESB_IN3c1010ScalarTypeELm3EE16OffsetCalculatorILi3EjLb0EEEEvlT_T0_T1_T2_EUlibE_EEviSL_
; %bb.0:
	s_load_dword s36, s[4:5], 0x0
	s_load_dword s33, s[4:5], 0x8
	s_or_b32 s4, s4, 8
	v_lshl_or_b32 v12, s6, 9, v0
	v_or_b32_e32 v24, 0x180, v12
	s_waitcnt lgkmcnt(0)
	v_cmp_le_i32_e32 vcc, s36, v24
	s_add_i32 s34, s33, -1
	s_cmp_gt_u32 s34, 1
	s_cselect_b64 s[6:7], -1, 0
	s_and_saveexec_b64 s[0:1], vcc
	s_xor_b64 s[16:17], exec, s[0:1]
	s_cbranch_execz .LBB34_50
; %bb.1:
	s_load_dwordx4 s[12:15], s[4:5], 0x4
	s_load_dwordx2 s[22:23], s[4:5], 0x14
	s_load_dwordx4 s[8:11], s[4:5], 0xc4
	s_load_dwordx2 s[20:21], s[4:5], 0xd4
	s_load_dwordx2 s[18:19], s[4:5], 0x198
	s_load_dwordx4 s[0:3], s[4:5], 0x188
	s_cmp_lg_u32 s33, 0
	s_cselect_b64 s[26:27], -1, 0
	s_min_u32 s35, s34, 15
	s_cmp_gt_u32 s33, 1
	s_cselect_b64 s[24:25], -1, 0
	v_cmp_gt_i32_e32 vcc, s36, v12
	s_and_saveexec_b64 s[28:29], vcc
	s_cbranch_execnz .LBB34_5
; %bb.2:
	s_or_b64 exec, exec, s[28:29]
	v_cmp_gt_i32_e32 vcc, s36, v12
	s_and_saveexec_b64 s[28:29], vcc
	s_cbranch_execnz .LBB34_16
.LBB34_3:
	s_or_b64 exec, exec, s[28:29]
	v_cmp_gt_i32_e32 vcc, s36, v12
	s_and_saveexec_b64 s[28:29], vcc
	s_cbranch_execnz .LBB34_27
.LBB34_4:
	s_or_b64 exec, exec, s[28:29]
	v_cmp_gt_i32_e32 vcc, s36, v12
	s_and_saveexec_b64 s[28:29], vcc
	s_cbranch_execnz .LBB34_38
	s_branch .LBB34_49
.LBB34_5:
	s_andn2_b64 vcc, exec, s[6:7]
	s_cbranch_vccnz .LBB34_12
; %bb.6:
	s_andn2_b64 vcc, exec, s[26:27]
	v_mov_b32_e32 v2, 0
	v_mov_b32_e32 v4, 0
	;; [unrolled: 1-line block ×3, first 2 shown]
	s_cbranch_vccnz .LBB34_11
; %bb.7:
	s_add_i32 s30, s35, 1
	s_and_b32 s37, s30, 30
	s_add_u32 s30, s4, 0xffffffec
	s_addc_u32 s31, s5, -1
	v_mov_b32_e32 v0, 0
	v_mov_b32_e32 v1, v12
	;; [unrolled: 1-line block ×4, first 2 shown]
.LBB34_8:                               ; =>This Inner Loop Header: Depth=1
	s_mov_b64 s[38:39], s[30:31]
	s_load_dwordx4 s[40:43], s[38:39], 0x18
	s_load_dwordx2 s[48:49], s[38:39], 0x28
	s_load_dwordx2 s[50:51], s[38:39], 0xe8
	s_load_dwordx4 s[44:47], s[38:39], 0xd8
	s_add_u32 s30, s38, 24
	s_waitcnt lgkmcnt(0)
	v_mul_hi_u32 v3, s41, v1
	v_add_u32_e32 v3, v1, v3
	v_lshrrev_b32_e32 v3, s42, v3
	v_mul_lo_u32 v5, v3, s40
	v_mul_hi_u32 v6, s48, v3
	v_sub_u32_e32 v1, v1, v5
	v_add_u32_e32 v5, v3, v6
	v_mul_lo_u32 v6, v1, s44
	v_mul_lo_u32 v7, v1, s45
	;; [unrolled: 1-line block ×3, first 2 shown]
	v_lshrrev_b32_e32 v1, s49, v5
	v_mul_lo_u32 v5, v1, s43
	v_sub_u32_e32 v3, v3, v5
	s_addc_u32 s31, s39, 0
	s_add_i32 s37, s37, -2
	v_mul_lo_u32 v5, v3, s47
	v_mul_lo_u32 v9, v3, s50
	;; [unrolled: 1-line block ×3, first 2 shown]
	s_cmp_lg_u32 s37, 0
	v_add3_u32 v0, v6, v0, v5
	v_add3_u32 v2, v8, v2, v3
	;; [unrolled: 1-line block ×3, first 2 shown]
	s_cbranch_scc1 .LBB34_8
; %bb.9:
	s_bitcmp1_b32 s35, 0
	s_cselect_b64 s[38:39], -1, 0
	s_and_b64 vcc, exec, s[38:39]
	s_cbranch_vccnz .LBB34_11
; %bb.10:
	s_load_dwordx2 s[38:39], s[30:31], 0x18
	s_load_dword s37, s[30:31], 0x20
	s_load_dword s42, s[30:31], 0xe0
	s_load_dwordx2 s[40:41], s[30:31], 0xd8
	s_waitcnt lgkmcnt(0)
	v_mul_hi_u32 v3, s39, v1
	v_add_u32_e32 v3, v1, v3
	v_lshrrev_b32_e32 v3, s37, v3
	v_mul_lo_u32 v3, v3, s38
	v_sub_u32_e32 v3, v1, v3
	v_mad_u64_u32 v[0:1], s[30:31], v3, s40, v[0:1]
	v_mad_u64_u32 v[4:5], s[30:31], v3, s41, v[4:5]
	;; [unrolled: 1-line block ×3, first 2 shown]
.LBB34_11:
	s_cbranch_execz .LBB34_13
	s_branch .LBB34_15
.LBB34_12:
                                        ; implicit-def: $vgpr2
                                        ; implicit-def: $vgpr4
                                        ; implicit-def: $vgpr0
.LBB34_13:
	s_waitcnt lgkmcnt(0)
	v_mul_hi_u32 v0, s13, v12
	v_add_u32_e32 v0, v12, v0
	v_lshrrev_b32_e32 v1, s14, v0
	v_mul_lo_u32 v0, v1, s12
	v_sub_u32_e32 v3, v12, v0
	v_mul_lo_u32 v0, v3, s8
	v_mul_lo_u32 v2, v3, s10
	s_andn2_b64 vcc, exec, s[24:25]
	v_mul_lo_u32 v4, v3, s9
	s_cbranch_vccnz .LBB34_15
; %bb.14:
	v_mul_hi_u32 v3, s22, v1
	v_add_u32_e32 v3, v1, v3
	v_lshrrev_b32_e32 v3, s23, v3
	v_mul_lo_u32 v3, v3, s15
	v_sub_u32_e32 v3, v1, v3
	v_mad_u64_u32 v[0:1], s[30:31], v3, s11, v[0:1]
	v_mad_u64_u32 v[4:5], s[30:31], v3, s20, v[4:5]
	v_mad_u64_u32 v[2:3], s[30:31], v3, s21, v[2:3]
.LBB34_15:
	s_waitcnt lgkmcnt(0)
	global_load_ushort v1, v2, s[18:19]
	global_load_dword v3, v4, s[2:3]
	s_mov_b32 s37, 0x800000
	v_mov_b32_e32 v2, 0x800000
	s_mov_b32 s38, 0x3f7ffffe
	v_mov_b32_e32 v6, 0x3f7ffffe
	v_add_u32_e32 v12, 0x80, v12
	s_waitcnt vmcnt(1)
	v_lshlrev_b32_e32 v1, 16, v1
	s_waitcnt vmcnt(0)
	v_div_scale_f32 v4, s[30:31], v1, v1, v3
	v_rcp_f32_e32 v5, v4
	v_div_scale_f32 v7, vcc, v3, v1, v3
	v_fma_f32 v8, -v4, v5, 1.0
	v_fmac_f32_e32 v5, v8, v5
	v_mul_f32_e32 v8, v7, v5
	v_fma_f32 v9, -v4, v8, v7
	v_fmac_f32_e32 v8, v9, v5
	v_fma_f32 v4, -v4, v8, v7
	v_div_fmas_f32 v4, v4, v5, v8
	v_div_fixup_f32 v1, v4, v1, v3
	v_cmp_ngt_f32_e32 vcc, s37, v1
	v_cndmask_b32_e32 v1, v2, v1, vcc
	v_cmp_nlt_f32_e32 vcc, s38, v1
	v_cndmask_b32_e32 v1, v6, v1, vcc
	global_store_dword v0, v1, s[0:1]
	s_or_b64 exec, exec, s[28:29]
	v_cmp_gt_i32_e32 vcc, s36, v12
	s_and_saveexec_b64 s[28:29], vcc
	s_cbranch_execz .LBB34_3
.LBB34_16:
	s_andn2_b64 vcc, exec, s[6:7]
	s_cbranch_vccnz .LBB34_23
; %bb.17:
	s_andn2_b64 vcc, exec, s[26:27]
	v_mov_b32_e32 v2, 0
	v_mov_b32_e32 v4, 0
	;; [unrolled: 1-line block ×3, first 2 shown]
	s_cbranch_vccnz .LBB34_22
; %bb.18:
	s_add_i32 s30, s35, 1
	s_and_b32 s37, s30, 30
	s_add_u32 s30, s4, 0xffffffec
	s_addc_u32 s31, s5, -1
	v_mov_b32_e32 v0, 0
	v_mov_b32_e32 v1, v12
	;; [unrolled: 1-line block ×4, first 2 shown]
.LBB34_19:                              ; =>This Inner Loop Header: Depth=1
	s_mov_b64 s[38:39], s[30:31]
	s_load_dwordx4 s[40:43], s[38:39], 0x18
	s_load_dwordx2 s[48:49], s[38:39], 0x28
	s_load_dwordx2 s[50:51], s[38:39], 0xe8
	s_load_dwordx4 s[44:47], s[38:39], 0xd8
	s_add_u32 s30, s38, 24
	s_waitcnt lgkmcnt(0)
	v_mul_hi_u32 v3, s41, v1
	v_add_u32_e32 v3, v1, v3
	v_lshrrev_b32_e32 v3, s42, v3
	v_mul_lo_u32 v5, v3, s40
	v_mul_hi_u32 v6, s48, v3
	v_sub_u32_e32 v1, v1, v5
	v_add_u32_e32 v5, v3, v6
	v_mul_lo_u32 v6, v1, s44
	v_mul_lo_u32 v7, v1, s45
	;; [unrolled: 1-line block ×3, first 2 shown]
	v_lshrrev_b32_e32 v1, s49, v5
	v_mul_lo_u32 v5, v1, s43
	v_sub_u32_e32 v3, v3, v5
	s_addc_u32 s31, s39, 0
	s_add_i32 s37, s37, -2
	v_mul_lo_u32 v5, v3, s47
	v_mul_lo_u32 v9, v3, s50
	;; [unrolled: 1-line block ×3, first 2 shown]
	s_cmp_eq_u32 s37, 0
	v_add3_u32 v0, v6, v0, v5
	v_add3_u32 v2, v8, v2, v3
	;; [unrolled: 1-line block ×3, first 2 shown]
	s_cbranch_scc0 .LBB34_19
; %bb.20:
	s_bitcmp1_b32 s35, 0
	s_cselect_b64 s[38:39], -1, 0
	s_and_b64 vcc, exec, s[38:39]
	s_cbranch_vccnz .LBB34_22
; %bb.21:
	s_load_dwordx2 s[38:39], s[30:31], 0x18
	s_load_dword s37, s[30:31], 0x20
	s_load_dword s42, s[30:31], 0xe0
	s_load_dwordx2 s[40:41], s[30:31], 0xd8
	s_waitcnt lgkmcnt(0)
	v_mul_hi_u32 v3, s39, v1
	v_add_u32_e32 v3, v1, v3
	v_lshrrev_b32_e32 v3, s37, v3
	v_mul_lo_u32 v3, v3, s38
	v_sub_u32_e32 v3, v1, v3
	v_mad_u64_u32 v[0:1], s[30:31], v3, s40, v[0:1]
	v_mad_u64_u32 v[4:5], s[30:31], v3, s41, v[4:5]
	;; [unrolled: 1-line block ×3, first 2 shown]
.LBB34_22:
	s_cbranch_execz .LBB34_24
	s_branch .LBB34_26
.LBB34_23:
                                        ; implicit-def: $vgpr2
                                        ; implicit-def: $vgpr4
                                        ; implicit-def: $vgpr0
.LBB34_24:
	s_waitcnt lgkmcnt(0)
	v_mul_hi_u32 v0, s13, v12
	v_add_u32_e32 v0, v12, v0
	v_lshrrev_b32_e32 v1, s14, v0
	v_mul_lo_u32 v0, v1, s12
	v_sub_u32_e32 v3, v12, v0
	v_mul_lo_u32 v0, v3, s8
	v_mul_lo_u32 v2, v3, s10
	s_andn2_b64 vcc, exec, s[24:25]
	v_mul_lo_u32 v4, v3, s9
	s_cbranch_vccnz .LBB34_26
; %bb.25:
	v_mul_hi_u32 v3, s22, v1
	v_add_u32_e32 v3, v1, v3
	v_lshrrev_b32_e32 v3, s23, v3
	v_mul_lo_u32 v3, v3, s15
	v_sub_u32_e32 v3, v1, v3
	v_mad_u64_u32 v[0:1], s[30:31], v3, s11, v[0:1]
	v_mad_u64_u32 v[4:5], s[30:31], v3, s20, v[4:5]
	;; [unrolled: 1-line block ×3, first 2 shown]
.LBB34_26:
	s_waitcnt lgkmcnt(0)
	global_load_ushort v1, v2, s[18:19]
	global_load_dword v3, v4, s[2:3]
	s_mov_b32 s37, 0x800000
	v_mov_b32_e32 v2, 0x800000
	s_mov_b32 s38, 0x3f7ffffe
	v_mov_b32_e32 v6, 0x3f7ffffe
	v_add_u32_e32 v12, 0x80, v12
	s_waitcnt vmcnt(1)
	v_lshlrev_b32_e32 v1, 16, v1
	s_waitcnt vmcnt(0)
	v_div_scale_f32 v4, s[30:31], v1, v1, v3
	v_rcp_f32_e32 v5, v4
	v_div_scale_f32 v7, vcc, v3, v1, v3
	v_fma_f32 v8, -v4, v5, 1.0
	v_fmac_f32_e32 v5, v8, v5
	v_mul_f32_e32 v8, v7, v5
	v_fma_f32 v9, -v4, v8, v7
	v_fmac_f32_e32 v8, v9, v5
	v_fma_f32 v4, -v4, v8, v7
	v_div_fmas_f32 v4, v4, v5, v8
	v_div_fixup_f32 v1, v4, v1, v3
	v_cmp_ngt_f32_e32 vcc, s37, v1
	v_cndmask_b32_e32 v1, v2, v1, vcc
	v_cmp_nlt_f32_e32 vcc, s38, v1
	v_cndmask_b32_e32 v1, v6, v1, vcc
	global_store_dword v0, v1, s[0:1]
	s_or_b64 exec, exec, s[28:29]
	v_cmp_gt_i32_e32 vcc, s36, v12
	s_and_saveexec_b64 s[28:29], vcc
	s_cbranch_execz .LBB34_4
.LBB34_27:
	s_andn2_b64 vcc, exec, s[6:7]
	s_cbranch_vccnz .LBB34_34
; %bb.28:
	s_andn2_b64 vcc, exec, s[26:27]
	v_mov_b32_e32 v2, 0
	v_mov_b32_e32 v4, 0
	;; [unrolled: 1-line block ×3, first 2 shown]
	s_cbranch_vccnz .LBB34_33
; %bb.29:
	s_add_i32 s30, s35, 1
	s_and_b32 s37, s30, 30
	s_add_u32 s30, s4, 0xffffffec
	s_addc_u32 s31, s5, -1
	v_mov_b32_e32 v0, 0
	v_mov_b32_e32 v1, v12
	;; [unrolled: 1-line block ×4, first 2 shown]
.LBB34_30:                              ; =>This Inner Loop Header: Depth=1
	s_mov_b64 s[38:39], s[30:31]
	s_load_dwordx4 s[40:43], s[38:39], 0x18
	s_load_dwordx2 s[48:49], s[38:39], 0x28
	s_load_dwordx2 s[50:51], s[38:39], 0xe8
	s_load_dwordx4 s[44:47], s[38:39], 0xd8
	s_add_u32 s30, s38, 24
	s_waitcnt lgkmcnt(0)
	v_mul_hi_u32 v3, s41, v1
	v_add_u32_e32 v3, v1, v3
	v_lshrrev_b32_e32 v3, s42, v3
	v_mul_lo_u32 v5, v3, s40
	v_mul_hi_u32 v6, s48, v3
	v_sub_u32_e32 v1, v1, v5
	v_add_u32_e32 v5, v3, v6
	v_mul_lo_u32 v6, v1, s44
	v_mul_lo_u32 v7, v1, s45
	v_mul_lo_u32 v8, v1, s46
	v_lshrrev_b32_e32 v1, s49, v5
	v_mul_lo_u32 v5, v1, s43
	v_sub_u32_e32 v3, v3, v5
	s_addc_u32 s31, s39, 0
	s_add_i32 s37, s37, -2
	v_mul_lo_u32 v5, v3, s47
	v_mul_lo_u32 v9, v3, s50
	;; [unrolled: 1-line block ×3, first 2 shown]
	s_cmp_eq_u32 s37, 0
	v_add3_u32 v0, v6, v0, v5
	v_add3_u32 v2, v8, v2, v3
	v_add3_u32 v4, v7, v4, v9
	s_cbranch_scc0 .LBB34_30
; %bb.31:
	s_bitcmp1_b32 s35, 0
	s_cselect_b64 s[38:39], -1, 0
	s_and_b64 vcc, exec, s[38:39]
	s_cbranch_vccnz .LBB34_33
; %bb.32:
	s_load_dwordx2 s[38:39], s[30:31], 0x18
	s_load_dword s37, s[30:31], 0x20
	s_load_dword s42, s[30:31], 0xe0
	s_load_dwordx2 s[40:41], s[30:31], 0xd8
	s_waitcnt lgkmcnt(0)
	v_mul_hi_u32 v3, s39, v1
	v_add_u32_e32 v3, v1, v3
	v_lshrrev_b32_e32 v3, s37, v3
	v_mul_lo_u32 v3, v3, s38
	v_sub_u32_e32 v3, v1, v3
	v_mad_u64_u32 v[0:1], s[30:31], v3, s40, v[0:1]
	v_mad_u64_u32 v[4:5], s[30:31], v3, s41, v[4:5]
	;; [unrolled: 1-line block ×3, first 2 shown]
.LBB34_33:
	s_cbranch_execz .LBB34_35
	s_branch .LBB34_37
.LBB34_34:
                                        ; implicit-def: $vgpr2
                                        ; implicit-def: $vgpr4
                                        ; implicit-def: $vgpr0
.LBB34_35:
	s_waitcnt lgkmcnt(0)
	v_mul_hi_u32 v0, s13, v12
	v_add_u32_e32 v0, v12, v0
	v_lshrrev_b32_e32 v1, s14, v0
	v_mul_lo_u32 v0, v1, s12
	v_sub_u32_e32 v3, v12, v0
	v_mul_lo_u32 v0, v3, s8
	v_mul_lo_u32 v2, v3, s10
	s_andn2_b64 vcc, exec, s[24:25]
	v_mul_lo_u32 v4, v3, s9
	s_cbranch_vccnz .LBB34_37
; %bb.36:
	v_mul_hi_u32 v3, s22, v1
	v_add_u32_e32 v3, v1, v3
	v_lshrrev_b32_e32 v3, s23, v3
	v_mul_lo_u32 v3, v3, s15
	v_sub_u32_e32 v3, v1, v3
	v_mad_u64_u32 v[0:1], s[30:31], v3, s11, v[0:1]
	v_mad_u64_u32 v[4:5], s[30:31], v3, s20, v[4:5]
	;; [unrolled: 1-line block ×3, first 2 shown]
.LBB34_37:
	s_waitcnt lgkmcnt(0)
	global_load_ushort v1, v2, s[18:19]
	global_load_dword v3, v4, s[2:3]
	s_mov_b32 s37, 0x800000
	v_mov_b32_e32 v2, 0x800000
	s_mov_b32 s38, 0x3f7ffffe
	v_mov_b32_e32 v6, 0x3f7ffffe
	v_add_u32_e32 v12, 0x80, v12
	s_waitcnt vmcnt(1)
	v_lshlrev_b32_e32 v1, 16, v1
	s_waitcnt vmcnt(0)
	v_div_scale_f32 v4, s[30:31], v1, v1, v3
	v_rcp_f32_e32 v5, v4
	v_div_scale_f32 v7, vcc, v3, v1, v3
	v_fma_f32 v8, -v4, v5, 1.0
	v_fmac_f32_e32 v5, v8, v5
	v_mul_f32_e32 v8, v7, v5
	v_fma_f32 v9, -v4, v8, v7
	v_fmac_f32_e32 v8, v9, v5
	v_fma_f32 v4, -v4, v8, v7
	v_div_fmas_f32 v4, v4, v5, v8
	v_div_fixup_f32 v1, v4, v1, v3
	v_cmp_ngt_f32_e32 vcc, s37, v1
	v_cndmask_b32_e32 v1, v2, v1, vcc
	v_cmp_nlt_f32_e32 vcc, s38, v1
	v_cndmask_b32_e32 v1, v6, v1, vcc
	global_store_dword v0, v1, s[0:1]
	s_or_b64 exec, exec, s[28:29]
	v_cmp_gt_i32_e32 vcc, s36, v12
	s_and_saveexec_b64 s[28:29], vcc
	s_cbranch_execz .LBB34_49
.LBB34_38:
	s_andn2_b64 vcc, exec, s[6:7]
	s_cbranch_vccnz .LBB34_45
; %bb.39:
	s_andn2_b64 vcc, exec, s[26:27]
	v_mov_b32_e32 v2, 0
	v_mov_b32_e32 v4, 0
	;; [unrolled: 1-line block ×3, first 2 shown]
	s_cbranch_vccnz .LBB34_44
; %bb.40:
	s_add_i32 s26, s35, 1
	s_and_b32 s30, s26, 30
	s_add_u32 s26, s4, 0xffffffec
	s_addc_u32 s27, s5, -1
	v_mov_b32_e32 v0, 0
	v_mov_b32_e32 v1, v12
	;; [unrolled: 1-line block ×4, first 2 shown]
.LBB34_41:                              ; =>This Inner Loop Header: Depth=1
	s_mov_b64 s[44:45], s[26:27]
	s_load_dwordx4 s[36:39], s[44:45], 0x18
	s_load_dwordx2 s[46:47], s[44:45], 0x28
	s_load_dwordx2 s[48:49], s[44:45], 0xe8
	s_load_dwordx4 s[40:43], s[44:45], 0xd8
	s_add_u32 s26, s44, 24
	s_waitcnt lgkmcnt(0)
	v_mul_hi_u32 v3, s37, v1
	v_add_u32_e32 v3, v1, v3
	v_lshrrev_b32_e32 v3, s38, v3
	v_mul_lo_u32 v5, v3, s36
	v_mul_hi_u32 v6, s46, v3
	v_sub_u32_e32 v1, v1, v5
	v_add_u32_e32 v5, v3, v6
	v_mul_lo_u32 v6, v1, s40
	v_mul_lo_u32 v7, v1, s41
	;; [unrolled: 1-line block ×3, first 2 shown]
	v_lshrrev_b32_e32 v1, s47, v5
	v_mul_lo_u32 v5, v1, s39
	v_sub_u32_e32 v3, v3, v5
	s_addc_u32 s27, s45, 0
	s_add_i32 s30, s30, -2
	v_mul_lo_u32 v5, v3, s43
	v_mul_lo_u32 v9, v3, s48
	;; [unrolled: 1-line block ×3, first 2 shown]
	s_cmp_eq_u32 s30, 0
	v_add3_u32 v0, v6, v0, v5
	v_add3_u32 v2, v8, v2, v3
	;; [unrolled: 1-line block ×3, first 2 shown]
	s_cbranch_scc0 .LBB34_41
; %bb.42:
	s_bitcmp1_b32 s35, 0
	s_cselect_b64 s[30:31], -1, 0
	s_and_b64 vcc, exec, s[30:31]
	s_cbranch_vccnz .LBB34_44
; %bb.43:
	s_load_dwordx2 s[30:31], s[26:27], 0x18
	s_load_dword s35, s[26:27], 0x20
	s_load_dword s38, s[26:27], 0xe0
	s_load_dwordx2 s[36:37], s[26:27], 0xd8
	s_waitcnt lgkmcnt(0)
	v_mul_hi_u32 v3, s31, v1
	v_add_u32_e32 v3, v1, v3
	v_lshrrev_b32_e32 v3, s35, v3
	v_mul_lo_u32 v3, v3, s30
	v_sub_u32_e32 v3, v1, v3
	v_mad_u64_u32 v[0:1], s[26:27], v3, s36, v[0:1]
	v_mad_u64_u32 v[4:5], s[26:27], v3, s37, v[4:5]
	;; [unrolled: 1-line block ×3, first 2 shown]
.LBB34_44:
	s_cbranch_execz .LBB34_46
	s_branch .LBB34_48
.LBB34_45:
                                        ; implicit-def: $vgpr2
                                        ; implicit-def: $vgpr4
                                        ; implicit-def: $vgpr0
.LBB34_46:
	s_waitcnt lgkmcnt(0)
	v_mul_hi_u32 v0, s13, v12
	v_add_u32_e32 v0, v12, v0
	v_lshrrev_b32_e32 v1, s14, v0
	v_mul_lo_u32 v0, v1, s12
	v_sub_u32_e32 v3, v12, v0
	v_mul_lo_u32 v0, v3, s8
	v_mul_lo_u32 v2, v3, s10
	s_andn2_b64 vcc, exec, s[24:25]
	v_mul_lo_u32 v4, v3, s9
	s_cbranch_vccnz .LBB34_48
; %bb.47:
	v_mul_hi_u32 v3, s22, v1
	v_add_u32_e32 v3, v1, v3
	v_lshrrev_b32_e32 v3, s23, v3
	v_mul_lo_u32 v3, v3, s15
	v_sub_u32_e32 v3, v1, v3
	v_mad_u64_u32 v[0:1], s[8:9], v3, s11, v[0:1]
	v_mad_u64_u32 v[4:5], s[8:9], v3, s20, v[4:5]
	;; [unrolled: 1-line block ×3, first 2 shown]
.LBB34_48:
	s_waitcnt lgkmcnt(0)
	global_load_ushort v1, v2, s[18:19]
	global_load_dword v3, v4, s[2:3]
	s_mov_b32 s8, 0x800000
	v_mov_b32_e32 v2, 0x800000
	s_mov_b32 s9, 0x3f7ffffe
	v_mov_b32_e32 v6, 0x3f7ffffe
	s_waitcnt vmcnt(1)
	v_lshlrev_b32_e32 v1, 16, v1
	s_waitcnt vmcnt(0)
	v_div_scale_f32 v4, s[2:3], v1, v1, v3
	v_rcp_f32_e32 v5, v4
	v_div_scale_f32 v7, vcc, v3, v1, v3
	v_fma_f32 v8, -v4, v5, 1.0
	v_fmac_f32_e32 v5, v8, v5
	v_mul_f32_e32 v8, v7, v5
	v_fma_f32 v9, -v4, v8, v7
	v_fmac_f32_e32 v8, v9, v5
	v_fma_f32 v4, -v4, v8, v7
	v_div_fmas_f32 v4, v4, v5, v8
	v_div_fixup_f32 v1, v4, v1, v3
	v_cmp_ngt_f32_e32 vcc, s8, v1
	v_cndmask_b32_e32 v1, v2, v1, vcc
	v_cmp_nlt_f32_e32 vcc, s9, v1
	v_cndmask_b32_e32 v1, v6, v1, vcc
	global_store_dword v0, v1, s[0:1]
.LBB34_49:
	s_or_b64 exec, exec, s[28:29]
                                        ; implicit-def: $vgpr24
                                        ; implicit-def: $vgpr12
.LBB34_50:
	s_waitcnt lgkmcnt(0)
	s_andn2_saveexec_b64 s[0:1], s[16:17]
	s_cbranch_execz .LBB34_57
; %bb.51:
	v_cndmask_b32_e64 v0, 0, 1, s[6:7]
	v_cmp_ne_u32_e64 s[0:1], 1, v0
	s_andn2_b64 vcc, exec, s[6:7]
	s_cbranch_vccnz .LBB34_58
; %bb.52:
	s_cmp_lg_u32 s33, 0
	v_mov_b32_e32 v4, 0
	v_mov_b32_e32 v2, 0
	;; [unrolled: 1-line block ×3, first 2 shown]
	s_cbranch_scc0 .LBB34_59
; %bb.53:
	s_min_u32 s6, s34, 15
	s_add_i32 s2, s6, 1
	s_and_b32 s7, s2, 30
	s_add_u32 s2, s4, 0xffffffec
	s_addc_u32 s3, s5, -1
	v_mov_b32_e32 v0, 0
	v_mov_b32_e32 v1, v12
	v_mov_b32_e32 v2, 0
	v_mov_b32_e32 v4, 0
.LBB34_54:                              ; =>This Inner Loop Header: Depth=1
	s_mov_b64 s[16:17], s[2:3]
	s_load_dwordx4 s[8:11], s[16:17], 0x18
	s_load_dwordx2 s[18:19], s[16:17], 0x28
	s_load_dwordx2 s[20:21], s[16:17], 0xe8
	s_load_dwordx4 s[12:15], s[16:17], 0xd8
	s_add_u32 s2, s16, 24
	s_waitcnt lgkmcnt(0)
	v_mul_hi_u32 v3, s9, v1
	v_add_u32_e32 v3, v1, v3
	v_lshrrev_b32_e32 v3, s10, v3
	v_mul_lo_u32 v5, v3, s8
	v_mul_hi_u32 v6, s18, v3
	v_sub_u32_e32 v1, v1, v5
	v_add_u32_e32 v5, v3, v6
	v_mul_lo_u32 v6, v1, s12
	v_mul_lo_u32 v7, v1, s13
	;; [unrolled: 1-line block ×3, first 2 shown]
	v_lshrrev_b32_e32 v1, s19, v5
	v_mul_lo_u32 v5, v1, s11
	v_sub_u32_e32 v3, v3, v5
	s_addc_u32 s3, s17, 0
	s_add_i32 s7, s7, -2
	v_mul_lo_u32 v5, v3, s15
	v_mul_lo_u32 v9, v3, s20
	;; [unrolled: 1-line block ×3, first 2 shown]
	s_cmp_lg_u32 s7, 0
	v_add3_u32 v0, v6, v0, v5
	v_add3_u32 v4, v8, v4, v3
	;; [unrolled: 1-line block ×3, first 2 shown]
	s_cbranch_scc1 .LBB34_54
; %bb.55:
	s_bitcmp1_b32 s6, 0
	s_cselect_b64 s[6:7], -1, 0
	s_and_b64 vcc, exec, s[6:7]
	s_cbranch_vccnz .LBB34_59
; %bb.56:
	s_load_dwordx2 s[6:7], s[2:3], 0x18
	s_load_dword s10, s[2:3], 0x20
	s_load_dword s11, s[2:3], 0xe0
	s_load_dwordx2 s[8:9], s[2:3], 0xd8
	s_waitcnt lgkmcnt(0)
	v_mul_hi_u32 v3, s7, v1
	v_add_u32_e32 v3, v1, v3
	v_lshrrev_b32_e32 v3, s10, v3
	v_mul_lo_u32 v3, v3, s6
	v_sub_u32_e32 v5, v1, v3
	v_mad_u64_u32 v[0:1], s[2:3], v5, s8, v[0:1]
	v_mad_u64_u32 v[2:3], s[2:3], v5, s9, v[2:3]
	;; [unrolled: 1-line block ×3, first 2 shown]
	s_cbranch_execz .LBB34_60
	s_branch .LBB34_62
.LBB34_57:
	s_endpgm
.LBB34_58:
                                        ; implicit-def: $vgpr4
                                        ; implicit-def: $vgpr2
                                        ; implicit-def: $vgpr0
	s_branch .LBB34_60
.LBB34_59:
	s_cbranch_execnz .LBB34_62
.LBB34_60:
	s_load_dwordx4 s[8:11], s[4:5], 0x4
	s_load_dwordx4 s[12:15], s[4:5], 0xc4
	s_cmp_lt_u32 s33, 2
	s_waitcnt lgkmcnt(0)
	v_mul_hi_u32 v0, s9, v12
	v_add_u32_e32 v0, v12, v0
	v_lshrrev_b32_e32 v1, s10, v0
	v_mul_lo_u32 v0, v1, s8
	v_sub_u32_e32 v2, v12, v0
	v_mul_lo_u32 v0, v2, s12
	v_mul_lo_u32 v4, v2, s14
	;; [unrolled: 1-line block ×3, first 2 shown]
	s_cbranch_scc1 .LBB34_62
; %bb.61:
	s_load_dwordx4 s[8:11], s[4:5], 0x10
	s_load_dwordx4 s[12:15], s[4:5], 0xd0
	s_waitcnt lgkmcnt(0)
	v_mul_hi_u32 v3, s9, v1
	v_add_u32_e32 v3, v1, v3
	v_lshrrev_b32_e32 v3, s10, v3
	v_mul_lo_u32 v3, v3, s8
	v_sub_u32_e32 v5, v1, v3
	v_mad_u64_u32 v[0:1], s[2:3], v5, s12, v[0:1]
	v_mad_u64_u32 v[2:3], s[2:3], v5, s13, v[2:3]
	;; [unrolled: 1-line block ×3, first 2 shown]
.LBB34_62:
	s_and_b64 vcc, exec, s[0:1]
	v_add_u32_e32 v1, 0x80, v12
	s_cbranch_vccnz .LBB34_68
; %bb.63:
	s_cmp_lg_u32 s33, 0
	v_mov_b32_e32 v8, 0
	v_mov_b32_e32 v10, 0
	;; [unrolled: 1-line block ×3, first 2 shown]
	s_cbranch_scc0 .LBB34_69
; %bb.64:
	s_min_u32 s6, s34, 15
	s_add_i32 s2, s6, 1
	s_and_b32 s7, s2, 30
	s_add_u32 s2, s4, 0xffffffec
	s_addc_u32 s3, s5, -1
	v_mov_b32_e32 v6, 0
	v_mov_b32_e32 v3, v1
	;; [unrolled: 1-line block ×4, first 2 shown]
.LBB34_65:                              ; =>This Inner Loop Header: Depth=1
	s_mov_b64 s[16:17], s[2:3]
	s_load_dwordx4 s[8:11], s[16:17], 0x18
	s_load_dwordx2 s[18:19], s[16:17], 0x28
	s_load_dwordx2 s[20:21], s[16:17], 0xe8
	s_load_dwordx4 s[12:15], s[16:17], 0xd8
	s_add_u32 s2, s16, 24
	s_waitcnt lgkmcnt(0)
	v_mul_hi_u32 v5, s9, v3
	v_add_u32_e32 v5, v3, v5
	v_lshrrev_b32_e32 v5, s10, v5
	v_mul_lo_u32 v7, v5, s8
	v_mul_hi_u32 v9, s18, v5
	v_sub_u32_e32 v3, v3, v7
	v_add_u32_e32 v7, v5, v9
	v_mul_lo_u32 v9, v3, s12
	v_mul_lo_u32 v11, v3, s13
	;; [unrolled: 1-line block ×3, first 2 shown]
	v_lshrrev_b32_e32 v3, s19, v7
	v_mul_lo_u32 v7, v3, s11
	v_sub_u32_e32 v5, v5, v7
	s_addc_u32 s3, s17, 0
	s_add_i32 s7, s7, -2
	v_mul_lo_u32 v7, v5, s15
	v_mul_lo_u32 v14, v5, s20
	;; [unrolled: 1-line block ×3, first 2 shown]
	s_cmp_lg_u32 s7, 0
	v_add3_u32 v6, v9, v6, v7
	v_add3_u32 v8, v13, v8, v5
	;; [unrolled: 1-line block ×3, first 2 shown]
	s_cbranch_scc1 .LBB34_65
; %bb.66:
	s_bitcmp1_b32 s6, 0
	s_cselect_b64 s[6:7], -1, 0
	s_and_b64 vcc, exec, s[6:7]
	s_cbranch_vccnz .LBB34_69
; %bb.67:
	s_load_dwordx2 s[6:7], s[2:3], 0x18
	s_load_dword s10, s[2:3], 0x20
	s_load_dword s11, s[2:3], 0xe0
	s_load_dwordx2 s[8:9], s[2:3], 0xd8
	s_waitcnt lgkmcnt(0)
	v_mul_hi_u32 v5, s7, v3
	v_add_u32_e32 v5, v3, v5
	v_lshrrev_b32_e32 v5, s10, v5
	v_mul_lo_u32 v5, v5, s6
	v_sub_u32_e32 v3, v3, v5
	v_mad_u64_u32 v[6:7], s[2:3], v3, s8, v[6:7]
	v_mad_u64_u32 v[10:11], s[2:3], v3, s9, v[10:11]
	v_mad_u64_u32 v[8:9], s[2:3], v3, s11, v[8:9]
	s_cbranch_execz .LBB34_70
	s_branch .LBB34_72
.LBB34_68:
                                        ; implicit-def: $vgpr8
                                        ; implicit-def: $vgpr10
                                        ; implicit-def: $vgpr6
	s_branch .LBB34_70
.LBB34_69:
	s_cbranch_execnz .LBB34_72
.LBB34_70:
	s_load_dwordx4 s[8:11], s[4:5], 0x4
	s_load_dwordx4 s[12:15], s[4:5], 0xc4
	s_cmp_lt_u32 s33, 2
	s_waitcnt lgkmcnt(0)
	v_mul_hi_u32 v3, s9, v1
	v_add_u32_e32 v3, v1, v3
	v_lshrrev_b32_e32 v3, s10, v3
	v_mul_lo_u32 v5, v3, s8
	v_sub_u32_e32 v1, v1, v5
	v_mul_lo_u32 v6, v1, s12
	v_mul_lo_u32 v8, v1, s14
	;; [unrolled: 1-line block ×3, first 2 shown]
	s_cbranch_scc1 .LBB34_72
; %bb.71:
	s_load_dwordx4 s[8:11], s[4:5], 0x10
	s_load_dwordx4 s[12:15], s[4:5], 0xd0
	s_waitcnt lgkmcnt(0)
	v_mul_hi_u32 v1, s9, v3
	v_add_u32_e32 v1, v3, v1
	v_lshrrev_b32_e32 v1, s10, v1
	v_mul_lo_u32 v1, v1, s8
	v_sub_u32_e32 v1, v3, v1
	v_mad_u64_u32 v[6:7], s[2:3], v1, s12, v[6:7]
	v_mad_u64_u32 v[10:11], s[2:3], v1, s13, v[10:11]
	;; [unrolled: 1-line block ×3, first 2 shown]
.LBB34_72:
	s_and_b64 vcc, exec, s[0:1]
	v_add_u32_e32 v1, 0x100, v12
	s_cbranch_vccnz .LBB34_78
; %bb.73:
	s_cmp_lg_u32 s33, 0
	v_mov_b32_e32 v14, 0
	v_mov_b32_e32 v16, 0
	;; [unrolled: 1-line block ×3, first 2 shown]
	s_cbranch_scc0 .LBB34_79
; %bb.74:
	s_min_u32 s6, s34, 15
	s_add_i32 s2, s6, 1
	s_and_b32 s7, s2, 30
	s_add_u32 s2, s4, 0xffffffec
	s_addc_u32 s3, s5, -1
	v_mov_b32_e32 v12, 0
	v_mov_b32_e32 v3, v1
	;; [unrolled: 1-line block ×4, first 2 shown]
.LBB34_75:                              ; =>This Inner Loop Header: Depth=1
	s_mov_b64 s[16:17], s[2:3]
	s_load_dwordx4 s[8:11], s[16:17], 0x18
	s_load_dwordx2 s[18:19], s[16:17], 0x28
	s_load_dwordx2 s[20:21], s[16:17], 0xe8
	s_load_dwordx4 s[12:15], s[16:17], 0xd8
	s_add_u32 s2, s16, 24
	s_waitcnt lgkmcnt(0)
	v_mul_hi_u32 v5, s9, v3
	v_add_u32_e32 v5, v3, v5
	v_lshrrev_b32_e32 v5, s10, v5
	v_mul_lo_u32 v7, v5, s8
	v_mul_hi_u32 v9, s18, v5
	v_sub_u32_e32 v3, v3, v7
	v_add_u32_e32 v7, v5, v9
	v_mul_lo_u32 v9, v3, s12
	v_mul_lo_u32 v11, v3, s13
	;; [unrolled: 1-line block ×3, first 2 shown]
	v_lshrrev_b32_e32 v3, s19, v7
	v_mul_lo_u32 v7, v3, s11
	v_sub_u32_e32 v5, v5, v7
	s_addc_u32 s3, s17, 0
	s_add_i32 s7, s7, -2
	v_mul_lo_u32 v7, v5, s15
	v_mul_lo_u32 v15, v5, s20
	;; [unrolled: 1-line block ×3, first 2 shown]
	s_cmp_lg_u32 s7, 0
	v_add3_u32 v12, v9, v12, v7
	v_add3_u32 v14, v13, v14, v5
	;; [unrolled: 1-line block ×3, first 2 shown]
	s_cbranch_scc1 .LBB34_75
; %bb.76:
	s_bitcmp1_b32 s6, 0
	s_cselect_b64 s[6:7], -1, 0
	s_and_b64 vcc, exec, s[6:7]
	s_cbranch_vccnz .LBB34_79
; %bb.77:
	s_load_dwordx2 s[6:7], s[2:3], 0x18
	s_load_dword s10, s[2:3], 0x20
	s_load_dword s11, s[2:3], 0xe0
	s_load_dwordx2 s[8:9], s[2:3], 0xd8
	s_waitcnt lgkmcnt(0)
	v_mul_hi_u32 v5, s7, v3
	v_add_u32_e32 v5, v3, v5
	v_lshrrev_b32_e32 v5, s10, v5
	v_mul_lo_u32 v5, v5, s6
	v_sub_u32_e32 v3, v3, v5
	v_mad_u64_u32 v[12:13], s[2:3], v3, s8, v[12:13]
	v_mad_u64_u32 v[16:17], s[2:3], v3, s9, v[16:17]
	v_mad_u64_u32 v[14:15], s[2:3], v3, s11, v[14:15]
	s_cbranch_execz .LBB34_80
	s_branch .LBB34_82
.LBB34_78:
                                        ; implicit-def: $vgpr14
                                        ; implicit-def: $vgpr16
                                        ; implicit-def: $vgpr12
	s_branch .LBB34_80
.LBB34_79:
	s_cbranch_execnz .LBB34_82
.LBB34_80:
	s_load_dwordx4 s[8:11], s[4:5], 0x4
	s_load_dwordx4 s[12:15], s[4:5], 0xc4
	s_cmp_lt_u32 s33, 2
	s_waitcnt lgkmcnt(0)
	v_mul_hi_u32 v3, s9, v1
	v_add_u32_e32 v3, v1, v3
	v_lshrrev_b32_e32 v3, s10, v3
	v_mul_lo_u32 v5, v3, s8
	v_sub_u32_e32 v1, v1, v5
	v_mul_lo_u32 v12, v1, s12
	v_mul_lo_u32 v14, v1, s14
	;; [unrolled: 1-line block ×3, first 2 shown]
	s_cbranch_scc1 .LBB34_82
; %bb.81:
	s_load_dwordx4 s[8:11], s[4:5], 0x10
	s_load_dwordx4 s[12:15], s[4:5], 0xd0
	s_waitcnt lgkmcnt(0)
	v_mul_hi_u32 v1, s9, v3
	v_add_u32_e32 v1, v3, v1
	v_lshrrev_b32_e32 v1, s10, v1
	v_mul_lo_u32 v1, v1, s8
	v_sub_u32_e32 v1, v3, v1
	v_mad_u64_u32 v[12:13], s[2:3], v1, s12, v[12:13]
	v_mad_u64_u32 v[16:17], s[2:3], v1, s13, v[16:17]
	;; [unrolled: 1-line block ×3, first 2 shown]
.LBB34_82:
	s_and_b64 vcc, exec, s[0:1]
	s_cbranch_vccnz .LBB34_88
; %bb.83:
	s_cmp_lg_u32 s33, 0
	v_mov_b32_e32 v20, 0
	v_mov_b32_e32 v22, 0
	;; [unrolled: 1-line block ×3, first 2 shown]
	s_cbranch_scc0 .LBB34_89
; %bb.84:
	s_min_u32 s2, s34, 15
	s_add_i32 s0, s2, 1
	s_and_b32 s3, s0, 30
	s_add_u32 s0, s4, 0xffffffec
	s_addc_u32 s1, s5, -1
	v_mov_b32_e32 v18, 0
	v_mov_b32_e32 v1, v24
	;; [unrolled: 1-line block ×4, first 2 shown]
.LBB34_85:                              ; =>This Inner Loop Header: Depth=1
	s_mov_b64 s[6:7], s[0:1]
	s_load_dwordx4 s[8:11], s[6:7], 0x18
	s_load_dwordx2 s[16:17], s[6:7], 0x28
	s_load_dwordx2 s[18:19], s[6:7], 0xe8
	s_load_dwordx4 s[12:15], s[6:7], 0xd8
	s_add_u32 s0, s6, 24
	s_waitcnt lgkmcnt(0)
	v_mul_hi_u32 v3, s9, v1
	v_add_u32_e32 v3, v1, v3
	v_lshrrev_b32_e32 v3, s10, v3
	v_mul_lo_u32 v5, v3, s8
	v_mul_hi_u32 v7, s16, v3
	v_sub_u32_e32 v1, v1, v5
	v_add_u32_e32 v5, v3, v7
	v_mul_lo_u32 v7, v1, s12
	v_mul_lo_u32 v9, v1, s13
	;; [unrolled: 1-line block ×3, first 2 shown]
	v_lshrrev_b32_e32 v1, s17, v5
	v_mul_lo_u32 v5, v1, s11
	v_sub_u32_e32 v3, v3, v5
	s_addc_u32 s1, s7, 0
	s_add_i32 s3, s3, -2
	v_mul_lo_u32 v5, v3, s15
	v_mul_lo_u32 v13, v3, s18
	;; [unrolled: 1-line block ×3, first 2 shown]
	s_cmp_lg_u32 s3, 0
	v_add3_u32 v18, v7, v18, v5
	v_add3_u32 v20, v11, v20, v3
	;; [unrolled: 1-line block ×3, first 2 shown]
	s_cbranch_scc1 .LBB34_85
; %bb.86:
	s_bitcmp1_b32 s2, 0
	s_cselect_b64 s[2:3], -1, 0
	s_and_b64 vcc, exec, s[2:3]
	s_cbranch_vccnz .LBB34_89
; %bb.87:
	s_load_dwordx2 s[2:3], s[0:1], 0x18
	s_load_dword s8, s[0:1], 0x20
	s_load_dword s9, s[0:1], 0xe0
	s_load_dwordx2 s[6:7], s[0:1], 0xd8
	s_waitcnt lgkmcnt(0)
	v_mul_hi_u32 v3, s3, v1
	v_add_u32_e32 v3, v1, v3
	v_lshrrev_b32_e32 v3, s8, v3
	v_mul_lo_u32 v3, v3, s2
	v_sub_u32_e32 v1, v1, v3
	v_mad_u64_u32 v[18:19], s[0:1], v1, s6, v[18:19]
	v_mad_u64_u32 v[22:23], s[0:1], v1, s7, v[22:23]
	;; [unrolled: 1-line block ×3, first 2 shown]
	s_cbranch_execz .LBB34_90
	s_branch .LBB34_92
.LBB34_88:
                                        ; implicit-def: $vgpr20
                                        ; implicit-def: $vgpr22
                                        ; implicit-def: $vgpr18
	s_branch .LBB34_90
.LBB34_89:
	s_cbranch_execnz .LBB34_92
.LBB34_90:
	s_load_dwordx4 s[0:3], s[4:5], 0x4
	s_load_dwordx4 s[8:11], s[4:5], 0xc4
	s_cmp_lt_u32 s33, 2
	s_waitcnt lgkmcnt(0)
	v_mul_hi_u32 v1, s1, v24
	v_add_u32_e32 v1, v24, v1
	v_lshrrev_b32_e32 v1, s2, v1
	v_mul_lo_u32 v3, v1, s0
	v_sub_u32_e32 v3, v24, v3
	v_mul_lo_u32 v18, v3, s8
	v_mul_lo_u32 v20, v3, s10
	;; [unrolled: 1-line block ×3, first 2 shown]
	s_cbranch_scc1 .LBB34_92
; %bb.91:
	s_load_dwordx4 s[0:3], s[4:5], 0x10
	s_load_dwordx4 s[8:11], s[4:5], 0xd0
	s_waitcnt lgkmcnt(0)
	v_mul_hi_u32 v3, s1, v1
	v_add_u32_e32 v3, v1, v3
	v_lshrrev_b32_e32 v3, s2, v3
	v_mul_lo_u32 v3, v3, s0
	v_sub_u32_e32 v1, v1, v3
	v_mad_u64_u32 v[18:19], s[0:1], v1, s8, v[18:19]
	v_mad_u64_u32 v[22:23], s[0:1], v1, s9, v[22:23]
	;; [unrolled: 1-line block ×3, first 2 shown]
.LBB34_92:
	s_load_dwordx2 s[0:1], s[4:5], 0x198
	s_load_dwordx4 s[8:11], s[4:5], 0x188
	s_mov_b32 s6, 0x800000
	s_mov_b32 s7, 0x3f7ffffe
	s_waitcnt lgkmcnt(0)
	global_load_ushort v1, v4, s[0:1]
	global_load_ushort v3, v8, s[0:1]
	;; [unrolled: 1-line block ×4, first 2 shown]
	global_load_dword v9, v2, s[10:11]
	global_load_dword v11, v10, s[10:11]
	;; [unrolled: 1-line block ×4, first 2 shown]
	v_mov_b32_e32 v2, 0x800000
	v_mov_b32_e32 v4, 0x3f7ffffe
	s_waitcnt vmcnt(7)
	v_lshlrev_b32_e32 v1, 16, v1
	s_waitcnt vmcnt(6)
	v_lshlrev_b32_e32 v3, 16, v3
	;; [unrolled: 2-line block ×4, first 2 shown]
	s_waitcnt vmcnt(3)
	v_div_scale_f32 v8, s[0:1], v1, v1, v9
	v_rcp_f32_e32 v22, v8
	s_waitcnt vmcnt(2)
	v_div_scale_f32 v14, s[0:1], v3, v3, v11
	v_rcp_f32_e32 v23, v14
	;; [unrolled: 3-line block ×3, first 2 shown]
	v_fma_f32 v26, -v8, v22, 1.0
	v_div_scale_f32 v10, vcc, v9, v1, v9
	v_fmac_f32_e32 v22, v26, v22
	s_waitcnt vmcnt(0)
	v_div_scale_f32 v20, s[4:5], v7, v7, v15
	v_fma_f32 v27, -v14, v23, 1.0
	v_mul_f32_e32 v26, v10, v22
	v_div_scale_f32 v16, s[0:1], v11, v3, v11
	v_rcp_f32_e32 v25, v20
	v_fmac_f32_e32 v23, v27, v23
	v_fma_f32 v30, -v8, v26, v10
	v_fma_f32 v28, -v17, v24, 1.0
	v_mul_f32_e32 v27, v16, v23
	v_fmac_f32_e32 v26, v30, v22
	v_div_scale_f32 v19, s[2:3], v13, v5, v13
	v_fmac_f32_e32 v24, v28, v24
	v_fma_f32 v31, -v14, v27, v16
	v_fma_f32 v8, -v8, v26, v10
	v_mul_f32_e32 v28, v19, v24
	v_fmac_f32_e32 v27, v31, v23
	v_div_fmas_f32 v8, v8, v22, v26
	v_fma_f32 v29, -v20, v25, 1.0
	v_fma_f32 v32, -v17, v28, v19
	v_fma_f32 v10, -v14, v27, v16
	v_div_fixup_f32 v1, v8, v1, v9
	s_mov_b64 vcc, s[0:1]
	v_div_scale_f32 v21, s[4:5], v15, v7, v15
	v_fmac_f32_e32 v25, v29, v25
	v_fmac_f32_e32 v28, v32, v24
	v_div_fmas_f32 v8, v10, v23, v27
	v_cmp_ngt_f32_e32 vcc, s6, v1
	v_mul_f32_e32 v29, v21, v25
	v_fma_f32 v14, -v17, v28, v19
	v_cndmask_b32_e32 v1, v2, v1, vcc
	s_mov_b64 vcc, s[2:3]
	v_fma_f32 v33, -v20, v29, v21
	v_div_fixup_f32 v3, v8, v3, v11
	v_div_fmas_f32 v8, v14, v24, v28
	v_cmp_nlt_f32_e32 vcc, s7, v1
	v_fmac_f32_e32 v29, v33, v25
	v_cndmask_b32_e32 v1, v4, v1, vcc
	v_cmp_ngt_f32_e32 vcc, s6, v3
	v_fma_f32 v16, -v20, v29, v21
	v_cndmask_b32_e32 v3, v2, v3, vcc
	s_mov_b64 vcc, s[4:5]
	v_div_fixup_f32 v5, v8, v5, v13
	v_div_fmas_f32 v8, v16, v25, v29
	v_cmp_nlt_f32_e32 vcc, s7, v3
	v_cndmask_b32_e32 v3, v4, v3, vcc
	v_cmp_ngt_f32_e32 vcc, s6, v5
	v_cndmask_b32_e32 v5, v2, v5, vcc
	v_div_fixup_f32 v7, v8, v7, v15
	v_cmp_nlt_f32_e32 vcc, s7, v5
	global_store_dword v0, v1, s[8:9]
	v_cndmask_b32_e32 v0, v4, v5, vcc
	v_cmp_ngt_f32_e32 vcc, s6, v7
	v_cndmask_b32_e32 v1, v2, v7, vcc
	v_cmp_nlt_f32_e32 vcc, s7, v1
	global_store_dword v6, v3, s[8:9]
	v_cndmask_b32_e32 v1, v4, v1, vcc
	global_store_dword v12, v0, s[8:9]
	global_store_dword v18, v1, s[8:9]
	s_endpgm
	.section	.rodata,"a",@progbits
	.p2align	6, 0x0
	.amdhsa_kernel _ZN2at6native32elementwise_kernel_manual_unrollILi128ELi4EZNS0_12_GLOBAL__N_142type_specialized_broadcast_kernel_launcherILi0EE5applyIZZZNS0_23launch_dirichlet_kernelERNS_18TensorIteratorBaseEENKUlvE_clEvENKUlvE0_clEvEUlffE_St5arrayIPcLm3EESB_IN3c1010ScalarTypeELm3EE16OffsetCalculatorILi3EjLb0EEEEvlT_T0_T1_T2_EUlibE_EEviSL_
		.amdhsa_group_segment_fixed_size 0
		.amdhsa_private_segment_fixed_size 0
		.amdhsa_kernarg_size 432
		.amdhsa_user_sgpr_count 6
		.amdhsa_user_sgpr_private_segment_buffer 1
		.amdhsa_user_sgpr_dispatch_ptr 0
		.amdhsa_user_sgpr_queue_ptr 0
		.amdhsa_user_sgpr_kernarg_segment_ptr 1
		.amdhsa_user_sgpr_dispatch_id 0
		.amdhsa_user_sgpr_flat_scratch_init 0
		.amdhsa_user_sgpr_kernarg_preload_length 0
		.amdhsa_user_sgpr_kernarg_preload_offset 0
		.amdhsa_user_sgpr_private_segment_size 0
		.amdhsa_uses_dynamic_stack 0
		.amdhsa_system_sgpr_private_segment_wavefront_offset 0
		.amdhsa_system_sgpr_workgroup_id_x 1
		.amdhsa_system_sgpr_workgroup_id_y 0
		.amdhsa_system_sgpr_workgroup_id_z 0
		.amdhsa_system_sgpr_workgroup_info 0
		.amdhsa_system_vgpr_workitem_id 0
		.amdhsa_next_free_vgpr 34
		.amdhsa_next_free_sgpr 52
		.amdhsa_accum_offset 36
		.amdhsa_reserve_vcc 1
		.amdhsa_reserve_flat_scratch 0
		.amdhsa_float_round_mode_32 0
		.amdhsa_float_round_mode_16_64 0
		.amdhsa_float_denorm_mode_32 3
		.amdhsa_float_denorm_mode_16_64 3
		.amdhsa_dx10_clamp 1
		.amdhsa_ieee_mode 1
		.amdhsa_fp16_overflow 0
		.amdhsa_tg_split 0
		.amdhsa_exception_fp_ieee_invalid_op 0
		.amdhsa_exception_fp_denorm_src 0
		.amdhsa_exception_fp_ieee_div_zero 0
		.amdhsa_exception_fp_ieee_overflow 0
		.amdhsa_exception_fp_ieee_underflow 0
		.amdhsa_exception_fp_ieee_inexact 0
		.amdhsa_exception_int_div_zero 0
	.end_amdhsa_kernel
	.section	.text._ZN2at6native32elementwise_kernel_manual_unrollILi128ELi4EZNS0_12_GLOBAL__N_142type_specialized_broadcast_kernel_launcherILi0EE5applyIZZZNS0_23launch_dirichlet_kernelERNS_18TensorIteratorBaseEENKUlvE_clEvENKUlvE0_clEvEUlffE_St5arrayIPcLm3EESB_IN3c1010ScalarTypeELm3EE16OffsetCalculatorILi3EjLb0EEEEvlT_T0_T1_T2_EUlibE_EEviSL_,"axG",@progbits,_ZN2at6native32elementwise_kernel_manual_unrollILi128ELi4EZNS0_12_GLOBAL__N_142type_specialized_broadcast_kernel_launcherILi0EE5applyIZZZNS0_23launch_dirichlet_kernelERNS_18TensorIteratorBaseEENKUlvE_clEvENKUlvE0_clEvEUlffE_St5arrayIPcLm3EESB_IN3c1010ScalarTypeELm3EE16OffsetCalculatorILi3EjLb0EEEEvlT_T0_T1_T2_EUlibE_EEviSL_,comdat
.Lfunc_end34:
	.size	_ZN2at6native32elementwise_kernel_manual_unrollILi128ELi4EZNS0_12_GLOBAL__N_142type_specialized_broadcast_kernel_launcherILi0EE5applyIZZZNS0_23launch_dirichlet_kernelERNS_18TensorIteratorBaseEENKUlvE_clEvENKUlvE0_clEvEUlffE_St5arrayIPcLm3EESB_IN3c1010ScalarTypeELm3EE16OffsetCalculatorILi3EjLb0EEEEvlT_T0_T1_T2_EUlibE_EEviSL_, .Lfunc_end34-_ZN2at6native32elementwise_kernel_manual_unrollILi128ELi4EZNS0_12_GLOBAL__N_142type_specialized_broadcast_kernel_launcherILi0EE5applyIZZZNS0_23launch_dirichlet_kernelERNS_18TensorIteratorBaseEENKUlvE_clEvENKUlvE0_clEvEUlffE_St5arrayIPcLm3EESB_IN3c1010ScalarTypeELm3EE16OffsetCalculatorILi3EjLb0EEEEvlT_T0_T1_T2_EUlibE_EEviSL_
                                        ; -- End function
	.section	.AMDGPU.csdata,"",@progbits
; Kernel info:
; codeLenInByte = 5560
; NumSgprs: 56
; NumVgprs: 34
; NumAgprs: 0
; TotalNumVgprs: 34
; ScratchSize: 0
; MemoryBound: 0
; FloatMode: 240
; IeeeMode: 1
; LDSByteSize: 0 bytes/workgroup (compile time only)
; SGPRBlocks: 6
; VGPRBlocks: 4
; NumSGPRsForWavesPerEU: 56
; NumVGPRsForWavesPerEU: 34
; AccumOffset: 36
; Occupancy: 8
; WaveLimiterHint : 1
; COMPUTE_PGM_RSRC2:SCRATCH_EN: 0
; COMPUTE_PGM_RSRC2:USER_SGPR: 6
; COMPUTE_PGM_RSRC2:TRAP_HANDLER: 0
; COMPUTE_PGM_RSRC2:TGID_X_EN: 1
; COMPUTE_PGM_RSRC2:TGID_Y_EN: 0
; COMPUTE_PGM_RSRC2:TGID_Z_EN: 0
; COMPUTE_PGM_RSRC2:TIDIG_COMP_CNT: 0
; COMPUTE_PGM_RSRC3_GFX90A:ACCUM_OFFSET: 8
; COMPUTE_PGM_RSRC3_GFX90A:TG_SPLIT: 0
	.section	.text._ZN2at6native32elementwise_kernel_manual_unrollILi128ELi4EZNS0_12_GLOBAL__N_142type_specialized_broadcast_kernel_launcherILi1EE5applyIZZZNS0_23launch_dirichlet_kernelERNS_18TensorIteratorBaseEENKUlvE_clEvENKUlvE0_clEvEUlffE_St5arrayIPcLm3EESB_IN3c1010ScalarTypeELm3EE16OffsetCalculatorILi3EjLb0EEEEvlT_T0_T1_T2_EUlibE_EEviSL_,"axG",@progbits,_ZN2at6native32elementwise_kernel_manual_unrollILi128ELi4EZNS0_12_GLOBAL__N_142type_specialized_broadcast_kernel_launcherILi1EE5applyIZZZNS0_23launch_dirichlet_kernelERNS_18TensorIteratorBaseEENKUlvE_clEvENKUlvE0_clEvEUlffE_St5arrayIPcLm3EESB_IN3c1010ScalarTypeELm3EE16OffsetCalculatorILi3EjLb0EEEEvlT_T0_T1_T2_EUlibE_EEviSL_,comdat
	.globl	_ZN2at6native32elementwise_kernel_manual_unrollILi128ELi4EZNS0_12_GLOBAL__N_142type_specialized_broadcast_kernel_launcherILi1EE5applyIZZZNS0_23launch_dirichlet_kernelERNS_18TensorIteratorBaseEENKUlvE_clEvENKUlvE0_clEvEUlffE_St5arrayIPcLm3EESB_IN3c1010ScalarTypeELm3EE16OffsetCalculatorILi3EjLb0EEEEvlT_T0_T1_T2_EUlibE_EEviSL_ ; -- Begin function _ZN2at6native32elementwise_kernel_manual_unrollILi128ELi4EZNS0_12_GLOBAL__N_142type_specialized_broadcast_kernel_launcherILi1EE5applyIZZZNS0_23launch_dirichlet_kernelERNS_18TensorIteratorBaseEENKUlvE_clEvENKUlvE0_clEvEUlffE_St5arrayIPcLm3EESB_IN3c1010ScalarTypeELm3EE16OffsetCalculatorILi3EjLb0EEEEvlT_T0_T1_T2_EUlibE_EEviSL_
	.p2align	8
	.type	_ZN2at6native32elementwise_kernel_manual_unrollILi128ELi4EZNS0_12_GLOBAL__N_142type_specialized_broadcast_kernel_launcherILi1EE5applyIZZZNS0_23launch_dirichlet_kernelERNS_18TensorIteratorBaseEENKUlvE_clEvENKUlvE0_clEvEUlffE_St5arrayIPcLm3EESB_IN3c1010ScalarTypeELm3EE16OffsetCalculatorILi3EjLb0EEEEvlT_T0_T1_T2_EUlibE_EEviSL_,@function
_ZN2at6native32elementwise_kernel_manual_unrollILi128ELi4EZNS0_12_GLOBAL__N_142type_specialized_broadcast_kernel_launcherILi1EE5applyIZZZNS0_23launch_dirichlet_kernelERNS_18TensorIteratorBaseEENKUlvE_clEvENKUlvE0_clEvEUlffE_St5arrayIPcLm3EESB_IN3c1010ScalarTypeELm3EE16OffsetCalculatorILi3EjLb0EEEEvlT_T0_T1_T2_EUlibE_EEviSL_: ; @_ZN2at6native32elementwise_kernel_manual_unrollILi128ELi4EZNS0_12_GLOBAL__N_142type_specialized_broadcast_kernel_launcherILi1EE5applyIZZZNS0_23launch_dirichlet_kernelERNS_18TensorIteratorBaseEENKUlvE_clEvENKUlvE0_clEvEUlffE_St5arrayIPcLm3EESB_IN3c1010ScalarTypeELm3EE16OffsetCalculatorILi3EjLb0EEEEvlT_T0_T1_T2_EUlibE_EEviSL_
; %bb.0:
	s_load_dword s36, s[4:5], 0x0
	s_load_dword s33, s[4:5], 0x8
	s_or_b32 s4, s4, 8
	v_lshl_or_b32 v12, s6, 9, v0
	v_or_b32_e32 v24, 0x180, v12
	s_waitcnt lgkmcnt(0)
	v_cmp_le_i32_e32 vcc, s36, v24
	s_add_i32 s34, s33, -1
	s_cmp_gt_u32 s34, 1
	s_cselect_b64 s[6:7], -1, 0
	s_and_saveexec_b64 s[0:1], vcc
	s_xor_b64 s[16:17], exec, s[0:1]
	s_cbranch_execz .LBB35_50
; %bb.1:
	s_load_dwordx4 s[12:15], s[4:5], 0x4
	s_load_dwordx2 s[22:23], s[4:5], 0x14
	s_load_dwordx4 s[8:11], s[4:5], 0xc4
	s_load_dwordx2 s[20:21], s[4:5], 0xd4
	s_load_dwordx2 s[18:19], s[4:5], 0x198
	s_load_dwordx4 s[0:3], s[4:5], 0x188
	s_cmp_lg_u32 s33, 0
	s_cselect_b64 s[26:27], -1, 0
	s_min_u32 s35, s34, 15
	s_cmp_gt_u32 s33, 1
	s_cselect_b64 s[24:25], -1, 0
	v_cmp_gt_i32_e32 vcc, s36, v12
	s_and_saveexec_b64 s[28:29], vcc
	s_cbranch_execnz .LBB35_5
; %bb.2:
	s_or_b64 exec, exec, s[28:29]
	v_cmp_gt_i32_e32 vcc, s36, v12
	s_and_saveexec_b64 s[28:29], vcc
	s_cbranch_execnz .LBB35_16
.LBB35_3:
	s_or_b64 exec, exec, s[28:29]
	v_cmp_gt_i32_e32 vcc, s36, v12
	s_and_saveexec_b64 s[28:29], vcc
	s_cbranch_execnz .LBB35_27
.LBB35_4:
	s_or_b64 exec, exec, s[28:29]
	v_cmp_gt_i32_e32 vcc, s36, v12
	s_and_saveexec_b64 s[28:29], vcc
	s_cbranch_execnz .LBB35_38
	s_branch .LBB35_49
.LBB35_5:
	s_andn2_b64 vcc, exec, s[6:7]
	s_cbranch_vccnz .LBB35_12
; %bb.6:
	s_andn2_b64 vcc, exec, s[26:27]
	v_mov_b32_e32 v2, 0
	v_mov_b32_e32 v4, 0
	;; [unrolled: 1-line block ×3, first 2 shown]
	s_cbranch_vccnz .LBB35_11
; %bb.7:
	s_add_i32 s30, s35, 1
	s_and_b32 s37, s30, 30
	s_add_u32 s30, s4, 0xffffffec
	s_addc_u32 s31, s5, -1
	v_mov_b32_e32 v0, 0
	v_mov_b32_e32 v1, v12
	;; [unrolled: 1-line block ×4, first 2 shown]
.LBB35_8:                               ; =>This Inner Loop Header: Depth=1
	s_mov_b64 s[38:39], s[30:31]
	s_load_dwordx4 s[40:43], s[38:39], 0x18
	s_load_dwordx2 s[48:49], s[38:39], 0x28
	s_load_dwordx2 s[50:51], s[38:39], 0xe8
	s_load_dwordx4 s[44:47], s[38:39], 0xd8
	s_add_u32 s30, s38, 24
	s_waitcnt lgkmcnt(0)
	v_mul_hi_u32 v3, s41, v1
	v_add_u32_e32 v3, v1, v3
	v_lshrrev_b32_e32 v3, s42, v3
	v_mul_lo_u32 v5, v3, s40
	v_mul_hi_u32 v6, s48, v3
	v_sub_u32_e32 v1, v1, v5
	v_add_u32_e32 v5, v3, v6
	v_mul_lo_u32 v6, v1, s44
	v_mul_lo_u32 v7, v1, s45
	;; [unrolled: 1-line block ×3, first 2 shown]
	v_lshrrev_b32_e32 v1, s49, v5
	v_mul_lo_u32 v5, v1, s43
	v_sub_u32_e32 v3, v3, v5
	s_addc_u32 s31, s39, 0
	s_add_i32 s37, s37, -2
	v_mul_lo_u32 v5, v3, s47
	v_mul_lo_u32 v9, v3, s50
	;; [unrolled: 1-line block ×3, first 2 shown]
	s_cmp_lg_u32 s37, 0
	v_add3_u32 v0, v6, v0, v5
	v_add3_u32 v2, v8, v2, v3
	;; [unrolled: 1-line block ×3, first 2 shown]
	s_cbranch_scc1 .LBB35_8
; %bb.9:
	s_bitcmp1_b32 s35, 0
	s_cselect_b64 s[38:39], -1, 0
	s_and_b64 vcc, exec, s[38:39]
	s_cbranch_vccnz .LBB35_11
; %bb.10:
	s_load_dwordx2 s[38:39], s[30:31], 0x18
	s_load_dword s37, s[30:31], 0x20
	s_load_dword s42, s[30:31], 0xe0
	s_load_dwordx2 s[40:41], s[30:31], 0xd8
	s_waitcnt lgkmcnt(0)
	v_mul_hi_u32 v3, s39, v1
	v_add_u32_e32 v3, v1, v3
	v_lshrrev_b32_e32 v3, s37, v3
	v_mul_lo_u32 v3, v3, s38
	v_sub_u32_e32 v3, v1, v3
	v_mad_u64_u32 v[0:1], s[30:31], v3, s40, v[0:1]
	v_mad_u64_u32 v[4:5], s[30:31], v3, s41, v[4:5]
	;; [unrolled: 1-line block ×3, first 2 shown]
.LBB35_11:
	s_cbranch_execz .LBB35_13
	s_branch .LBB35_15
.LBB35_12:
                                        ; implicit-def: $vgpr2
                                        ; implicit-def: $vgpr4
                                        ; implicit-def: $vgpr0
.LBB35_13:
	s_waitcnt lgkmcnt(0)
	v_mul_hi_u32 v0, s13, v12
	v_add_u32_e32 v0, v12, v0
	v_lshrrev_b32_e32 v1, s14, v0
	v_mul_lo_u32 v0, v1, s12
	v_sub_u32_e32 v3, v12, v0
	v_mul_lo_u32 v0, v3, s8
	v_mul_lo_u32 v2, v3, s10
	s_andn2_b64 vcc, exec, s[24:25]
	v_mul_lo_u32 v4, v3, s9
	s_cbranch_vccnz .LBB35_15
; %bb.14:
	v_mul_hi_u32 v3, s22, v1
	v_add_u32_e32 v3, v1, v3
	v_lshrrev_b32_e32 v3, s23, v3
	v_mul_lo_u32 v3, v3, s15
	v_sub_u32_e32 v3, v1, v3
	v_mad_u64_u32 v[0:1], s[30:31], v3, s11, v[0:1]
	v_mad_u64_u32 v[4:5], s[30:31], v3, s20, v[4:5]
	;; [unrolled: 1-line block ×3, first 2 shown]
.LBB35_15:
	s_waitcnt lgkmcnt(0)
	global_load_ushort v1, v4, s[2:3]
	global_load_dword v3, v2, s[18:19]
	s_mov_b32 s37, 0x800000
	v_mov_b32_e32 v2, 0x800000
	s_mov_b32 s38, 0x3f7ffffe
	v_mov_b32_e32 v6, 0x3f7ffffe
	v_add_u32_e32 v12, 0x80, v12
	s_waitcnt vmcnt(1)
	v_lshlrev_b32_e32 v1, 16, v1
	s_waitcnt vmcnt(0)
	v_div_scale_f32 v4, s[30:31], v3, v3, v1
	v_rcp_f32_e32 v5, v4
	v_div_scale_f32 v7, vcc, v1, v3, v1
	v_fma_f32 v8, -v4, v5, 1.0
	v_fmac_f32_e32 v5, v8, v5
	v_mul_f32_e32 v8, v7, v5
	v_fma_f32 v9, -v4, v8, v7
	v_fmac_f32_e32 v8, v9, v5
	v_fma_f32 v4, -v4, v8, v7
	v_div_fmas_f32 v4, v4, v5, v8
	v_div_fixup_f32 v1, v4, v3, v1
	v_cmp_ngt_f32_e32 vcc, s37, v1
	v_cndmask_b32_e32 v1, v2, v1, vcc
	v_cmp_nlt_f32_e32 vcc, s38, v1
	v_cndmask_b32_e32 v1, v6, v1, vcc
	global_store_dword v0, v1, s[0:1]
	s_or_b64 exec, exec, s[28:29]
	v_cmp_gt_i32_e32 vcc, s36, v12
	s_and_saveexec_b64 s[28:29], vcc
	s_cbranch_execz .LBB35_3
.LBB35_16:
	s_andn2_b64 vcc, exec, s[6:7]
	s_cbranch_vccnz .LBB35_23
; %bb.17:
	s_andn2_b64 vcc, exec, s[26:27]
	v_mov_b32_e32 v2, 0
	v_mov_b32_e32 v4, 0
	;; [unrolled: 1-line block ×3, first 2 shown]
	s_cbranch_vccnz .LBB35_22
; %bb.18:
	s_add_i32 s30, s35, 1
	s_and_b32 s37, s30, 30
	s_add_u32 s30, s4, 0xffffffec
	s_addc_u32 s31, s5, -1
	v_mov_b32_e32 v0, 0
	v_mov_b32_e32 v1, v12
	;; [unrolled: 1-line block ×4, first 2 shown]
.LBB35_19:                              ; =>This Inner Loop Header: Depth=1
	s_mov_b64 s[38:39], s[30:31]
	s_load_dwordx4 s[40:43], s[38:39], 0x18
	s_load_dwordx2 s[48:49], s[38:39], 0x28
	s_load_dwordx2 s[50:51], s[38:39], 0xe8
	s_load_dwordx4 s[44:47], s[38:39], 0xd8
	s_add_u32 s30, s38, 24
	s_waitcnt lgkmcnt(0)
	v_mul_hi_u32 v3, s41, v1
	v_add_u32_e32 v3, v1, v3
	v_lshrrev_b32_e32 v3, s42, v3
	v_mul_lo_u32 v5, v3, s40
	v_mul_hi_u32 v6, s48, v3
	v_sub_u32_e32 v1, v1, v5
	v_add_u32_e32 v5, v3, v6
	v_mul_lo_u32 v6, v1, s44
	v_mul_lo_u32 v7, v1, s45
	;; [unrolled: 1-line block ×3, first 2 shown]
	v_lshrrev_b32_e32 v1, s49, v5
	v_mul_lo_u32 v5, v1, s43
	v_sub_u32_e32 v3, v3, v5
	s_addc_u32 s31, s39, 0
	s_add_i32 s37, s37, -2
	v_mul_lo_u32 v5, v3, s47
	v_mul_lo_u32 v9, v3, s50
	;; [unrolled: 1-line block ×3, first 2 shown]
	s_cmp_eq_u32 s37, 0
	v_add3_u32 v0, v6, v0, v5
	v_add3_u32 v2, v8, v2, v3
	;; [unrolled: 1-line block ×3, first 2 shown]
	s_cbranch_scc0 .LBB35_19
; %bb.20:
	s_bitcmp1_b32 s35, 0
	s_cselect_b64 s[38:39], -1, 0
	s_and_b64 vcc, exec, s[38:39]
	s_cbranch_vccnz .LBB35_22
; %bb.21:
	s_load_dwordx2 s[38:39], s[30:31], 0x18
	s_load_dword s37, s[30:31], 0x20
	s_load_dword s42, s[30:31], 0xe0
	s_load_dwordx2 s[40:41], s[30:31], 0xd8
	s_waitcnt lgkmcnt(0)
	v_mul_hi_u32 v3, s39, v1
	v_add_u32_e32 v3, v1, v3
	v_lshrrev_b32_e32 v3, s37, v3
	v_mul_lo_u32 v3, v3, s38
	v_sub_u32_e32 v3, v1, v3
	v_mad_u64_u32 v[0:1], s[30:31], v3, s40, v[0:1]
	v_mad_u64_u32 v[4:5], s[30:31], v3, s41, v[4:5]
	;; [unrolled: 1-line block ×3, first 2 shown]
.LBB35_22:
	s_cbranch_execz .LBB35_24
	s_branch .LBB35_26
.LBB35_23:
                                        ; implicit-def: $vgpr2
                                        ; implicit-def: $vgpr4
                                        ; implicit-def: $vgpr0
.LBB35_24:
	s_waitcnt lgkmcnt(0)
	v_mul_hi_u32 v0, s13, v12
	v_add_u32_e32 v0, v12, v0
	v_lshrrev_b32_e32 v1, s14, v0
	v_mul_lo_u32 v0, v1, s12
	v_sub_u32_e32 v3, v12, v0
	v_mul_lo_u32 v0, v3, s8
	v_mul_lo_u32 v2, v3, s10
	s_andn2_b64 vcc, exec, s[24:25]
	v_mul_lo_u32 v4, v3, s9
	s_cbranch_vccnz .LBB35_26
; %bb.25:
	v_mul_hi_u32 v3, s22, v1
	v_add_u32_e32 v3, v1, v3
	v_lshrrev_b32_e32 v3, s23, v3
	v_mul_lo_u32 v3, v3, s15
	v_sub_u32_e32 v3, v1, v3
	v_mad_u64_u32 v[0:1], s[30:31], v3, s11, v[0:1]
	v_mad_u64_u32 v[4:5], s[30:31], v3, s20, v[4:5]
	v_mad_u64_u32 v[2:3], s[30:31], v3, s21, v[2:3]
.LBB35_26:
	s_waitcnt lgkmcnt(0)
	global_load_ushort v1, v4, s[2:3]
	global_load_dword v3, v2, s[18:19]
	s_mov_b32 s37, 0x800000
	v_mov_b32_e32 v2, 0x800000
	s_mov_b32 s38, 0x3f7ffffe
	v_mov_b32_e32 v6, 0x3f7ffffe
	v_add_u32_e32 v12, 0x80, v12
	s_waitcnt vmcnt(1)
	v_lshlrev_b32_e32 v1, 16, v1
	s_waitcnt vmcnt(0)
	v_div_scale_f32 v4, s[30:31], v3, v3, v1
	v_rcp_f32_e32 v5, v4
	v_div_scale_f32 v7, vcc, v1, v3, v1
	v_fma_f32 v8, -v4, v5, 1.0
	v_fmac_f32_e32 v5, v8, v5
	v_mul_f32_e32 v8, v7, v5
	v_fma_f32 v9, -v4, v8, v7
	v_fmac_f32_e32 v8, v9, v5
	v_fma_f32 v4, -v4, v8, v7
	v_div_fmas_f32 v4, v4, v5, v8
	v_div_fixup_f32 v1, v4, v3, v1
	v_cmp_ngt_f32_e32 vcc, s37, v1
	v_cndmask_b32_e32 v1, v2, v1, vcc
	v_cmp_nlt_f32_e32 vcc, s38, v1
	v_cndmask_b32_e32 v1, v6, v1, vcc
	global_store_dword v0, v1, s[0:1]
	s_or_b64 exec, exec, s[28:29]
	v_cmp_gt_i32_e32 vcc, s36, v12
	s_and_saveexec_b64 s[28:29], vcc
	s_cbranch_execz .LBB35_4
.LBB35_27:
	s_andn2_b64 vcc, exec, s[6:7]
	s_cbranch_vccnz .LBB35_34
; %bb.28:
	s_andn2_b64 vcc, exec, s[26:27]
	v_mov_b32_e32 v2, 0
	v_mov_b32_e32 v4, 0
	v_mov_b32_e32 v0, 0
	s_cbranch_vccnz .LBB35_33
; %bb.29:
	s_add_i32 s30, s35, 1
	s_and_b32 s37, s30, 30
	s_add_u32 s30, s4, 0xffffffec
	s_addc_u32 s31, s5, -1
	v_mov_b32_e32 v0, 0
	v_mov_b32_e32 v1, v12
	v_mov_b32_e32 v4, 0
	v_mov_b32_e32 v2, 0
.LBB35_30:                              ; =>This Inner Loop Header: Depth=1
	s_mov_b64 s[38:39], s[30:31]
	s_load_dwordx4 s[40:43], s[38:39], 0x18
	s_load_dwordx2 s[48:49], s[38:39], 0x28
	s_load_dwordx2 s[50:51], s[38:39], 0xe8
	s_load_dwordx4 s[44:47], s[38:39], 0xd8
	s_add_u32 s30, s38, 24
	s_waitcnt lgkmcnt(0)
	v_mul_hi_u32 v3, s41, v1
	v_add_u32_e32 v3, v1, v3
	v_lshrrev_b32_e32 v3, s42, v3
	v_mul_lo_u32 v5, v3, s40
	v_mul_hi_u32 v6, s48, v3
	v_sub_u32_e32 v1, v1, v5
	v_add_u32_e32 v5, v3, v6
	v_mul_lo_u32 v6, v1, s44
	v_mul_lo_u32 v7, v1, s45
	;; [unrolled: 1-line block ×3, first 2 shown]
	v_lshrrev_b32_e32 v1, s49, v5
	v_mul_lo_u32 v5, v1, s43
	v_sub_u32_e32 v3, v3, v5
	s_addc_u32 s31, s39, 0
	s_add_i32 s37, s37, -2
	v_mul_lo_u32 v5, v3, s47
	v_mul_lo_u32 v9, v3, s50
	;; [unrolled: 1-line block ×3, first 2 shown]
	s_cmp_eq_u32 s37, 0
	v_add3_u32 v0, v6, v0, v5
	v_add3_u32 v2, v8, v2, v3
	;; [unrolled: 1-line block ×3, first 2 shown]
	s_cbranch_scc0 .LBB35_30
; %bb.31:
	s_bitcmp1_b32 s35, 0
	s_cselect_b64 s[38:39], -1, 0
	s_and_b64 vcc, exec, s[38:39]
	s_cbranch_vccnz .LBB35_33
; %bb.32:
	s_load_dwordx2 s[38:39], s[30:31], 0x18
	s_load_dword s37, s[30:31], 0x20
	s_load_dword s42, s[30:31], 0xe0
	s_load_dwordx2 s[40:41], s[30:31], 0xd8
	s_waitcnt lgkmcnt(0)
	v_mul_hi_u32 v3, s39, v1
	v_add_u32_e32 v3, v1, v3
	v_lshrrev_b32_e32 v3, s37, v3
	v_mul_lo_u32 v3, v3, s38
	v_sub_u32_e32 v3, v1, v3
	v_mad_u64_u32 v[0:1], s[30:31], v3, s40, v[0:1]
	v_mad_u64_u32 v[4:5], s[30:31], v3, s41, v[4:5]
	;; [unrolled: 1-line block ×3, first 2 shown]
.LBB35_33:
	s_cbranch_execz .LBB35_35
	s_branch .LBB35_37
.LBB35_34:
                                        ; implicit-def: $vgpr2
                                        ; implicit-def: $vgpr4
                                        ; implicit-def: $vgpr0
.LBB35_35:
	s_waitcnt lgkmcnt(0)
	v_mul_hi_u32 v0, s13, v12
	v_add_u32_e32 v0, v12, v0
	v_lshrrev_b32_e32 v1, s14, v0
	v_mul_lo_u32 v0, v1, s12
	v_sub_u32_e32 v3, v12, v0
	v_mul_lo_u32 v0, v3, s8
	v_mul_lo_u32 v2, v3, s10
	s_andn2_b64 vcc, exec, s[24:25]
	v_mul_lo_u32 v4, v3, s9
	s_cbranch_vccnz .LBB35_37
; %bb.36:
	v_mul_hi_u32 v3, s22, v1
	v_add_u32_e32 v3, v1, v3
	v_lshrrev_b32_e32 v3, s23, v3
	v_mul_lo_u32 v3, v3, s15
	v_sub_u32_e32 v3, v1, v3
	v_mad_u64_u32 v[0:1], s[30:31], v3, s11, v[0:1]
	v_mad_u64_u32 v[4:5], s[30:31], v3, s20, v[4:5]
	v_mad_u64_u32 v[2:3], s[30:31], v3, s21, v[2:3]
.LBB35_37:
	s_waitcnt lgkmcnt(0)
	global_load_ushort v1, v4, s[2:3]
	global_load_dword v3, v2, s[18:19]
	s_mov_b32 s37, 0x800000
	v_mov_b32_e32 v2, 0x800000
	s_mov_b32 s38, 0x3f7ffffe
	v_mov_b32_e32 v6, 0x3f7ffffe
	v_add_u32_e32 v12, 0x80, v12
	s_waitcnt vmcnt(1)
	v_lshlrev_b32_e32 v1, 16, v1
	s_waitcnt vmcnt(0)
	v_div_scale_f32 v4, s[30:31], v3, v3, v1
	v_rcp_f32_e32 v5, v4
	v_div_scale_f32 v7, vcc, v1, v3, v1
	v_fma_f32 v8, -v4, v5, 1.0
	v_fmac_f32_e32 v5, v8, v5
	v_mul_f32_e32 v8, v7, v5
	v_fma_f32 v9, -v4, v8, v7
	v_fmac_f32_e32 v8, v9, v5
	v_fma_f32 v4, -v4, v8, v7
	v_div_fmas_f32 v4, v4, v5, v8
	v_div_fixup_f32 v1, v4, v3, v1
	v_cmp_ngt_f32_e32 vcc, s37, v1
	v_cndmask_b32_e32 v1, v2, v1, vcc
	v_cmp_nlt_f32_e32 vcc, s38, v1
	v_cndmask_b32_e32 v1, v6, v1, vcc
	global_store_dword v0, v1, s[0:1]
	s_or_b64 exec, exec, s[28:29]
	v_cmp_gt_i32_e32 vcc, s36, v12
	s_and_saveexec_b64 s[28:29], vcc
	s_cbranch_execz .LBB35_49
.LBB35_38:
	s_andn2_b64 vcc, exec, s[6:7]
	s_cbranch_vccnz .LBB35_45
; %bb.39:
	s_andn2_b64 vcc, exec, s[26:27]
	v_mov_b32_e32 v2, 0
	v_mov_b32_e32 v4, 0
	;; [unrolled: 1-line block ×3, first 2 shown]
	s_cbranch_vccnz .LBB35_44
; %bb.40:
	s_add_i32 s26, s35, 1
	s_and_b32 s30, s26, 30
	s_add_u32 s26, s4, 0xffffffec
	s_addc_u32 s27, s5, -1
	v_mov_b32_e32 v0, 0
	v_mov_b32_e32 v1, v12
	;; [unrolled: 1-line block ×4, first 2 shown]
.LBB35_41:                              ; =>This Inner Loop Header: Depth=1
	s_mov_b64 s[44:45], s[26:27]
	s_load_dwordx4 s[36:39], s[44:45], 0x18
	s_load_dwordx2 s[46:47], s[44:45], 0x28
	s_load_dwordx2 s[48:49], s[44:45], 0xe8
	s_load_dwordx4 s[40:43], s[44:45], 0xd8
	s_add_u32 s26, s44, 24
	s_waitcnt lgkmcnt(0)
	v_mul_hi_u32 v3, s37, v1
	v_add_u32_e32 v3, v1, v3
	v_lshrrev_b32_e32 v3, s38, v3
	v_mul_lo_u32 v5, v3, s36
	v_mul_hi_u32 v6, s46, v3
	v_sub_u32_e32 v1, v1, v5
	v_add_u32_e32 v5, v3, v6
	v_mul_lo_u32 v6, v1, s40
	v_mul_lo_u32 v7, v1, s41
	;; [unrolled: 1-line block ×3, first 2 shown]
	v_lshrrev_b32_e32 v1, s47, v5
	v_mul_lo_u32 v5, v1, s39
	v_sub_u32_e32 v3, v3, v5
	s_addc_u32 s27, s45, 0
	s_add_i32 s30, s30, -2
	v_mul_lo_u32 v5, v3, s43
	v_mul_lo_u32 v9, v3, s48
	v_mul_lo_u32 v3, v3, s49
	s_cmp_eq_u32 s30, 0
	v_add3_u32 v0, v6, v0, v5
	v_add3_u32 v2, v8, v2, v3
	;; [unrolled: 1-line block ×3, first 2 shown]
	s_cbranch_scc0 .LBB35_41
; %bb.42:
	s_bitcmp1_b32 s35, 0
	s_cselect_b64 s[30:31], -1, 0
	s_and_b64 vcc, exec, s[30:31]
	s_cbranch_vccnz .LBB35_44
; %bb.43:
	s_load_dwordx2 s[30:31], s[26:27], 0x18
	s_load_dword s35, s[26:27], 0x20
	s_load_dword s38, s[26:27], 0xe0
	s_load_dwordx2 s[36:37], s[26:27], 0xd8
	s_waitcnt lgkmcnt(0)
	v_mul_hi_u32 v3, s31, v1
	v_add_u32_e32 v3, v1, v3
	v_lshrrev_b32_e32 v3, s35, v3
	v_mul_lo_u32 v3, v3, s30
	v_sub_u32_e32 v3, v1, v3
	v_mad_u64_u32 v[0:1], s[26:27], v3, s36, v[0:1]
	v_mad_u64_u32 v[4:5], s[26:27], v3, s37, v[4:5]
	;; [unrolled: 1-line block ×3, first 2 shown]
.LBB35_44:
	s_cbranch_execz .LBB35_46
	s_branch .LBB35_48
.LBB35_45:
                                        ; implicit-def: $vgpr2
                                        ; implicit-def: $vgpr4
                                        ; implicit-def: $vgpr0
.LBB35_46:
	s_waitcnt lgkmcnt(0)
	v_mul_hi_u32 v0, s13, v12
	v_add_u32_e32 v0, v12, v0
	v_lshrrev_b32_e32 v1, s14, v0
	v_mul_lo_u32 v0, v1, s12
	v_sub_u32_e32 v3, v12, v0
	v_mul_lo_u32 v0, v3, s8
	v_mul_lo_u32 v2, v3, s10
	s_andn2_b64 vcc, exec, s[24:25]
	v_mul_lo_u32 v4, v3, s9
	s_cbranch_vccnz .LBB35_48
; %bb.47:
	v_mul_hi_u32 v3, s22, v1
	v_add_u32_e32 v3, v1, v3
	v_lshrrev_b32_e32 v3, s23, v3
	v_mul_lo_u32 v3, v3, s15
	v_sub_u32_e32 v3, v1, v3
	v_mad_u64_u32 v[0:1], s[8:9], v3, s11, v[0:1]
	v_mad_u64_u32 v[4:5], s[8:9], v3, s20, v[4:5]
	;; [unrolled: 1-line block ×3, first 2 shown]
.LBB35_48:
	s_waitcnt lgkmcnt(0)
	global_load_ushort v1, v4, s[2:3]
	global_load_dword v3, v2, s[18:19]
	s_mov_b32 s8, 0x800000
	v_mov_b32_e32 v2, 0x800000
	s_mov_b32 s9, 0x3f7ffffe
	v_mov_b32_e32 v6, 0x3f7ffffe
	s_waitcnt vmcnt(1)
	v_lshlrev_b32_e32 v1, 16, v1
	s_waitcnt vmcnt(0)
	v_div_scale_f32 v4, s[2:3], v3, v3, v1
	v_rcp_f32_e32 v5, v4
	v_div_scale_f32 v7, vcc, v1, v3, v1
	v_fma_f32 v8, -v4, v5, 1.0
	v_fmac_f32_e32 v5, v8, v5
	v_mul_f32_e32 v8, v7, v5
	v_fma_f32 v9, -v4, v8, v7
	v_fmac_f32_e32 v8, v9, v5
	v_fma_f32 v4, -v4, v8, v7
	v_div_fmas_f32 v4, v4, v5, v8
	v_div_fixup_f32 v1, v4, v3, v1
	v_cmp_ngt_f32_e32 vcc, s8, v1
	v_cndmask_b32_e32 v1, v2, v1, vcc
	v_cmp_nlt_f32_e32 vcc, s9, v1
	v_cndmask_b32_e32 v1, v6, v1, vcc
	global_store_dword v0, v1, s[0:1]
.LBB35_49:
	s_or_b64 exec, exec, s[28:29]
                                        ; implicit-def: $vgpr24
                                        ; implicit-def: $vgpr12
.LBB35_50:
	s_waitcnt lgkmcnt(0)
	s_andn2_saveexec_b64 s[0:1], s[16:17]
	s_cbranch_execz .LBB35_57
; %bb.51:
	v_cndmask_b32_e64 v0, 0, 1, s[6:7]
	v_cmp_ne_u32_e64 s[0:1], 1, v0
	s_andn2_b64 vcc, exec, s[6:7]
	s_cbranch_vccnz .LBB35_58
; %bb.52:
	s_cmp_lg_u32 s33, 0
	v_mov_b32_e32 v4, 0
	v_mov_b32_e32 v2, 0
	;; [unrolled: 1-line block ×3, first 2 shown]
	s_cbranch_scc0 .LBB35_59
; %bb.53:
	s_min_u32 s6, s34, 15
	s_add_i32 s2, s6, 1
	s_and_b32 s7, s2, 30
	s_add_u32 s2, s4, 0xffffffec
	s_addc_u32 s3, s5, -1
	v_mov_b32_e32 v0, 0
	v_mov_b32_e32 v1, v12
	;; [unrolled: 1-line block ×4, first 2 shown]
.LBB35_54:                              ; =>This Inner Loop Header: Depth=1
	s_mov_b64 s[16:17], s[2:3]
	s_load_dwordx4 s[8:11], s[16:17], 0x18
	s_load_dwordx2 s[18:19], s[16:17], 0x28
	s_load_dwordx2 s[20:21], s[16:17], 0xe8
	s_load_dwordx4 s[12:15], s[16:17], 0xd8
	s_add_u32 s2, s16, 24
	s_waitcnt lgkmcnt(0)
	v_mul_hi_u32 v3, s9, v1
	v_add_u32_e32 v3, v1, v3
	v_lshrrev_b32_e32 v3, s10, v3
	v_mul_lo_u32 v5, v3, s8
	v_mul_hi_u32 v6, s18, v3
	v_sub_u32_e32 v1, v1, v5
	v_add_u32_e32 v5, v3, v6
	v_mul_lo_u32 v6, v1, s12
	v_mul_lo_u32 v7, v1, s13
	;; [unrolled: 1-line block ×3, first 2 shown]
	v_lshrrev_b32_e32 v1, s19, v5
	v_mul_lo_u32 v5, v1, s11
	v_sub_u32_e32 v3, v3, v5
	s_addc_u32 s3, s17, 0
	s_add_i32 s7, s7, -2
	v_mul_lo_u32 v5, v3, s15
	v_mul_lo_u32 v9, v3, s20
	;; [unrolled: 1-line block ×3, first 2 shown]
	s_cmp_lg_u32 s7, 0
	v_add3_u32 v0, v6, v0, v5
	v_add3_u32 v4, v8, v4, v3
	;; [unrolled: 1-line block ×3, first 2 shown]
	s_cbranch_scc1 .LBB35_54
; %bb.55:
	s_bitcmp1_b32 s6, 0
	s_cselect_b64 s[6:7], -1, 0
	s_and_b64 vcc, exec, s[6:7]
	s_cbranch_vccnz .LBB35_59
; %bb.56:
	s_load_dwordx2 s[6:7], s[2:3], 0x18
	s_load_dword s10, s[2:3], 0x20
	s_load_dword s11, s[2:3], 0xe0
	s_load_dwordx2 s[8:9], s[2:3], 0xd8
	s_waitcnt lgkmcnt(0)
	v_mul_hi_u32 v3, s7, v1
	v_add_u32_e32 v3, v1, v3
	v_lshrrev_b32_e32 v3, s10, v3
	v_mul_lo_u32 v3, v3, s6
	v_sub_u32_e32 v5, v1, v3
	v_mad_u64_u32 v[0:1], s[2:3], v5, s8, v[0:1]
	v_mad_u64_u32 v[2:3], s[2:3], v5, s9, v[2:3]
	;; [unrolled: 1-line block ×3, first 2 shown]
	s_cbranch_execz .LBB35_60
	s_branch .LBB35_62
.LBB35_57:
	s_endpgm
.LBB35_58:
                                        ; implicit-def: $vgpr4
                                        ; implicit-def: $vgpr2
                                        ; implicit-def: $vgpr0
	s_branch .LBB35_60
.LBB35_59:
	s_cbranch_execnz .LBB35_62
.LBB35_60:
	s_load_dwordx4 s[8:11], s[4:5], 0x4
	s_load_dwordx4 s[12:15], s[4:5], 0xc4
	s_cmp_lt_u32 s33, 2
	s_waitcnt lgkmcnt(0)
	v_mul_hi_u32 v0, s9, v12
	v_add_u32_e32 v0, v12, v0
	v_lshrrev_b32_e32 v1, s10, v0
	v_mul_lo_u32 v0, v1, s8
	v_sub_u32_e32 v2, v12, v0
	v_mul_lo_u32 v0, v2, s12
	v_mul_lo_u32 v4, v2, s14
	;; [unrolled: 1-line block ×3, first 2 shown]
	s_cbranch_scc1 .LBB35_62
; %bb.61:
	s_load_dwordx4 s[8:11], s[4:5], 0x10
	s_load_dwordx4 s[12:15], s[4:5], 0xd0
	s_waitcnt lgkmcnt(0)
	v_mul_hi_u32 v3, s9, v1
	v_add_u32_e32 v3, v1, v3
	v_lshrrev_b32_e32 v3, s10, v3
	v_mul_lo_u32 v3, v3, s8
	v_sub_u32_e32 v5, v1, v3
	v_mad_u64_u32 v[0:1], s[2:3], v5, s12, v[0:1]
	v_mad_u64_u32 v[2:3], s[2:3], v5, s13, v[2:3]
	;; [unrolled: 1-line block ×3, first 2 shown]
.LBB35_62:
	s_and_b64 vcc, exec, s[0:1]
	v_add_u32_e32 v1, 0x80, v12
	s_cbranch_vccnz .LBB35_68
; %bb.63:
	s_cmp_lg_u32 s33, 0
	v_mov_b32_e32 v8, 0
	v_mov_b32_e32 v10, 0
	;; [unrolled: 1-line block ×3, first 2 shown]
	s_cbranch_scc0 .LBB35_69
; %bb.64:
	s_min_u32 s6, s34, 15
	s_add_i32 s2, s6, 1
	s_and_b32 s7, s2, 30
	s_add_u32 s2, s4, 0xffffffec
	s_addc_u32 s3, s5, -1
	v_mov_b32_e32 v6, 0
	v_mov_b32_e32 v3, v1
	;; [unrolled: 1-line block ×4, first 2 shown]
.LBB35_65:                              ; =>This Inner Loop Header: Depth=1
	s_mov_b64 s[16:17], s[2:3]
	s_load_dwordx4 s[8:11], s[16:17], 0x18
	s_load_dwordx2 s[18:19], s[16:17], 0x28
	s_load_dwordx2 s[20:21], s[16:17], 0xe8
	s_load_dwordx4 s[12:15], s[16:17], 0xd8
	s_add_u32 s2, s16, 24
	s_waitcnt lgkmcnt(0)
	v_mul_hi_u32 v5, s9, v3
	v_add_u32_e32 v5, v3, v5
	v_lshrrev_b32_e32 v5, s10, v5
	v_mul_lo_u32 v7, v5, s8
	v_mul_hi_u32 v9, s18, v5
	v_sub_u32_e32 v3, v3, v7
	v_add_u32_e32 v7, v5, v9
	v_mul_lo_u32 v9, v3, s12
	v_mul_lo_u32 v11, v3, s13
	;; [unrolled: 1-line block ×3, first 2 shown]
	v_lshrrev_b32_e32 v3, s19, v7
	v_mul_lo_u32 v7, v3, s11
	v_sub_u32_e32 v5, v5, v7
	s_addc_u32 s3, s17, 0
	s_add_i32 s7, s7, -2
	v_mul_lo_u32 v7, v5, s15
	v_mul_lo_u32 v14, v5, s20
	;; [unrolled: 1-line block ×3, first 2 shown]
	s_cmp_lg_u32 s7, 0
	v_add3_u32 v6, v9, v6, v7
	v_add3_u32 v8, v13, v8, v5
	;; [unrolled: 1-line block ×3, first 2 shown]
	s_cbranch_scc1 .LBB35_65
; %bb.66:
	s_bitcmp1_b32 s6, 0
	s_cselect_b64 s[6:7], -1, 0
	s_and_b64 vcc, exec, s[6:7]
	s_cbranch_vccnz .LBB35_69
; %bb.67:
	s_load_dwordx2 s[6:7], s[2:3], 0x18
	s_load_dword s10, s[2:3], 0x20
	s_load_dword s11, s[2:3], 0xe0
	s_load_dwordx2 s[8:9], s[2:3], 0xd8
	s_waitcnt lgkmcnt(0)
	v_mul_hi_u32 v5, s7, v3
	v_add_u32_e32 v5, v3, v5
	v_lshrrev_b32_e32 v5, s10, v5
	v_mul_lo_u32 v5, v5, s6
	v_sub_u32_e32 v3, v3, v5
	v_mad_u64_u32 v[6:7], s[2:3], v3, s8, v[6:7]
	v_mad_u64_u32 v[10:11], s[2:3], v3, s9, v[10:11]
	;; [unrolled: 1-line block ×3, first 2 shown]
	s_cbranch_execz .LBB35_70
	s_branch .LBB35_72
.LBB35_68:
                                        ; implicit-def: $vgpr8
                                        ; implicit-def: $vgpr10
                                        ; implicit-def: $vgpr6
	s_branch .LBB35_70
.LBB35_69:
	s_cbranch_execnz .LBB35_72
.LBB35_70:
	s_load_dwordx4 s[8:11], s[4:5], 0x4
	s_load_dwordx4 s[12:15], s[4:5], 0xc4
	s_cmp_lt_u32 s33, 2
	s_waitcnt lgkmcnt(0)
	v_mul_hi_u32 v3, s9, v1
	v_add_u32_e32 v3, v1, v3
	v_lshrrev_b32_e32 v3, s10, v3
	v_mul_lo_u32 v5, v3, s8
	v_sub_u32_e32 v1, v1, v5
	v_mul_lo_u32 v6, v1, s12
	v_mul_lo_u32 v8, v1, s14
	;; [unrolled: 1-line block ×3, first 2 shown]
	s_cbranch_scc1 .LBB35_72
; %bb.71:
	s_load_dwordx4 s[8:11], s[4:5], 0x10
	s_load_dwordx4 s[12:15], s[4:5], 0xd0
	s_waitcnt lgkmcnt(0)
	v_mul_hi_u32 v1, s9, v3
	v_add_u32_e32 v1, v3, v1
	v_lshrrev_b32_e32 v1, s10, v1
	v_mul_lo_u32 v1, v1, s8
	v_sub_u32_e32 v1, v3, v1
	v_mad_u64_u32 v[6:7], s[2:3], v1, s12, v[6:7]
	v_mad_u64_u32 v[10:11], s[2:3], v1, s13, v[10:11]
	;; [unrolled: 1-line block ×3, first 2 shown]
.LBB35_72:
	s_and_b64 vcc, exec, s[0:1]
	v_add_u32_e32 v1, 0x100, v12
	s_cbranch_vccnz .LBB35_78
; %bb.73:
	s_cmp_lg_u32 s33, 0
	v_mov_b32_e32 v14, 0
	v_mov_b32_e32 v16, 0
	v_mov_b32_e32 v12, 0
	s_cbranch_scc0 .LBB35_79
; %bb.74:
	s_min_u32 s6, s34, 15
	s_add_i32 s2, s6, 1
	s_and_b32 s7, s2, 30
	s_add_u32 s2, s4, 0xffffffec
	s_addc_u32 s3, s5, -1
	v_mov_b32_e32 v12, 0
	v_mov_b32_e32 v3, v1
	;; [unrolled: 1-line block ×4, first 2 shown]
.LBB35_75:                              ; =>This Inner Loop Header: Depth=1
	s_mov_b64 s[16:17], s[2:3]
	s_load_dwordx4 s[8:11], s[16:17], 0x18
	s_load_dwordx2 s[18:19], s[16:17], 0x28
	s_load_dwordx2 s[20:21], s[16:17], 0xe8
	s_load_dwordx4 s[12:15], s[16:17], 0xd8
	s_add_u32 s2, s16, 24
	s_waitcnt lgkmcnt(0)
	v_mul_hi_u32 v5, s9, v3
	v_add_u32_e32 v5, v3, v5
	v_lshrrev_b32_e32 v5, s10, v5
	v_mul_lo_u32 v7, v5, s8
	v_mul_hi_u32 v9, s18, v5
	v_sub_u32_e32 v3, v3, v7
	v_add_u32_e32 v7, v5, v9
	v_mul_lo_u32 v9, v3, s12
	v_mul_lo_u32 v11, v3, s13
	v_mul_lo_u32 v13, v3, s14
	v_lshrrev_b32_e32 v3, s19, v7
	v_mul_lo_u32 v7, v3, s11
	v_sub_u32_e32 v5, v5, v7
	s_addc_u32 s3, s17, 0
	s_add_i32 s7, s7, -2
	v_mul_lo_u32 v7, v5, s15
	v_mul_lo_u32 v15, v5, s20
	;; [unrolled: 1-line block ×3, first 2 shown]
	s_cmp_lg_u32 s7, 0
	v_add3_u32 v12, v9, v12, v7
	v_add3_u32 v14, v13, v14, v5
	;; [unrolled: 1-line block ×3, first 2 shown]
	s_cbranch_scc1 .LBB35_75
; %bb.76:
	s_bitcmp1_b32 s6, 0
	s_cselect_b64 s[6:7], -1, 0
	s_and_b64 vcc, exec, s[6:7]
	s_cbranch_vccnz .LBB35_79
; %bb.77:
	s_load_dwordx2 s[6:7], s[2:3], 0x18
	s_load_dword s10, s[2:3], 0x20
	s_load_dword s11, s[2:3], 0xe0
	s_load_dwordx2 s[8:9], s[2:3], 0xd8
	s_waitcnt lgkmcnt(0)
	v_mul_hi_u32 v5, s7, v3
	v_add_u32_e32 v5, v3, v5
	v_lshrrev_b32_e32 v5, s10, v5
	v_mul_lo_u32 v5, v5, s6
	v_sub_u32_e32 v3, v3, v5
	v_mad_u64_u32 v[12:13], s[2:3], v3, s8, v[12:13]
	v_mad_u64_u32 v[16:17], s[2:3], v3, s9, v[16:17]
	;; [unrolled: 1-line block ×3, first 2 shown]
	s_cbranch_execz .LBB35_80
	s_branch .LBB35_82
.LBB35_78:
                                        ; implicit-def: $vgpr14
                                        ; implicit-def: $vgpr16
                                        ; implicit-def: $vgpr12
	s_branch .LBB35_80
.LBB35_79:
	s_cbranch_execnz .LBB35_82
.LBB35_80:
	s_load_dwordx4 s[8:11], s[4:5], 0x4
	s_load_dwordx4 s[12:15], s[4:5], 0xc4
	s_cmp_lt_u32 s33, 2
	s_waitcnt lgkmcnt(0)
	v_mul_hi_u32 v3, s9, v1
	v_add_u32_e32 v3, v1, v3
	v_lshrrev_b32_e32 v3, s10, v3
	v_mul_lo_u32 v5, v3, s8
	v_sub_u32_e32 v1, v1, v5
	v_mul_lo_u32 v12, v1, s12
	v_mul_lo_u32 v14, v1, s14
	;; [unrolled: 1-line block ×3, first 2 shown]
	s_cbranch_scc1 .LBB35_82
; %bb.81:
	s_load_dwordx4 s[8:11], s[4:5], 0x10
	s_load_dwordx4 s[12:15], s[4:5], 0xd0
	s_waitcnt lgkmcnt(0)
	v_mul_hi_u32 v1, s9, v3
	v_add_u32_e32 v1, v3, v1
	v_lshrrev_b32_e32 v1, s10, v1
	v_mul_lo_u32 v1, v1, s8
	v_sub_u32_e32 v1, v3, v1
	v_mad_u64_u32 v[12:13], s[2:3], v1, s12, v[12:13]
	v_mad_u64_u32 v[16:17], s[2:3], v1, s13, v[16:17]
	;; [unrolled: 1-line block ×3, first 2 shown]
.LBB35_82:
	s_and_b64 vcc, exec, s[0:1]
	s_cbranch_vccnz .LBB35_88
; %bb.83:
	s_cmp_lg_u32 s33, 0
	v_mov_b32_e32 v20, 0
	v_mov_b32_e32 v22, 0
	;; [unrolled: 1-line block ×3, first 2 shown]
	s_cbranch_scc0 .LBB35_89
; %bb.84:
	s_min_u32 s2, s34, 15
	s_add_i32 s0, s2, 1
	s_and_b32 s3, s0, 30
	s_add_u32 s0, s4, 0xffffffec
	s_addc_u32 s1, s5, -1
	v_mov_b32_e32 v18, 0
	v_mov_b32_e32 v1, v24
	;; [unrolled: 1-line block ×4, first 2 shown]
.LBB35_85:                              ; =>This Inner Loop Header: Depth=1
	s_mov_b64 s[6:7], s[0:1]
	s_load_dwordx4 s[8:11], s[6:7], 0x18
	s_load_dwordx2 s[16:17], s[6:7], 0x28
	s_load_dwordx2 s[18:19], s[6:7], 0xe8
	s_load_dwordx4 s[12:15], s[6:7], 0xd8
	s_add_u32 s0, s6, 24
	s_waitcnt lgkmcnt(0)
	v_mul_hi_u32 v3, s9, v1
	v_add_u32_e32 v3, v1, v3
	v_lshrrev_b32_e32 v3, s10, v3
	v_mul_lo_u32 v5, v3, s8
	v_mul_hi_u32 v7, s16, v3
	v_sub_u32_e32 v1, v1, v5
	v_add_u32_e32 v5, v3, v7
	v_mul_lo_u32 v7, v1, s12
	v_mul_lo_u32 v9, v1, s13
	;; [unrolled: 1-line block ×3, first 2 shown]
	v_lshrrev_b32_e32 v1, s17, v5
	v_mul_lo_u32 v5, v1, s11
	v_sub_u32_e32 v3, v3, v5
	s_addc_u32 s1, s7, 0
	s_add_i32 s3, s3, -2
	v_mul_lo_u32 v5, v3, s15
	v_mul_lo_u32 v13, v3, s18
	;; [unrolled: 1-line block ×3, first 2 shown]
	s_cmp_lg_u32 s3, 0
	v_add3_u32 v18, v7, v18, v5
	v_add3_u32 v20, v11, v20, v3
	;; [unrolled: 1-line block ×3, first 2 shown]
	s_cbranch_scc1 .LBB35_85
; %bb.86:
	s_bitcmp1_b32 s2, 0
	s_cselect_b64 s[2:3], -1, 0
	s_and_b64 vcc, exec, s[2:3]
	s_cbranch_vccnz .LBB35_89
; %bb.87:
	s_load_dwordx2 s[2:3], s[0:1], 0x18
	s_load_dword s8, s[0:1], 0x20
	s_load_dword s9, s[0:1], 0xe0
	s_load_dwordx2 s[6:7], s[0:1], 0xd8
	s_waitcnt lgkmcnt(0)
	v_mul_hi_u32 v3, s3, v1
	v_add_u32_e32 v3, v1, v3
	v_lshrrev_b32_e32 v3, s8, v3
	v_mul_lo_u32 v3, v3, s2
	v_sub_u32_e32 v1, v1, v3
	v_mad_u64_u32 v[18:19], s[0:1], v1, s6, v[18:19]
	v_mad_u64_u32 v[22:23], s[0:1], v1, s7, v[22:23]
	;; [unrolled: 1-line block ×3, first 2 shown]
	s_cbranch_execz .LBB35_90
	s_branch .LBB35_92
.LBB35_88:
                                        ; implicit-def: $vgpr20
                                        ; implicit-def: $vgpr22
                                        ; implicit-def: $vgpr18
	s_branch .LBB35_90
.LBB35_89:
	s_cbranch_execnz .LBB35_92
.LBB35_90:
	s_load_dwordx4 s[0:3], s[4:5], 0x4
	s_load_dwordx4 s[8:11], s[4:5], 0xc4
	s_cmp_lt_u32 s33, 2
	s_waitcnt lgkmcnt(0)
	v_mul_hi_u32 v1, s1, v24
	v_add_u32_e32 v1, v24, v1
	v_lshrrev_b32_e32 v1, s2, v1
	v_mul_lo_u32 v3, v1, s0
	v_sub_u32_e32 v3, v24, v3
	v_mul_lo_u32 v18, v3, s8
	v_mul_lo_u32 v20, v3, s10
	;; [unrolled: 1-line block ×3, first 2 shown]
	s_cbranch_scc1 .LBB35_92
; %bb.91:
	s_load_dwordx4 s[0:3], s[4:5], 0x10
	s_load_dwordx4 s[8:11], s[4:5], 0xd0
	s_waitcnt lgkmcnt(0)
	v_mul_hi_u32 v3, s1, v1
	v_add_u32_e32 v3, v1, v3
	v_lshrrev_b32_e32 v3, s2, v3
	v_mul_lo_u32 v3, v3, s0
	v_sub_u32_e32 v1, v1, v3
	v_mad_u64_u32 v[18:19], s[0:1], v1, s8, v[18:19]
	v_mad_u64_u32 v[22:23], s[0:1], v1, s9, v[22:23]
	;; [unrolled: 1-line block ×3, first 2 shown]
.LBB35_92:
	s_load_dwordx4 s[8:11], s[4:5], 0x188
	s_load_dwordx2 s[0:1], s[4:5], 0x198
	s_mov_b32 s6, 0x800000
	s_mov_b32 s7, 0x3f7ffffe
	s_waitcnt lgkmcnt(0)
	global_load_ushort v1, v2, s[10:11]
	global_load_ushort v3, v10, s[10:11]
	;; [unrolled: 1-line block ×4, first 2 shown]
	global_load_dword v9, v4, s[0:1]
	global_load_dword v11, v8, s[0:1]
	;; [unrolled: 1-line block ×4, first 2 shown]
	v_mov_b32_e32 v2, 0x800000
	v_mov_b32_e32 v4, 0x3f7ffffe
	s_waitcnt vmcnt(7)
	v_lshlrev_b32_e32 v1, 16, v1
	s_waitcnt vmcnt(6)
	v_lshlrev_b32_e32 v3, 16, v3
	;; [unrolled: 2-line block ×4, first 2 shown]
	s_waitcnt vmcnt(3)
	v_div_scale_f32 v8, s[0:1], v9, v9, v1
	v_rcp_f32_e32 v22, v8
	s_waitcnt vmcnt(2)
	v_div_scale_f32 v14, s[0:1], v11, v11, v3
	v_rcp_f32_e32 v23, v14
	s_waitcnt vmcnt(1)
	v_div_scale_f32 v17, s[2:3], v13, v13, v5
	v_rcp_f32_e32 v24, v17
	v_fma_f32 v26, -v8, v22, 1.0
	v_div_scale_f32 v10, vcc, v1, v9, v1
	v_fmac_f32_e32 v22, v26, v22
	s_waitcnt vmcnt(0)
	v_div_scale_f32 v20, s[4:5], v15, v15, v7
	v_fma_f32 v27, -v14, v23, 1.0
	v_mul_f32_e32 v26, v10, v22
	v_div_scale_f32 v16, s[0:1], v3, v11, v3
	v_rcp_f32_e32 v25, v20
	v_fmac_f32_e32 v23, v27, v23
	v_fma_f32 v30, -v8, v26, v10
	v_fma_f32 v28, -v17, v24, 1.0
	v_mul_f32_e32 v27, v16, v23
	v_fmac_f32_e32 v26, v30, v22
	v_div_scale_f32 v19, s[2:3], v5, v13, v5
	v_fmac_f32_e32 v24, v28, v24
	v_fma_f32 v31, -v14, v27, v16
	v_fma_f32 v8, -v8, v26, v10
	v_mul_f32_e32 v28, v19, v24
	v_fmac_f32_e32 v27, v31, v23
	v_div_fmas_f32 v8, v8, v22, v26
	v_fma_f32 v29, -v20, v25, 1.0
	v_fma_f32 v32, -v17, v28, v19
	v_fma_f32 v10, -v14, v27, v16
	v_div_fixup_f32 v1, v8, v9, v1
	s_mov_b64 vcc, s[0:1]
	v_div_scale_f32 v21, s[4:5], v7, v15, v7
	v_fmac_f32_e32 v25, v29, v25
	v_fmac_f32_e32 v28, v32, v24
	v_div_fmas_f32 v8, v10, v23, v27
	v_cmp_ngt_f32_e32 vcc, s6, v1
	v_mul_f32_e32 v29, v21, v25
	v_fma_f32 v14, -v17, v28, v19
	v_cndmask_b32_e32 v1, v2, v1, vcc
	s_mov_b64 vcc, s[2:3]
	v_fma_f32 v33, -v20, v29, v21
	v_div_fixup_f32 v3, v8, v11, v3
	v_div_fmas_f32 v8, v14, v24, v28
	v_cmp_nlt_f32_e32 vcc, s7, v1
	v_fmac_f32_e32 v29, v33, v25
	v_cndmask_b32_e32 v1, v4, v1, vcc
	v_cmp_ngt_f32_e32 vcc, s6, v3
	v_fma_f32 v16, -v20, v29, v21
	v_cndmask_b32_e32 v3, v2, v3, vcc
	s_mov_b64 vcc, s[4:5]
	v_div_fixup_f32 v5, v8, v13, v5
	v_div_fmas_f32 v8, v16, v25, v29
	v_cmp_nlt_f32_e32 vcc, s7, v3
	v_cndmask_b32_e32 v3, v4, v3, vcc
	v_cmp_ngt_f32_e32 vcc, s6, v5
	v_cndmask_b32_e32 v5, v2, v5, vcc
	v_div_fixup_f32 v7, v8, v15, v7
	v_cmp_nlt_f32_e32 vcc, s7, v5
	global_store_dword v0, v1, s[8:9]
	v_cndmask_b32_e32 v0, v4, v5, vcc
	v_cmp_ngt_f32_e32 vcc, s6, v7
	v_cndmask_b32_e32 v1, v2, v7, vcc
	v_cmp_nlt_f32_e32 vcc, s7, v1
	global_store_dword v6, v3, s[8:9]
	v_cndmask_b32_e32 v1, v4, v1, vcc
	global_store_dword v12, v0, s[8:9]
	global_store_dword v18, v1, s[8:9]
	s_endpgm
	.section	.rodata,"a",@progbits
	.p2align	6, 0x0
	.amdhsa_kernel _ZN2at6native32elementwise_kernel_manual_unrollILi128ELi4EZNS0_12_GLOBAL__N_142type_specialized_broadcast_kernel_launcherILi1EE5applyIZZZNS0_23launch_dirichlet_kernelERNS_18TensorIteratorBaseEENKUlvE_clEvENKUlvE0_clEvEUlffE_St5arrayIPcLm3EESB_IN3c1010ScalarTypeELm3EE16OffsetCalculatorILi3EjLb0EEEEvlT_T0_T1_T2_EUlibE_EEviSL_
		.amdhsa_group_segment_fixed_size 0
		.amdhsa_private_segment_fixed_size 0
		.amdhsa_kernarg_size 432
		.amdhsa_user_sgpr_count 6
		.amdhsa_user_sgpr_private_segment_buffer 1
		.amdhsa_user_sgpr_dispatch_ptr 0
		.amdhsa_user_sgpr_queue_ptr 0
		.amdhsa_user_sgpr_kernarg_segment_ptr 1
		.amdhsa_user_sgpr_dispatch_id 0
		.amdhsa_user_sgpr_flat_scratch_init 0
		.amdhsa_user_sgpr_kernarg_preload_length 0
		.amdhsa_user_sgpr_kernarg_preload_offset 0
		.amdhsa_user_sgpr_private_segment_size 0
		.amdhsa_uses_dynamic_stack 0
		.amdhsa_system_sgpr_private_segment_wavefront_offset 0
		.amdhsa_system_sgpr_workgroup_id_x 1
		.amdhsa_system_sgpr_workgroup_id_y 0
		.amdhsa_system_sgpr_workgroup_id_z 0
		.amdhsa_system_sgpr_workgroup_info 0
		.amdhsa_system_vgpr_workitem_id 0
		.amdhsa_next_free_vgpr 34
		.amdhsa_next_free_sgpr 52
		.amdhsa_accum_offset 36
		.amdhsa_reserve_vcc 1
		.amdhsa_reserve_flat_scratch 0
		.amdhsa_float_round_mode_32 0
		.amdhsa_float_round_mode_16_64 0
		.amdhsa_float_denorm_mode_32 3
		.amdhsa_float_denorm_mode_16_64 3
		.amdhsa_dx10_clamp 1
		.amdhsa_ieee_mode 1
		.amdhsa_fp16_overflow 0
		.amdhsa_tg_split 0
		.amdhsa_exception_fp_ieee_invalid_op 0
		.amdhsa_exception_fp_denorm_src 0
		.amdhsa_exception_fp_ieee_div_zero 0
		.amdhsa_exception_fp_ieee_overflow 0
		.amdhsa_exception_fp_ieee_underflow 0
		.amdhsa_exception_fp_ieee_inexact 0
		.amdhsa_exception_int_div_zero 0
	.end_amdhsa_kernel
	.section	.text._ZN2at6native32elementwise_kernel_manual_unrollILi128ELi4EZNS0_12_GLOBAL__N_142type_specialized_broadcast_kernel_launcherILi1EE5applyIZZZNS0_23launch_dirichlet_kernelERNS_18TensorIteratorBaseEENKUlvE_clEvENKUlvE0_clEvEUlffE_St5arrayIPcLm3EESB_IN3c1010ScalarTypeELm3EE16OffsetCalculatorILi3EjLb0EEEEvlT_T0_T1_T2_EUlibE_EEviSL_,"axG",@progbits,_ZN2at6native32elementwise_kernel_manual_unrollILi128ELi4EZNS0_12_GLOBAL__N_142type_specialized_broadcast_kernel_launcherILi1EE5applyIZZZNS0_23launch_dirichlet_kernelERNS_18TensorIteratorBaseEENKUlvE_clEvENKUlvE0_clEvEUlffE_St5arrayIPcLm3EESB_IN3c1010ScalarTypeELm3EE16OffsetCalculatorILi3EjLb0EEEEvlT_T0_T1_T2_EUlibE_EEviSL_,comdat
.Lfunc_end35:
	.size	_ZN2at6native32elementwise_kernel_manual_unrollILi128ELi4EZNS0_12_GLOBAL__N_142type_specialized_broadcast_kernel_launcherILi1EE5applyIZZZNS0_23launch_dirichlet_kernelERNS_18TensorIteratorBaseEENKUlvE_clEvENKUlvE0_clEvEUlffE_St5arrayIPcLm3EESB_IN3c1010ScalarTypeELm3EE16OffsetCalculatorILi3EjLb0EEEEvlT_T0_T1_T2_EUlibE_EEviSL_, .Lfunc_end35-_ZN2at6native32elementwise_kernel_manual_unrollILi128ELi4EZNS0_12_GLOBAL__N_142type_specialized_broadcast_kernel_launcherILi1EE5applyIZZZNS0_23launch_dirichlet_kernelERNS_18TensorIteratorBaseEENKUlvE_clEvENKUlvE0_clEvEUlffE_St5arrayIPcLm3EESB_IN3c1010ScalarTypeELm3EE16OffsetCalculatorILi3EjLb0EEEEvlT_T0_T1_T2_EUlibE_EEviSL_
                                        ; -- End function
	.section	.AMDGPU.csdata,"",@progbits
; Kernel info:
; codeLenInByte = 5560
; NumSgprs: 56
; NumVgprs: 34
; NumAgprs: 0
; TotalNumVgprs: 34
; ScratchSize: 0
; MemoryBound: 0
; FloatMode: 240
; IeeeMode: 1
; LDSByteSize: 0 bytes/workgroup (compile time only)
; SGPRBlocks: 6
; VGPRBlocks: 4
; NumSGPRsForWavesPerEU: 56
; NumVGPRsForWavesPerEU: 34
; AccumOffset: 36
; Occupancy: 8
; WaveLimiterHint : 1
; COMPUTE_PGM_RSRC2:SCRATCH_EN: 0
; COMPUTE_PGM_RSRC2:USER_SGPR: 6
; COMPUTE_PGM_RSRC2:TRAP_HANDLER: 0
; COMPUTE_PGM_RSRC2:TGID_X_EN: 1
; COMPUTE_PGM_RSRC2:TGID_Y_EN: 0
; COMPUTE_PGM_RSRC2:TGID_Z_EN: 0
; COMPUTE_PGM_RSRC2:TIDIG_COMP_CNT: 0
; COMPUTE_PGM_RSRC3_GFX90A:ACCUM_OFFSET: 8
; COMPUTE_PGM_RSRC3_GFX90A:TG_SPLIT: 0
	.section	.text._ZN2at6native32elementwise_kernel_manual_unrollILi128ELi4EZNS0_12_GLOBAL__N_142type_specialized_broadcast_kernel_launcherILi2EE5applyIZZZNS0_23launch_dirichlet_kernelERNS_18TensorIteratorBaseEENKUlvE_clEvENKUlvE0_clEvEUlffE_St5arrayIPcLm3EESB_IN3c1010ScalarTypeELm3EE16OffsetCalculatorILi3EjLb0EEEEvlT_T0_T1_T2_EUlibE_EEviSL_,"axG",@progbits,_ZN2at6native32elementwise_kernel_manual_unrollILi128ELi4EZNS0_12_GLOBAL__N_142type_specialized_broadcast_kernel_launcherILi2EE5applyIZZZNS0_23launch_dirichlet_kernelERNS_18TensorIteratorBaseEENKUlvE_clEvENKUlvE0_clEvEUlffE_St5arrayIPcLm3EESB_IN3c1010ScalarTypeELm3EE16OffsetCalculatorILi3EjLb0EEEEvlT_T0_T1_T2_EUlibE_EEviSL_,comdat
	.globl	_ZN2at6native32elementwise_kernel_manual_unrollILi128ELi4EZNS0_12_GLOBAL__N_142type_specialized_broadcast_kernel_launcherILi2EE5applyIZZZNS0_23launch_dirichlet_kernelERNS_18TensorIteratorBaseEENKUlvE_clEvENKUlvE0_clEvEUlffE_St5arrayIPcLm3EESB_IN3c1010ScalarTypeELm3EE16OffsetCalculatorILi3EjLb0EEEEvlT_T0_T1_T2_EUlibE_EEviSL_ ; -- Begin function _ZN2at6native32elementwise_kernel_manual_unrollILi128ELi4EZNS0_12_GLOBAL__N_142type_specialized_broadcast_kernel_launcherILi2EE5applyIZZZNS0_23launch_dirichlet_kernelERNS_18TensorIteratorBaseEENKUlvE_clEvENKUlvE0_clEvEUlffE_St5arrayIPcLm3EESB_IN3c1010ScalarTypeELm3EE16OffsetCalculatorILi3EjLb0EEEEvlT_T0_T1_T2_EUlibE_EEviSL_
	.p2align	8
	.type	_ZN2at6native32elementwise_kernel_manual_unrollILi128ELi4EZNS0_12_GLOBAL__N_142type_specialized_broadcast_kernel_launcherILi2EE5applyIZZZNS0_23launch_dirichlet_kernelERNS_18TensorIteratorBaseEENKUlvE_clEvENKUlvE0_clEvEUlffE_St5arrayIPcLm3EESB_IN3c1010ScalarTypeELm3EE16OffsetCalculatorILi3EjLb0EEEEvlT_T0_T1_T2_EUlibE_EEviSL_,@function
_ZN2at6native32elementwise_kernel_manual_unrollILi128ELi4EZNS0_12_GLOBAL__N_142type_specialized_broadcast_kernel_launcherILi2EE5applyIZZZNS0_23launch_dirichlet_kernelERNS_18TensorIteratorBaseEENKUlvE_clEvENKUlvE0_clEvEUlffE_St5arrayIPcLm3EESB_IN3c1010ScalarTypeELm3EE16OffsetCalculatorILi3EjLb0EEEEvlT_T0_T1_T2_EUlibE_EEviSL_: ; @_ZN2at6native32elementwise_kernel_manual_unrollILi128ELi4EZNS0_12_GLOBAL__N_142type_specialized_broadcast_kernel_launcherILi2EE5applyIZZZNS0_23launch_dirichlet_kernelERNS_18TensorIteratorBaseEENKUlvE_clEvENKUlvE0_clEvEUlffE_St5arrayIPcLm3EESB_IN3c1010ScalarTypeELm3EE16OffsetCalculatorILi3EjLb0EEEEvlT_T0_T1_T2_EUlibE_EEviSL_
; %bb.0:
	s_load_dword s36, s[4:5], 0x0
	s_load_dword s33, s[4:5], 0x8
	s_or_b32 s4, s4, 8
	v_lshl_or_b32 v12, s6, 9, v0
	v_or_b32_e32 v24, 0x180, v12
	s_waitcnt lgkmcnt(0)
	v_cmp_le_i32_e32 vcc, s36, v24
	s_add_i32 s34, s33, -1
	s_cmp_gt_u32 s34, 1
	s_cselect_b64 s[6:7], -1, 0
	s_mov_b64 s[12:13], 0
                                        ; implicit-def: $vgpr2_vgpr3
                                        ; implicit-def: $vgpr1
	s_and_saveexec_b64 s[0:1], vcc
	s_xor_b64 s[16:17], exec, s[0:1]
	s_cbranch_execnz .LBB36_4
; %bb.1:
	s_andn2_saveexec_b64 s[14:15], s[16:17]
	s_cbranch_execnz .LBB36_53
.LBB36_2:
	s_or_b64 exec, exec, s[14:15]
	s_and_saveexec_b64 s[0:1], s[12:13]
	s_cbranch_execnz .LBB36_94
.LBB36_3:
	s_endpgm
.LBB36_4:
	s_load_dwordx4 s[12:15], s[4:5], 0x4
	s_load_dwordx2 s[22:23], s[4:5], 0x14
	s_load_dwordx4 s[8:11], s[4:5], 0xc4
	s_load_dwordx2 s[20:21], s[4:5], 0xd4
	s_load_dwordx2 s[18:19], s[4:5], 0x198
	s_load_dwordx4 s[0:3], s[4:5], 0x188
	s_cmp_lg_u32 s33, 0
	s_cselect_b64 s[26:27], -1, 0
	s_min_u32 s35, s34, 15
	s_cmp_gt_u32 s33, 1
	s_cselect_b64 s[24:25], -1, 0
	v_cmp_gt_i32_e32 vcc, s36, v12
	s_and_saveexec_b64 s[28:29], vcc
	s_cbranch_execnz .LBB36_7
; %bb.5:
	s_or_b64 exec, exec, s[28:29]
	v_cmp_gt_i32_e32 vcc, s36, v12
	s_and_saveexec_b64 s[28:29], vcc
	s_cbranch_execnz .LBB36_18
.LBB36_6:
	s_or_b64 exec, exec, s[28:29]
	v_cmp_gt_i32_e32 vcc, s36, v12
	s_and_saveexec_b64 s[28:29], vcc
	s_cbranch_execnz .LBB36_29
	s_branch .LBB36_40
.LBB36_7:
	s_andn2_b64 vcc, exec, s[6:7]
	s_cbranch_vccnz .LBB36_14
; %bb.8:
	s_andn2_b64 vcc, exec, s[26:27]
	v_mov_b32_e32 v2, 0
	v_mov_b32_e32 v4, 0
	;; [unrolled: 1-line block ×3, first 2 shown]
	s_cbranch_vccnz .LBB36_13
; %bb.9:
	s_add_i32 s30, s35, 1
	s_and_b32 s37, s30, 30
	s_add_u32 s30, s4, 0xffffffec
	s_addc_u32 s31, s5, -1
	v_mov_b32_e32 v0, 0
	v_mov_b32_e32 v1, v12
	;; [unrolled: 1-line block ×4, first 2 shown]
.LBB36_10:                              ; =>This Inner Loop Header: Depth=1
	s_mov_b64 s[38:39], s[30:31]
	s_load_dwordx4 s[40:43], s[38:39], 0x18
	s_load_dwordx2 s[48:49], s[38:39], 0x28
	s_load_dwordx2 s[50:51], s[38:39], 0xe8
	s_load_dwordx4 s[44:47], s[38:39], 0xd8
	s_add_u32 s30, s38, 24
	s_waitcnt lgkmcnt(0)
	v_mul_hi_u32 v3, s41, v1
	v_add_u32_e32 v3, v1, v3
	v_lshrrev_b32_e32 v3, s42, v3
	v_mul_lo_u32 v5, v3, s40
	v_mul_hi_u32 v6, s48, v3
	v_sub_u32_e32 v1, v1, v5
	v_add_u32_e32 v5, v3, v6
	v_mul_lo_u32 v6, v1, s44
	v_mul_lo_u32 v7, v1, s45
	;; [unrolled: 1-line block ×3, first 2 shown]
	v_lshrrev_b32_e32 v1, s49, v5
	v_mul_lo_u32 v5, v1, s43
	v_sub_u32_e32 v3, v3, v5
	s_addc_u32 s31, s39, 0
	s_add_i32 s37, s37, -2
	v_mul_lo_u32 v5, v3, s47
	v_mul_lo_u32 v9, v3, s50
	v_mul_lo_u32 v3, v3, s51
	s_cmp_lg_u32 s37, 0
	v_add3_u32 v0, v6, v0, v5
	v_add3_u32 v2, v8, v2, v3
	;; [unrolled: 1-line block ×3, first 2 shown]
	s_cbranch_scc1 .LBB36_10
; %bb.11:
	s_bitcmp1_b32 s35, 0
	s_cselect_b64 s[38:39], -1, 0
	s_and_b64 vcc, exec, s[38:39]
	s_cbranch_vccnz .LBB36_13
; %bb.12:
	s_load_dwordx2 s[38:39], s[30:31], 0x18
	s_load_dword s37, s[30:31], 0x20
	s_load_dword s42, s[30:31], 0xe0
	s_load_dwordx2 s[40:41], s[30:31], 0xd8
	s_waitcnt lgkmcnt(0)
	v_mul_hi_u32 v3, s39, v1
	v_add_u32_e32 v3, v1, v3
	v_lshrrev_b32_e32 v3, s37, v3
	v_mul_lo_u32 v3, v3, s38
	v_sub_u32_e32 v3, v1, v3
	v_mad_u64_u32 v[0:1], s[30:31], v3, s40, v[0:1]
	v_mad_u64_u32 v[4:5], s[30:31], v3, s41, v[4:5]
	;; [unrolled: 1-line block ×3, first 2 shown]
.LBB36_13:
	s_cbranch_execz .LBB36_15
	s_branch .LBB36_17
.LBB36_14:
                                        ; implicit-def: $vgpr2
                                        ; implicit-def: $vgpr4
                                        ; implicit-def: $vgpr0
.LBB36_15:
	s_waitcnt lgkmcnt(0)
	v_mul_hi_u32 v0, s13, v12
	v_add_u32_e32 v0, v12, v0
	v_lshrrev_b32_e32 v1, s14, v0
	v_mul_lo_u32 v0, v1, s12
	v_sub_u32_e32 v3, v12, v0
	v_mul_lo_u32 v0, v3, s8
	v_mul_lo_u32 v2, v3, s10
	s_andn2_b64 vcc, exec, s[24:25]
	v_mul_lo_u32 v4, v3, s9
	s_cbranch_vccnz .LBB36_17
; %bb.16:
	v_mul_hi_u32 v3, s22, v1
	v_add_u32_e32 v3, v1, v3
	v_lshrrev_b32_e32 v3, s23, v3
	v_mul_lo_u32 v3, v3, s15
	v_sub_u32_e32 v3, v1, v3
	v_mad_u64_u32 v[0:1], s[30:31], v3, s11, v[0:1]
	v_mad_u64_u32 v[4:5], s[30:31], v3, s20, v[4:5]
	;; [unrolled: 1-line block ×3, first 2 shown]
.LBB36_17:
	s_waitcnt lgkmcnt(0)
	global_load_ushort v1, v4, s[2:3]
	global_load_dword v3, v2, s[18:19]
	s_mov_b32 s37, 0x800000
	v_mov_b32_e32 v2, 0x800000
	s_mov_b32 s38, 0x3f7ffffe
	v_mov_b32_e32 v4, 0x3f7ffffe
	s_movk_i32 s39, 0x7fff
	v_mov_b32_e32 v7, 0x7fc0
	v_add_u32_e32 v12, 0x80, v12
	s_waitcnt vmcnt(1)
	v_lshlrev_b32_e32 v1, 16, v1
	s_waitcnt vmcnt(0)
	v_div_scale_f32 v5, s[30:31], v3, v3, v1
	v_rcp_f32_e32 v6, v5
	v_div_scale_f32 v8, vcc, v1, v3, v1
	v_fma_f32 v9, -v5, v6, 1.0
	v_fmac_f32_e32 v6, v9, v6
	v_mul_f32_e32 v9, v8, v6
	v_fma_f32 v10, -v5, v9, v8
	v_fmac_f32_e32 v9, v10, v6
	v_fma_f32 v5, -v5, v9, v8
	v_div_fmas_f32 v5, v5, v6, v9
	v_div_fixup_f32 v1, v5, v3, v1
	v_cmp_ngt_f32_e32 vcc, s37, v1
	v_cndmask_b32_e32 v1, v2, v1, vcc
	v_cmp_nlt_f32_e32 vcc, s38, v1
	v_cndmask_b32_e32 v1, v4, v1, vcc
	v_bfe_u32 v2, v1, 16, 1
	v_add3_u32 v2, v1, v2, s39
	v_lshrrev_b32_e32 v2, 16, v2
	v_cmp_o_f32_e32 vcc, v1, v1
	v_cndmask_b32_e32 v1, v7, v2, vcc
	global_store_short v0, v1, s[0:1]
	s_or_b64 exec, exec, s[28:29]
	v_cmp_gt_i32_e32 vcc, s36, v12
	s_and_saveexec_b64 s[28:29], vcc
	s_cbranch_execz .LBB36_6
.LBB36_18:
	s_andn2_b64 vcc, exec, s[6:7]
	s_cbranch_vccnz .LBB36_25
; %bb.19:
	s_andn2_b64 vcc, exec, s[26:27]
	v_mov_b32_e32 v2, 0
	v_mov_b32_e32 v4, 0
	v_mov_b32_e32 v0, 0
	s_cbranch_vccnz .LBB36_24
; %bb.20:
	s_add_i32 s30, s35, 1
	s_and_b32 s37, s30, 30
	s_add_u32 s30, s4, 0xffffffec
	s_addc_u32 s31, s5, -1
	v_mov_b32_e32 v0, 0
	v_mov_b32_e32 v1, v12
	;; [unrolled: 1-line block ×4, first 2 shown]
.LBB36_21:                              ; =>This Inner Loop Header: Depth=1
	s_mov_b64 s[38:39], s[30:31]
	s_load_dwordx4 s[40:43], s[38:39], 0x18
	s_load_dwordx2 s[48:49], s[38:39], 0x28
	s_load_dwordx2 s[50:51], s[38:39], 0xe8
	s_load_dwordx4 s[44:47], s[38:39], 0xd8
	s_add_u32 s30, s38, 24
	s_waitcnt lgkmcnt(0)
	v_mul_hi_u32 v3, s41, v1
	v_add_u32_e32 v3, v1, v3
	v_lshrrev_b32_e32 v3, s42, v3
	v_mul_lo_u32 v5, v3, s40
	v_mul_hi_u32 v6, s48, v3
	v_sub_u32_e32 v1, v1, v5
	v_add_u32_e32 v5, v3, v6
	v_mul_lo_u32 v6, v1, s44
	v_mul_lo_u32 v7, v1, s45
	;; [unrolled: 1-line block ×3, first 2 shown]
	v_lshrrev_b32_e32 v1, s49, v5
	v_mul_lo_u32 v5, v1, s43
	v_sub_u32_e32 v3, v3, v5
	s_addc_u32 s31, s39, 0
	s_add_i32 s37, s37, -2
	v_mul_lo_u32 v5, v3, s47
	v_mul_lo_u32 v9, v3, s50
	;; [unrolled: 1-line block ×3, first 2 shown]
	s_cmp_eq_u32 s37, 0
	v_add3_u32 v0, v6, v0, v5
	v_add3_u32 v2, v8, v2, v3
	;; [unrolled: 1-line block ×3, first 2 shown]
	s_cbranch_scc0 .LBB36_21
; %bb.22:
	s_bitcmp1_b32 s35, 0
	s_cselect_b64 s[38:39], -1, 0
	s_and_b64 vcc, exec, s[38:39]
	s_cbranch_vccnz .LBB36_24
; %bb.23:
	s_load_dwordx2 s[38:39], s[30:31], 0x18
	s_load_dword s37, s[30:31], 0x20
	s_load_dword s42, s[30:31], 0xe0
	s_load_dwordx2 s[40:41], s[30:31], 0xd8
	s_waitcnt lgkmcnt(0)
	v_mul_hi_u32 v3, s39, v1
	v_add_u32_e32 v3, v1, v3
	v_lshrrev_b32_e32 v3, s37, v3
	v_mul_lo_u32 v3, v3, s38
	v_sub_u32_e32 v3, v1, v3
	v_mad_u64_u32 v[0:1], s[30:31], v3, s40, v[0:1]
	v_mad_u64_u32 v[4:5], s[30:31], v3, s41, v[4:5]
	;; [unrolled: 1-line block ×3, first 2 shown]
.LBB36_24:
	s_cbranch_execz .LBB36_26
	s_branch .LBB36_28
.LBB36_25:
                                        ; implicit-def: $vgpr2
                                        ; implicit-def: $vgpr4
                                        ; implicit-def: $vgpr0
.LBB36_26:
	s_waitcnt lgkmcnt(0)
	v_mul_hi_u32 v0, s13, v12
	v_add_u32_e32 v0, v12, v0
	v_lshrrev_b32_e32 v1, s14, v0
	v_mul_lo_u32 v0, v1, s12
	v_sub_u32_e32 v3, v12, v0
	v_mul_lo_u32 v0, v3, s8
	v_mul_lo_u32 v2, v3, s10
	s_andn2_b64 vcc, exec, s[24:25]
	v_mul_lo_u32 v4, v3, s9
	s_cbranch_vccnz .LBB36_28
; %bb.27:
	v_mul_hi_u32 v3, s22, v1
	v_add_u32_e32 v3, v1, v3
	v_lshrrev_b32_e32 v3, s23, v3
	v_mul_lo_u32 v3, v3, s15
	v_sub_u32_e32 v3, v1, v3
	v_mad_u64_u32 v[0:1], s[30:31], v3, s11, v[0:1]
	v_mad_u64_u32 v[4:5], s[30:31], v3, s20, v[4:5]
	;; [unrolled: 1-line block ×3, first 2 shown]
.LBB36_28:
	s_waitcnt lgkmcnt(0)
	global_load_ushort v1, v4, s[2:3]
	global_load_dword v3, v2, s[18:19]
	s_mov_b32 s37, 0x800000
	v_mov_b32_e32 v2, 0x800000
	s_mov_b32 s38, 0x3f7ffffe
	v_mov_b32_e32 v4, 0x3f7ffffe
	s_movk_i32 s39, 0x7fff
	v_mov_b32_e32 v7, 0x7fc0
	v_add_u32_e32 v12, 0x80, v12
	s_waitcnt vmcnt(1)
	v_lshlrev_b32_e32 v1, 16, v1
	s_waitcnt vmcnt(0)
	v_div_scale_f32 v5, s[30:31], v3, v3, v1
	v_rcp_f32_e32 v6, v5
	v_div_scale_f32 v8, vcc, v1, v3, v1
	v_fma_f32 v9, -v5, v6, 1.0
	v_fmac_f32_e32 v6, v9, v6
	v_mul_f32_e32 v9, v8, v6
	v_fma_f32 v10, -v5, v9, v8
	v_fmac_f32_e32 v9, v10, v6
	v_fma_f32 v5, -v5, v9, v8
	v_div_fmas_f32 v5, v5, v6, v9
	v_div_fixup_f32 v1, v5, v3, v1
	v_cmp_ngt_f32_e32 vcc, s37, v1
	v_cndmask_b32_e32 v1, v2, v1, vcc
	v_cmp_nlt_f32_e32 vcc, s38, v1
	v_cndmask_b32_e32 v1, v4, v1, vcc
	v_bfe_u32 v2, v1, 16, 1
	v_add3_u32 v2, v1, v2, s39
	v_lshrrev_b32_e32 v2, 16, v2
	v_cmp_o_f32_e32 vcc, v1, v1
	v_cndmask_b32_e32 v1, v7, v2, vcc
	global_store_short v0, v1, s[0:1]
	s_or_b64 exec, exec, s[28:29]
	v_cmp_gt_i32_e32 vcc, s36, v12
	s_and_saveexec_b64 s[28:29], vcc
	s_cbranch_execz .LBB36_40
.LBB36_29:
	s_andn2_b64 vcc, exec, s[6:7]
	s_cbranch_vccnz .LBB36_36
; %bb.30:
	s_andn2_b64 vcc, exec, s[26:27]
	v_mov_b32_e32 v2, 0
	v_mov_b32_e32 v4, 0
	;; [unrolled: 1-line block ×3, first 2 shown]
	s_cbranch_vccnz .LBB36_35
; %bb.31:
	s_add_i32 s30, s35, 1
	s_and_b32 s37, s30, 30
	s_add_u32 s30, s4, 0xffffffec
	s_addc_u32 s31, s5, -1
	v_mov_b32_e32 v0, 0
	v_mov_b32_e32 v1, v12
	;; [unrolled: 1-line block ×4, first 2 shown]
.LBB36_32:                              ; =>This Inner Loop Header: Depth=1
	s_mov_b64 s[38:39], s[30:31]
	s_load_dwordx4 s[40:43], s[38:39], 0x18
	s_load_dwordx2 s[48:49], s[38:39], 0x28
	s_load_dwordx2 s[50:51], s[38:39], 0xe8
	s_load_dwordx4 s[44:47], s[38:39], 0xd8
	s_add_u32 s30, s38, 24
	s_waitcnt lgkmcnt(0)
	v_mul_hi_u32 v3, s41, v1
	v_add_u32_e32 v3, v1, v3
	v_lshrrev_b32_e32 v3, s42, v3
	v_mul_lo_u32 v5, v3, s40
	v_mul_hi_u32 v6, s48, v3
	v_sub_u32_e32 v1, v1, v5
	v_add_u32_e32 v5, v3, v6
	v_mul_lo_u32 v6, v1, s44
	v_mul_lo_u32 v7, v1, s45
	;; [unrolled: 1-line block ×3, first 2 shown]
	v_lshrrev_b32_e32 v1, s49, v5
	v_mul_lo_u32 v5, v1, s43
	v_sub_u32_e32 v3, v3, v5
	s_addc_u32 s31, s39, 0
	s_add_i32 s37, s37, -2
	v_mul_lo_u32 v5, v3, s47
	v_mul_lo_u32 v9, v3, s50
	v_mul_lo_u32 v3, v3, s51
	s_cmp_eq_u32 s37, 0
	v_add3_u32 v0, v6, v0, v5
	v_add3_u32 v2, v8, v2, v3
	;; [unrolled: 1-line block ×3, first 2 shown]
	s_cbranch_scc0 .LBB36_32
; %bb.33:
	s_bitcmp1_b32 s35, 0
	s_cselect_b64 s[38:39], -1, 0
	s_and_b64 vcc, exec, s[38:39]
	s_cbranch_vccnz .LBB36_35
; %bb.34:
	s_load_dwordx2 s[38:39], s[30:31], 0x18
	s_load_dword s37, s[30:31], 0x20
	s_load_dword s42, s[30:31], 0xe0
	s_load_dwordx2 s[40:41], s[30:31], 0xd8
	s_waitcnt lgkmcnt(0)
	v_mul_hi_u32 v3, s39, v1
	v_add_u32_e32 v3, v1, v3
	v_lshrrev_b32_e32 v3, s37, v3
	v_mul_lo_u32 v3, v3, s38
	v_sub_u32_e32 v3, v1, v3
	v_mad_u64_u32 v[0:1], s[30:31], v3, s40, v[0:1]
	v_mad_u64_u32 v[4:5], s[30:31], v3, s41, v[4:5]
	;; [unrolled: 1-line block ×3, first 2 shown]
.LBB36_35:
	s_cbranch_execz .LBB36_37
	s_branch .LBB36_39
.LBB36_36:
                                        ; implicit-def: $vgpr2
                                        ; implicit-def: $vgpr4
                                        ; implicit-def: $vgpr0
.LBB36_37:
	s_waitcnt lgkmcnt(0)
	v_mul_hi_u32 v0, s13, v12
	v_add_u32_e32 v0, v12, v0
	v_lshrrev_b32_e32 v1, s14, v0
	v_mul_lo_u32 v0, v1, s12
	v_sub_u32_e32 v3, v12, v0
	v_mul_lo_u32 v0, v3, s8
	v_mul_lo_u32 v2, v3, s10
	s_andn2_b64 vcc, exec, s[24:25]
	v_mul_lo_u32 v4, v3, s9
	s_cbranch_vccnz .LBB36_39
; %bb.38:
	v_mul_hi_u32 v3, s22, v1
	v_add_u32_e32 v3, v1, v3
	v_lshrrev_b32_e32 v3, s23, v3
	v_mul_lo_u32 v3, v3, s15
	v_sub_u32_e32 v3, v1, v3
	v_mad_u64_u32 v[0:1], s[30:31], v3, s11, v[0:1]
	v_mad_u64_u32 v[4:5], s[30:31], v3, s20, v[4:5]
	;; [unrolled: 1-line block ×3, first 2 shown]
.LBB36_39:
	s_waitcnt lgkmcnt(0)
	global_load_ushort v1, v4, s[2:3]
	global_load_dword v3, v2, s[18:19]
	s_mov_b32 s37, 0x800000
	v_mov_b32_e32 v2, 0x800000
	s_mov_b32 s38, 0x3f7ffffe
	v_mov_b32_e32 v4, 0x3f7ffffe
	s_movk_i32 s39, 0x7fff
	v_mov_b32_e32 v7, 0x7fc0
	v_add_u32_e32 v12, 0x80, v12
	s_waitcnt vmcnt(1)
	v_lshlrev_b32_e32 v1, 16, v1
	s_waitcnt vmcnt(0)
	v_div_scale_f32 v5, s[30:31], v3, v3, v1
	v_rcp_f32_e32 v6, v5
	v_div_scale_f32 v8, vcc, v1, v3, v1
	v_fma_f32 v9, -v5, v6, 1.0
	v_fmac_f32_e32 v6, v9, v6
	v_mul_f32_e32 v9, v8, v6
	v_fma_f32 v10, -v5, v9, v8
	v_fmac_f32_e32 v9, v10, v6
	v_fma_f32 v5, -v5, v9, v8
	v_div_fmas_f32 v5, v5, v6, v9
	v_div_fixup_f32 v1, v5, v3, v1
	v_cmp_ngt_f32_e32 vcc, s37, v1
	v_cndmask_b32_e32 v1, v2, v1, vcc
	v_cmp_nlt_f32_e32 vcc, s38, v1
	v_cndmask_b32_e32 v1, v4, v1, vcc
	v_bfe_u32 v2, v1, 16, 1
	v_add3_u32 v2, v1, v2, s39
	v_lshrrev_b32_e32 v2, 16, v2
	v_cmp_o_f32_e32 vcc, v1, v1
	v_cndmask_b32_e32 v1, v7, v2, vcc
	global_store_short v0, v1, s[0:1]
.LBB36_40:
	s_or_b64 exec, exec, s[28:29]
	v_cmp_gt_i32_e32 vcc, s36, v12
	s_mov_b64 s[30:31], 0
                                        ; implicit-def: $vgpr2_vgpr3
                                        ; implicit-def: $vgpr1
	s_and_saveexec_b64 s[28:29], vcc
	s_cbranch_execz .LBB36_52
; %bb.41:
	s_andn2_b64 vcc, exec, s[6:7]
	s_cbranch_vccnz .LBB36_48
; %bb.42:
	s_andn2_b64 vcc, exec, s[26:27]
	v_mov_b32_e32 v2, 0
	v_mov_b32_e32 v4, 0
	v_mov_b32_e32 v0, 0
	s_cbranch_vccnz .LBB36_47
; %bb.43:
	s_add_i32 s26, s35, 1
	s_and_b32 s30, s26, 30
	s_add_u32 s26, s4, 0xffffffec
	s_addc_u32 s27, s5, -1
	v_mov_b32_e32 v0, 0
	v_mov_b32_e32 v1, v12
	;; [unrolled: 1-line block ×4, first 2 shown]
.LBB36_44:                              ; =>This Inner Loop Header: Depth=1
	s_mov_b64 s[44:45], s[26:27]
	s_load_dwordx4 s[36:39], s[44:45], 0x18
	s_load_dwordx2 s[46:47], s[44:45], 0x28
	s_load_dwordx2 s[48:49], s[44:45], 0xe8
	s_load_dwordx4 s[40:43], s[44:45], 0xd8
	s_add_u32 s26, s44, 24
	s_waitcnt lgkmcnt(0)
	v_mul_hi_u32 v3, s37, v1
	v_add_u32_e32 v3, v1, v3
	v_lshrrev_b32_e32 v3, s38, v3
	v_mul_lo_u32 v5, v3, s36
	v_mul_hi_u32 v6, s46, v3
	v_sub_u32_e32 v1, v1, v5
	v_add_u32_e32 v5, v3, v6
	v_mul_lo_u32 v6, v1, s40
	v_mul_lo_u32 v7, v1, s41
	v_mul_lo_u32 v8, v1, s42
	v_lshrrev_b32_e32 v1, s47, v5
	v_mul_lo_u32 v5, v1, s39
	v_sub_u32_e32 v3, v3, v5
	s_addc_u32 s27, s45, 0
	s_add_i32 s30, s30, -2
	v_mul_lo_u32 v5, v3, s43
	v_mul_lo_u32 v9, v3, s48
	;; [unrolled: 1-line block ×3, first 2 shown]
	s_cmp_eq_u32 s30, 0
	v_add3_u32 v0, v6, v0, v5
	v_add3_u32 v2, v8, v2, v3
	;; [unrolled: 1-line block ×3, first 2 shown]
	s_cbranch_scc0 .LBB36_44
; %bb.45:
	s_bitcmp1_b32 s35, 0
	s_cselect_b64 s[30:31], -1, 0
	s_and_b64 vcc, exec, s[30:31]
	s_cbranch_vccnz .LBB36_47
; %bb.46:
	s_load_dwordx2 s[30:31], s[26:27], 0x18
	s_load_dword s35, s[26:27], 0x20
	s_load_dword s38, s[26:27], 0xe0
	s_load_dwordx2 s[36:37], s[26:27], 0xd8
	s_waitcnt lgkmcnt(0)
	v_mul_hi_u32 v3, s31, v1
	v_add_u32_e32 v3, v1, v3
	v_lshrrev_b32_e32 v3, s35, v3
	v_mul_lo_u32 v3, v3, s30
	v_sub_u32_e32 v3, v1, v3
	v_mad_u64_u32 v[0:1], s[26:27], v3, s36, v[0:1]
	v_mad_u64_u32 v[4:5], s[26:27], v3, s37, v[4:5]
	;; [unrolled: 1-line block ×3, first 2 shown]
.LBB36_47:
	s_cbranch_execz .LBB36_49
	s_branch .LBB36_51
.LBB36_48:
                                        ; implicit-def: $vgpr2
                                        ; implicit-def: $vgpr4
                                        ; implicit-def: $vgpr0
.LBB36_49:
	s_waitcnt lgkmcnt(0)
	v_mul_hi_u32 v0, s13, v12
	v_add_u32_e32 v0, v12, v0
	v_lshrrev_b32_e32 v1, s14, v0
	v_mul_lo_u32 v0, v1, s12
	v_sub_u32_e32 v3, v12, v0
	v_mul_lo_u32 v0, v3, s8
	v_mul_lo_u32 v2, v3, s10
	s_andn2_b64 vcc, exec, s[24:25]
	v_mul_lo_u32 v4, v3, s9
	s_cbranch_vccnz .LBB36_51
; %bb.50:
	v_mul_hi_u32 v3, s22, v1
	v_add_u32_e32 v3, v1, v3
	v_lshrrev_b32_e32 v3, s23, v3
	v_mul_lo_u32 v3, v3, s15
	v_sub_u32_e32 v3, v1, v3
	v_mad_u64_u32 v[0:1], s[8:9], v3, s11, v[0:1]
	v_mad_u64_u32 v[4:5], s[8:9], v3, s20, v[4:5]
	;; [unrolled: 1-line block ×3, first 2 shown]
.LBB36_51:
	s_waitcnt lgkmcnt(0)
	global_load_ushort v1, v4, s[2:3]
	global_load_dword v5, v2, s[18:19]
	v_mov_b32_e32 v3, s1
	v_add_co_u32_e32 v2, vcc, s0, v0
	v_addc_co_u32_e32 v3, vcc, 0, v3, vcc
	s_mov_b32 s1, 0x800000
	v_mov_b32_e32 v4, 0x800000
	s_mov_b32 s8, 0x3f7ffffe
	v_mov_b32_e32 v6, 0x3f7ffffe
	s_mov_b64 s[30:31], exec
	s_waitcnt vmcnt(1)
	v_lshlrev_b32_e32 v1, 16, v1
	s_waitcnt vmcnt(0)
	v_div_scale_f32 v7, s[2:3], v5, v5, v1
	v_rcp_f32_e32 v8, v7
	v_div_scale_f32 v0, vcc, v1, v5, v1
	v_fma_f32 v9, -v7, v8, 1.0
	v_fmac_f32_e32 v8, v9, v8
	v_mul_f32_e32 v9, v0, v8
	v_fma_f32 v10, -v7, v9, v0
	v_fmac_f32_e32 v9, v10, v8
	v_fma_f32 v0, -v7, v9, v0
	v_div_fmas_f32 v0, v0, v8, v9
	v_div_fixup_f32 v0, v0, v5, v1
	v_cmp_ngt_f32_e32 vcc, s1, v0
	v_cndmask_b32_e32 v0, v4, v0, vcc
	v_cmp_nlt_f32_e32 vcc, s8, v0
	v_cndmask_b32_e32 v1, v6, v0, vcc
.LBB36_52:
	s_or_b64 exec, exec, s[28:29]
	s_waitcnt lgkmcnt(0)
	s_and_b64 s[12:13], s[30:31], exec
                                        ; implicit-def: $vgpr24
                                        ; implicit-def: $vgpr12
	s_andn2_saveexec_b64 s[14:15], s[16:17]
	s_cbranch_execz .LBB36_2
.LBB36_53:
	v_cndmask_b32_e64 v0, 0, 1, s[6:7]
	v_cmp_ne_u32_e64 s[0:1], 1, v0
	s_andn2_b64 vcc, exec, s[6:7]
	s_cbranch_vccnz .LBB36_59
; %bb.54:
	s_cmp_lg_u32 s33, 0
	v_mov_b32_e32 v2, 0
	v_mov_b32_e32 v4, 0
	;; [unrolled: 1-line block ×3, first 2 shown]
	s_cbranch_scc0 .LBB36_60
; %bb.55:
	s_min_u32 s6, s34, 15
	s_add_i32 s2, s6, 1
	s_and_b32 s7, s2, 30
	s_add_u32 s2, s4, 0xffffffec
	s_addc_u32 s3, s5, -1
	v_mov_b32_e32 v0, 0
	v_mov_b32_e32 v1, v12
	;; [unrolled: 1-line block ×4, first 2 shown]
.LBB36_56:                              ; =>This Inner Loop Header: Depth=1
	s_mov_b64 s[20:21], s[2:3]
	s_load_dwordx4 s[8:11], s[20:21], 0x18
	s_load_dwordx2 s[22:23], s[20:21], 0x28
	s_load_dwordx2 s[24:25], s[20:21], 0xe8
	s_load_dwordx4 s[16:19], s[20:21], 0xd8
	s_add_u32 s2, s20, 24
	s_waitcnt lgkmcnt(0)
	v_mul_hi_u32 v3, s9, v1
	v_add_u32_e32 v3, v1, v3
	v_lshrrev_b32_e32 v3, s10, v3
	v_mul_lo_u32 v5, v3, s8
	v_mul_hi_u32 v6, s22, v3
	v_sub_u32_e32 v1, v1, v5
	v_add_u32_e32 v5, v3, v6
	v_mul_lo_u32 v6, v1, s16
	v_mul_lo_u32 v7, v1, s17
	;; [unrolled: 1-line block ×3, first 2 shown]
	v_lshrrev_b32_e32 v1, s23, v5
	v_mul_lo_u32 v5, v1, s11
	v_sub_u32_e32 v3, v3, v5
	s_addc_u32 s3, s21, 0
	s_add_i32 s7, s7, -2
	v_mul_lo_u32 v5, v3, s19
	v_mul_lo_u32 v9, v3, s24
	;; [unrolled: 1-line block ×3, first 2 shown]
	s_cmp_lg_u32 s7, 0
	v_add3_u32 v0, v6, v0, v5
	v_add3_u32 v2, v8, v2, v3
	;; [unrolled: 1-line block ×3, first 2 shown]
	s_cbranch_scc1 .LBB36_56
; %bb.57:
	s_bitcmp1_b32 s6, 0
	s_cselect_b64 s[6:7], -1, 0
	s_and_b64 vcc, exec, s[6:7]
	s_cbranch_vccnz .LBB36_60
; %bb.58:
	s_load_dwordx2 s[6:7], s[2:3], 0x18
	s_load_dword s10, s[2:3], 0x20
	s_load_dword s11, s[2:3], 0xe0
	s_load_dwordx2 s[8:9], s[2:3], 0xd8
	s_waitcnt lgkmcnt(0)
	v_mul_hi_u32 v3, s7, v1
	v_add_u32_e32 v3, v1, v3
	v_lshrrev_b32_e32 v3, s10, v3
	v_mul_lo_u32 v3, v3, s6
	v_sub_u32_e32 v3, v1, v3
	v_mad_u64_u32 v[0:1], s[2:3], v3, s8, v[0:1]
	v_mad_u64_u32 v[4:5], s[2:3], v3, s9, v[4:5]
	;; [unrolled: 1-line block ×3, first 2 shown]
	s_cbranch_execz .LBB36_61
	s_branch .LBB36_63
.LBB36_59:
                                        ; implicit-def: $vgpr2
                                        ; implicit-def: $vgpr4
                                        ; implicit-def: $vgpr0
	s_branch .LBB36_61
.LBB36_60:
	s_cbranch_execnz .LBB36_63
.LBB36_61:
	s_load_dwordx4 s[8:11], s[4:5], 0x4
	s_load_dwordx4 s[16:19], s[4:5], 0xc4
	s_cmp_lt_u32 s33, 2
	s_waitcnt lgkmcnt(0)
	v_mul_hi_u32 v0, s9, v12
	v_add_u32_e32 v0, v12, v0
	v_lshrrev_b32_e32 v1, s10, v0
	v_mul_lo_u32 v0, v1, s8
	v_sub_u32_e32 v3, v12, v0
	v_mul_lo_u32 v0, v3, s16
	v_mul_lo_u32 v2, v3, s18
	;; [unrolled: 1-line block ×3, first 2 shown]
	s_cbranch_scc1 .LBB36_63
; %bb.62:
	s_load_dwordx4 s[8:11], s[4:5], 0x10
	s_load_dwordx4 s[16:19], s[4:5], 0xd0
	s_waitcnt lgkmcnt(0)
	v_mul_hi_u32 v3, s9, v1
	v_add_u32_e32 v3, v1, v3
	v_lshrrev_b32_e32 v3, s10, v3
	v_mul_lo_u32 v3, v3, s8
	v_sub_u32_e32 v3, v1, v3
	v_mad_u64_u32 v[0:1], s[2:3], v3, s16, v[0:1]
	v_mad_u64_u32 v[4:5], s[2:3], v3, s17, v[4:5]
	;; [unrolled: 1-line block ×3, first 2 shown]
.LBB36_63:
	s_and_b64 vcc, exec, s[0:1]
	v_add_u32_e32 v1, 0x80, v12
	s_cbranch_vccnz .LBB36_69
; %bb.64:
	s_cmp_lg_u32 s33, 0
	v_mov_b32_e32 v8, 0
	v_mov_b32_e32 v10, 0
	;; [unrolled: 1-line block ×3, first 2 shown]
	s_cbranch_scc0 .LBB36_70
; %bb.65:
	s_min_u32 s6, s34, 15
	s_add_i32 s2, s6, 1
	s_and_b32 s7, s2, 30
	s_add_u32 s2, s4, 0xffffffec
	s_addc_u32 s3, s5, -1
	v_mov_b32_e32 v6, 0
	v_mov_b32_e32 v3, v1
	;; [unrolled: 1-line block ×4, first 2 shown]
.LBB36_66:                              ; =>This Inner Loop Header: Depth=1
	s_mov_b64 s[20:21], s[2:3]
	s_load_dwordx4 s[8:11], s[20:21], 0x18
	s_load_dwordx2 s[22:23], s[20:21], 0x28
	s_load_dwordx2 s[24:25], s[20:21], 0xe8
	s_load_dwordx4 s[16:19], s[20:21], 0xd8
	s_add_u32 s2, s20, 24
	s_waitcnt lgkmcnt(0)
	v_mul_hi_u32 v5, s9, v3
	v_add_u32_e32 v5, v3, v5
	v_lshrrev_b32_e32 v5, s10, v5
	v_mul_lo_u32 v7, v5, s8
	v_mul_hi_u32 v9, s22, v5
	v_sub_u32_e32 v3, v3, v7
	v_add_u32_e32 v7, v5, v9
	v_mul_lo_u32 v9, v3, s16
	v_mul_lo_u32 v11, v3, s17
	;; [unrolled: 1-line block ×3, first 2 shown]
	v_lshrrev_b32_e32 v3, s23, v7
	v_mul_lo_u32 v7, v3, s11
	v_sub_u32_e32 v5, v5, v7
	s_addc_u32 s3, s21, 0
	s_add_i32 s7, s7, -2
	v_mul_lo_u32 v7, v5, s19
	v_mul_lo_u32 v14, v5, s24
	;; [unrolled: 1-line block ×3, first 2 shown]
	s_cmp_lg_u32 s7, 0
	v_add3_u32 v6, v9, v6, v7
	v_add3_u32 v8, v13, v8, v5
	;; [unrolled: 1-line block ×3, first 2 shown]
	s_cbranch_scc1 .LBB36_66
; %bb.67:
	s_bitcmp1_b32 s6, 0
	s_cselect_b64 s[6:7], -1, 0
	s_and_b64 vcc, exec, s[6:7]
	s_cbranch_vccnz .LBB36_70
; %bb.68:
	s_load_dwordx2 s[6:7], s[2:3], 0x18
	s_load_dword s10, s[2:3], 0x20
	s_load_dword s11, s[2:3], 0xe0
	s_load_dwordx2 s[8:9], s[2:3], 0xd8
	s_waitcnt lgkmcnt(0)
	v_mul_hi_u32 v5, s7, v3
	v_add_u32_e32 v5, v3, v5
	v_lshrrev_b32_e32 v5, s10, v5
	v_mul_lo_u32 v5, v5, s6
	v_sub_u32_e32 v3, v3, v5
	v_mad_u64_u32 v[6:7], s[2:3], v3, s8, v[6:7]
	v_mad_u64_u32 v[10:11], s[2:3], v3, s9, v[10:11]
	;; [unrolled: 1-line block ×3, first 2 shown]
	s_cbranch_execz .LBB36_71
	s_branch .LBB36_73
.LBB36_69:
                                        ; implicit-def: $vgpr8
                                        ; implicit-def: $vgpr10
                                        ; implicit-def: $vgpr6
	s_branch .LBB36_71
.LBB36_70:
	s_cbranch_execnz .LBB36_73
.LBB36_71:
	s_load_dwordx4 s[8:11], s[4:5], 0x4
	s_load_dwordx4 s[16:19], s[4:5], 0xc4
	s_cmp_lt_u32 s33, 2
	s_waitcnt lgkmcnt(0)
	v_mul_hi_u32 v3, s9, v1
	v_add_u32_e32 v3, v1, v3
	v_lshrrev_b32_e32 v3, s10, v3
	v_mul_lo_u32 v5, v3, s8
	v_sub_u32_e32 v1, v1, v5
	v_mul_lo_u32 v6, v1, s16
	v_mul_lo_u32 v8, v1, s18
	;; [unrolled: 1-line block ×3, first 2 shown]
	s_cbranch_scc1 .LBB36_73
; %bb.72:
	s_load_dwordx4 s[8:11], s[4:5], 0x10
	s_load_dwordx4 s[16:19], s[4:5], 0xd0
	s_waitcnt lgkmcnt(0)
	v_mul_hi_u32 v1, s9, v3
	v_add_u32_e32 v1, v3, v1
	v_lshrrev_b32_e32 v1, s10, v1
	v_mul_lo_u32 v1, v1, s8
	v_sub_u32_e32 v1, v3, v1
	v_mad_u64_u32 v[6:7], s[2:3], v1, s16, v[6:7]
	v_mad_u64_u32 v[10:11], s[2:3], v1, s17, v[10:11]
	;; [unrolled: 1-line block ×3, first 2 shown]
.LBB36_73:
	s_and_b64 vcc, exec, s[0:1]
	v_add_u32_e32 v1, 0x100, v12
	s_cbranch_vccnz .LBB36_79
; %bb.74:
	s_cmp_lg_u32 s33, 0
	v_mov_b32_e32 v14, 0
	v_mov_b32_e32 v16, 0
	;; [unrolled: 1-line block ×3, first 2 shown]
	s_cbranch_scc0 .LBB36_80
; %bb.75:
	s_min_u32 s6, s34, 15
	s_add_i32 s2, s6, 1
	s_and_b32 s7, s2, 30
	s_add_u32 s2, s4, 0xffffffec
	s_addc_u32 s3, s5, -1
	v_mov_b32_e32 v12, 0
	v_mov_b32_e32 v3, v1
	;; [unrolled: 1-line block ×4, first 2 shown]
.LBB36_76:                              ; =>This Inner Loop Header: Depth=1
	s_mov_b64 s[20:21], s[2:3]
	s_load_dwordx4 s[8:11], s[20:21], 0x18
	s_load_dwordx2 s[22:23], s[20:21], 0x28
	s_load_dwordx2 s[24:25], s[20:21], 0xe8
	s_load_dwordx4 s[16:19], s[20:21], 0xd8
	s_add_u32 s2, s20, 24
	s_waitcnt lgkmcnt(0)
	v_mul_hi_u32 v5, s9, v3
	v_add_u32_e32 v5, v3, v5
	v_lshrrev_b32_e32 v5, s10, v5
	v_mul_lo_u32 v7, v5, s8
	v_mul_hi_u32 v9, s22, v5
	v_sub_u32_e32 v3, v3, v7
	v_add_u32_e32 v7, v5, v9
	v_mul_lo_u32 v9, v3, s16
	v_mul_lo_u32 v11, v3, s17
	;; [unrolled: 1-line block ×3, first 2 shown]
	v_lshrrev_b32_e32 v3, s23, v7
	v_mul_lo_u32 v7, v3, s11
	v_sub_u32_e32 v5, v5, v7
	s_addc_u32 s3, s21, 0
	s_add_i32 s7, s7, -2
	v_mul_lo_u32 v7, v5, s19
	v_mul_lo_u32 v15, v5, s24
	;; [unrolled: 1-line block ×3, first 2 shown]
	s_cmp_lg_u32 s7, 0
	v_add3_u32 v12, v9, v12, v7
	v_add3_u32 v14, v13, v14, v5
	v_add3_u32 v16, v11, v16, v15
	s_cbranch_scc1 .LBB36_76
; %bb.77:
	s_bitcmp1_b32 s6, 0
	s_cselect_b64 s[6:7], -1, 0
	s_and_b64 vcc, exec, s[6:7]
	s_cbranch_vccnz .LBB36_80
; %bb.78:
	s_load_dwordx2 s[6:7], s[2:3], 0x18
	s_load_dword s10, s[2:3], 0x20
	s_load_dword s11, s[2:3], 0xe0
	s_load_dwordx2 s[8:9], s[2:3], 0xd8
	s_waitcnt lgkmcnt(0)
	v_mul_hi_u32 v5, s7, v3
	v_add_u32_e32 v5, v3, v5
	v_lshrrev_b32_e32 v5, s10, v5
	v_mul_lo_u32 v5, v5, s6
	v_sub_u32_e32 v3, v3, v5
	v_mad_u64_u32 v[12:13], s[2:3], v3, s8, v[12:13]
	v_mad_u64_u32 v[16:17], s[2:3], v3, s9, v[16:17]
	;; [unrolled: 1-line block ×3, first 2 shown]
	s_cbranch_execz .LBB36_81
	s_branch .LBB36_83
.LBB36_79:
                                        ; implicit-def: $vgpr14
                                        ; implicit-def: $vgpr16
                                        ; implicit-def: $vgpr12
	s_branch .LBB36_81
.LBB36_80:
	s_cbranch_execnz .LBB36_83
.LBB36_81:
	s_load_dwordx4 s[8:11], s[4:5], 0x4
	s_load_dwordx4 s[16:19], s[4:5], 0xc4
	s_cmp_lt_u32 s33, 2
	s_waitcnt lgkmcnt(0)
	v_mul_hi_u32 v3, s9, v1
	v_add_u32_e32 v3, v1, v3
	v_lshrrev_b32_e32 v3, s10, v3
	v_mul_lo_u32 v5, v3, s8
	v_sub_u32_e32 v1, v1, v5
	v_mul_lo_u32 v12, v1, s16
	v_mul_lo_u32 v14, v1, s18
	;; [unrolled: 1-line block ×3, first 2 shown]
	s_cbranch_scc1 .LBB36_83
; %bb.82:
	s_load_dwordx4 s[8:11], s[4:5], 0x10
	s_load_dwordx4 s[16:19], s[4:5], 0xd0
	s_waitcnt lgkmcnt(0)
	v_mul_hi_u32 v1, s9, v3
	v_add_u32_e32 v1, v3, v1
	v_lshrrev_b32_e32 v1, s10, v1
	v_mul_lo_u32 v1, v1, s8
	v_sub_u32_e32 v1, v3, v1
	v_mad_u64_u32 v[12:13], s[2:3], v1, s16, v[12:13]
	v_mad_u64_u32 v[16:17], s[2:3], v1, s17, v[16:17]
	;; [unrolled: 1-line block ×3, first 2 shown]
.LBB36_83:
	s_and_b64 vcc, exec, s[0:1]
	s_cbranch_vccnz .LBB36_89
; %bb.84:
	s_cmp_lg_u32 s33, 0
	v_mov_b32_e32 v22, 0
	v_mov_b32_e32 v20, 0
	;; [unrolled: 1-line block ×3, first 2 shown]
	s_cbranch_scc0 .LBB36_90
; %bb.85:
	s_min_u32 s2, s34, 15
	s_add_i32 s0, s2, 1
	s_and_b32 s3, s0, 30
	s_add_u32 s0, s4, 0xffffffec
	s_addc_u32 s1, s5, -1
	v_mov_b32_e32 v18, 0
	v_mov_b32_e32 v1, v24
	;; [unrolled: 1-line block ×4, first 2 shown]
.LBB36_86:                              ; =>This Inner Loop Header: Depth=1
	s_mov_b64 s[6:7], s[0:1]
	s_load_dwordx4 s[8:11], s[6:7], 0x18
	s_load_dwordx2 s[20:21], s[6:7], 0x28
	s_load_dwordx2 s[22:23], s[6:7], 0xe8
	s_load_dwordx4 s[16:19], s[6:7], 0xd8
	s_add_u32 s0, s6, 24
	s_waitcnt lgkmcnt(0)
	v_mul_hi_u32 v3, s9, v1
	v_add_u32_e32 v3, v1, v3
	v_lshrrev_b32_e32 v3, s10, v3
	v_mul_lo_u32 v5, v3, s8
	v_mul_hi_u32 v7, s20, v3
	v_sub_u32_e32 v1, v1, v5
	v_add_u32_e32 v5, v3, v7
	v_mul_lo_u32 v7, v1, s16
	v_mul_lo_u32 v9, v1, s17
	;; [unrolled: 1-line block ×3, first 2 shown]
	v_lshrrev_b32_e32 v1, s21, v5
	v_mul_lo_u32 v5, v1, s11
	v_sub_u32_e32 v3, v3, v5
	s_addc_u32 s1, s7, 0
	s_add_i32 s3, s3, -2
	v_mul_lo_u32 v5, v3, s19
	v_mul_lo_u32 v13, v3, s22
	;; [unrolled: 1-line block ×3, first 2 shown]
	s_cmp_lg_u32 s3, 0
	v_add3_u32 v18, v7, v18, v5
	v_add3_u32 v22, v11, v22, v3
	;; [unrolled: 1-line block ×3, first 2 shown]
	s_cbranch_scc1 .LBB36_86
; %bb.87:
	s_bitcmp1_b32 s2, 0
	s_cselect_b64 s[2:3], -1, 0
	s_and_b64 vcc, exec, s[2:3]
	s_cbranch_vccnz .LBB36_90
; %bb.88:
	s_load_dwordx2 s[2:3], s[0:1], 0x18
	s_load_dword s8, s[0:1], 0x20
	s_load_dword s9, s[0:1], 0xe0
	s_load_dwordx2 s[6:7], s[0:1], 0xd8
	s_waitcnt lgkmcnt(0)
	v_mul_hi_u32 v3, s3, v1
	v_add_u32_e32 v3, v1, v3
	v_lshrrev_b32_e32 v3, s8, v3
	v_mul_lo_u32 v3, v3, s2
	v_sub_u32_e32 v1, v1, v3
	v_mad_u64_u32 v[18:19], s[0:1], v1, s6, v[18:19]
	v_mad_u64_u32 v[20:21], s[0:1], v1, s7, v[20:21]
	;; [unrolled: 1-line block ×3, first 2 shown]
	s_cbranch_execz .LBB36_91
	s_branch .LBB36_93
.LBB36_89:
                                        ; implicit-def: $vgpr22
                                        ; implicit-def: $vgpr20
                                        ; implicit-def: $vgpr18
	s_branch .LBB36_91
.LBB36_90:
	s_cbranch_execnz .LBB36_93
.LBB36_91:
	s_load_dwordx4 s[0:3], s[4:5], 0x4
	s_load_dwordx4 s[8:11], s[4:5], 0xc4
	s_cmp_lt_u32 s33, 2
	s_waitcnt lgkmcnt(0)
	v_mul_hi_u32 v1, s1, v24
	v_add_u32_e32 v1, v24, v1
	v_lshrrev_b32_e32 v1, s2, v1
	v_mul_lo_u32 v3, v1, s0
	v_sub_u32_e32 v3, v24, v3
	v_mul_lo_u32 v18, v3, s8
	v_mul_lo_u32 v22, v3, s10
	;; [unrolled: 1-line block ×3, first 2 shown]
	s_cbranch_scc1 .LBB36_93
; %bb.92:
	s_load_dwordx4 s[0:3], s[4:5], 0x10
	s_load_dwordx4 s[8:11], s[4:5], 0xd0
	s_waitcnt lgkmcnt(0)
	v_mul_hi_u32 v3, s1, v1
	v_add_u32_e32 v3, v1, v3
	v_lshrrev_b32_e32 v3, s2, v3
	v_mul_lo_u32 v3, v3, s0
	v_sub_u32_e32 v1, v1, v3
	v_mad_u64_u32 v[18:19], s[0:1], v1, s8, v[18:19]
	v_mad_u64_u32 v[20:21], s[0:1], v1, s9, v[20:21]
	;; [unrolled: 1-line block ×3, first 2 shown]
.LBB36_93:
	s_load_dwordx4 s[8:11], s[4:5], 0x188
	s_load_dwordx2 s[0:1], s[4:5], 0x198
	s_mov_b32 s6, 0x800000
	s_mov_b32 s7, 0x3f7ffffe
	s_or_b64 s[12:13], s[12:13], exec
	s_waitcnt lgkmcnt(0)
	v_mov_b32_e32 v3, s9
	global_load_ushort v1, v4, s[10:11]
	global_load_ushort v5, v10, s[10:11]
	;; [unrolled: 1-line block ×4, first 2 shown]
	global_load_dword v11, v2, s[0:1]
	global_load_dword v13, v8, s[0:1]
	;; [unrolled: 1-line block ×4, first 2 shown]
	v_add_co_u32_e32 v2, vcc, s8, v18
	v_addc_co_u32_e32 v3, vcc, 0, v3, vcc
	v_mov_b32_e32 v4, 0x800000
	v_mov_b32_e32 v8, 0x3f7ffffe
	s_movk_i32 s10, 0x7fff
	v_mov_b32_e32 v10, 0x7fc0
	s_waitcnt vmcnt(7)
	v_lshlrev_b32_e32 v1, 16, v1
	s_waitcnt vmcnt(6)
	v_lshlrev_b32_e32 v5, 16, v5
	;; [unrolled: 2-line block ×4, first 2 shown]
	s_waitcnt vmcnt(3)
	v_div_scale_f32 v14, s[0:1], v11, v11, v1
	v_rcp_f32_e32 v24, v14
	s_waitcnt vmcnt(2)
	v_div_scale_f32 v18, s[0:1], v13, v13, v5
	v_rcp_f32_e32 v25, v18
	;; [unrolled: 3-line block ×3, first 2 shown]
	v_fma_f32 v28, -v14, v24, 1.0
	v_div_scale_f32 v16, vcc, v1, v11, v1
	v_fmac_f32_e32 v24, v28, v24
	s_waitcnt vmcnt(0)
	v_div_scale_f32 v22, s[4:5], v17, v17, v9
	v_fma_f32 v29, -v18, v25, 1.0
	v_mul_f32_e32 v28, v16, v24
	v_div_scale_f32 v19, s[0:1], v5, v13, v5
	v_rcp_f32_e32 v27, v22
	v_fmac_f32_e32 v25, v29, v25
	v_fma_f32 v32, -v14, v28, v16
	v_fma_f32 v30, -v20, v26, 1.0
	v_mul_f32_e32 v29, v19, v25
	v_fmac_f32_e32 v28, v32, v24
	v_div_scale_f32 v21, s[2:3], v7, v15, v7
	v_fmac_f32_e32 v26, v30, v26
	v_fma_f32 v33, -v18, v29, v19
	v_fma_f32 v14, -v14, v28, v16
	v_mul_f32_e32 v30, v21, v26
	v_fmac_f32_e32 v29, v33, v25
	v_div_fmas_f32 v14, v14, v24, v28
	v_fma_f32 v31, -v22, v27, 1.0
	v_fma_f32 v34, -v20, v30, v21
	v_fma_f32 v16, -v18, v29, v19
	v_div_fixup_f32 v1, v14, v11, v1
	s_mov_b64 vcc, s[0:1]
	v_div_scale_f32 v23, s[4:5], v9, v17, v9
	v_fmac_f32_e32 v27, v31, v27
	v_fmac_f32_e32 v30, v34, v26
	v_div_fmas_f32 v11, v16, v25, v29
	v_cmp_ngt_f32_e32 vcc, s6, v1
	v_mul_f32_e32 v31, v23, v27
	v_fma_f32 v18, -v20, v30, v21
	v_cndmask_b32_e32 v1, v4, v1, vcc
	s_mov_b64 vcc, s[2:3]
	v_fma_f32 v35, -v22, v31, v23
	v_div_fixup_f32 v5, v11, v13, v5
	v_div_fmas_f32 v11, v18, v26, v30
	v_cmp_nlt_f32_e32 vcc, s7, v1
	v_fmac_f32_e32 v31, v35, v27
	v_cndmask_b32_e32 v13, v8, v1, vcc
	v_cmp_ngt_f32_e32 vcc, s6, v5
	v_fma_f32 v19, -v22, v31, v23
	v_cndmask_b32_e32 v1, v4, v5, vcc
	s_mov_b64 vcc, s[4:5]
	v_div_fixup_f32 v5, v11, v15, v7
	v_div_fmas_f32 v7, v19, v27, v31
	v_cmp_nlt_f32_e32 vcc, s7, v1
	v_cndmask_b32_e32 v11, v8, v1, vcc
	v_cmp_ngt_f32_e32 vcc, s6, v5
	v_cndmask_b32_e32 v1, v4, v5, vcc
	v_div_fixup_f32 v5, v7, v17, v9
	v_cmp_nlt_f32_e32 vcc, s7, v1
	v_cndmask_b32_e32 v9, v8, v1, vcc
	v_cmp_ngt_f32_e32 vcc, s6, v5
	v_bfe_u32 v7, v13, 16, 1
	v_cndmask_b32_e32 v1, v4, v5, vcc
	v_add3_u32 v4, v13, v7, s10
	v_bfe_u32 v5, v11, 16, 1
	v_cmp_nlt_f32_e32 vcc, s7, v1
	v_cndmask_b32_e32 v1, v8, v1, vcc
	v_lshrrev_b32_e32 v4, 16, v4
	v_add3_u32 v5, v11, v5, s10
	v_cmp_o_f32_e32 vcc, v13, v13
	v_cndmask_b32_e32 v4, v10, v4, vcc
	v_lshrrev_b32_e32 v5, 16, v5
	v_cmp_o_f32_e32 vcc, v11, v11
	global_store_short v0, v4, s[8:9]
	v_cndmask_b32_e32 v0, v10, v5, vcc
	global_store_short v6, v0, s[8:9]
	v_bfe_u32 v0, v9, 16, 1
	v_add3_u32 v0, v9, v0, s10
	v_lshrrev_b32_e32 v0, 16, v0
	v_cmp_o_f32_e32 vcc, v9, v9
	v_cndmask_b32_e32 v0, v10, v0, vcc
	global_store_short v12, v0, s[8:9]
	s_or_b64 exec, exec, s[14:15]
	s_and_saveexec_b64 s[0:1], s[12:13]
	s_cbranch_execz .LBB36_3
.LBB36_94:
	v_bfe_u32 v0, v1, 16, 1
	s_movk_i32 s0, 0x7fff
	v_add3_u32 v0, v1, v0, s0
	v_lshrrev_b32_e32 v0, 16, v0
	v_mov_b32_e32 v4, 0x7fc0
	v_cmp_o_f32_e32 vcc, v1, v1
	v_cndmask_b32_e32 v0, v4, v0, vcc
	global_store_short v[2:3], v0, off
	s_endpgm
	.section	.rodata,"a",@progbits
	.p2align	6, 0x0
	.amdhsa_kernel _ZN2at6native32elementwise_kernel_manual_unrollILi128ELi4EZNS0_12_GLOBAL__N_142type_specialized_broadcast_kernel_launcherILi2EE5applyIZZZNS0_23launch_dirichlet_kernelERNS_18TensorIteratorBaseEENKUlvE_clEvENKUlvE0_clEvEUlffE_St5arrayIPcLm3EESB_IN3c1010ScalarTypeELm3EE16OffsetCalculatorILi3EjLb0EEEEvlT_T0_T1_T2_EUlibE_EEviSL_
		.amdhsa_group_segment_fixed_size 0
		.amdhsa_private_segment_fixed_size 0
		.amdhsa_kernarg_size 432
		.amdhsa_user_sgpr_count 6
		.amdhsa_user_sgpr_private_segment_buffer 1
		.amdhsa_user_sgpr_dispatch_ptr 0
		.amdhsa_user_sgpr_queue_ptr 0
		.amdhsa_user_sgpr_kernarg_segment_ptr 1
		.amdhsa_user_sgpr_dispatch_id 0
		.amdhsa_user_sgpr_flat_scratch_init 0
		.amdhsa_user_sgpr_kernarg_preload_length 0
		.amdhsa_user_sgpr_kernarg_preload_offset 0
		.amdhsa_user_sgpr_private_segment_size 0
		.amdhsa_uses_dynamic_stack 0
		.amdhsa_system_sgpr_private_segment_wavefront_offset 0
		.amdhsa_system_sgpr_workgroup_id_x 1
		.amdhsa_system_sgpr_workgroup_id_y 0
		.amdhsa_system_sgpr_workgroup_id_z 0
		.amdhsa_system_sgpr_workgroup_info 0
		.amdhsa_system_vgpr_workitem_id 0
		.amdhsa_next_free_vgpr 36
		.amdhsa_next_free_sgpr 52
		.amdhsa_accum_offset 36
		.amdhsa_reserve_vcc 1
		.amdhsa_reserve_flat_scratch 0
		.amdhsa_float_round_mode_32 0
		.amdhsa_float_round_mode_16_64 0
		.amdhsa_float_denorm_mode_32 3
		.amdhsa_float_denorm_mode_16_64 3
		.amdhsa_dx10_clamp 1
		.amdhsa_ieee_mode 1
		.amdhsa_fp16_overflow 0
		.amdhsa_tg_split 0
		.amdhsa_exception_fp_ieee_invalid_op 0
		.amdhsa_exception_fp_denorm_src 0
		.amdhsa_exception_fp_ieee_div_zero 0
		.amdhsa_exception_fp_ieee_overflow 0
		.amdhsa_exception_fp_ieee_underflow 0
		.amdhsa_exception_fp_ieee_inexact 0
		.amdhsa_exception_int_div_zero 0
	.end_amdhsa_kernel
	.section	.text._ZN2at6native32elementwise_kernel_manual_unrollILi128ELi4EZNS0_12_GLOBAL__N_142type_specialized_broadcast_kernel_launcherILi2EE5applyIZZZNS0_23launch_dirichlet_kernelERNS_18TensorIteratorBaseEENKUlvE_clEvENKUlvE0_clEvEUlffE_St5arrayIPcLm3EESB_IN3c1010ScalarTypeELm3EE16OffsetCalculatorILi3EjLb0EEEEvlT_T0_T1_T2_EUlibE_EEviSL_,"axG",@progbits,_ZN2at6native32elementwise_kernel_manual_unrollILi128ELi4EZNS0_12_GLOBAL__N_142type_specialized_broadcast_kernel_launcherILi2EE5applyIZZZNS0_23launch_dirichlet_kernelERNS_18TensorIteratorBaseEENKUlvE_clEvENKUlvE0_clEvEUlffE_St5arrayIPcLm3EESB_IN3c1010ScalarTypeELm3EE16OffsetCalculatorILi3EjLb0EEEEvlT_T0_T1_T2_EUlibE_EEviSL_,comdat
.Lfunc_end36:
	.size	_ZN2at6native32elementwise_kernel_manual_unrollILi128ELi4EZNS0_12_GLOBAL__N_142type_specialized_broadcast_kernel_launcherILi2EE5applyIZZZNS0_23launch_dirichlet_kernelERNS_18TensorIteratorBaseEENKUlvE_clEvENKUlvE0_clEvEUlffE_St5arrayIPcLm3EESB_IN3c1010ScalarTypeELm3EE16OffsetCalculatorILi3EjLb0EEEEvlT_T0_T1_T2_EUlibE_EEviSL_, .Lfunc_end36-_ZN2at6native32elementwise_kernel_manual_unrollILi128ELi4EZNS0_12_GLOBAL__N_142type_specialized_broadcast_kernel_launcherILi2EE5applyIZZZNS0_23launch_dirichlet_kernelERNS_18TensorIteratorBaseEENKUlvE_clEvENKUlvE0_clEvEUlffE_St5arrayIPcLm3EESB_IN3c1010ScalarTypeELm3EE16OffsetCalculatorILi3EjLb0EEEEvlT_T0_T1_T2_EUlibE_EEviSL_
                                        ; -- End function
	.section	.AMDGPU.csdata,"",@progbits
; Kernel info:
; codeLenInByte = 5868
; NumSgprs: 56
; NumVgprs: 36
; NumAgprs: 0
; TotalNumVgprs: 36
; ScratchSize: 0
; MemoryBound: 0
; FloatMode: 240
; IeeeMode: 1
; LDSByteSize: 0 bytes/workgroup (compile time only)
; SGPRBlocks: 6
; VGPRBlocks: 4
; NumSGPRsForWavesPerEU: 56
; NumVGPRsForWavesPerEU: 36
; AccumOffset: 36
; Occupancy: 8
; WaveLimiterHint : 1
; COMPUTE_PGM_RSRC2:SCRATCH_EN: 0
; COMPUTE_PGM_RSRC2:USER_SGPR: 6
; COMPUTE_PGM_RSRC2:TRAP_HANDLER: 0
; COMPUTE_PGM_RSRC2:TGID_X_EN: 1
; COMPUTE_PGM_RSRC2:TGID_Y_EN: 0
; COMPUTE_PGM_RSRC2:TGID_Z_EN: 0
; COMPUTE_PGM_RSRC2:TIDIG_COMP_CNT: 0
; COMPUTE_PGM_RSRC3_GFX90A:ACCUM_OFFSET: 8
; COMPUTE_PGM_RSRC3_GFX90A:TG_SPLIT: 0
	.section	.text._ZN2at6native32elementwise_kernel_manual_unrollILi128ELi4EZNS0_12_GLOBAL__N_142type_specialized_broadcast_kernel_launcherILi3EE5applyIZZZNS0_23launch_dirichlet_kernelERNS_18TensorIteratorBaseEENKUlvE_clEvENKUlvE0_clEvEUlffE_St5arrayIPcLm3EESB_IN3c1010ScalarTypeELm3EE16OffsetCalculatorILi3EjLb0EEEEvlT_T0_T1_T2_EUlibE_EEviSL_,"axG",@progbits,_ZN2at6native32elementwise_kernel_manual_unrollILi128ELi4EZNS0_12_GLOBAL__N_142type_specialized_broadcast_kernel_launcherILi3EE5applyIZZZNS0_23launch_dirichlet_kernelERNS_18TensorIteratorBaseEENKUlvE_clEvENKUlvE0_clEvEUlffE_St5arrayIPcLm3EESB_IN3c1010ScalarTypeELm3EE16OffsetCalculatorILi3EjLb0EEEEvlT_T0_T1_T2_EUlibE_EEviSL_,comdat
	.globl	_ZN2at6native32elementwise_kernel_manual_unrollILi128ELi4EZNS0_12_GLOBAL__N_142type_specialized_broadcast_kernel_launcherILi3EE5applyIZZZNS0_23launch_dirichlet_kernelERNS_18TensorIteratorBaseEENKUlvE_clEvENKUlvE0_clEvEUlffE_St5arrayIPcLm3EESB_IN3c1010ScalarTypeELm3EE16OffsetCalculatorILi3EjLb0EEEEvlT_T0_T1_T2_EUlibE_EEviSL_ ; -- Begin function _ZN2at6native32elementwise_kernel_manual_unrollILi128ELi4EZNS0_12_GLOBAL__N_142type_specialized_broadcast_kernel_launcherILi3EE5applyIZZZNS0_23launch_dirichlet_kernelERNS_18TensorIteratorBaseEENKUlvE_clEvENKUlvE0_clEvEUlffE_St5arrayIPcLm3EESB_IN3c1010ScalarTypeELm3EE16OffsetCalculatorILi3EjLb0EEEEvlT_T0_T1_T2_EUlibE_EEviSL_
	.p2align	8
	.type	_ZN2at6native32elementwise_kernel_manual_unrollILi128ELi4EZNS0_12_GLOBAL__N_142type_specialized_broadcast_kernel_launcherILi3EE5applyIZZZNS0_23launch_dirichlet_kernelERNS_18TensorIteratorBaseEENKUlvE_clEvENKUlvE0_clEvEUlffE_St5arrayIPcLm3EESB_IN3c1010ScalarTypeELm3EE16OffsetCalculatorILi3EjLb0EEEEvlT_T0_T1_T2_EUlibE_EEviSL_,@function
_ZN2at6native32elementwise_kernel_manual_unrollILi128ELi4EZNS0_12_GLOBAL__N_142type_specialized_broadcast_kernel_launcherILi3EE5applyIZZZNS0_23launch_dirichlet_kernelERNS_18TensorIteratorBaseEENKUlvE_clEvENKUlvE0_clEvEUlffE_St5arrayIPcLm3EESB_IN3c1010ScalarTypeELm3EE16OffsetCalculatorILi3EjLb0EEEEvlT_T0_T1_T2_EUlibE_EEviSL_: ; @_ZN2at6native32elementwise_kernel_manual_unrollILi128ELi4EZNS0_12_GLOBAL__N_142type_specialized_broadcast_kernel_launcherILi3EE5applyIZZZNS0_23launch_dirichlet_kernelERNS_18TensorIteratorBaseEENKUlvE_clEvENKUlvE0_clEvEUlffE_St5arrayIPcLm3EESB_IN3c1010ScalarTypeELm3EE16OffsetCalculatorILi3EjLb0EEEEvlT_T0_T1_T2_EUlibE_EEviSL_
; %bb.0:
	s_load_dword s36, s[4:5], 0x0
	s_load_dword s33, s[4:5], 0x8
	s_or_b32 s4, s4, 8
	v_lshl_or_b32 v12, s6, 9, v0
	v_or_b32_e32 v24, 0x180, v12
	s_waitcnt lgkmcnt(0)
	v_cmp_le_i32_e32 vcc, s36, v24
	s_add_i32 s34, s33, -1
	s_cmp_gt_u32 s34, 1
	s_cselect_b64 s[6:7], -1, 0
	s_and_saveexec_b64 s[0:1], vcc
	s_xor_b64 s[16:17], exec, s[0:1]
	s_cbranch_execz .LBB37_50
; %bb.1:
	s_load_dwordx4 s[12:15], s[4:5], 0x4
	s_load_dwordx2 s[22:23], s[4:5], 0x14
	s_load_dwordx4 s[8:11], s[4:5], 0xc4
	s_load_dwordx2 s[20:21], s[4:5], 0xd4
	s_load_dwordx2 s[18:19], s[4:5], 0x198
	s_load_dwordx4 s[0:3], s[4:5], 0x188
	s_cmp_lg_u32 s33, 0
	s_cselect_b64 s[26:27], -1, 0
	s_min_u32 s35, s34, 15
	s_cmp_gt_u32 s33, 1
	s_cselect_b64 s[24:25], -1, 0
	v_cmp_gt_i32_e32 vcc, s36, v12
	s_and_saveexec_b64 s[28:29], vcc
	s_cbranch_execnz .LBB37_5
; %bb.2:
	s_or_b64 exec, exec, s[28:29]
	v_cmp_gt_i32_e32 vcc, s36, v12
	s_and_saveexec_b64 s[28:29], vcc
	s_cbranch_execnz .LBB37_16
.LBB37_3:
	s_or_b64 exec, exec, s[28:29]
	v_cmp_gt_i32_e32 vcc, s36, v12
	s_and_saveexec_b64 s[28:29], vcc
	s_cbranch_execnz .LBB37_27
.LBB37_4:
	s_or_b64 exec, exec, s[28:29]
	v_cmp_gt_i32_e32 vcc, s36, v12
	s_and_saveexec_b64 s[28:29], vcc
	s_cbranch_execnz .LBB37_38
	s_branch .LBB37_49
.LBB37_5:
	s_andn2_b64 vcc, exec, s[6:7]
	s_cbranch_vccnz .LBB37_12
; %bb.6:
	s_andn2_b64 vcc, exec, s[26:27]
	v_mov_b32_e32 v2, 0
	v_mov_b32_e32 v4, 0
	;; [unrolled: 1-line block ×3, first 2 shown]
	s_cbranch_vccnz .LBB37_11
; %bb.7:
	s_add_i32 s30, s35, 1
	s_and_b32 s37, s30, 30
	s_add_u32 s30, s4, 0xffffffec
	s_addc_u32 s31, s5, -1
	v_mov_b32_e32 v0, 0
	v_mov_b32_e32 v1, v12
	;; [unrolled: 1-line block ×4, first 2 shown]
.LBB37_8:                               ; =>This Inner Loop Header: Depth=1
	s_mov_b64 s[38:39], s[30:31]
	s_load_dwordx4 s[40:43], s[38:39], 0x18
	s_load_dwordx2 s[48:49], s[38:39], 0x28
	s_load_dwordx2 s[50:51], s[38:39], 0xe8
	s_load_dwordx4 s[44:47], s[38:39], 0xd8
	s_add_u32 s30, s38, 24
	s_waitcnt lgkmcnt(0)
	v_mul_hi_u32 v3, s41, v1
	v_add_u32_e32 v3, v1, v3
	v_lshrrev_b32_e32 v3, s42, v3
	v_mul_lo_u32 v5, v3, s40
	v_mul_hi_u32 v6, s48, v3
	v_sub_u32_e32 v1, v1, v5
	v_add_u32_e32 v5, v3, v6
	v_mul_lo_u32 v6, v1, s44
	v_mul_lo_u32 v7, v1, s45
	;; [unrolled: 1-line block ×3, first 2 shown]
	v_lshrrev_b32_e32 v1, s49, v5
	v_mul_lo_u32 v5, v1, s43
	v_sub_u32_e32 v3, v3, v5
	s_addc_u32 s31, s39, 0
	s_add_i32 s37, s37, -2
	v_mul_lo_u32 v5, v3, s47
	v_mul_lo_u32 v9, v3, s50
	;; [unrolled: 1-line block ×3, first 2 shown]
	s_cmp_lg_u32 s37, 0
	v_add3_u32 v0, v6, v0, v5
	v_add3_u32 v2, v8, v2, v3
	;; [unrolled: 1-line block ×3, first 2 shown]
	s_cbranch_scc1 .LBB37_8
; %bb.9:
	s_bitcmp1_b32 s35, 0
	s_cselect_b64 s[38:39], -1, 0
	s_and_b64 vcc, exec, s[38:39]
	s_cbranch_vccnz .LBB37_11
; %bb.10:
	s_load_dwordx2 s[38:39], s[30:31], 0x18
	s_load_dword s37, s[30:31], 0x20
	s_load_dword s42, s[30:31], 0xe0
	s_load_dwordx2 s[40:41], s[30:31], 0xd8
	s_waitcnt lgkmcnt(0)
	v_mul_hi_u32 v3, s39, v1
	v_add_u32_e32 v3, v1, v3
	v_lshrrev_b32_e32 v3, s37, v3
	v_mul_lo_u32 v3, v3, s38
	v_sub_u32_e32 v3, v1, v3
	v_mad_u64_u32 v[0:1], s[30:31], v3, s40, v[0:1]
	v_mad_u64_u32 v[4:5], s[30:31], v3, s41, v[4:5]
	;; [unrolled: 1-line block ×3, first 2 shown]
.LBB37_11:
	s_cbranch_execz .LBB37_13
	s_branch .LBB37_15
.LBB37_12:
                                        ; implicit-def: $vgpr2
                                        ; implicit-def: $vgpr4
                                        ; implicit-def: $vgpr0
.LBB37_13:
	s_waitcnt lgkmcnt(0)
	v_mul_hi_u32 v0, s13, v12
	v_add_u32_e32 v0, v12, v0
	v_lshrrev_b32_e32 v1, s14, v0
	v_mul_lo_u32 v0, v1, s12
	v_sub_u32_e32 v3, v12, v0
	v_mul_lo_u32 v0, v3, s8
	v_mul_lo_u32 v2, v3, s10
	s_andn2_b64 vcc, exec, s[24:25]
	v_mul_lo_u32 v4, v3, s9
	s_cbranch_vccnz .LBB37_15
; %bb.14:
	v_mul_hi_u32 v3, s22, v1
	v_add_u32_e32 v3, v1, v3
	v_lshrrev_b32_e32 v3, s23, v3
	v_mul_lo_u32 v3, v3, s15
	v_sub_u32_e32 v3, v1, v3
	v_mad_u64_u32 v[0:1], s[30:31], v3, s11, v[0:1]
	v_mad_u64_u32 v[4:5], s[30:31], v3, s20, v[4:5]
	;; [unrolled: 1-line block ×3, first 2 shown]
.LBB37_15:
	s_waitcnt lgkmcnt(0)
	global_load_ushort v1, v2, s[18:19]
	global_load_dword v3, v4, s[2:3]
	s_mov_b32 s37, 0x800000
	v_mov_b32_e32 v2, 0x800000
	s_mov_b32 s38, 0x3f7ffffe
	v_mov_b32_e32 v6, 0x3f7ffffe
	v_add_u32_e32 v12, 0x80, v12
	s_waitcnt vmcnt(1)
	v_cvt_f32_f16_e32 v1, v1
	s_waitcnt vmcnt(0)
	v_div_scale_f32 v4, s[30:31], v1, v1, v3
	v_rcp_f32_e32 v5, v4
	v_div_scale_f32 v7, vcc, v3, v1, v3
	v_fma_f32 v8, -v4, v5, 1.0
	v_fmac_f32_e32 v5, v8, v5
	v_mul_f32_e32 v8, v7, v5
	v_fma_f32 v9, -v4, v8, v7
	v_fmac_f32_e32 v8, v9, v5
	v_fma_f32 v4, -v4, v8, v7
	v_div_fmas_f32 v4, v4, v5, v8
	v_div_fixup_f32 v1, v4, v1, v3
	v_cmp_ngt_f32_e32 vcc, s37, v1
	v_cndmask_b32_e32 v1, v2, v1, vcc
	v_cmp_nlt_f32_e32 vcc, s38, v1
	v_cndmask_b32_e32 v1, v6, v1, vcc
	global_store_dword v0, v1, s[0:1]
	s_or_b64 exec, exec, s[28:29]
	v_cmp_gt_i32_e32 vcc, s36, v12
	s_and_saveexec_b64 s[28:29], vcc
	s_cbranch_execz .LBB37_3
.LBB37_16:
	s_andn2_b64 vcc, exec, s[6:7]
	s_cbranch_vccnz .LBB37_23
; %bb.17:
	s_andn2_b64 vcc, exec, s[26:27]
	v_mov_b32_e32 v2, 0
	v_mov_b32_e32 v4, 0
	;; [unrolled: 1-line block ×3, first 2 shown]
	s_cbranch_vccnz .LBB37_22
; %bb.18:
	s_add_i32 s30, s35, 1
	s_and_b32 s37, s30, 30
	s_add_u32 s30, s4, 0xffffffec
	s_addc_u32 s31, s5, -1
	v_mov_b32_e32 v0, 0
	v_mov_b32_e32 v1, v12
	v_mov_b32_e32 v4, 0
	v_mov_b32_e32 v2, 0
.LBB37_19:                              ; =>This Inner Loop Header: Depth=1
	s_mov_b64 s[38:39], s[30:31]
	s_load_dwordx4 s[40:43], s[38:39], 0x18
	s_load_dwordx2 s[48:49], s[38:39], 0x28
	s_load_dwordx2 s[50:51], s[38:39], 0xe8
	s_load_dwordx4 s[44:47], s[38:39], 0xd8
	s_add_u32 s30, s38, 24
	s_waitcnt lgkmcnt(0)
	v_mul_hi_u32 v3, s41, v1
	v_add_u32_e32 v3, v1, v3
	v_lshrrev_b32_e32 v3, s42, v3
	v_mul_lo_u32 v5, v3, s40
	v_mul_hi_u32 v6, s48, v3
	v_sub_u32_e32 v1, v1, v5
	v_add_u32_e32 v5, v3, v6
	v_mul_lo_u32 v6, v1, s44
	v_mul_lo_u32 v7, v1, s45
	;; [unrolled: 1-line block ×3, first 2 shown]
	v_lshrrev_b32_e32 v1, s49, v5
	v_mul_lo_u32 v5, v1, s43
	v_sub_u32_e32 v3, v3, v5
	s_addc_u32 s31, s39, 0
	s_add_i32 s37, s37, -2
	v_mul_lo_u32 v5, v3, s47
	v_mul_lo_u32 v9, v3, s50
	;; [unrolled: 1-line block ×3, first 2 shown]
	s_cmp_eq_u32 s37, 0
	v_add3_u32 v0, v6, v0, v5
	v_add3_u32 v2, v8, v2, v3
	;; [unrolled: 1-line block ×3, first 2 shown]
	s_cbranch_scc0 .LBB37_19
; %bb.20:
	s_bitcmp1_b32 s35, 0
	s_cselect_b64 s[38:39], -1, 0
	s_and_b64 vcc, exec, s[38:39]
	s_cbranch_vccnz .LBB37_22
; %bb.21:
	s_load_dwordx2 s[38:39], s[30:31], 0x18
	s_load_dword s37, s[30:31], 0x20
	s_load_dword s42, s[30:31], 0xe0
	s_load_dwordx2 s[40:41], s[30:31], 0xd8
	s_waitcnt lgkmcnt(0)
	v_mul_hi_u32 v3, s39, v1
	v_add_u32_e32 v3, v1, v3
	v_lshrrev_b32_e32 v3, s37, v3
	v_mul_lo_u32 v3, v3, s38
	v_sub_u32_e32 v3, v1, v3
	v_mad_u64_u32 v[0:1], s[30:31], v3, s40, v[0:1]
	v_mad_u64_u32 v[4:5], s[30:31], v3, s41, v[4:5]
	;; [unrolled: 1-line block ×3, first 2 shown]
.LBB37_22:
	s_cbranch_execz .LBB37_24
	s_branch .LBB37_26
.LBB37_23:
                                        ; implicit-def: $vgpr2
                                        ; implicit-def: $vgpr4
                                        ; implicit-def: $vgpr0
.LBB37_24:
	s_waitcnt lgkmcnt(0)
	v_mul_hi_u32 v0, s13, v12
	v_add_u32_e32 v0, v12, v0
	v_lshrrev_b32_e32 v1, s14, v0
	v_mul_lo_u32 v0, v1, s12
	v_sub_u32_e32 v3, v12, v0
	v_mul_lo_u32 v0, v3, s8
	v_mul_lo_u32 v2, v3, s10
	s_andn2_b64 vcc, exec, s[24:25]
	v_mul_lo_u32 v4, v3, s9
	s_cbranch_vccnz .LBB37_26
; %bb.25:
	v_mul_hi_u32 v3, s22, v1
	v_add_u32_e32 v3, v1, v3
	v_lshrrev_b32_e32 v3, s23, v3
	v_mul_lo_u32 v3, v3, s15
	v_sub_u32_e32 v3, v1, v3
	v_mad_u64_u32 v[0:1], s[30:31], v3, s11, v[0:1]
	v_mad_u64_u32 v[4:5], s[30:31], v3, s20, v[4:5]
	;; [unrolled: 1-line block ×3, first 2 shown]
.LBB37_26:
	s_waitcnt lgkmcnt(0)
	global_load_ushort v1, v2, s[18:19]
	global_load_dword v3, v4, s[2:3]
	s_mov_b32 s37, 0x800000
	v_mov_b32_e32 v2, 0x800000
	s_mov_b32 s38, 0x3f7ffffe
	v_mov_b32_e32 v6, 0x3f7ffffe
	v_add_u32_e32 v12, 0x80, v12
	s_waitcnt vmcnt(1)
	v_cvt_f32_f16_e32 v1, v1
	s_waitcnt vmcnt(0)
	v_div_scale_f32 v4, s[30:31], v1, v1, v3
	v_rcp_f32_e32 v5, v4
	v_div_scale_f32 v7, vcc, v3, v1, v3
	v_fma_f32 v8, -v4, v5, 1.0
	v_fmac_f32_e32 v5, v8, v5
	v_mul_f32_e32 v8, v7, v5
	v_fma_f32 v9, -v4, v8, v7
	v_fmac_f32_e32 v8, v9, v5
	v_fma_f32 v4, -v4, v8, v7
	v_div_fmas_f32 v4, v4, v5, v8
	v_div_fixup_f32 v1, v4, v1, v3
	v_cmp_ngt_f32_e32 vcc, s37, v1
	v_cndmask_b32_e32 v1, v2, v1, vcc
	v_cmp_nlt_f32_e32 vcc, s38, v1
	v_cndmask_b32_e32 v1, v6, v1, vcc
	global_store_dword v0, v1, s[0:1]
	s_or_b64 exec, exec, s[28:29]
	v_cmp_gt_i32_e32 vcc, s36, v12
	s_and_saveexec_b64 s[28:29], vcc
	s_cbranch_execz .LBB37_4
.LBB37_27:
	s_andn2_b64 vcc, exec, s[6:7]
	s_cbranch_vccnz .LBB37_34
; %bb.28:
	s_andn2_b64 vcc, exec, s[26:27]
	v_mov_b32_e32 v2, 0
	v_mov_b32_e32 v4, 0
	;; [unrolled: 1-line block ×3, first 2 shown]
	s_cbranch_vccnz .LBB37_33
; %bb.29:
	s_add_i32 s30, s35, 1
	s_and_b32 s37, s30, 30
	s_add_u32 s30, s4, 0xffffffec
	s_addc_u32 s31, s5, -1
	v_mov_b32_e32 v0, 0
	v_mov_b32_e32 v1, v12
	;; [unrolled: 1-line block ×4, first 2 shown]
.LBB37_30:                              ; =>This Inner Loop Header: Depth=1
	s_mov_b64 s[38:39], s[30:31]
	s_load_dwordx4 s[40:43], s[38:39], 0x18
	s_load_dwordx2 s[48:49], s[38:39], 0x28
	s_load_dwordx2 s[50:51], s[38:39], 0xe8
	s_load_dwordx4 s[44:47], s[38:39], 0xd8
	s_add_u32 s30, s38, 24
	s_waitcnt lgkmcnt(0)
	v_mul_hi_u32 v3, s41, v1
	v_add_u32_e32 v3, v1, v3
	v_lshrrev_b32_e32 v3, s42, v3
	v_mul_lo_u32 v5, v3, s40
	v_mul_hi_u32 v6, s48, v3
	v_sub_u32_e32 v1, v1, v5
	v_add_u32_e32 v5, v3, v6
	v_mul_lo_u32 v6, v1, s44
	v_mul_lo_u32 v7, v1, s45
	;; [unrolled: 1-line block ×3, first 2 shown]
	v_lshrrev_b32_e32 v1, s49, v5
	v_mul_lo_u32 v5, v1, s43
	v_sub_u32_e32 v3, v3, v5
	s_addc_u32 s31, s39, 0
	s_add_i32 s37, s37, -2
	v_mul_lo_u32 v5, v3, s47
	v_mul_lo_u32 v9, v3, s50
	v_mul_lo_u32 v3, v3, s51
	s_cmp_eq_u32 s37, 0
	v_add3_u32 v0, v6, v0, v5
	v_add3_u32 v2, v8, v2, v3
	;; [unrolled: 1-line block ×3, first 2 shown]
	s_cbranch_scc0 .LBB37_30
; %bb.31:
	s_bitcmp1_b32 s35, 0
	s_cselect_b64 s[38:39], -1, 0
	s_and_b64 vcc, exec, s[38:39]
	s_cbranch_vccnz .LBB37_33
; %bb.32:
	s_load_dwordx2 s[38:39], s[30:31], 0x18
	s_load_dword s37, s[30:31], 0x20
	s_load_dword s42, s[30:31], 0xe0
	s_load_dwordx2 s[40:41], s[30:31], 0xd8
	s_waitcnt lgkmcnt(0)
	v_mul_hi_u32 v3, s39, v1
	v_add_u32_e32 v3, v1, v3
	v_lshrrev_b32_e32 v3, s37, v3
	v_mul_lo_u32 v3, v3, s38
	v_sub_u32_e32 v3, v1, v3
	v_mad_u64_u32 v[0:1], s[30:31], v3, s40, v[0:1]
	v_mad_u64_u32 v[4:5], s[30:31], v3, s41, v[4:5]
	;; [unrolled: 1-line block ×3, first 2 shown]
.LBB37_33:
	s_cbranch_execz .LBB37_35
	s_branch .LBB37_37
.LBB37_34:
                                        ; implicit-def: $vgpr2
                                        ; implicit-def: $vgpr4
                                        ; implicit-def: $vgpr0
.LBB37_35:
	s_waitcnt lgkmcnt(0)
	v_mul_hi_u32 v0, s13, v12
	v_add_u32_e32 v0, v12, v0
	v_lshrrev_b32_e32 v1, s14, v0
	v_mul_lo_u32 v0, v1, s12
	v_sub_u32_e32 v3, v12, v0
	v_mul_lo_u32 v0, v3, s8
	v_mul_lo_u32 v2, v3, s10
	s_andn2_b64 vcc, exec, s[24:25]
	v_mul_lo_u32 v4, v3, s9
	s_cbranch_vccnz .LBB37_37
; %bb.36:
	v_mul_hi_u32 v3, s22, v1
	v_add_u32_e32 v3, v1, v3
	v_lshrrev_b32_e32 v3, s23, v3
	v_mul_lo_u32 v3, v3, s15
	v_sub_u32_e32 v3, v1, v3
	v_mad_u64_u32 v[0:1], s[30:31], v3, s11, v[0:1]
	v_mad_u64_u32 v[4:5], s[30:31], v3, s20, v[4:5]
	;; [unrolled: 1-line block ×3, first 2 shown]
.LBB37_37:
	s_waitcnt lgkmcnt(0)
	global_load_ushort v1, v2, s[18:19]
	global_load_dword v3, v4, s[2:3]
	s_mov_b32 s37, 0x800000
	v_mov_b32_e32 v2, 0x800000
	s_mov_b32 s38, 0x3f7ffffe
	v_mov_b32_e32 v6, 0x3f7ffffe
	v_add_u32_e32 v12, 0x80, v12
	s_waitcnt vmcnt(1)
	v_cvt_f32_f16_e32 v1, v1
	s_waitcnt vmcnt(0)
	v_div_scale_f32 v4, s[30:31], v1, v1, v3
	v_rcp_f32_e32 v5, v4
	v_div_scale_f32 v7, vcc, v3, v1, v3
	v_fma_f32 v8, -v4, v5, 1.0
	v_fmac_f32_e32 v5, v8, v5
	v_mul_f32_e32 v8, v7, v5
	v_fma_f32 v9, -v4, v8, v7
	v_fmac_f32_e32 v8, v9, v5
	v_fma_f32 v4, -v4, v8, v7
	v_div_fmas_f32 v4, v4, v5, v8
	v_div_fixup_f32 v1, v4, v1, v3
	v_cmp_ngt_f32_e32 vcc, s37, v1
	v_cndmask_b32_e32 v1, v2, v1, vcc
	v_cmp_nlt_f32_e32 vcc, s38, v1
	v_cndmask_b32_e32 v1, v6, v1, vcc
	global_store_dword v0, v1, s[0:1]
	s_or_b64 exec, exec, s[28:29]
	v_cmp_gt_i32_e32 vcc, s36, v12
	s_and_saveexec_b64 s[28:29], vcc
	s_cbranch_execz .LBB37_49
.LBB37_38:
	s_andn2_b64 vcc, exec, s[6:7]
	s_cbranch_vccnz .LBB37_45
; %bb.39:
	s_andn2_b64 vcc, exec, s[26:27]
	v_mov_b32_e32 v2, 0
	v_mov_b32_e32 v4, 0
	;; [unrolled: 1-line block ×3, first 2 shown]
	s_cbranch_vccnz .LBB37_44
; %bb.40:
	s_add_i32 s26, s35, 1
	s_and_b32 s30, s26, 30
	s_add_u32 s26, s4, 0xffffffec
	s_addc_u32 s27, s5, -1
	v_mov_b32_e32 v0, 0
	v_mov_b32_e32 v1, v12
	;; [unrolled: 1-line block ×4, first 2 shown]
.LBB37_41:                              ; =>This Inner Loop Header: Depth=1
	s_mov_b64 s[44:45], s[26:27]
	s_load_dwordx4 s[36:39], s[44:45], 0x18
	s_load_dwordx2 s[46:47], s[44:45], 0x28
	s_load_dwordx2 s[48:49], s[44:45], 0xe8
	s_load_dwordx4 s[40:43], s[44:45], 0xd8
	s_add_u32 s26, s44, 24
	s_waitcnt lgkmcnt(0)
	v_mul_hi_u32 v3, s37, v1
	v_add_u32_e32 v3, v1, v3
	v_lshrrev_b32_e32 v3, s38, v3
	v_mul_lo_u32 v5, v3, s36
	v_mul_hi_u32 v6, s46, v3
	v_sub_u32_e32 v1, v1, v5
	v_add_u32_e32 v5, v3, v6
	v_mul_lo_u32 v6, v1, s40
	v_mul_lo_u32 v7, v1, s41
	;; [unrolled: 1-line block ×3, first 2 shown]
	v_lshrrev_b32_e32 v1, s47, v5
	v_mul_lo_u32 v5, v1, s39
	v_sub_u32_e32 v3, v3, v5
	s_addc_u32 s27, s45, 0
	s_add_i32 s30, s30, -2
	v_mul_lo_u32 v5, v3, s43
	v_mul_lo_u32 v9, v3, s48
	;; [unrolled: 1-line block ×3, first 2 shown]
	s_cmp_eq_u32 s30, 0
	v_add3_u32 v0, v6, v0, v5
	v_add3_u32 v2, v8, v2, v3
	;; [unrolled: 1-line block ×3, first 2 shown]
	s_cbranch_scc0 .LBB37_41
; %bb.42:
	s_bitcmp1_b32 s35, 0
	s_cselect_b64 s[30:31], -1, 0
	s_and_b64 vcc, exec, s[30:31]
	s_cbranch_vccnz .LBB37_44
; %bb.43:
	s_load_dwordx2 s[30:31], s[26:27], 0x18
	s_load_dword s35, s[26:27], 0x20
	s_load_dword s38, s[26:27], 0xe0
	s_load_dwordx2 s[36:37], s[26:27], 0xd8
	s_waitcnt lgkmcnt(0)
	v_mul_hi_u32 v3, s31, v1
	v_add_u32_e32 v3, v1, v3
	v_lshrrev_b32_e32 v3, s35, v3
	v_mul_lo_u32 v3, v3, s30
	v_sub_u32_e32 v3, v1, v3
	v_mad_u64_u32 v[0:1], s[26:27], v3, s36, v[0:1]
	v_mad_u64_u32 v[4:5], s[26:27], v3, s37, v[4:5]
	;; [unrolled: 1-line block ×3, first 2 shown]
.LBB37_44:
	s_cbranch_execz .LBB37_46
	s_branch .LBB37_48
.LBB37_45:
                                        ; implicit-def: $vgpr2
                                        ; implicit-def: $vgpr4
                                        ; implicit-def: $vgpr0
.LBB37_46:
	s_waitcnt lgkmcnt(0)
	v_mul_hi_u32 v0, s13, v12
	v_add_u32_e32 v0, v12, v0
	v_lshrrev_b32_e32 v1, s14, v0
	v_mul_lo_u32 v0, v1, s12
	v_sub_u32_e32 v3, v12, v0
	v_mul_lo_u32 v0, v3, s8
	v_mul_lo_u32 v2, v3, s10
	s_andn2_b64 vcc, exec, s[24:25]
	v_mul_lo_u32 v4, v3, s9
	s_cbranch_vccnz .LBB37_48
; %bb.47:
	v_mul_hi_u32 v3, s22, v1
	v_add_u32_e32 v3, v1, v3
	v_lshrrev_b32_e32 v3, s23, v3
	v_mul_lo_u32 v3, v3, s15
	v_sub_u32_e32 v3, v1, v3
	v_mad_u64_u32 v[0:1], s[8:9], v3, s11, v[0:1]
	v_mad_u64_u32 v[4:5], s[8:9], v3, s20, v[4:5]
	;; [unrolled: 1-line block ×3, first 2 shown]
.LBB37_48:
	s_waitcnt lgkmcnt(0)
	global_load_ushort v1, v2, s[18:19]
	global_load_dword v3, v4, s[2:3]
	s_mov_b32 s8, 0x800000
	v_mov_b32_e32 v2, 0x800000
	s_mov_b32 s9, 0x3f7ffffe
	v_mov_b32_e32 v6, 0x3f7ffffe
	s_waitcnt vmcnt(1)
	v_cvt_f32_f16_e32 v1, v1
	s_waitcnt vmcnt(0)
	v_div_scale_f32 v4, s[2:3], v1, v1, v3
	v_rcp_f32_e32 v5, v4
	v_div_scale_f32 v7, vcc, v3, v1, v3
	v_fma_f32 v8, -v4, v5, 1.0
	v_fmac_f32_e32 v5, v8, v5
	v_mul_f32_e32 v8, v7, v5
	v_fma_f32 v9, -v4, v8, v7
	v_fmac_f32_e32 v8, v9, v5
	v_fma_f32 v4, -v4, v8, v7
	v_div_fmas_f32 v4, v4, v5, v8
	v_div_fixup_f32 v1, v4, v1, v3
	v_cmp_ngt_f32_e32 vcc, s8, v1
	v_cndmask_b32_e32 v1, v2, v1, vcc
	v_cmp_nlt_f32_e32 vcc, s9, v1
	v_cndmask_b32_e32 v1, v6, v1, vcc
	global_store_dword v0, v1, s[0:1]
.LBB37_49:
	s_or_b64 exec, exec, s[28:29]
                                        ; implicit-def: $vgpr24
                                        ; implicit-def: $vgpr12
.LBB37_50:
	s_waitcnt lgkmcnt(0)
	s_andn2_saveexec_b64 s[0:1], s[16:17]
	s_cbranch_execz .LBB37_57
; %bb.51:
	v_cndmask_b32_e64 v0, 0, 1, s[6:7]
	v_cmp_ne_u32_e64 s[0:1], 1, v0
	s_andn2_b64 vcc, exec, s[6:7]
	s_cbranch_vccnz .LBB37_58
; %bb.52:
	s_cmp_lg_u32 s33, 0
	v_mov_b32_e32 v2, 0
	v_mov_b32_e32 v4, 0
	;; [unrolled: 1-line block ×3, first 2 shown]
	s_cbranch_scc0 .LBB37_59
; %bb.53:
	s_min_u32 s6, s34, 15
	s_add_i32 s2, s6, 1
	s_and_b32 s7, s2, 30
	s_add_u32 s2, s4, 0xffffffec
	s_addc_u32 s3, s5, -1
	v_mov_b32_e32 v0, 0
	v_mov_b32_e32 v1, v12
	;; [unrolled: 1-line block ×4, first 2 shown]
.LBB37_54:                              ; =>This Inner Loop Header: Depth=1
	s_mov_b64 s[16:17], s[2:3]
	s_load_dwordx4 s[8:11], s[16:17], 0x18
	s_load_dwordx2 s[18:19], s[16:17], 0x28
	s_load_dwordx2 s[20:21], s[16:17], 0xe8
	s_load_dwordx4 s[12:15], s[16:17], 0xd8
	s_add_u32 s2, s16, 24
	s_waitcnt lgkmcnt(0)
	v_mul_hi_u32 v3, s9, v1
	v_add_u32_e32 v3, v1, v3
	v_lshrrev_b32_e32 v3, s10, v3
	v_mul_lo_u32 v5, v3, s8
	v_mul_hi_u32 v6, s18, v3
	v_sub_u32_e32 v1, v1, v5
	v_add_u32_e32 v5, v3, v6
	v_mul_lo_u32 v6, v1, s12
	v_mul_lo_u32 v7, v1, s13
	;; [unrolled: 1-line block ×3, first 2 shown]
	v_lshrrev_b32_e32 v1, s19, v5
	v_mul_lo_u32 v5, v1, s11
	v_sub_u32_e32 v3, v3, v5
	s_addc_u32 s3, s17, 0
	s_add_i32 s7, s7, -2
	v_mul_lo_u32 v5, v3, s15
	v_mul_lo_u32 v9, v3, s20
	;; [unrolled: 1-line block ×3, first 2 shown]
	s_cmp_lg_u32 s7, 0
	v_add3_u32 v0, v6, v0, v5
	v_add3_u32 v2, v8, v2, v3
	;; [unrolled: 1-line block ×3, first 2 shown]
	s_cbranch_scc1 .LBB37_54
; %bb.55:
	s_bitcmp1_b32 s6, 0
	s_cselect_b64 s[6:7], -1, 0
	s_and_b64 vcc, exec, s[6:7]
	s_cbranch_vccnz .LBB37_59
; %bb.56:
	s_load_dwordx2 s[6:7], s[2:3], 0x18
	s_load_dword s10, s[2:3], 0x20
	s_load_dword s11, s[2:3], 0xe0
	s_load_dwordx2 s[8:9], s[2:3], 0xd8
	s_waitcnt lgkmcnt(0)
	v_mul_hi_u32 v3, s7, v1
	v_add_u32_e32 v3, v1, v3
	v_lshrrev_b32_e32 v3, s10, v3
	v_mul_lo_u32 v3, v3, s6
	v_sub_u32_e32 v3, v1, v3
	v_mad_u64_u32 v[0:1], s[2:3], v3, s8, v[0:1]
	v_mad_u64_u32 v[4:5], s[2:3], v3, s9, v[4:5]
	;; [unrolled: 1-line block ×3, first 2 shown]
	s_cbranch_execz .LBB37_60
	s_branch .LBB37_62
.LBB37_57:
	s_endpgm
.LBB37_58:
                                        ; implicit-def: $vgpr2
                                        ; implicit-def: $vgpr4
                                        ; implicit-def: $vgpr0
	s_branch .LBB37_60
.LBB37_59:
	s_cbranch_execnz .LBB37_62
.LBB37_60:
	s_load_dwordx4 s[8:11], s[4:5], 0x4
	s_load_dwordx4 s[12:15], s[4:5], 0xc4
	s_cmp_lt_u32 s33, 2
	s_waitcnt lgkmcnt(0)
	v_mul_hi_u32 v0, s9, v12
	v_add_u32_e32 v0, v12, v0
	v_lshrrev_b32_e32 v1, s10, v0
	v_mul_lo_u32 v0, v1, s8
	v_sub_u32_e32 v3, v12, v0
	v_mul_lo_u32 v0, v3, s12
	v_mul_lo_u32 v2, v3, s14
	;; [unrolled: 1-line block ×3, first 2 shown]
	s_cbranch_scc1 .LBB37_62
; %bb.61:
	s_load_dwordx4 s[8:11], s[4:5], 0x10
	s_load_dwordx4 s[12:15], s[4:5], 0xd0
	s_waitcnt lgkmcnt(0)
	v_mul_hi_u32 v3, s9, v1
	v_add_u32_e32 v3, v1, v3
	v_lshrrev_b32_e32 v3, s10, v3
	v_mul_lo_u32 v3, v3, s8
	v_sub_u32_e32 v3, v1, v3
	v_mad_u64_u32 v[0:1], s[2:3], v3, s12, v[0:1]
	v_mad_u64_u32 v[4:5], s[2:3], v3, s13, v[4:5]
	v_mad_u64_u32 v[2:3], s[2:3], v3, s14, v[2:3]
.LBB37_62:
	s_and_b64 vcc, exec, s[0:1]
	v_add_u32_e32 v1, 0x80, v12
	s_cbranch_vccnz .LBB37_68
; %bb.63:
	s_cmp_lg_u32 s33, 0
	v_mov_b32_e32 v10, 0
	v_mov_b32_e32 v8, 0
	;; [unrolled: 1-line block ×3, first 2 shown]
	s_cbranch_scc0 .LBB37_69
; %bb.64:
	s_min_u32 s6, s34, 15
	s_add_i32 s2, s6, 1
	s_and_b32 s7, s2, 30
	s_add_u32 s2, s4, 0xffffffec
	s_addc_u32 s3, s5, -1
	v_mov_b32_e32 v6, 0
	v_mov_b32_e32 v3, v1
	;; [unrolled: 1-line block ×4, first 2 shown]
.LBB37_65:                              ; =>This Inner Loop Header: Depth=1
	s_mov_b64 s[16:17], s[2:3]
	s_load_dwordx4 s[8:11], s[16:17], 0x18
	s_load_dwordx2 s[18:19], s[16:17], 0x28
	s_load_dwordx2 s[20:21], s[16:17], 0xe8
	s_load_dwordx4 s[12:15], s[16:17], 0xd8
	s_add_u32 s2, s16, 24
	s_waitcnt lgkmcnt(0)
	v_mul_hi_u32 v5, s9, v3
	v_add_u32_e32 v5, v3, v5
	v_lshrrev_b32_e32 v5, s10, v5
	v_mul_lo_u32 v7, v5, s8
	v_mul_hi_u32 v9, s18, v5
	v_sub_u32_e32 v3, v3, v7
	v_add_u32_e32 v7, v5, v9
	v_mul_lo_u32 v9, v3, s12
	v_mul_lo_u32 v11, v3, s13
	v_mul_lo_u32 v13, v3, s14
	v_lshrrev_b32_e32 v3, s19, v7
	v_mul_lo_u32 v7, v3, s11
	v_sub_u32_e32 v5, v5, v7
	s_addc_u32 s3, s17, 0
	s_add_i32 s7, s7, -2
	v_mul_lo_u32 v7, v5, s15
	v_mul_lo_u32 v14, v5, s20
	v_mul_lo_u32 v5, v5, s21
	s_cmp_lg_u32 s7, 0
	v_add3_u32 v6, v9, v6, v7
	v_add3_u32 v10, v13, v10, v5
	;; [unrolled: 1-line block ×3, first 2 shown]
	s_cbranch_scc1 .LBB37_65
; %bb.66:
	s_bitcmp1_b32 s6, 0
	s_cselect_b64 s[6:7], -1, 0
	s_and_b64 vcc, exec, s[6:7]
	s_cbranch_vccnz .LBB37_69
; %bb.67:
	s_load_dwordx2 s[6:7], s[2:3], 0x18
	s_load_dword s10, s[2:3], 0x20
	s_load_dword s11, s[2:3], 0xe0
	s_load_dwordx2 s[8:9], s[2:3], 0xd8
	s_waitcnt lgkmcnt(0)
	v_mul_hi_u32 v5, s7, v3
	v_add_u32_e32 v5, v3, v5
	v_lshrrev_b32_e32 v5, s10, v5
	v_mul_lo_u32 v5, v5, s6
	v_sub_u32_e32 v3, v3, v5
	v_mad_u64_u32 v[6:7], s[2:3], v3, s8, v[6:7]
	v_mad_u64_u32 v[8:9], s[2:3], v3, s9, v[8:9]
	;; [unrolled: 1-line block ×3, first 2 shown]
	s_cbranch_execz .LBB37_70
	s_branch .LBB37_72
.LBB37_68:
                                        ; implicit-def: $vgpr10
                                        ; implicit-def: $vgpr8
                                        ; implicit-def: $vgpr6
	s_branch .LBB37_70
.LBB37_69:
	s_cbranch_execnz .LBB37_72
.LBB37_70:
	s_load_dwordx4 s[8:11], s[4:5], 0x4
	s_load_dwordx4 s[12:15], s[4:5], 0xc4
	s_cmp_lt_u32 s33, 2
	s_waitcnt lgkmcnt(0)
	v_mul_hi_u32 v3, s9, v1
	v_add_u32_e32 v3, v1, v3
	v_lshrrev_b32_e32 v3, s10, v3
	v_mul_lo_u32 v5, v3, s8
	v_sub_u32_e32 v1, v1, v5
	v_mul_lo_u32 v6, v1, s12
	v_mul_lo_u32 v10, v1, s14
	v_mul_lo_u32 v8, v1, s13
	s_cbranch_scc1 .LBB37_72
; %bb.71:
	s_load_dwordx4 s[8:11], s[4:5], 0x10
	s_load_dwordx4 s[12:15], s[4:5], 0xd0
	s_waitcnt lgkmcnt(0)
	v_mul_hi_u32 v1, s9, v3
	v_add_u32_e32 v1, v3, v1
	v_lshrrev_b32_e32 v1, s10, v1
	v_mul_lo_u32 v1, v1, s8
	v_sub_u32_e32 v1, v3, v1
	v_mad_u64_u32 v[6:7], s[2:3], v1, s12, v[6:7]
	v_mad_u64_u32 v[8:9], s[2:3], v1, s13, v[8:9]
	;; [unrolled: 1-line block ×3, first 2 shown]
.LBB37_72:
	s_and_b64 vcc, exec, s[0:1]
	v_add_u32_e32 v1, 0x100, v12
	s_cbranch_vccnz .LBB37_78
; %bb.73:
	s_cmp_lg_u32 s33, 0
	v_mov_b32_e32 v14, 0
	v_mov_b32_e32 v16, 0
	;; [unrolled: 1-line block ×3, first 2 shown]
	s_cbranch_scc0 .LBB37_79
; %bb.74:
	s_min_u32 s6, s34, 15
	s_add_i32 s2, s6, 1
	s_and_b32 s7, s2, 30
	s_add_u32 s2, s4, 0xffffffec
	s_addc_u32 s3, s5, -1
	v_mov_b32_e32 v12, 0
	v_mov_b32_e32 v3, v1
	;; [unrolled: 1-line block ×4, first 2 shown]
.LBB37_75:                              ; =>This Inner Loop Header: Depth=1
	s_mov_b64 s[16:17], s[2:3]
	s_load_dwordx4 s[8:11], s[16:17], 0x18
	s_load_dwordx2 s[18:19], s[16:17], 0x28
	s_load_dwordx2 s[20:21], s[16:17], 0xe8
	s_load_dwordx4 s[12:15], s[16:17], 0xd8
	s_add_u32 s2, s16, 24
	s_waitcnt lgkmcnt(0)
	v_mul_hi_u32 v5, s9, v3
	v_add_u32_e32 v5, v3, v5
	v_lshrrev_b32_e32 v5, s10, v5
	v_mul_lo_u32 v7, v5, s8
	v_mul_hi_u32 v9, s18, v5
	v_sub_u32_e32 v3, v3, v7
	v_add_u32_e32 v7, v5, v9
	v_mul_lo_u32 v9, v3, s12
	v_mul_lo_u32 v11, v3, s13
	;; [unrolled: 1-line block ×3, first 2 shown]
	v_lshrrev_b32_e32 v3, s19, v7
	v_mul_lo_u32 v7, v3, s11
	v_sub_u32_e32 v5, v5, v7
	s_addc_u32 s3, s17, 0
	s_add_i32 s7, s7, -2
	v_mul_lo_u32 v7, v5, s15
	v_mul_lo_u32 v15, v5, s20
	;; [unrolled: 1-line block ×3, first 2 shown]
	s_cmp_lg_u32 s7, 0
	v_add3_u32 v12, v9, v12, v7
	v_add3_u32 v14, v13, v14, v5
	;; [unrolled: 1-line block ×3, first 2 shown]
	s_cbranch_scc1 .LBB37_75
; %bb.76:
	s_bitcmp1_b32 s6, 0
	s_cselect_b64 s[6:7], -1, 0
	s_and_b64 vcc, exec, s[6:7]
	s_cbranch_vccnz .LBB37_79
; %bb.77:
	s_load_dwordx2 s[6:7], s[2:3], 0x18
	s_load_dword s10, s[2:3], 0x20
	s_load_dword s11, s[2:3], 0xe0
	s_load_dwordx2 s[8:9], s[2:3], 0xd8
	s_waitcnt lgkmcnt(0)
	v_mul_hi_u32 v5, s7, v3
	v_add_u32_e32 v5, v3, v5
	v_lshrrev_b32_e32 v5, s10, v5
	v_mul_lo_u32 v5, v5, s6
	v_sub_u32_e32 v3, v3, v5
	v_mad_u64_u32 v[12:13], s[2:3], v3, s8, v[12:13]
	v_mad_u64_u32 v[16:17], s[2:3], v3, s9, v[16:17]
	;; [unrolled: 1-line block ×3, first 2 shown]
	s_cbranch_execz .LBB37_80
	s_branch .LBB37_82
.LBB37_78:
                                        ; implicit-def: $vgpr14
                                        ; implicit-def: $vgpr16
                                        ; implicit-def: $vgpr12
	s_branch .LBB37_80
.LBB37_79:
	s_cbranch_execnz .LBB37_82
.LBB37_80:
	s_load_dwordx4 s[8:11], s[4:5], 0x4
	s_load_dwordx4 s[12:15], s[4:5], 0xc4
	s_cmp_lt_u32 s33, 2
	s_waitcnt lgkmcnt(0)
	v_mul_hi_u32 v3, s9, v1
	v_add_u32_e32 v3, v1, v3
	v_lshrrev_b32_e32 v3, s10, v3
	v_mul_lo_u32 v5, v3, s8
	v_sub_u32_e32 v1, v1, v5
	v_mul_lo_u32 v12, v1, s12
	v_mul_lo_u32 v14, v1, s14
	;; [unrolled: 1-line block ×3, first 2 shown]
	s_cbranch_scc1 .LBB37_82
; %bb.81:
	s_load_dwordx4 s[8:11], s[4:5], 0x10
	s_load_dwordx4 s[12:15], s[4:5], 0xd0
	s_waitcnt lgkmcnt(0)
	v_mul_hi_u32 v1, s9, v3
	v_add_u32_e32 v1, v3, v1
	v_lshrrev_b32_e32 v1, s10, v1
	v_mul_lo_u32 v1, v1, s8
	v_sub_u32_e32 v1, v3, v1
	v_mad_u64_u32 v[12:13], s[2:3], v1, s12, v[12:13]
	v_mad_u64_u32 v[16:17], s[2:3], v1, s13, v[16:17]
	;; [unrolled: 1-line block ×3, first 2 shown]
.LBB37_82:
	s_and_b64 vcc, exec, s[0:1]
	s_cbranch_vccnz .LBB37_88
; %bb.83:
	s_cmp_lg_u32 s33, 0
	v_mov_b32_e32 v20, 0
	v_mov_b32_e32 v22, 0
	;; [unrolled: 1-line block ×3, first 2 shown]
	s_cbranch_scc0 .LBB37_89
; %bb.84:
	s_min_u32 s2, s34, 15
	s_add_i32 s0, s2, 1
	s_and_b32 s3, s0, 30
	s_add_u32 s0, s4, 0xffffffec
	s_addc_u32 s1, s5, -1
	v_mov_b32_e32 v18, 0
	v_mov_b32_e32 v1, v24
	;; [unrolled: 1-line block ×4, first 2 shown]
.LBB37_85:                              ; =>This Inner Loop Header: Depth=1
	s_mov_b64 s[6:7], s[0:1]
	s_load_dwordx4 s[8:11], s[6:7], 0x18
	s_load_dwordx2 s[16:17], s[6:7], 0x28
	s_load_dwordx2 s[18:19], s[6:7], 0xe8
	s_load_dwordx4 s[12:15], s[6:7], 0xd8
	s_add_u32 s0, s6, 24
	s_waitcnt lgkmcnt(0)
	v_mul_hi_u32 v3, s9, v1
	v_add_u32_e32 v3, v1, v3
	v_lshrrev_b32_e32 v3, s10, v3
	v_mul_lo_u32 v5, v3, s8
	v_mul_hi_u32 v7, s16, v3
	v_sub_u32_e32 v1, v1, v5
	v_add_u32_e32 v5, v3, v7
	v_mul_lo_u32 v7, v1, s12
	v_mul_lo_u32 v9, v1, s13
	;; [unrolled: 1-line block ×3, first 2 shown]
	v_lshrrev_b32_e32 v1, s17, v5
	v_mul_lo_u32 v5, v1, s11
	v_sub_u32_e32 v3, v3, v5
	s_addc_u32 s1, s7, 0
	s_add_i32 s3, s3, -2
	v_mul_lo_u32 v5, v3, s15
	v_mul_lo_u32 v13, v3, s18
	;; [unrolled: 1-line block ×3, first 2 shown]
	s_cmp_lg_u32 s3, 0
	v_add3_u32 v18, v7, v18, v5
	v_add3_u32 v20, v11, v20, v3
	;; [unrolled: 1-line block ×3, first 2 shown]
	s_cbranch_scc1 .LBB37_85
; %bb.86:
	s_bitcmp1_b32 s2, 0
	s_cselect_b64 s[2:3], -1, 0
	s_and_b64 vcc, exec, s[2:3]
	s_cbranch_vccnz .LBB37_89
; %bb.87:
	s_load_dwordx2 s[2:3], s[0:1], 0x18
	s_load_dword s8, s[0:1], 0x20
	s_load_dword s9, s[0:1], 0xe0
	s_load_dwordx2 s[6:7], s[0:1], 0xd8
	s_waitcnt lgkmcnt(0)
	v_mul_hi_u32 v3, s3, v1
	v_add_u32_e32 v3, v1, v3
	v_lshrrev_b32_e32 v3, s8, v3
	v_mul_lo_u32 v3, v3, s2
	v_sub_u32_e32 v1, v1, v3
	v_mad_u64_u32 v[18:19], s[0:1], v1, s6, v[18:19]
	v_mad_u64_u32 v[22:23], s[0:1], v1, s7, v[22:23]
	;; [unrolled: 1-line block ×3, first 2 shown]
	s_cbranch_execz .LBB37_90
	s_branch .LBB37_92
.LBB37_88:
                                        ; implicit-def: $vgpr20
                                        ; implicit-def: $vgpr22
                                        ; implicit-def: $vgpr18
	s_branch .LBB37_90
.LBB37_89:
	s_cbranch_execnz .LBB37_92
.LBB37_90:
	s_load_dwordx4 s[0:3], s[4:5], 0x4
	s_load_dwordx4 s[8:11], s[4:5], 0xc4
	s_cmp_lt_u32 s33, 2
	s_waitcnt lgkmcnt(0)
	v_mul_hi_u32 v1, s1, v24
	v_add_u32_e32 v1, v24, v1
	v_lshrrev_b32_e32 v1, s2, v1
	v_mul_lo_u32 v3, v1, s0
	v_sub_u32_e32 v3, v24, v3
	v_mul_lo_u32 v18, v3, s8
	v_mul_lo_u32 v20, v3, s10
	;; [unrolled: 1-line block ×3, first 2 shown]
	s_cbranch_scc1 .LBB37_92
; %bb.91:
	s_load_dwordx4 s[0:3], s[4:5], 0x10
	s_load_dwordx4 s[8:11], s[4:5], 0xd0
	s_waitcnt lgkmcnt(0)
	v_mul_hi_u32 v3, s1, v1
	v_add_u32_e32 v3, v1, v3
	v_lshrrev_b32_e32 v3, s2, v3
	v_mul_lo_u32 v3, v3, s0
	v_sub_u32_e32 v1, v1, v3
	v_mad_u64_u32 v[18:19], s[0:1], v1, s8, v[18:19]
	v_mad_u64_u32 v[22:23], s[0:1], v1, s9, v[22:23]
	;; [unrolled: 1-line block ×3, first 2 shown]
.LBB37_92:
	s_load_dwordx2 s[0:1], s[4:5], 0x198
	s_load_dwordx4 s[8:11], s[4:5], 0x188
	s_mov_b32 s6, 0x800000
	s_mov_b32 s7, 0x3f7ffffe
	s_waitcnt lgkmcnt(0)
	global_load_ushort v1, v2, s[0:1]
	global_load_ushort v3, v10, s[0:1]
	global_load_ushort v5, v14, s[0:1]
	global_load_ushort v7, v20, s[0:1]
	global_load_dword v9, v4, s[10:11]
	global_load_dword v11, v8, s[10:11]
	;; [unrolled: 1-line block ×4, first 2 shown]
	v_mov_b32_e32 v2, 0x800000
	v_mov_b32_e32 v4, 0x3f7ffffe
	s_waitcnt vmcnt(7)
	v_cvt_f32_f16_e32 v1, v1
	s_waitcnt vmcnt(6)
	v_cvt_f32_f16_e32 v3, v3
	;; [unrolled: 2-line block ×4, first 2 shown]
	s_waitcnt vmcnt(3)
	v_div_scale_f32 v8, s[0:1], v1, v1, v9
	v_rcp_f32_e32 v22, v8
	s_waitcnt vmcnt(2)
	v_div_scale_f32 v14, s[0:1], v3, v3, v11
	v_rcp_f32_e32 v23, v14
	;; [unrolled: 3-line block ×3, first 2 shown]
	v_fma_f32 v26, -v8, v22, 1.0
	v_div_scale_f32 v10, vcc, v9, v1, v9
	v_fmac_f32_e32 v22, v26, v22
	s_waitcnt vmcnt(0)
	v_div_scale_f32 v20, s[4:5], v7, v7, v15
	v_fma_f32 v27, -v14, v23, 1.0
	v_mul_f32_e32 v26, v10, v22
	v_div_scale_f32 v16, s[0:1], v11, v3, v11
	v_rcp_f32_e32 v25, v20
	v_fmac_f32_e32 v23, v27, v23
	v_fma_f32 v30, -v8, v26, v10
	v_fma_f32 v28, -v17, v24, 1.0
	v_mul_f32_e32 v27, v16, v23
	v_fmac_f32_e32 v26, v30, v22
	v_div_scale_f32 v19, s[2:3], v13, v5, v13
	v_fmac_f32_e32 v24, v28, v24
	v_fma_f32 v31, -v14, v27, v16
	v_fma_f32 v8, -v8, v26, v10
	v_mul_f32_e32 v28, v19, v24
	v_fmac_f32_e32 v27, v31, v23
	v_div_fmas_f32 v8, v8, v22, v26
	v_fma_f32 v29, -v20, v25, 1.0
	v_fma_f32 v32, -v17, v28, v19
	v_fma_f32 v10, -v14, v27, v16
	v_div_fixup_f32 v1, v8, v1, v9
	s_mov_b64 vcc, s[0:1]
	v_div_scale_f32 v21, s[4:5], v15, v7, v15
	v_fmac_f32_e32 v25, v29, v25
	v_fmac_f32_e32 v28, v32, v24
	v_div_fmas_f32 v8, v10, v23, v27
	v_cmp_ngt_f32_e32 vcc, s6, v1
	v_mul_f32_e32 v29, v21, v25
	v_fma_f32 v14, -v17, v28, v19
	v_cndmask_b32_e32 v1, v2, v1, vcc
	s_mov_b64 vcc, s[2:3]
	v_fma_f32 v33, -v20, v29, v21
	v_div_fixup_f32 v3, v8, v3, v11
	v_div_fmas_f32 v8, v14, v24, v28
	v_cmp_nlt_f32_e32 vcc, s7, v1
	v_fmac_f32_e32 v29, v33, v25
	v_cndmask_b32_e32 v1, v4, v1, vcc
	v_cmp_ngt_f32_e32 vcc, s6, v3
	v_fma_f32 v16, -v20, v29, v21
	v_cndmask_b32_e32 v3, v2, v3, vcc
	s_mov_b64 vcc, s[4:5]
	v_div_fixup_f32 v5, v8, v5, v13
	v_div_fmas_f32 v8, v16, v25, v29
	v_cmp_nlt_f32_e32 vcc, s7, v3
	v_cndmask_b32_e32 v3, v4, v3, vcc
	v_cmp_ngt_f32_e32 vcc, s6, v5
	v_cndmask_b32_e32 v5, v2, v5, vcc
	v_div_fixup_f32 v7, v8, v7, v15
	v_cmp_nlt_f32_e32 vcc, s7, v5
	global_store_dword v0, v1, s[8:9]
	v_cndmask_b32_e32 v0, v4, v5, vcc
	v_cmp_ngt_f32_e32 vcc, s6, v7
	v_cndmask_b32_e32 v1, v2, v7, vcc
	v_cmp_nlt_f32_e32 vcc, s7, v1
	global_store_dword v6, v3, s[8:9]
	v_cndmask_b32_e32 v1, v4, v1, vcc
	global_store_dword v12, v0, s[8:9]
	global_store_dword v18, v1, s[8:9]
	s_endpgm
	.section	.rodata,"a",@progbits
	.p2align	6, 0x0
	.amdhsa_kernel _ZN2at6native32elementwise_kernel_manual_unrollILi128ELi4EZNS0_12_GLOBAL__N_142type_specialized_broadcast_kernel_launcherILi3EE5applyIZZZNS0_23launch_dirichlet_kernelERNS_18TensorIteratorBaseEENKUlvE_clEvENKUlvE0_clEvEUlffE_St5arrayIPcLm3EESB_IN3c1010ScalarTypeELm3EE16OffsetCalculatorILi3EjLb0EEEEvlT_T0_T1_T2_EUlibE_EEviSL_
		.amdhsa_group_segment_fixed_size 0
		.amdhsa_private_segment_fixed_size 0
		.amdhsa_kernarg_size 432
		.amdhsa_user_sgpr_count 6
		.amdhsa_user_sgpr_private_segment_buffer 1
		.amdhsa_user_sgpr_dispatch_ptr 0
		.amdhsa_user_sgpr_queue_ptr 0
		.amdhsa_user_sgpr_kernarg_segment_ptr 1
		.amdhsa_user_sgpr_dispatch_id 0
		.amdhsa_user_sgpr_flat_scratch_init 0
		.amdhsa_user_sgpr_kernarg_preload_length 0
		.amdhsa_user_sgpr_kernarg_preload_offset 0
		.amdhsa_user_sgpr_private_segment_size 0
		.amdhsa_uses_dynamic_stack 0
		.amdhsa_system_sgpr_private_segment_wavefront_offset 0
		.amdhsa_system_sgpr_workgroup_id_x 1
		.amdhsa_system_sgpr_workgroup_id_y 0
		.amdhsa_system_sgpr_workgroup_id_z 0
		.amdhsa_system_sgpr_workgroup_info 0
		.amdhsa_system_vgpr_workitem_id 0
		.amdhsa_next_free_vgpr 34
		.amdhsa_next_free_sgpr 52
		.amdhsa_accum_offset 36
		.amdhsa_reserve_vcc 1
		.amdhsa_reserve_flat_scratch 0
		.amdhsa_float_round_mode_32 0
		.amdhsa_float_round_mode_16_64 0
		.amdhsa_float_denorm_mode_32 3
		.amdhsa_float_denorm_mode_16_64 3
		.amdhsa_dx10_clamp 1
		.amdhsa_ieee_mode 1
		.amdhsa_fp16_overflow 0
		.amdhsa_tg_split 0
		.amdhsa_exception_fp_ieee_invalid_op 0
		.amdhsa_exception_fp_denorm_src 0
		.amdhsa_exception_fp_ieee_div_zero 0
		.amdhsa_exception_fp_ieee_overflow 0
		.amdhsa_exception_fp_ieee_underflow 0
		.amdhsa_exception_fp_ieee_inexact 0
		.amdhsa_exception_int_div_zero 0
	.end_amdhsa_kernel
	.section	.text._ZN2at6native32elementwise_kernel_manual_unrollILi128ELi4EZNS0_12_GLOBAL__N_142type_specialized_broadcast_kernel_launcherILi3EE5applyIZZZNS0_23launch_dirichlet_kernelERNS_18TensorIteratorBaseEENKUlvE_clEvENKUlvE0_clEvEUlffE_St5arrayIPcLm3EESB_IN3c1010ScalarTypeELm3EE16OffsetCalculatorILi3EjLb0EEEEvlT_T0_T1_T2_EUlibE_EEviSL_,"axG",@progbits,_ZN2at6native32elementwise_kernel_manual_unrollILi128ELi4EZNS0_12_GLOBAL__N_142type_specialized_broadcast_kernel_launcherILi3EE5applyIZZZNS0_23launch_dirichlet_kernelERNS_18TensorIteratorBaseEENKUlvE_clEvENKUlvE0_clEvEUlffE_St5arrayIPcLm3EESB_IN3c1010ScalarTypeELm3EE16OffsetCalculatorILi3EjLb0EEEEvlT_T0_T1_T2_EUlibE_EEviSL_,comdat
.Lfunc_end37:
	.size	_ZN2at6native32elementwise_kernel_manual_unrollILi128ELi4EZNS0_12_GLOBAL__N_142type_specialized_broadcast_kernel_launcherILi3EE5applyIZZZNS0_23launch_dirichlet_kernelERNS_18TensorIteratorBaseEENKUlvE_clEvENKUlvE0_clEvEUlffE_St5arrayIPcLm3EESB_IN3c1010ScalarTypeELm3EE16OffsetCalculatorILi3EjLb0EEEEvlT_T0_T1_T2_EUlibE_EEviSL_, .Lfunc_end37-_ZN2at6native32elementwise_kernel_manual_unrollILi128ELi4EZNS0_12_GLOBAL__N_142type_specialized_broadcast_kernel_launcherILi3EE5applyIZZZNS0_23launch_dirichlet_kernelERNS_18TensorIteratorBaseEENKUlvE_clEvENKUlvE0_clEvEUlffE_St5arrayIPcLm3EESB_IN3c1010ScalarTypeELm3EE16OffsetCalculatorILi3EjLb0EEEEvlT_T0_T1_T2_EUlibE_EEviSL_
                                        ; -- End function
	.section	.AMDGPU.csdata,"",@progbits
; Kernel info:
; codeLenInByte = 5560
; NumSgprs: 56
; NumVgprs: 34
; NumAgprs: 0
; TotalNumVgprs: 34
; ScratchSize: 0
; MemoryBound: 0
; FloatMode: 240
; IeeeMode: 1
; LDSByteSize: 0 bytes/workgroup (compile time only)
; SGPRBlocks: 6
; VGPRBlocks: 4
; NumSGPRsForWavesPerEU: 56
; NumVGPRsForWavesPerEU: 34
; AccumOffset: 36
; Occupancy: 8
; WaveLimiterHint : 1
; COMPUTE_PGM_RSRC2:SCRATCH_EN: 0
; COMPUTE_PGM_RSRC2:USER_SGPR: 6
; COMPUTE_PGM_RSRC2:TRAP_HANDLER: 0
; COMPUTE_PGM_RSRC2:TGID_X_EN: 1
; COMPUTE_PGM_RSRC2:TGID_Y_EN: 0
; COMPUTE_PGM_RSRC2:TGID_Z_EN: 0
; COMPUTE_PGM_RSRC2:TIDIG_COMP_CNT: 0
; COMPUTE_PGM_RSRC3_GFX90A:ACCUM_OFFSET: 8
; COMPUTE_PGM_RSRC3_GFX90A:TG_SPLIT: 0
	.section	.text._ZN2at6native32elementwise_kernel_manual_unrollILi128ELi4EZNS0_12_GLOBAL__N_142type_specialized_broadcast_kernel_launcherILi4EE5applyIZZZNS0_23launch_dirichlet_kernelERNS_18TensorIteratorBaseEENKUlvE_clEvENKUlvE0_clEvEUlffE_St5arrayIPcLm3EESB_IN3c1010ScalarTypeELm3EE16OffsetCalculatorILi3EjLb0EEEEvlT_T0_T1_T2_EUlibE_EEviSL_,"axG",@progbits,_ZN2at6native32elementwise_kernel_manual_unrollILi128ELi4EZNS0_12_GLOBAL__N_142type_specialized_broadcast_kernel_launcherILi4EE5applyIZZZNS0_23launch_dirichlet_kernelERNS_18TensorIteratorBaseEENKUlvE_clEvENKUlvE0_clEvEUlffE_St5arrayIPcLm3EESB_IN3c1010ScalarTypeELm3EE16OffsetCalculatorILi3EjLb0EEEEvlT_T0_T1_T2_EUlibE_EEviSL_,comdat
	.globl	_ZN2at6native32elementwise_kernel_manual_unrollILi128ELi4EZNS0_12_GLOBAL__N_142type_specialized_broadcast_kernel_launcherILi4EE5applyIZZZNS0_23launch_dirichlet_kernelERNS_18TensorIteratorBaseEENKUlvE_clEvENKUlvE0_clEvEUlffE_St5arrayIPcLm3EESB_IN3c1010ScalarTypeELm3EE16OffsetCalculatorILi3EjLb0EEEEvlT_T0_T1_T2_EUlibE_EEviSL_ ; -- Begin function _ZN2at6native32elementwise_kernel_manual_unrollILi128ELi4EZNS0_12_GLOBAL__N_142type_specialized_broadcast_kernel_launcherILi4EE5applyIZZZNS0_23launch_dirichlet_kernelERNS_18TensorIteratorBaseEENKUlvE_clEvENKUlvE0_clEvEUlffE_St5arrayIPcLm3EESB_IN3c1010ScalarTypeELm3EE16OffsetCalculatorILi3EjLb0EEEEvlT_T0_T1_T2_EUlibE_EEviSL_
	.p2align	8
	.type	_ZN2at6native32elementwise_kernel_manual_unrollILi128ELi4EZNS0_12_GLOBAL__N_142type_specialized_broadcast_kernel_launcherILi4EE5applyIZZZNS0_23launch_dirichlet_kernelERNS_18TensorIteratorBaseEENKUlvE_clEvENKUlvE0_clEvEUlffE_St5arrayIPcLm3EESB_IN3c1010ScalarTypeELm3EE16OffsetCalculatorILi3EjLb0EEEEvlT_T0_T1_T2_EUlibE_EEviSL_,@function
_ZN2at6native32elementwise_kernel_manual_unrollILi128ELi4EZNS0_12_GLOBAL__N_142type_specialized_broadcast_kernel_launcherILi4EE5applyIZZZNS0_23launch_dirichlet_kernelERNS_18TensorIteratorBaseEENKUlvE_clEvENKUlvE0_clEvEUlffE_St5arrayIPcLm3EESB_IN3c1010ScalarTypeELm3EE16OffsetCalculatorILi3EjLb0EEEEvlT_T0_T1_T2_EUlibE_EEviSL_: ; @_ZN2at6native32elementwise_kernel_manual_unrollILi128ELi4EZNS0_12_GLOBAL__N_142type_specialized_broadcast_kernel_launcherILi4EE5applyIZZZNS0_23launch_dirichlet_kernelERNS_18TensorIteratorBaseEENKUlvE_clEvENKUlvE0_clEvEUlffE_St5arrayIPcLm3EESB_IN3c1010ScalarTypeELm3EE16OffsetCalculatorILi3EjLb0EEEEvlT_T0_T1_T2_EUlibE_EEviSL_
; %bb.0:
	s_load_dword s36, s[4:5], 0x0
	s_load_dword s33, s[4:5], 0x8
	s_or_b32 s4, s4, 8
	v_lshl_or_b32 v12, s6, 9, v0
	v_or_b32_e32 v24, 0x180, v12
	s_waitcnt lgkmcnt(0)
	v_cmp_le_i32_e32 vcc, s36, v24
	s_add_i32 s34, s33, -1
	s_cmp_gt_u32 s34, 1
	s_cselect_b64 s[6:7], -1, 0
	s_and_saveexec_b64 s[0:1], vcc
	s_xor_b64 s[16:17], exec, s[0:1]
	s_cbranch_execz .LBB38_50
; %bb.1:
	s_load_dwordx4 s[12:15], s[4:5], 0x4
	s_load_dwordx2 s[22:23], s[4:5], 0x14
	s_load_dwordx4 s[8:11], s[4:5], 0xc4
	s_load_dwordx2 s[20:21], s[4:5], 0xd4
	s_load_dwordx2 s[18:19], s[4:5], 0x198
	s_load_dwordx4 s[0:3], s[4:5], 0x188
	s_cmp_lg_u32 s33, 0
	s_cselect_b64 s[26:27], -1, 0
	s_min_u32 s35, s34, 15
	s_cmp_gt_u32 s33, 1
	s_cselect_b64 s[24:25], -1, 0
	v_cmp_gt_i32_e32 vcc, s36, v12
	s_and_saveexec_b64 s[28:29], vcc
	s_cbranch_execnz .LBB38_5
; %bb.2:
	s_or_b64 exec, exec, s[28:29]
	v_cmp_gt_i32_e32 vcc, s36, v12
	s_and_saveexec_b64 s[28:29], vcc
	s_cbranch_execnz .LBB38_16
.LBB38_3:
	s_or_b64 exec, exec, s[28:29]
	v_cmp_gt_i32_e32 vcc, s36, v12
	s_and_saveexec_b64 s[28:29], vcc
	s_cbranch_execnz .LBB38_27
.LBB38_4:
	s_or_b64 exec, exec, s[28:29]
	v_cmp_gt_i32_e32 vcc, s36, v12
	s_and_saveexec_b64 s[28:29], vcc
	s_cbranch_execnz .LBB38_38
	s_branch .LBB38_49
.LBB38_5:
	s_andn2_b64 vcc, exec, s[6:7]
	s_cbranch_vccnz .LBB38_12
; %bb.6:
	s_andn2_b64 vcc, exec, s[26:27]
	v_mov_b32_e32 v2, 0
	v_mov_b32_e32 v4, 0
	;; [unrolled: 1-line block ×3, first 2 shown]
	s_cbranch_vccnz .LBB38_11
; %bb.7:
	s_add_i32 s30, s35, 1
	s_and_b32 s37, s30, 30
	s_add_u32 s30, s4, 0xffffffec
	s_addc_u32 s31, s5, -1
	v_mov_b32_e32 v0, 0
	v_mov_b32_e32 v1, v12
	;; [unrolled: 1-line block ×4, first 2 shown]
.LBB38_8:                               ; =>This Inner Loop Header: Depth=1
	s_mov_b64 s[38:39], s[30:31]
	s_load_dwordx4 s[40:43], s[38:39], 0x18
	s_load_dwordx2 s[48:49], s[38:39], 0x28
	s_load_dwordx2 s[50:51], s[38:39], 0xe8
	s_load_dwordx4 s[44:47], s[38:39], 0xd8
	s_add_u32 s30, s38, 24
	s_waitcnt lgkmcnt(0)
	v_mul_hi_u32 v3, s41, v1
	v_add_u32_e32 v3, v1, v3
	v_lshrrev_b32_e32 v3, s42, v3
	v_mul_lo_u32 v5, v3, s40
	v_mul_hi_u32 v6, s48, v3
	v_sub_u32_e32 v1, v1, v5
	v_add_u32_e32 v5, v3, v6
	v_mul_lo_u32 v6, v1, s44
	v_mul_lo_u32 v7, v1, s45
	;; [unrolled: 1-line block ×3, first 2 shown]
	v_lshrrev_b32_e32 v1, s49, v5
	v_mul_lo_u32 v5, v1, s43
	v_sub_u32_e32 v3, v3, v5
	s_addc_u32 s31, s39, 0
	s_add_i32 s37, s37, -2
	v_mul_lo_u32 v5, v3, s47
	v_mul_lo_u32 v9, v3, s50
	;; [unrolled: 1-line block ×3, first 2 shown]
	s_cmp_lg_u32 s37, 0
	v_add3_u32 v0, v6, v0, v5
	v_add3_u32 v2, v8, v2, v3
	;; [unrolled: 1-line block ×3, first 2 shown]
	s_cbranch_scc1 .LBB38_8
; %bb.9:
	s_bitcmp1_b32 s35, 0
	s_cselect_b64 s[38:39], -1, 0
	s_and_b64 vcc, exec, s[38:39]
	s_cbranch_vccnz .LBB38_11
; %bb.10:
	s_load_dwordx2 s[38:39], s[30:31], 0x18
	s_load_dword s37, s[30:31], 0x20
	s_load_dword s42, s[30:31], 0xe0
	s_load_dwordx2 s[40:41], s[30:31], 0xd8
	s_waitcnt lgkmcnt(0)
	v_mul_hi_u32 v3, s39, v1
	v_add_u32_e32 v3, v1, v3
	v_lshrrev_b32_e32 v3, s37, v3
	v_mul_lo_u32 v3, v3, s38
	v_sub_u32_e32 v3, v1, v3
	v_mad_u64_u32 v[0:1], s[30:31], v3, s40, v[0:1]
	v_mad_u64_u32 v[4:5], s[30:31], v3, s41, v[4:5]
	;; [unrolled: 1-line block ×3, first 2 shown]
.LBB38_11:
	s_cbranch_execz .LBB38_13
	s_branch .LBB38_15
.LBB38_12:
                                        ; implicit-def: $vgpr2
                                        ; implicit-def: $vgpr4
                                        ; implicit-def: $vgpr0
.LBB38_13:
	s_waitcnt lgkmcnt(0)
	v_mul_hi_u32 v0, s13, v12
	v_add_u32_e32 v0, v12, v0
	v_lshrrev_b32_e32 v1, s14, v0
	v_mul_lo_u32 v0, v1, s12
	v_sub_u32_e32 v3, v12, v0
	v_mul_lo_u32 v0, v3, s8
	v_mul_lo_u32 v2, v3, s10
	s_andn2_b64 vcc, exec, s[24:25]
	v_mul_lo_u32 v4, v3, s9
	s_cbranch_vccnz .LBB38_15
; %bb.14:
	v_mul_hi_u32 v3, s22, v1
	v_add_u32_e32 v3, v1, v3
	v_lshrrev_b32_e32 v3, s23, v3
	v_mul_lo_u32 v3, v3, s15
	v_sub_u32_e32 v3, v1, v3
	v_mad_u64_u32 v[0:1], s[30:31], v3, s11, v[0:1]
	v_mad_u64_u32 v[4:5], s[30:31], v3, s20, v[4:5]
	;; [unrolled: 1-line block ×3, first 2 shown]
.LBB38_15:
	s_waitcnt lgkmcnt(0)
	global_load_ushort v1, v4, s[2:3]
	global_load_dword v3, v2, s[18:19]
	s_mov_b32 s37, 0x800000
	v_mov_b32_e32 v2, 0x800000
	s_mov_b32 s38, 0x3f7ffffe
	v_mov_b32_e32 v6, 0x3f7ffffe
	v_add_u32_e32 v12, 0x80, v12
	s_waitcnt vmcnt(1)
	v_cvt_f32_f16_e32 v1, v1
	s_waitcnt vmcnt(0)
	v_div_scale_f32 v4, s[30:31], v3, v3, v1
	v_rcp_f32_e32 v5, v4
	v_div_scale_f32 v7, vcc, v1, v3, v1
	v_fma_f32 v8, -v4, v5, 1.0
	v_fmac_f32_e32 v5, v8, v5
	v_mul_f32_e32 v8, v7, v5
	v_fma_f32 v9, -v4, v8, v7
	v_fmac_f32_e32 v8, v9, v5
	v_fma_f32 v4, -v4, v8, v7
	v_div_fmas_f32 v4, v4, v5, v8
	v_div_fixup_f32 v1, v4, v3, v1
	v_cmp_ngt_f32_e32 vcc, s37, v1
	v_cndmask_b32_e32 v1, v2, v1, vcc
	v_cmp_nlt_f32_e32 vcc, s38, v1
	v_cndmask_b32_e32 v1, v6, v1, vcc
	global_store_dword v0, v1, s[0:1]
	s_or_b64 exec, exec, s[28:29]
	v_cmp_gt_i32_e32 vcc, s36, v12
	s_and_saveexec_b64 s[28:29], vcc
	s_cbranch_execz .LBB38_3
.LBB38_16:
	s_andn2_b64 vcc, exec, s[6:7]
	s_cbranch_vccnz .LBB38_23
; %bb.17:
	s_andn2_b64 vcc, exec, s[26:27]
	v_mov_b32_e32 v2, 0
	v_mov_b32_e32 v4, 0
	;; [unrolled: 1-line block ×3, first 2 shown]
	s_cbranch_vccnz .LBB38_22
; %bb.18:
	s_add_i32 s30, s35, 1
	s_and_b32 s37, s30, 30
	s_add_u32 s30, s4, 0xffffffec
	s_addc_u32 s31, s5, -1
	v_mov_b32_e32 v0, 0
	v_mov_b32_e32 v1, v12
	v_mov_b32_e32 v4, 0
	v_mov_b32_e32 v2, 0
.LBB38_19:                              ; =>This Inner Loop Header: Depth=1
	s_mov_b64 s[38:39], s[30:31]
	s_load_dwordx4 s[40:43], s[38:39], 0x18
	s_load_dwordx2 s[48:49], s[38:39], 0x28
	s_load_dwordx2 s[50:51], s[38:39], 0xe8
	s_load_dwordx4 s[44:47], s[38:39], 0xd8
	s_add_u32 s30, s38, 24
	s_waitcnt lgkmcnt(0)
	v_mul_hi_u32 v3, s41, v1
	v_add_u32_e32 v3, v1, v3
	v_lshrrev_b32_e32 v3, s42, v3
	v_mul_lo_u32 v5, v3, s40
	v_mul_hi_u32 v6, s48, v3
	v_sub_u32_e32 v1, v1, v5
	v_add_u32_e32 v5, v3, v6
	v_mul_lo_u32 v6, v1, s44
	v_mul_lo_u32 v7, v1, s45
	;; [unrolled: 1-line block ×3, first 2 shown]
	v_lshrrev_b32_e32 v1, s49, v5
	v_mul_lo_u32 v5, v1, s43
	v_sub_u32_e32 v3, v3, v5
	s_addc_u32 s31, s39, 0
	s_add_i32 s37, s37, -2
	v_mul_lo_u32 v5, v3, s47
	v_mul_lo_u32 v9, v3, s50
	;; [unrolled: 1-line block ×3, first 2 shown]
	s_cmp_eq_u32 s37, 0
	v_add3_u32 v0, v6, v0, v5
	v_add3_u32 v2, v8, v2, v3
	;; [unrolled: 1-line block ×3, first 2 shown]
	s_cbranch_scc0 .LBB38_19
; %bb.20:
	s_bitcmp1_b32 s35, 0
	s_cselect_b64 s[38:39], -1, 0
	s_and_b64 vcc, exec, s[38:39]
	s_cbranch_vccnz .LBB38_22
; %bb.21:
	s_load_dwordx2 s[38:39], s[30:31], 0x18
	s_load_dword s37, s[30:31], 0x20
	s_load_dword s42, s[30:31], 0xe0
	s_load_dwordx2 s[40:41], s[30:31], 0xd8
	s_waitcnt lgkmcnt(0)
	v_mul_hi_u32 v3, s39, v1
	v_add_u32_e32 v3, v1, v3
	v_lshrrev_b32_e32 v3, s37, v3
	v_mul_lo_u32 v3, v3, s38
	v_sub_u32_e32 v3, v1, v3
	v_mad_u64_u32 v[0:1], s[30:31], v3, s40, v[0:1]
	v_mad_u64_u32 v[4:5], s[30:31], v3, s41, v[4:5]
	;; [unrolled: 1-line block ×3, first 2 shown]
.LBB38_22:
	s_cbranch_execz .LBB38_24
	s_branch .LBB38_26
.LBB38_23:
                                        ; implicit-def: $vgpr2
                                        ; implicit-def: $vgpr4
                                        ; implicit-def: $vgpr0
.LBB38_24:
	s_waitcnt lgkmcnt(0)
	v_mul_hi_u32 v0, s13, v12
	v_add_u32_e32 v0, v12, v0
	v_lshrrev_b32_e32 v1, s14, v0
	v_mul_lo_u32 v0, v1, s12
	v_sub_u32_e32 v3, v12, v0
	v_mul_lo_u32 v0, v3, s8
	v_mul_lo_u32 v2, v3, s10
	s_andn2_b64 vcc, exec, s[24:25]
	v_mul_lo_u32 v4, v3, s9
	s_cbranch_vccnz .LBB38_26
; %bb.25:
	v_mul_hi_u32 v3, s22, v1
	v_add_u32_e32 v3, v1, v3
	v_lshrrev_b32_e32 v3, s23, v3
	v_mul_lo_u32 v3, v3, s15
	v_sub_u32_e32 v3, v1, v3
	v_mad_u64_u32 v[0:1], s[30:31], v3, s11, v[0:1]
	v_mad_u64_u32 v[4:5], s[30:31], v3, s20, v[4:5]
	;; [unrolled: 1-line block ×3, first 2 shown]
.LBB38_26:
	s_waitcnt lgkmcnt(0)
	global_load_ushort v1, v4, s[2:3]
	global_load_dword v3, v2, s[18:19]
	s_mov_b32 s37, 0x800000
	v_mov_b32_e32 v2, 0x800000
	s_mov_b32 s38, 0x3f7ffffe
	v_mov_b32_e32 v6, 0x3f7ffffe
	v_add_u32_e32 v12, 0x80, v12
	s_waitcnt vmcnt(1)
	v_cvt_f32_f16_e32 v1, v1
	s_waitcnt vmcnt(0)
	v_div_scale_f32 v4, s[30:31], v3, v3, v1
	v_rcp_f32_e32 v5, v4
	v_div_scale_f32 v7, vcc, v1, v3, v1
	v_fma_f32 v8, -v4, v5, 1.0
	v_fmac_f32_e32 v5, v8, v5
	v_mul_f32_e32 v8, v7, v5
	v_fma_f32 v9, -v4, v8, v7
	v_fmac_f32_e32 v8, v9, v5
	v_fma_f32 v4, -v4, v8, v7
	v_div_fmas_f32 v4, v4, v5, v8
	v_div_fixup_f32 v1, v4, v3, v1
	v_cmp_ngt_f32_e32 vcc, s37, v1
	v_cndmask_b32_e32 v1, v2, v1, vcc
	v_cmp_nlt_f32_e32 vcc, s38, v1
	v_cndmask_b32_e32 v1, v6, v1, vcc
	global_store_dword v0, v1, s[0:1]
	s_or_b64 exec, exec, s[28:29]
	v_cmp_gt_i32_e32 vcc, s36, v12
	s_and_saveexec_b64 s[28:29], vcc
	s_cbranch_execz .LBB38_4
.LBB38_27:
	s_andn2_b64 vcc, exec, s[6:7]
	s_cbranch_vccnz .LBB38_34
; %bb.28:
	s_andn2_b64 vcc, exec, s[26:27]
	v_mov_b32_e32 v2, 0
	v_mov_b32_e32 v4, 0
	;; [unrolled: 1-line block ×3, first 2 shown]
	s_cbranch_vccnz .LBB38_33
; %bb.29:
	s_add_i32 s30, s35, 1
	s_and_b32 s37, s30, 30
	s_add_u32 s30, s4, 0xffffffec
	s_addc_u32 s31, s5, -1
	v_mov_b32_e32 v0, 0
	v_mov_b32_e32 v1, v12
	;; [unrolled: 1-line block ×4, first 2 shown]
.LBB38_30:                              ; =>This Inner Loop Header: Depth=1
	s_mov_b64 s[38:39], s[30:31]
	s_load_dwordx4 s[40:43], s[38:39], 0x18
	s_load_dwordx2 s[48:49], s[38:39], 0x28
	s_load_dwordx2 s[50:51], s[38:39], 0xe8
	s_load_dwordx4 s[44:47], s[38:39], 0xd8
	s_add_u32 s30, s38, 24
	s_waitcnt lgkmcnt(0)
	v_mul_hi_u32 v3, s41, v1
	v_add_u32_e32 v3, v1, v3
	v_lshrrev_b32_e32 v3, s42, v3
	v_mul_lo_u32 v5, v3, s40
	v_mul_hi_u32 v6, s48, v3
	v_sub_u32_e32 v1, v1, v5
	v_add_u32_e32 v5, v3, v6
	v_mul_lo_u32 v6, v1, s44
	v_mul_lo_u32 v7, v1, s45
	;; [unrolled: 1-line block ×3, first 2 shown]
	v_lshrrev_b32_e32 v1, s49, v5
	v_mul_lo_u32 v5, v1, s43
	v_sub_u32_e32 v3, v3, v5
	s_addc_u32 s31, s39, 0
	s_add_i32 s37, s37, -2
	v_mul_lo_u32 v5, v3, s47
	v_mul_lo_u32 v9, v3, s50
	;; [unrolled: 1-line block ×3, first 2 shown]
	s_cmp_eq_u32 s37, 0
	v_add3_u32 v0, v6, v0, v5
	v_add3_u32 v2, v8, v2, v3
	v_add3_u32 v4, v7, v4, v9
	s_cbranch_scc0 .LBB38_30
; %bb.31:
	s_bitcmp1_b32 s35, 0
	s_cselect_b64 s[38:39], -1, 0
	s_and_b64 vcc, exec, s[38:39]
	s_cbranch_vccnz .LBB38_33
; %bb.32:
	s_load_dwordx2 s[38:39], s[30:31], 0x18
	s_load_dword s37, s[30:31], 0x20
	s_load_dword s42, s[30:31], 0xe0
	s_load_dwordx2 s[40:41], s[30:31], 0xd8
	s_waitcnt lgkmcnt(0)
	v_mul_hi_u32 v3, s39, v1
	v_add_u32_e32 v3, v1, v3
	v_lshrrev_b32_e32 v3, s37, v3
	v_mul_lo_u32 v3, v3, s38
	v_sub_u32_e32 v3, v1, v3
	v_mad_u64_u32 v[0:1], s[30:31], v3, s40, v[0:1]
	v_mad_u64_u32 v[4:5], s[30:31], v3, s41, v[4:5]
	;; [unrolled: 1-line block ×3, first 2 shown]
.LBB38_33:
	s_cbranch_execz .LBB38_35
	s_branch .LBB38_37
.LBB38_34:
                                        ; implicit-def: $vgpr2
                                        ; implicit-def: $vgpr4
                                        ; implicit-def: $vgpr0
.LBB38_35:
	s_waitcnt lgkmcnt(0)
	v_mul_hi_u32 v0, s13, v12
	v_add_u32_e32 v0, v12, v0
	v_lshrrev_b32_e32 v1, s14, v0
	v_mul_lo_u32 v0, v1, s12
	v_sub_u32_e32 v3, v12, v0
	v_mul_lo_u32 v0, v3, s8
	v_mul_lo_u32 v2, v3, s10
	s_andn2_b64 vcc, exec, s[24:25]
	v_mul_lo_u32 v4, v3, s9
	s_cbranch_vccnz .LBB38_37
; %bb.36:
	v_mul_hi_u32 v3, s22, v1
	v_add_u32_e32 v3, v1, v3
	v_lshrrev_b32_e32 v3, s23, v3
	v_mul_lo_u32 v3, v3, s15
	v_sub_u32_e32 v3, v1, v3
	v_mad_u64_u32 v[0:1], s[30:31], v3, s11, v[0:1]
	v_mad_u64_u32 v[4:5], s[30:31], v3, s20, v[4:5]
	;; [unrolled: 1-line block ×3, first 2 shown]
.LBB38_37:
	s_waitcnt lgkmcnt(0)
	global_load_ushort v1, v4, s[2:3]
	global_load_dword v3, v2, s[18:19]
	s_mov_b32 s37, 0x800000
	v_mov_b32_e32 v2, 0x800000
	s_mov_b32 s38, 0x3f7ffffe
	v_mov_b32_e32 v6, 0x3f7ffffe
	v_add_u32_e32 v12, 0x80, v12
	s_waitcnt vmcnt(1)
	v_cvt_f32_f16_e32 v1, v1
	s_waitcnt vmcnt(0)
	v_div_scale_f32 v4, s[30:31], v3, v3, v1
	v_rcp_f32_e32 v5, v4
	v_div_scale_f32 v7, vcc, v1, v3, v1
	v_fma_f32 v8, -v4, v5, 1.0
	v_fmac_f32_e32 v5, v8, v5
	v_mul_f32_e32 v8, v7, v5
	v_fma_f32 v9, -v4, v8, v7
	v_fmac_f32_e32 v8, v9, v5
	v_fma_f32 v4, -v4, v8, v7
	v_div_fmas_f32 v4, v4, v5, v8
	v_div_fixup_f32 v1, v4, v3, v1
	v_cmp_ngt_f32_e32 vcc, s37, v1
	v_cndmask_b32_e32 v1, v2, v1, vcc
	v_cmp_nlt_f32_e32 vcc, s38, v1
	v_cndmask_b32_e32 v1, v6, v1, vcc
	global_store_dword v0, v1, s[0:1]
	s_or_b64 exec, exec, s[28:29]
	v_cmp_gt_i32_e32 vcc, s36, v12
	s_and_saveexec_b64 s[28:29], vcc
	s_cbranch_execz .LBB38_49
.LBB38_38:
	s_andn2_b64 vcc, exec, s[6:7]
	s_cbranch_vccnz .LBB38_45
; %bb.39:
	s_andn2_b64 vcc, exec, s[26:27]
	v_mov_b32_e32 v2, 0
	v_mov_b32_e32 v4, 0
	;; [unrolled: 1-line block ×3, first 2 shown]
	s_cbranch_vccnz .LBB38_44
; %bb.40:
	s_add_i32 s26, s35, 1
	s_and_b32 s30, s26, 30
	s_add_u32 s26, s4, 0xffffffec
	s_addc_u32 s27, s5, -1
	v_mov_b32_e32 v0, 0
	v_mov_b32_e32 v1, v12
	;; [unrolled: 1-line block ×4, first 2 shown]
.LBB38_41:                              ; =>This Inner Loop Header: Depth=1
	s_mov_b64 s[44:45], s[26:27]
	s_load_dwordx4 s[36:39], s[44:45], 0x18
	s_load_dwordx2 s[46:47], s[44:45], 0x28
	s_load_dwordx2 s[48:49], s[44:45], 0xe8
	s_load_dwordx4 s[40:43], s[44:45], 0xd8
	s_add_u32 s26, s44, 24
	s_waitcnt lgkmcnt(0)
	v_mul_hi_u32 v3, s37, v1
	v_add_u32_e32 v3, v1, v3
	v_lshrrev_b32_e32 v3, s38, v3
	v_mul_lo_u32 v5, v3, s36
	v_mul_hi_u32 v6, s46, v3
	v_sub_u32_e32 v1, v1, v5
	v_add_u32_e32 v5, v3, v6
	v_mul_lo_u32 v6, v1, s40
	v_mul_lo_u32 v7, v1, s41
	;; [unrolled: 1-line block ×3, first 2 shown]
	v_lshrrev_b32_e32 v1, s47, v5
	v_mul_lo_u32 v5, v1, s39
	v_sub_u32_e32 v3, v3, v5
	s_addc_u32 s27, s45, 0
	s_add_i32 s30, s30, -2
	v_mul_lo_u32 v5, v3, s43
	v_mul_lo_u32 v9, v3, s48
	;; [unrolled: 1-line block ×3, first 2 shown]
	s_cmp_eq_u32 s30, 0
	v_add3_u32 v0, v6, v0, v5
	v_add3_u32 v2, v8, v2, v3
	;; [unrolled: 1-line block ×3, first 2 shown]
	s_cbranch_scc0 .LBB38_41
; %bb.42:
	s_bitcmp1_b32 s35, 0
	s_cselect_b64 s[30:31], -1, 0
	s_and_b64 vcc, exec, s[30:31]
	s_cbranch_vccnz .LBB38_44
; %bb.43:
	s_load_dwordx2 s[30:31], s[26:27], 0x18
	s_load_dword s35, s[26:27], 0x20
	s_load_dword s38, s[26:27], 0xe0
	s_load_dwordx2 s[36:37], s[26:27], 0xd8
	s_waitcnt lgkmcnt(0)
	v_mul_hi_u32 v3, s31, v1
	v_add_u32_e32 v3, v1, v3
	v_lshrrev_b32_e32 v3, s35, v3
	v_mul_lo_u32 v3, v3, s30
	v_sub_u32_e32 v3, v1, v3
	v_mad_u64_u32 v[0:1], s[26:27], v3, s36, v[0:1]
	v_mad_u64_u32 v[4:5], s[26:27], v3, s37, v[4:5]
	;; [unrolled: 1-line block ×3, first 2 shown]
.LBB38_44:
	s_cbranch_execz .LBB38_46
	s_branch .LBB38_48
.LBB38_45:
                                        ; implicit-def: $vgpr2
                                        ; implicit-def: $vgpr4
                                        ; implicit-def: $vgpr0
.LBB38_46:
	s_waitcnt lgkmcnt(0)
	v_mul_hi_u32 v0, s13, v12
	v_add_u32_e32 v0, v12, v0
	v_lshrrev_b32_e32 v1, s14, v0
	v_mul_lo_u32 v0, v1, s12
	v_sub_u32_e32 v3, v12, v0
	v_mul_lo_u32 v0, v3, s8
	v_mul_lo_u32 v2, v3, s10
	s_andn2_b64 vcc, exec, s[24:25]
	v_mul_lo_u32 v4, v3, s9
	s_cbranch_vccnz .LBB38_48
; %bb.47:
	v_mul_hi_u32 v3, s22, v1
	v_add_u32_e32 v3, v1, v3
	v_lshrrev_b32_e32 v3, s23, v3
	v_mul_lo_u32 v3, v3, s15
	v_sub_u32_e32 v3, v1, v3
	v_mad_u64_u32 v[0:1], s[8:9], v3, s11, v[0:1]
	v_mad_u64_u32 v[4:5], s[8:9], v3, s20, v[4:5]
	;; [unrolled: 1-line block ×3, first 2 shown]
.LBB38_48:
	s_waitcnt lgkmcnt(0)
	global_load_ushort v1, v4, s[2:3]
	global_load_dword v3, v2, s[18:19]
	s_mov_b32 s8, 0x800000
	v_mov_b32_e32 v2, 0x800000
	s_mov_b32 s9, 0x3f7ffffe
	v_mov_b32_e32 v6, 0x3f7ffffe
	s_waitcnt vmcnt(1)
	v_cvt_f32_f16_e32 v1, v1
	s_waitcnt vmcnt(0)
	v_div_scale_f32 v4, s[2:3], v3, v3, v1
	v_rcp_f32_e32 v5, v4
	v_div_scale_f32 v7, vcc, v1, v3, v1
	v_fma_f32 v8, -v4, v5, 1.0
	v_fmac_f32_e32 v5, v8, v5
	v_mul_f32_e32 v8, v7, v5
	v_fma_f32 v9, -v4, v8, v7
	v_fmac_f32_e32 v8, v9, v5
	v_fma_f32 v4, -v4, v8, v7
	v_div_fmas_f32 v4, v4, v5, v8
	v_div_fixup_f32 v1, v4, v3, v1
	v_cmp_ngt_f32_e32 vcc, s8, v1
	v_cndmask_b32_e32 v1, v2, v1, vcc
	v_cmp_nlt_f32_e32 vcc, s9, v1
	v_cndmask_b32_e32 v1, v6, v1, vcc
	global_store_dword v0, v1, s[0:1]
.LBB38_49:
	s_or_b64 exec, exec, s[28:29]
                                        ; implicit-def: $vgpr24
                                        ; implicit-def: $vgpr12
.LBB38_50:
	s_waitcnt lgkmcnt(0)
	s_andn2_saveexec_b64 s[0:1], s[16:17]
	s_cbranch_execz .LBB38_57
; %bb.51:
	v_cndmask_b32_e64 v0, 0, 1, s[6:7]
	v_cmp_ne_u32_e64 s[0:1], 1, v0
	s_andn2_b64 vcc, exec, s[6:7]
	s_cbranch_vccnz .LBB38_58
; %bb.52:
	s_cmp_lg_u32 s33, 0
	v_mov_b32_e32 v2, 0
	v_mov_b32_e32 v4, 0
	;; [unrolled: 1-line block ×3, first 2 shown]
	s_cbranch_scc0 .LBB38_59
; %bb.53:
	s_min_u32 s6, s34, 15
	s_add_i32 s2, s6, 1
	s_and_b32 s7, s2, 30
	s_add_u32 s2, s4, 0xffffffec
	s_addc_u32 s3, s5, -1
	v_mov_b32_e32 v0, 0
	v_mov_b32_e32 v1, v12
	;; [unrolled: 1-line block ×4, first 2 shown]
.LBB38_54:                              ; =>This Inner Loop Header: Depth=1
	s_mov_b64 s[16:17], s[2:3]
	s_load_dwordx4 s[8:11], s[16:17], 0x18
	s_load_dwordx2 s[18:19], s[16:17], 0x28
	s_load_dwordx2 s[20:21], s[16:17], 0xe8
	s_load_dwordx4 s[12:15], s[16:17], 0xd8
	s_add_u32 s2, s16, 24
	s_waitcnt lgkmcnt(0)
	v_mul_hi_u32 v3, s9, v1
	v_add_u32_e32 v3, v1, v3
	v_lshrrev_b32_e32 v3, s10, v3
	v_mul_lo_u32 v5, v3, s8
	v_mul_hi_u32 v6, s18, v3
	v_sub_u32_e32 v1, v1, v5
	v_add_u32_e32 v5, v3, v6
	v_mul_lo_u32 v6, v1, s12
	v_mul_lo_u32 v7, v1, s13
	;; [unrolled: 1-line block ×3, first 2 shown]
	v_lshrrev_b32_e32 v1, s19, v5
	v_mul_lo_u32 v5, v1, s11
	v_sub_u32_e32 v3, v3, v5
	s_addc_u32 s3, s17, 0
	s_add_i32 s7, s7, -2
	v_mul_lo_u32 v5, v3, s15
	v_mul_lo_u32 v9, v3, s20
	;; [unrolled: 1-line block ×3, first 2 shown]
	s_cmp_lg_u32 s7, 0
	v_add3_u32 v0, v6, v0, v5
	v_add3_u32 v2, v8, v2, v3
	;; [unrolled: 1-line block ×3, first 2 shown]
	s_cbranch_scc1 .LBB38_54
; %bb.55:
	s_bitcmp1_b32 s6, 0
	s_cselect_b64 s[6:7], -1, 0
	s_and_b64 vcc, exec, s[6:7]
	s_cbranch_vccnz .LBB38_59
; %bb.56:
	s_load_dwordx2 s[6:7], s[2:3], 0x18
	s_load_dword s10, s[2:3], 0x20
	s_load_dword s11, s[2:3], 0xe0
	s_load_dwordx2 s[8:9], s[2:3], 0xd8
	s_waitcnt lgkmcnt(0)
	v_mul_hi_u32 v3, s7, v1
	v_add_u32_e32 v3, v1, v3
	v_lshrrev_b32_e32 v3, s10, v3
	v_mul_lo_u32 v3, v3, s6
	v_sub_u32_e32 v3, v1, v3
	v_mad_u64_u32 v[0:1], s[2:3], v3, s8, v[0:1]
	v_mad_u64_u32 v[4:5], s[2:3], v3, s9, v[4:5]
	;; [unrolled: 1-line block ×3, first 2 shown]
	s_cbranch_execz .LBB38_60
	s_branch .LBB38_62
.LBB38_57:
	s_endpgm
.LBB38_58:
                                        ; implicit-def: $vgpr2
                                        ; implicit-def: $vgpr4
                                        ; implicit-def: $vgpr0
	s_branch .LBB38_60
.LBB38_59:
	s_cbranch_execnz .LBB38_62
.LBB38_60:
	s_load_dwordx4 s[8:11], s[4:5], 0x4
	s_load_dwordx4 s[12:15], s[4:5], 0xc4
	s_cmp_lt_u32 s33, 2
	s_waitcnt lgkmcnt(0)
	v_mul_hi_u32 v0, s9, v12
	v_add_u32_e32 v0, v12, v0
	v_lshrrev_b32_e32 v1, s10, v0
	v_mul_lo_u32 v0, v1, s8
	v_sub_u32_e32 v3, v12, v0
	v_mul_lo_u32 v0, v3, s12
	v_mul_lo_u32 v2, v3, s14
	;; [unrolled: 1-line block ×3, first 2 shown]
	s_cbranch_scc1 .LBB38_62
; %bb.61:
	s_load_dwordx4 s[8:11], s[4:5], 0x10
	s_load_dwordx4 s[12:15], s[4:5], 0xd0
	s_waitcnt lgkmcnt(0)
	v_mul_hi_u32 v3, s9, v1
	v_add_u32_e32 v3, v1, v3
	v_lshrrev_b32_e32 v3, s10, v3
	v_mul_lo_u32 v3, v3, s8
	v_sub_u32_e32 v3, v1, v3
	v_mad_u64_u32 v[0:1], s[2:3], v3, s12, v[0:1]
	v_mad_u64_u32 v[4:5], s[2:3], v3, s13, v[4:5]
	;; [unrolled: 1-line block ×3, first 2 shown]
.LBB38_62:
	s_and_b64 vcc, exec, s[0:1]
	v_add_u32_e32 v1, 0x80, v12
	s_cbranch_vccnz .LBB38_68
; %bb.63:
	s_cmp_lg_u32 s33, 0
	v_mov_b32_e32 v10, 0
	v_mov_b32_e32 v8, 0
	;; [unrolled: 1-line block ×3, first 2 shown]
	s_cbranch_scc0 .LBB38_69
; %bb.64:
	s_min_u32 s6, s34, 15
	s_add_i32 s2, s6, 1
	s_and_b32 s7, s2, 30
	s_add_u32 s2, s4, 0xffffffec
	s_addc_u32 s3, s5, -1
	v_mov_b32_e32 v6, 0
	v_mov_b32_e32 v3, v1
	;; [unrolled: 1-line block ×4, first 2 shown]
.LBB38_65:                              ; =>This Inner Loop Header: Depth=1
	s_mov_b64 s[16:17], s[2:3]
	s_load_dwordx4 s[8:11], s[16:17], 0x18
	s_load_dwordx2 s[18:19], s[16:17], 0x28
	s_load_dwordx2 s[20:21], s[16:17], 0xe8
	s_load_dwordx4 s[12:15], s[16:17], 0xd8
	s_add_u32 s2, s16, 24
	s_waitcnt lgkmcnt(0)
	v_mul_hi_u32 v5, s9, v3
	v_add_u32_e32 v5, v3, v5
	v_lshrrev_b32_e32 v5, s10, v5
	v_mul_lo_u32 v7, v5, s8
	v_mul_hi_u32 v9, s18, v5
	v_sub_u32_e32 v3, v3, v7
	v_add_u32_e32 v7, v5, v9
	v_mul_lo_u32 v9, v3, s12
	v_mul_lo_u32 v11, v3, s13
	;; [unrolled: 1-line block ×3, first 2 shown]
	v_lshrrev_b32_e32 v3, s19, v7
	v_mul_lo_u32 v7, v3, s11
	v_sub_u32_e32 v5, v5, v7
	s_addc_u32 s3, s17, 0
	s_add_i32 s7, s7, -2
	v_mul_lo_u32 v7, v5, s15
	v_mul_lo_u32 v14, v5, s20
	;; [unrolled: 1-line block ×3, first 2 shown]
	s_cmp_lg_u32 s7, 0
	v_add3_u32 v6, v9, v6, v7
	v_add3_u32 v10, v13, v10, v5
	;; [unrolled: 1-line block ×3, first 2 shown]
	s_cbranch_scc1 .LBB38_65
; %bb.66:
	s_bitcmp1_b32 s6, 0
	s_cselect_b64 s[6:7], -1, 0
	s_and_b64 vcc, exec, s[6:7]
	s_cbranch_vccnz .LBB38_69
; %bb.67:
	s_load_dwordx2 s[6:7], s[2:3], 0x18
	s_load_dword s10, s[2:3], 0x20
	s_load_dword s11, s[2:3], 0xe0
	s_load_dwordx2 s[8:9], s[2:3], 0xd8
	s_waitcnt lgkmcnt(0)
	v_mul_hi_u32 v5, s7, v3
	v_add_u32_e32 v5, v3, v5
	v_lshrrev_b32_e32 v5, s10, v5
	v_mul_lo_u32 v5, v5, s6
	v_sub_u32_e32 v3, v3, v5
	v_mad_u64_u32 v[6:7], s[2:3], v3, s8, v[6:7]
	v_mad_u64_u32 v[8:9], s[2:3], v3, s9, v[8:9]
	v_mad_u64_u32 v[10:11], s[2:3], v3, s11, v[10:11]
	s_cbranch_execz .LBB38_70
	s_branch .LBB38_72
.LBB38_68:
                                        ; implicit-def: $vgpr10
                                        ; implicit-def: $vgpr8
                                        ; implicit-def: $vgpr6
	s_branch .LBB38_70
.LBB38_69:
	s_cbranch_execnz .LBB38_72
.LBB38_70:
	s_load_dwordx4 s[8:11], s[4:5], 0x4
	s_load_dwordx4 s[12:15], s[4:5], 0xc4
	s_cmp_lt_u32 s33, 2
	s_waitcnt lgkmcnt(0)
	v_mul_hi_u32 v3, s9, v1
	v_add_u32_e32 v3, v1, v3
	v_lshrrev_b32_e32 v3, s10, v3
	v_mul_lo_u32 v5, v3, s8
	v_sub_u32_e32 v1, v1, v5
	v_mul_lo_u32 v6, v1, s12
	v_mul_lo_u32 v10, v1, s14
	;; [unrolled: 1-line block ×3, first 2 shown]
	s_cbranch_scc1 .LBB38_72
; %bb.71:
	s_load_dwordx4 s[8:11], s[4:5], 0x10
	s_load_dwordx4 s[12:15], s[4:5], 0xd0
	s_waitcnt lgkmcnt(0)
	v_mul_hi_u32 v1, s9, v3
	v_add_u32_e32 v1, v3, v1
	v_lshrrev_b32_e32 v1, s10, v1
	v_mul_lo_u32 v1, v1, s8
	v_sub_u32_e32 v1, v3, v1
	v_mad_u64_u32 v[6:7], s[2:3], v1, s12, v[6:7]
	v_mad_u64_u32 v[8:9], s[2:3], v1, s13, v[8:9]
	;; [unrolled: 1-line block ×3, first 2 shown]
.LBB38_72:
	s_and_b64 vcc, exec, s[0:1]
	v_add_u32_e32 v1, 0x100, v12
	s_cbranch_vccnz .LBB38_78
; %bb.73:
	s_cmp_lg_u32 s33, 0
	v_mov_b32_e32 v14, 0
	v_mov_b32_e32 v16, 0
	;; [unrolled: 1-line block ×3, first 2 shown]
	s_cbranch_scc0 .LBB38_79
; %bb.74:
	s_min_u32 s6, s34, 15
	s_add_i32 s2, s6, 1
	s_and_b32 s7, s2, 30
	s_add_u32 s2, s4, 0xffffffec
	s_addc_u32 s3, s5, -1
	v_mov_b32_e32 v12, 0
	v_mov_b32_e32 v3, v1
	;; [unrolled: 1-line block ×4, first 2 shown]
.LBB38_75:                              ; =>This Inner Loop Header: Depth=1
	s_mov_b64 s[16:17], s[2:3]
	s_load_dwordx4 s[8:11], s[16:17], 0x18
	s_load_dwordx2 s[18:19], s[16:17], 0x28
	s_load_dwordx2 s[20:21], s[16:17], 0xe8
	s_load_dwordx4 s[12:15], s[16:17], 0xd8
	s_add_u32 s2, s16, 24
	s_waitcnt lgkmcnt(0)
	v_mul_hi_u32 v5, s9, v3
	v_add_u32_e32 v5, v3, v5
	v_lshrrev_b32_e32 v5, s10, v5
	v_mul_lo_u32 v7, v5, s8
	v_mul_hi_u32 v9, s18, v5
	v_sub_u32_e32 v3, v3, v7
	v_add_u32_e32 v7, v5, v9
	v_mul_lo_u32 v9, v3, s12
	v_mul_lo_u32 v11, v3, s13
	;; [unrolled: 1-line block ×3, first 2 shown]
	v_lshrrev_b32_e32 v3, s19, v7
	v_mul_lo_u32 v7, v3, s11
	v_sub_u32_e32 v5, v5, v7
	s_addc_u32 s3, s17, 0
	s_add_i32 s7, s7, -2
	v_mul_lo_u32 v7, v5, s15
	v_mul_lo_u32 v15, v5, s20
	;; [unrolled: 1-line block ×3, first 2 shown]
	s_cmp_lg_u32 s7, 0
	v_add3_u32 v12, v9, v12, v7
	v_add3_u32 v14, v13, v14, v5
	;; [unrolled: 1-line block ×3, first 2 shown]
	s_cbranch_scc1 .LBB38_75
; %bb.76:
	s_bitcmp1_b32 s6, 0
	s_cselect_b64 s[6:7], -1, 0
	s_and_b64 vcc, exec, s[6:7]
	s_cbranch_vccnz .LBB38_79
; %bb.77:
	s_load_dwordx2 s[6:7], s[2:3], 0x18
	s_load_dword s10, s[2:3], 0x20
	s_load_dword s11, s[2:3], 0xe0
	s_load_dwordx2 s[8:9], s[2:3], 0xd8
	s_waitcnt lgkmcnt(0)
	v_mul_hi_u32 v5, s7, v3
	v_add_u32_e32 v5, v3, v5
	v_lshrrev_b32_e32 v5, s10, v5
	v_mul_lo_u32 v5, v5, s6
	v_sub_u32_e32 v3, v3, v5
	v_mad_u64_u32 v[12:13], s[2:3], v3, s8, v[12:13]
	v_mad_u64_u32 v[16:17], s[2:3], v3, s9, v[16:17]
	;; [unrolled: 1-line block ×3, first 2 shown]
	s_cbranch_execz .LBB38_80
	s_branch .LBB38_82
.LBB38_78:
                                        ; implicit-def: $vgpr14
                                        ; implicit-def: $vgpr16
                                        ; implicit-def: $vgpr12
	s_branch .LBB38_80
.LBB38_79:
	s_cbranch_execnz .LBB38_82
.LBB38_80:
	s_load_dwordx4 s[8:11], s[4:5], 0x4
	s_load_dwordx4 s[12:15], s[4:5], 0xc4
	s_cmp_lt_u32 s33, 2
	s_waitcnt lgkmcnt(0)
	v_mul_hi_u32 v3, s9, v1
	v_add_u32_e32 v3, v1, v3
	v_lshrrev_b32_e32 v3, s10, v3
	v_mul_lo_u32 v5, v3, s8
	v_sub_u32_e32 v1, v1, v5
	v_mul_lo_u32 v12, v1, s12
	v_mul_lo_u32 v14, v1, s14
	;; [unrolled: 1-line block ×3, first 2 shown]
	s_cbranch_scc1 .LBB38_82
; %bb.81:
	s_load_dwordx4 s[8:11], s[4:5], 0x10
	s_load_dwordx4 s[12:15], s[4:5], 0xd0
	s_waitcnt lgkmcnt(0)
	v_mul_hi_u32 v1, s9, v3
	v_add_u32_e32 v1, v3, v1
	v_lshrrev_b32_e32 v1, s10, v1
	v_mul_lo_u32 v1, v1, s8
	v_sub_u32_e32 v1, v3, v1
	v_mad_u64_u32 v[12:13], s[2:3], v1, s12, v[12:13]
	v_mad_u64_u32 v[16:17], s[2:3], v1, s13, v[16:17]
	;; [unrolled: 1-line block ×3, first 2 shown]
.LBB38_82:
	s_and_b64 vcc, exec, s[0:1]
	s_cbranch_vccnz .LBB38_88
; %bb.83:
	s_cmp_lg_u32 s33, 0
	v_mov_b32_e32 v20, 0
	v_mov_b32_e32 v22, 0
	;; [unrolled: 1-line block ×3, first 2 shown]
	s_cbranch_scc0 .LBB38_89
; %bb.84:
	s_min_u32 s2, s34, 15
	s_add_i32 s0, s2, 1
	s_and_b32 s3, s0, 30
	s_add_u32 s0, s4, 0xffffffec
	s_addc_u32 s1, s5, -1
	v_mov_b32_e32 v18, 0
	v_mov_b32_e32 v1, v24
	;; [unrolled: 1-line block ×4, first 2 shown]
.LBB38_85:                              ; =>This Inner Loop Header: Depth=1
	s_mov_b64 s[6:7], s[0:1]
	s_load_dwordx4 s[8:11], s[6:7], 0x18
	s_load_dwordx2 s[16:17], s[6:7], 0x28
	s_load_dwordx2 s[18:19], s[6:7], 0xe8
	s_load_dwordx4 s[12:15], s[6:7], 0xd8
	s_add_u32 s0, s6, 24
	s_waitcnt lgkmcnt(0)
	v_mul_hi_u32 v3, s9, v1
	v_add_u32_e32 v3, v1, v3
	v_lshrrev_b32_e32 v3, s10, v3
	v_mul_lo_u32 v5, v3, s8
	v_mul_hi_u32 v7, s16, v3
	v_sub_u32_e32 v1, v1, v5
	v_add_u32_e32 v5, v3, v7
	v_mul_lo_u32 v7, v1, s12
	v_mul_lo_u32 v9, v1, s13
	;; [unrolled: 1-line block ×3, first 2 shown]
	v_lshrrev_b32_e32 v1, s17, v5
	v_mul_lo_u32 v5, v1, s11
	v_sub_u32_e32 v3, v3, v5
	s_addc_u32 s1, s7, 0
	s_add_i32 s3, s3, -2
	v_mul_lo_u32 v5, v3, s15
	v_mul_lo_u32 v13, v3, s18
	;; [unrolled: 1-line block ×3, first 2 shown]
	s_cmp_lg_u32 s3, 0
	v_add3_u32 v18, v7, v18, v5
	v_add3_u32 v20, v11, v20, v3
	;; [unrolled: 1-line block ×3, first 2 shown]
	s_cbranch_scc1 .LBB38_85
; %bb.86:
	s_bitcmp1_b32 s2, 0
	s_cselect_b64 s[2:3], -1, 0
	s_and_b64 vcc, exec, s[2:3]
	s_cbranch_vccnz .LBB38_89
; %bb.87:
	s_load_dwordx2 s[2:3], s[0:1], 0x18
	s_load_dword s8, s[0:1], 0x20
	s_load_dword s9, s[0:1], 0xe0
	s_load_dwordx2 s[6:7], s[0:1], 0xd8
	s_waitcnt lgkmcnt(0)
	v_mul_hi_u32 v3, s3, v1
	v_add_u32_e32 v3, v1, v3
	v_lshrrev_b32_e32 v3, s8, v3
	v_mul_lo_u32 v3, v3, s2
	v_sub_u32_e32 v1, v1, v3
	v_mad_u64_u32 v[18:19], s[0:1], v1, s6, v[18:19]
	v_mad_u64_u32 v[22:23], s[0:1], v1, s7, v[22:23]
	;; [unrolled: 1-line block ×3, first 2 shown]
	s_cbranch_execz .LBB38_90
	s_branch .LBB38_92
.LBB38_88:
                                        ; implicit-def: $vgpr20
                                        ; implicit-def: $vgpr22
                                        ; implicit-def: $vgpr18
	s_branch .LBB38_90
.LBB38_89:
	s_cbranch_execnz .LBB38_92
.LBB38_90:
	s_load_dwordx4 s[0:3], s[4:5], 0x4
	s_load_dwordx4 s[8:11], s[4:5], 0xc4
	s_cmp_lt_u32 s33, 2
	s_waitcnt lgkmcnt(0)
	v_mul_hi_u32 v1, s1, v24
	v_add_u32_e32 v1, v24, v1
	v_lshrrev_b32_e32 v1, s2, v1
	v_mul_lo_u32 v3, v1, s0
	v_sub_u32_e32 v3, v24, v3
	v_mul_lo_u32 v18, v3, s8
	v_mul_lo_u32 v20, v3, s10
	;; [unrolled: 1-line block ×3, first 2 shown]
	s_cbranch_scc1 .LBB38_92
; %bb.91:
	s_load_dwordx4 s[0:3], s[4:5], 0x10
	s_load_dwordx4 s[8:11], s[4:5], 0xd0
	s_waitcnt lgkmcnt(0)
	v_mul_hi_u32 v3, s1, v1
	v_add_u32_e32 v3, v1, v3
	v_lshrrev_b32_e32 v3, s2, v3
	v_mul_lo_u32 v3, v3, s0
	v_sub_u32_e32 v1, v1, v3
	v_mad_u64_u32 v[18:19], s[0:1], v1, s8, v[18:19]
	v_mad_u64_u32 v[22:23], s[0:1], v1, s9, v[22:23]
	v_mad_u64_u32 v[20:21], s[0:1], v1, s10, v[20:21]
.LBB38_92:
	s_load_dwordx4 s[8:11], s[4:5], 0x188
	s_load_dwordx2 s[0:1], s[4:5], 0x198
	s_mov_b32 s6, 0x800000
	s_mov_b32 s7, 0x3f7ffffe
	s_waitcnt lgkmcnt(0)
	global_load_ushort v1, v4, s[10:11]
	global_load_ushort v3, v8, s[10:11]
	;; [unrolled: 1-line block ×4, first 2 shown]
	global_load_dword v9, v2, s[0:1]
	global_load_dword v11, v10, s[0:1]
	global_load_dword v13, v14, s[0:1]
	global_load_dword v15, v20, s[0:1]
	v_mov_b32_e32 v2, 0x800000
	v_mov_b32_e32 v4, 0x3f7ffffe
	s_waitcnt vmcnt(7)
	v_cvt_f32_f16_e32 v1, v1
	s_waitcnt vmcnt(6)
	v_cvt_f32_f16_e32 v3, v3
	;; [unrolled: 2-line block ×4, first 2 shown]
	s_waitcnt vmcnt(3)
	v_div_scale_f32 v8, s[0:1], v9, v9, v1
	v_rcp_f32_e32 v22, v8
	s_waitcnt vmcnt(2)
	v_div_scale_f32 v14, s[0:1], v11, v11, v3
	v_rcp_f32_e32 v23, v14
	;; [unrolled: 3-line block ×3, first 2 shown]
	v_fma_f32 v26, -v8, v22, 1.0
	v_div_scale_f32 v10, vcc, v1, v9, v1
	v_fmac_f32_e32 v22, v26, v22
	s_waitcnt vmcnt(0)
	v_div_scale_f32 v20, s[4:5], v15, v15, v7
	v_fma_f32 v27, -v14, v23, 1.0
	v_mul_f32_e32 v26, v10, v22
	v_div_scale_f32 v16, s[0:1], v3, v11, v3
	v_rcp_f32_e32 v25, v20
	v_fmac_f32_e32 v23, v27, v23
	v_fma_f32 v30, -v8, v26, v10
	v_fma_f32 v28, -v17, v24, 1.0
	v_mul_f32_e32 v27, v16, v23
	v_fmac_f32_e32 v26, v30, v22
	v_div_scale_f32 v19, s[2:3], v5, v13, v5
	v_fmac_f32_e32 v24, v28, v24
	v_fma_f32 v31, -v14, v27, v16
	v_fma_f32 v8, -v8, v26, v10
	v_mul_f32_e32 v28, v19, v24
	v_fmac_f32_e32 v27, v31, v23
	v_div_fmas_f32 v8, v8, v22, v26
	v_fma_f32 v29, -v20, v25, 1.0
	v_fma_f32 v32, -v17, v28, v19
	v_fma_f32 v10, -v14, v27, v16
	v_div_fixup_f32 v1, v8, v9, v1
	s_mov_b64 vcc, s[0:1]
	v_div_scale_f32 v21, s[4:5], v7, v15, v7
	v_fmac_f32_e32 v25, v29, v25
	v_fmac_f32_e32 v28, v32, v24
	v_div_fmas_f32 v8, v10, v23, v27
	v_cmp_ngt_f32_e32 vcc, s6, v1
	v_mul_f32_e32 v29, v21, v25
	v_fma_f32 v14, -v17, v28, v19
	v_cndmask_b32_e32 v1, v2, v1, vcc
	s_mov_b64 vcc, s[2:3]
	v_fma_f32 v33, -v20, v29, v21
	v_div_fixup_f32 v3, v8, v11, v3
	v_div_fmas_f32 v8, v14, v24, v28
	v_cmp_nlt_f32_e32 vcc, s7, v1
	v_fmac_f32_e32 v29, v33, v25
	v_cndmask_b32_e32 v1, v4, v1, vcc
	v_cmp_ngt_f32_e32 vcc, s6, v3
	v_fma_f32 v16, -v20, v29, v21
	v_cndmask_b32_e32 v3, v2, v3, vcc
	s_mov_b64 vcc, s[4:5]
	v_div_fixup_f32 v5, v8, v13, v5
	v_div_fmas_f32 v8, v16, v25, v29
	v_cmp_nlt_f32_e32 vcc, s7, v3
	v_cndmask_b32_e32 v3, v4, v3, vcc
	v_cmp_ngt_f32_e32 vcc, s6, v5
	v_cndmask_b32_e32 v5, v2, v5, vcc
	v_div_fixup_f32 v7, v8, v15, v7
	v_cmp_nlt_f32_e32 vcc, s7, v5
	global_store_dword v0, v1, s[8:9]
	v_cndmask_b32_e32 v0, v4, v5, vcc
	v_cmp_ngt_f32_e32 vcc, s6, v7
	v_cndmask_b32_e32 v1, v2, v7, vcc
	v_cmp_nlt_f32_e32 vcc, s7, v1
	global_store_dword v6, v3, s[8:9]
	v_cndmask_b32_e32 v1, v4, v1, vcc
	global_store_dword v12, v0, s[8:9]
	global_store_dword v18, v1, s[8:9]
	s_endpgm
	.section	.rodata,"a",@progbits
	.p2align	6, 0x0
	.amdhsa_kernel _ZN2at6native32elementwise_kernel_manual_unrollILi128ELi4EZNS0_12_GLOBAL__N_142type_specialized_broadcast_kernel_launcherILi4EE5applyIZZZNS0_23launch_dirichlet_kernelERNS_18TensorIteratorBaseEENKUlvE_clEvENKUlvE0_clEvEUlffE_St5arrayIPcLm3EESB_IN3c1010ScalarTypeELm3EE16OffsetCalculatorILi3EjLb0EEEEvlT_T0_T1_T2_EUlibE_EEviSL_
		.amdhsa_group_segment_fixed_size 0
		.amdhsa_private_segment_fixed_size 0
		.amdhsa_kernarg_size 432
		.amdhsa_user_sgpr_count 6
		.amdhsa_user_sgpr_private_segment_buffer 1
		.amdhsa_user_sgpr_dispatch_ptr 0
		.amdhsa_user_sgpr_queue_ptr 0
		.amdhsa_user_sgpr_kernarg_segment_ptr 1
		.amdhsa_user_sgpr_dispatch_id 0
		.amdhsa_user_sgpr_flat_scratch_init 0
		.amdhsa_user_sgpr_kernarg_preload_length 0
		.amdhsa_user_sgpr_kernarg_preload_offset 0
		.amdhsa_user_sgpr_private_segment_size 0
		.amdhsa_uses_dynamic_stack 0
		.amdhsa_system_sgpr_private_segment_wavefront_offset 0
		.amdhsa_system_sgpr_workgroup_id_x 1
		.amdhsa_system_sgpr_workgroup_id_y 0
		.amdhsa_system_sgpr_workgroup_id_z 0
		.amdhsa_system_sgpr_workgroup_info 0
		.amdhsa_system_vgpr_workitem_id 0
		.amdhsa_next_free_vgpr 34
		.amdhsa_next_free_sgpr 52
		.amdhsa_accum_offset 36
		.amdhsa_reserve_vcc 1
		.amdhsa_reserve_flat_scratch 0
		.amdhsa_float_round_mode_32 0
		.amdhsa_float_round_mode_16_64 0
		.amdhsa_float_denorm_mode_32 3
		.amdhsa_float_denorm_mode_16_64 3
		.amdhsa_dx10_clamp 1
		.amdhsa_ieee_mode 1
		.amdhsa_fp16_overflow 0
		.amdhsa_tg_split 0
		.amdhsa_exception_fp_ieee_invalid_op 0
		.amdhsa_exception_fp_denorm_src 0
		.amdhsa_exception_fp_ieee_div_zero 0
		.amdhsa_exception_fp_ieee_overflow 0
		.amdhsa_exception_fp_ieee_underflow 0
		.amdhsa_exception_fp_ieee_inexact 0
		.amdhsa_exception_int_div_zero 0
	.end_amdhsa_kernel
	.section	.text._ZN2at6native32elementwise_kernel_manual_unrollILi128ELi4EZNS0_12_GLOBAL__N_142type_specialized_broadcast_kernel_launcherILi4EE5applyIZZZNS0_23launch_dirichlet_kernelERNS_18TensorIteratorBaseEENKUlvE_clEvENKUlvE0_clEvEUlffE_St5arrayIPcLm3EESB_IN3c1010ScalarTypeELm3EE16OffsetCalculatorILi3EjLb0EEEEvlT_T0_T1_T2_EUlibE_EEviSL_,"axG",@progbits,_ZN2at6native32elementwise_kernel_manual_unrollILi128ELi4EZNS0_12_GLOBAL__N_142type_specialized_broadcast_kernel_launcherILi4EE5applyIZZZNS0_23launch_dirichlet_kernelERNS_18TensorIteratorBaseEENKUlvE_clEvENKUlvE0_clEvEUlffE_St5arrayIPcLm3EESB_IN3c1010ScalarTypeELm3EE16OffsetCalculatorILi3EjLb0EEEEvlT_T0_T1_T2_EUlibE_EEviSL_,comdat
.Lfunc_end38:
	.size	_ZN2at6native32elementwise_kernel_manual_unrollILi128ELi4EZNS0_12_GLOBAL__N_142type_specialized_broadcast_kernel_launcherILi4EE5applyIZZZNS0_23launch_dirichlet_kernelERNS_18TensorIteratorBaseEENKUlvE_clEvENKUlvE0_clEvEUlffE_St5arrayIPcLm3EESB_IN3c1010ScalarTypeELm3EE16OffsetCalculatorILi3EjLb0EEEEvlT_T0_T1_T2_EUlibE_EEviSL_, .Lfunc_end38-_ZN2at6native32elementwise_kernel_manual_unrollILi128ELi4EZNS0_12_GLOBAL__N_142type_specialized_broadcast_kernel_launcherILi4EE5applyIZZZNS0_23launch_dirichlet_kernelERNS_18TensorIteratorBaseEENKUlvE_clEvENKUlvE0_clEvEUlffE_St5arrayIPcLm3EESB_IN3c1010ScalarTypeELm3EE16OffsetCalculatorILi3EjLb0EEEEvlT_T0_T1_T2_EUlibE_EEviSL_
                                        ; -- End function
	.section	.AMDGPU.csdata,"",@progbits
; Kernel info:
; codeLenInByte = 5560
; NumSgprs: 56
; NumVgprs: 34
; NumAgprs: 0
; TotalNumVgprs: 34
; ScratchSize: 0
; MemoryBound: 0
; FloatMode: 240
; IeeeMode: 1
; LDSByteSize: 0 bytes/workgroup (compile time only)
; SGPRBlocks: 6
; VGPRBlocks: 4
; NumSGPRsForWavesPerEU: 56
; NumVGPRsForWavesPerEU: 34
; AccumOffset: 36
; Occupancy: 8
; WaveLimiterHint : 1
; COMPUTE_PGM_RSRC2:SCRATCH_EN: 0
; COMPUTE_PGM_RSRC2:USER_SGPR: 6
; COMPUTE_PGM_RSRC2:TRAP_HANDLER: 0
; COMPUTE_PGM_RSRC2:TGID_X_EN: 1
; COMPUTE_PGM_RSRC2:TGID_Y_EN: 0
; COMPUTE_PGM_RSRC2:TGID_Z_EN: 0
; COMPUTE_PGM_RSRC2:TIDIG_COMP_CNT: 0
; COMPUTE_PGM_RSRC3_GFX90A:ACCUM_OFFSET: 8
; COMPUTE_PGM_RSRC3_GFX90A:TG_SPLIT: 0
	.section	.text._ZN2at6native32elementwise_kernel_manual_unrollILi128ELi4EZNS0_12_GLOBAL__N_142type_specialized_broadcast_kernel_launcherILi5EE5applyIZZZNS0_23launch_dirichlet_kernelERNS_18TensorIteratorBaseEENKUlvE_clEvENKUlvE0_clEvEUlffE_St5arrayIPcLm3EESB_IN3c1010ScalarTypeELm3EE16OffsetCalculatorILi3EjLb0EEEEvlT_T0_T1_T2_EUlibE_EEviSL_,"axG",@progbits,_ZN2at6native32elementwise_kernel_manual_unrollILi128ELi4EZNS0_12_GLOBAL__N_142type_specialized_broadcast_kernel_launcherILi5EE5applyIZZZNS0_23launch_dirichlet_kernelERNS_18TensorIteratorBaseEENKUlvE_clEvENKUlvE0_clEvEUlffE_St5arrayIPcLm3EESB_IN3c1010ScalarTypeELm3EE16OffsetCalculatorILi3EjLb0EEEEvlT_T0_T1_T2_EUlibE_EEviSL_,comdat
	.globl	_ZN2at6native32elementwise_kernel_manual_unrollILi128ELi4EZNS0_12_GLOBAL__N_142type_specialized_broadcast_kernel_launcherILi5EE5applyIZZZNS0_23launch_dirichlet_kernelERNS_18TensorIteratorBaseEENKUlvE_clEvENKUlvE0_clEvEUlffE_St5arrayIPcLm3EESB_IN3c1010ScalarTypeELm3EE16OffsetCalculatorILi3EjLb0EEEEvlT_T0_T1_T2_EUlibE_EEviSL_ ; -- Begin function _ZN2at6native32elementwise_kernel_manual_unrollILi128ELi4EZNS0_12_GLOBAL__N_142type_specialized_broadcast_kernel_launcherILi5EE5applyIZZZNS0_23launch_dirichlet_kernelERNS_18TensorIteratorBaseEENKUlvE_clEvENKUlvE0_clEvEUlffE_St5arrayIPcLm3EESB_IN3c1010ScalarTypeELm3EE16OffsetCalculatorILi3EjLb0EEEEvlT_T0_T1_T2_EUlibE_EEviSL_
	.p2align	8
	.type	_ZN2at6native32elementwise_kernel_manual_unrollILi128ELi4EZNS0_12_GLOBAL__N_142type_specialized_broadcast_kernel_launcherILi5EE5applyIZZZNS0_23launch_dirichlet_kernelERNS_18TensorIteratorBaseEENKUlvE_clEvENKUlvE0_clEvEUlffE_St5arrayIPcLm3EESB_IN3c1010ScalarTypeELm3EE16OffsetCalculatorILi3EjLb0EEEEvlT_T0_T1_T2_EUlibE_EEviSL_,@function
_ZN2at6native32elementwise_kernel_manual_unrollILi128ELi4EZNS0_12_GLOBAL__N_142type_specialized_broadcast_kernel_launcherILi5EE5applyIZZZNS0_23launch_dirichlet_kernelERNS_18TensorIteratorBaseEENKUlvE_clEvENKUlvE0_clEvEUlffE_St5arrayIPcLm3EESB_IN3c1010ScalarTypeELm3EE16OffsetCalculatorILi3EjLb0EEEEvlT_T0_T1_T2_EUlibE_EEviSL_: ; @_ZN2at6native32elementwise_kernel_manual_unrollILi128ELi4EZNS0_12_GLOBAL__N_142type_specialized_broadcast_kernel_launcherILi5EE5applyIZZZNS0_23launch_dirichlet_kernelERNS_18TensorIteratorBaseEENKUlvE_clEvENKUlvE0_clEvEUlffE_St5arrayIPcLm3EESB_IN3c1010ScalarTypeELm3EE16OffsetCalculatorILi3EjLb0EEEEvlT_T0_T1_T2_EUlibE_EEviSL_
; %bb.0:
	s_load_dword s36, s[4:5], 0x0
	s_load_dword s33, s[4:5], 0x8
	s_or_b32 s4, s4, 8
	v_lshl_or_b32 v12, s6, 9, v0
	v_or_b32_e32 v24, 0x180, v12
	s_waitcnt lgkmcnt(0)
	v_cmp_le_i32_e32 vcc, s36, v24
	s_add_i32 s34, s33, -1
	s_cmp_gt_u32 s34, 1
	s_cselect_b64 s[6:7], -1, 0
	s_mov_b64 s[12:13], 0
                                        ; implicit-def: $vgpr2_vgpr3
                                        ; implicit-def: $vgpr1
	s_and_saveexec_b64 s[0:1], vcc
	s_xor_b64 s[16:17], exec, s[0:1]
	s_cbranch_execnz .LBB39_4
; %bb.1:
	s_andn2_saveexec_b64 s[14:15], s[16:17]
	s_cbranch_execnz .LBB39_53
.LBB39_2:
	s_or_b64 exec, exec, s[14:15]
	s_and_saveexec_b64 s[0:1], s[12:13]
	s_cbranch_execnz .LBB39_94
.LBB39_3:
	s_endpgm
.LBB39_4:
	s_load_dwordx4 s[12:15], s[4:5], 0x4
	s_load_dwordx2 s[22:23], s[4:5], 0x14
	s_load_dwordx4 s[8:11], s[4:5], 0xc4
	s_load_dwordx2 s[20:21], s[4:5], 0xd4
	s_load_dwordx2 s[18:19], s[4:5], 0x198
	s_load_dwordx4 s[0:3], s[4:5], 0x188
	s_cmp_lg_u32 s33, 0
	s_cselect_b64 s[26:27], -1, 0
	s_min_u32 s35, s34, 15
	s_cmp_gt_u32 s33, 1
	s_cselect_b64 s[24:25], -1, 0
	v_cmp_gt_i32_e32 vcc, s36, v12
	s_and_saveexec_b64 s[28:29], vcc
	s_cbranch_execnz .LBB39_7
; %bb.5:
	s_or_b64 exec, exec, s[28:29]
	v_cmp_gt_i32_e32 vcc, s36, v12
	s_and_saveexec_b64 s[28:29], vcc
	s_cbranch_execnz .LBB39_18
.LBB39_6:
	s_or_b64 exec, exec, s[28:29]
	v_cmp_gt_i32_e32 vcc, s36, v12
	s_and_saveexec_b64 s[28:29], vcc
	s_cbranch_execnz .LBB39_29
	s_branch .LBB39_40
.LBB39_7:
	s_andn2_b64 vcc, exec, s[6:7]
	s_cbranch_vccnz .LBB39_14
; %bb.8:
	s_andn2_b64 vcc, exec, s[26:27]
	v_mov_b32_e32 v2, 0
	v_mov_b32_e32 v4, 0
	;; [unrolled: 1-line block ×3, first 2 shown]
	s_cbranch_vccnz .LBB39_13
; %bb.9:
	s_add_i32 s30, s35, 1
	s_and_b32 s37, s30, 30
	s_add_u32 s30, s4, 0xffffffec
	s_addc_u32 s31, s5, -1
	v_mov_b32_e32 v0, 0
	v_mov_b32_e32 v1, v12
	;; [unrolled: 1-line block ×4, first 2 shown]
.LBB39_10:                              ; =>This Inner Loop Header: Depth=1
	s_mov_b64 s[38:39], s[30:31]
	s_load_dwordx4 s[40:43], s[38:39], 0x18
	s_load_dwordx2 s[48:49], s[38:39], 0x28
	s_load_dwordx2 s[50:51], s[38:39], 0xe8
	s_load_dwordx4 s[44:47], s[38:39], 0xd8
	s_add_u32 s30, s38, 24
	s_waitcnt lgkmcnt(0)
	v_mul_hi_u32 v3, s41, v1
	v_add_u32_e32 v3, v1, v3
	v_lshrrev_b32_e32 v3, s42, v3
	v_mul_lo_u32 v5, v3, s40
	v_mul_hi_u32 v6, s48, v3
	v_sub_u32_e32 v1, v1, v5
	v_add_u32_e32 v5, v3, v6
	v_mul_lo_u32 v6, v1, s44
	v_mul_lo_u32 v7, v1, s45
	;; [unrolled: 1-line block ×3, first 2 shown]
	v_lshrrev_b32_e32 v1, s49, v5
	v_mul_lo_u32 v5, v1, s43
	v_sub_u32_e32 v3, v3, v5
	s_addc_u32 s31, s39, 0
	s_add_i32 s37, s37, -2
	v_mul_lo_u32 v5, v3, s47
	v_mul_lo_u32 v9, v3, s50
	v_mul_lo_u32 v3, v3, s51
	s_cmp_lg_u32 s37, 0
	v_add3_u32 v0, v6, v0, v5
	v_add3_u32 v2, v8, v2, v3
	;; [unrolled: 1-line block ×3, first 2 shown]
	s_cbranch_scc1 .LBB39_10
; %bb.11:
	s_bitcmp1_b32 s35, 0
	s_cselect_b64 s[38:39], -1, 0
	s_and_b64 vcc, exec, s[38:39]
	s_cbranch_vccnz .LBB39_13
; %bb.12:
	s_load_dwordx2 s[38:39], s[30:31], 0x18
	s_load_dword s37, s[30:31], 0x20
	s_load_dword s42, s[30:31], 0xe0
	s_load_dwordx2 s[40:41], s[30:31], 0xd8
	s_waitcnt lgkmcnt(0)
	v_mul_hi_u32 v3, s39, v1
	v_add_u32_e32 v3, v1, v3
	v_lshrrev_b32_e32 v3, s37, v3
	v_mul_lo_u32 v3, v3, s38
	v_sub_u32_e32 v3, v1, v3
	v_mad_u64_u32 v[0:1], s[30:31], v3, s40, v[0:1]
	v_mad_u64_u32 v[4:5], s[30:31], v3, s41, v[4:5]
	;; [unrolled: 1-line block ×3, first 2 shown]
.LBB39_13:
	s_cbranch_execz .LBB39_15
	s_branch .LBB39_17
.LBB39_14:
                                        ; implicit-def: $vgpr2
                                        ; implicit-def: $vgpr4
                                        ; implicit-def: $vgpr0
.LBB39_15:
	s_waitcnt lgkmcnt(0)
	v_mul_hi_u32 v0, s13, v12
	v_add_u32_e32 v0, v12, v0
	v_lshrrev_b32_e32 v1, s14, v0
	v_mul_lo_u32 v0, v1, s12
	v_sub_u32_e32 v3, v12, v0
	v_mul_lo_u32 v0, v3, s8
	v_mul_lo_u32 v2, v3, s10
	s_andn2_b64 vcc, exec, s[24:25]
	v_mul_lo_u32 v4, v3, s9
	s_cbranch_vccnz .LBB39_17
; %bb.16:
	v_mul_hi_u32 v3, s22, v1
	v_add_u32_e32 v3, v1, v3
	v_lshrrev_b32_e32 v3, s23, v3
	v_mul_lo_u32 v3, v3, s15
	v_sub_u32_e32 v3, v1, v3
	v_mad_u64_u32 v[0:1], s[30:31], v3, s11, v[0:1]
	v_mad_u64_u32 v[4:5], s[30:31], v3, s20, v[4:5]
	;; [unrolled: 1-line block ×3, first 2 shown]
.LBB39_17:
	s_waitcnt lgkmcnt(0)
	global_load_ushort v1, v4, s[2:3]
	global_load_dword v3, v2, s[18:19]
	s_mov_b32 s37, 0x800000
	v_mov_b32_e32 v2, 0x800000
	s_mov_b32 s38, 0x3f7ffffe
	v_mov_b32_e32 v6, 0x3f7ffffe
	v_add_u32_e32 v12, 0x80, v12
	s_waitcnt vmcnt(1)
	v_cvt_f32_f16_e32 v1, v1
	s_waitcnt vmcnt(0)
	v_div_scale_f32 v4, s[30:31], v3, v3, v1
	v_rcp_f32_e32 v5, v4
	v_div_scale_f32 v7, vcc, v1, v3, v1
	v_fma_f32 v8, -v4, v5, 1.0
	v_fmac_f32_e32 v5, v8, v5
	v_mul_f32_e32 v8, v7, v5
	v_fma_f32 v9, -v4, v8, v7
	v_fmac_f32_e32 v8, v9, v5
	v_fma_f32 v4, -v4, v8, v7
	v_div_fmas_f32 v4, v4, v5, v8
	v_div_fixup_f32 v1, v4, v3, v1
	v_cmp_ngt_f32_e32 vcc, s37, v1
	v_cndmask_b32_e32 v1, v2, v1, vcc
	v_cmp_nlt_f32_e32 vcc, s38, v1
	v_cndmask_b32_e32 v1, v6, v1, vcc
	v_cvt_f16_f32_e32 v1, v1
	global_store_short v0, v1, s[0:1]
	s_or_b64 exec, exec, s[28:29]
	v_cmp_gt_i32_e32 vcc, s36, v12
	s_and_saveexec_b64 s[28:29], vcc
	s_cbranch_execz .LBB39_6
.LBB39_18:
	s_andn2_b64 vcc, exec, s[6:7]
	s_cbranch_vccnz .LBB39_25
; %bb.19:
	s_andn2_b64 vcc, exec, s[26:27]
	v_mov_b32_e32 v2, 0
	v_mov_b32_e32 v4, 0
	;; [unrolled: 1-line block ×3, first 2 shown]
	s_cbranch_vccnz .LBB39_24
; %bb.20:
	s_add_i32 s30, s35, 1
	s_and_b32 s37, s30, 30
	s_add_u32 s30, s4, 0xffffffec
	s_addc_u32 s31, s5, -1
	v_mov_b32_e32 v0, 0
	v_mov_b32_e32 v1, v12
	;; [unrolled: 1-line block ×4, first 2 shown]
.LBB39_21:                              ; =>This Inner Loop Header: Depth=1
	s_mov_b64 s[38:39], s[30:31]
	s_load_dwordx4 s[40:43], s[38:39], 0x18
	s_load_dwordx2 s[48:49], s[38:39], 0x28
	s_load_dwordx2 s[50:51], s[38:39], 0xe8
	s_load_dwordx4 s[44:47], s[38:39], 0xd8
	s_add_u32 s30, s38, 24
	s_waitcnt lgkmcnt(0)
	v_mul_hi_u32 v3, s41, v1
	v_add_u32_e32 v3, v1, v3
	v_lshrrev_b32_e32 v3, s42, v3
	v_mul_lo_u32 v5, v3, s40
	v_mul_hi_u32 v6, s48, v3
	v_sub_u32_e32 v1, v1, v5
	v_add_u32_e32 v5, v3, v6
	v_mul_lo_u32 v6, v1, s44
	v_mul_lo_u32 v7, v1, s45
	;; [unrolled: 1-line block ×3, first 2 shown]
	v_lshrrev_b32_e32 v1, s49, v5
	v_mul_lo_u32 v5, v1, s43
	v_sub_u32_e32 v3, v3, v5
	s_addc_u32 s31, s39, 0
	s_add_i32 s37, s37, -2
	v_mul_lo_u32 v5, v3, s47
	v_mul_lo_u32 v9, v3, s50
	;; [unrolled: 1-line block ×3, first 2 shown]
	s_cmp_eq_u32 s37, 0
	v_add3_u32 v0, v6, v0, v5
	v_add3_u32 v2, v8, v2, v3
	;; [unrolled: 1-line block ×3, first 2 shown]
	s_cbranch_scc0 .LBB39_21
; %bb.22:
	s_bitcmp1_b32 s35, 0
	s_cselect_b64 s[38:39], -1, 0
	s_and_b64 vcc, exec, s[38:39]
	s_cbranch_vccnz .LBB39_24
; %bb.23:
	s_load_dwordx2 s[38:39], s[30:31], 0x18
	s_load_dword s37, s[30:31], 0x20
	s_load_dword s42, s[30:31], 0xe0
	s_load_dwordx2 s[40:41], s[30:31], 0xd8
	s_waitcnt lgkmcnt(0)
	v_mul_hi_u32 v3, s39, v1
	v_add_u32_e32 v3, v1, v3
	v_lshrrev_b32_e32 v3, s37, v3
	v_mul_lo_u32 v3, v3, s38
	v_sub_u32_e32 v3, v1, v3
	v_mad_u64_u32 v[0:1], s[30:31], v3, s40, v[0:1]
	v_mad_u64_u32 v[4:5], s[30:31], v3, s41, v[4:5]
	;; [unrolled: 1-line block ×3, first 2 shown]
.LBB39_24:
	s_cbranch_execz .LBB39_26
	s_branch .LBB39_28
.LBB39_25:
                                        ; implicit-def: $vgpr2
                                        ; implicit-def: $vgpr4
                                        ; implicit-def: $vgpr0
.LBB39_26:
	s_waitcnt lgkmcnt(0)
	v_mul_hi_u32 v0, s13, v12
	v_add_u32_e32 v0, v12, v0
	v_lshrrev_b32_e32 v1, s14, v0
	v_mul_lo_u32 v0, v1, s12
	v_sub_u32_e32 v3, v12, v0
	v_mul_lo_u32 v0, v3, s8
	v_mul_lo_u32 v2, v3, s10
	s_andn2_b64 vcc, exec, s[24:25]
	v_mul_lo_u32 v4, v3, s9
	s_cbranch_vccnz .LBB39_28
; %bb.27:
	v_mul_hi_u32 v3, s22, v1
	v_add_u32_e32 v3, v1, v3
	v_lshrrev_b32_e32 v3, s23, v3
	v_mul_lo_u32 v3, v3, s15
	v_sub_u32_e32 v3, v1, v3
	v_mad_u64_u32 v[0:1], s[30:31], v3, s11, v[0:1]
	v_mad_u64_u32 v[4:5], s[30:31], v3, s20, v[4:5]
	;; [unrolled: 1-line block ×3, first 2 shown]
.LBB39_28:
	s_waitcnt lgkmcnt(0)
	global_load_ushort v1, v4, s[2:3]
	global_load_dword v3, v2, s[18:19]
	s_mov_b32 s37, 0x800000
	v_mov_b32_e32 v2, 0x800000
	s_mov_b32 s38, 0x3f7ffffe
	v_mov_b32_e32 v6, 0x3f7ffffe
	v_add_u32_e32 v12, 0x80, v12
	s_waitcnt vmcnt(1)
	v_cvt_f32_f16_e32 v1, v1
	s_waitcnt vmcnt(0)
	v_div_scale_f32 v4, s[30:31], v3, v3, v1
	v_rcp_f32_e32 v5, v4
	v_div_scale_f32 v7, vcc, v1, v3, v1
	v_fma_f32 v8, -v4, v5, 1.0
	v_fmac_f32_e32 v5, v8, v5
	v_mul_f32_e32 v8, v7, v5
	v_fma_f32 v9, -v4, v8, v7
	v_fmac_f32_e32 v8, v9, v5
	v_fma_f32 v4, -v4, v8, v7
	v_div_fmas_f32 v4, v4, v5, v8
	v_div_fixup_f32 v1, v4, v3, v1
	v_cmp_ngt_f32_e32 vcc, s37, v1
	v_cndmask_b32_e32 v1, v2, v1, vcc
	v_cmp_nlt_f32_e32 vcc, s38, v1
	v_cndmask_b32_e32 v1, v6, v1, vcc
	v_cvt_f16_f32_e32 v1, v1
	global_store_short v0, v1, s[0:1]
	s_or_b64 exec, exec, s[28:29]
	v_cmp_gt_i32_e32 vcc, s36, v12
	s_and_saveexec_b64 s[28:29], vcc
	s_cbranch_execz .LBB39_40
.LBB39_29:
	s_andn2_b64 vcc, exec, s[6:7]
	s_cbranch_vccnz .LBB39_36
; %bb.30:
	s_andn2_b64 vcc, exec, s[26:27]
	v_mov_b32_e32 v2, 0
	v_mov_b32_e32 v4, 0
	v_mov_b32_e32 v0, 0
	s_cbranch_vccnz .LBB39_35
; %bb.31:
	s_add_i32 s30, s35, 1
	s_and_b32 s37, s30, 30
	s_add_u32 s30, s4, 0xffffffec
	s_addc_u32 s31, s5, -1
	v_mov_b32_e32 v0, 0
	v_mov_b32_e32 v1, v12
	;; [unrolled: 1-line block ×4, first 2 shown]
.LBB39_32:                              ; =>This Inner Loop Header: Depth=1
	s_mov_b64 s[38:39], s[30:31]
	s_load_dwordx4 s[40:43], s[38:39], 0x18
	s_load_dwordx2 s[48:49], s[38:39], 0x28
	s_load_dwordx2 s[50:51], s[38:39], 0xe8
	s_load_dwordx4 s[44:47], s[38:39], 0xd8
	s_add_u32 s30, s38, 24
	s_waitcnt lgkmcnt(0)
	v_mul_hi_u32 v3, s41, v1
	v_add_u32_e32 v3, v1, v3
	v_lshrrev_b32_e32 v3, s42, v3
	v_mul_lo_u32 v5, v3, s40
	v_mul_hi_u32 v6, s48, v3
	v_sub_u32_e32 v1, v1, v5
	v_add_u32_e32 v5, v3, v6
	v_mul_lo_u32 v6, v1, s44
	v_mul_lo_u32 v7, v1, s45
	;; [unrolled: 1-line block ×3, first 2 shown]
	v_lshrrev_b32_e32 v1, s49, v5
	v_mul_lo_u32 v5, v1, s43
	v_sub_u32_e32 v3, v3, v5
	s_addc_u32 s31, s39, 0
	s_add_i32 s37, s37, -2
	v_mul_lo_u32 v5, v3, s47
	v_mul_lo_u32 v9, v3, s50
	;; [unrolled: 1-line block ×3, first 2 shown]
	s_cmp_eq_u32 s37, 0
	v_add3_u32 v0, v6, v0, v5
	v_add3_u32 v2, v8, v2, v3
	;; [unrolled: 1-line block ×3, first 2 shown]
	s_cbranch_scc0 .LBB39_32
; %bb.33:
	s_bitcmp1_b32 s35, 0
	s_cselect_b64 s[38:39], -1, 0
	s_and_b64 vcc, exec, s[38:39]
	s_cbranch_vccnz .LBB39_35
; %bb.34:
	s_load_dwordx2 s[38:39], s[30:31], 0x18
	s_load_dword s37, s[30:31], 0x20
	s_load_dword s42, s[30:31], 0xe0
	s_load_dwordx2 s[40:41], s[30:31], 0xd8
	s_waitcnt lgkmcnt(0)
	v_mul_hi_u32 v3, s39, v1
	v_add_u32_e32 v3, v1, v3
	v_lshrrev_b32_e32 v3, s37, v3
	v_mul_lo_u32 v3, v3, s38
	v_sub_u32_e32 v3, v1, v3
	v_mad_u64_u32 v[0:1], s[30:31], v3, s40, v[0:1]
	v_mad_u64_u32 v[4:5], s[30:31], v3, s41, v[4:5]
	;; [unrolled: 1-line block ×3, first 2 shown]
.LBB39_35:
	s_cbranch_execz .LBB39_37
	s_branch .LBB39_39
.LBB39_36:
                                        ; implicit-def: $vgpr2
                                        ; implicit-def: $vgpr4
                                        ; implicit-def: $vgpr0
.LBB39_37:
	s_waitcnt lgkmcnt(0)
	v_mul_hi_u32 v0, s13, v12
	v_add_u32_e32 v0, v12, v0
	v_lshrrev_b32_e32 v1, s14, v0
	v_mul_lo_u32 v0, v1, s12
	v_sub_u32_e32 v3, v12, v0
	v_mul_lo_u32 v0, v3, s8
	v_mul_lo_u32 v2, v3, s10
	s_andn2_b64 vcc, exec, s[24:25]
	v_mul_lo_u32 v4, v3, s9
	s_cbranch_vccnz .LBB39_39
; %bb.38:
	v_mul_hi_u32 v3, s22, v1
	v_add_u32_e32 v3, v1, v3
	v_lshrrev_b32_e32 v3, s23, v3
	v_mul_lo_u32 v3, v3, s15
	v_sub_u32_e32 v3, v1, v3
	v_mad_u64_u32 v[0:1], s[30:31], v3, s11, v[0:1]
	v_mad_u64_u32 v[4:5], s[30:31], v3, s20, v[4:5]
	;; [unrolled: 1-line block ×3, first 2 shown]
.LBB39_39:
	s_waitcnt lgkmcnt(0)
	global_load_ushort v1, v4, s[2:3]
	global_load_dword v3, v2, s[18:19]
	s_mov_b32 s37, 0x800000
	v_mov_b32_e32 v2, 0x800000
	s_mov_b32 s38, 0x3f7ffffe
	v_mov_b32_e32 v6, 0x3f7ffffe
	v_add_u32_e32 v12, 0x80, v12
	s_waitcnt vmcnt(1)
	v_cvt_f32_f16_e32 v1, v1
	s_waitcnt vmcnt(0)
	v_div_scale_f32 v4, s[30:31], v3, v3, v1
	v_rcp_f32_e32 v5, v4
	v_div_scale_f32 v7, vcc, v1, v3, v1
	v_fma_f32 v8, -v4, v5, 1.0
	v_fmac_f32_e32 v5, v8, v5
	v_mul_f32_e32 v8, v7, v5
	v_fma_f32 v9, -v4, v8, v7
	v_fmac_f32_e32 v8, v9, v5
	v_fma_f32 v4, -v4, v8, v7
	v_div_fmas_f32 v4, v4, v5, v8
	v_div_fixup_f32 v1, v4, v3, v1
	v_cmp_ngt_f32_e32 vcc, s37, v1
	v_cndmask_b32_e32 v1, v2, v1, vcc
	v_cmp_nlt_f32_e32 vcc, s38, v1
	v_cndmask_b32_e32 v1, v6, v1, vcc
	v_cvt_f16_f32_e32 v1, v1
	global_store_short v0, v1, s[0:1]
.LBB39_40:
	s_or_b64 exec, exec, s[28:29]
	v_cmp_gt_i32_e32 vcc, s36, v12
	s_mov_b64 s[30:31], 0
                                        ; implicit-def: $vgpr2_vgpr3
                                        ; implicit-def: $vgpr1
	s_and_saveexec_b64 s[28:29], vcc
	s_cbranch_execz .LBB39_52
; %bb.41:
	s_andn2_b64 vcc, exec, s[6:7]
	s_cbranch_vccnz .LBB39_48
; %bb.42:
	s_andn2_b64 vcc, exec, s[26:27]
	v_mov_b32_e32 v2, 0
	v_mov_b32_e32 v4, 0
	;; [unrolled: 1-line block ×3, first 2 shown]
	s_cbranch_vccnz .LBB39_47
; %bb.43:
	s_add_i32 s26, s35, 1
	s_and_b32 s30, s26, 30
	s_add_u32 s26, s4, 0xffffffec
	s_addc_u32 s27, s5, -1
	v_mov_b32_e32 v0, 0
	v_mov_b32_e32 v1, v12
	;; [unrolled: 1-line block ×4, first 2 shown]
.LBB39_44:                              ; =>This Inner Loop Header: Depth=1
	s_mov_b64 s[44:45], s[26:27]
	s_load_dwordx4 s[36:39], s[44:45], 0x18
	s_load_dwordx2 s[46:47], s[44:45], 0x28
	s_load_dwordx2 s[48:49], s[44:45], 0xe8
	s_load_dwordx4 s[40:43], s[44:45], 0xd8
	s_add_u32 s26, s44, 24
	s_waitcnt lgkmcnt(0)
	v_mul_hi_u32 v3, s37, v1
	v_add_u32_e32 v3, v1, v3
	v_lshrrev_b32_e32 v3, s38, v3
	v_mul_lo_u32 v5, v3, s36
	v_mul_hi_u32 v6, s46, v3
	v_sub_u32_e32 v1, v1, v5
	v_add_u32_e32 v5, v3, v6
	v_mul_lo_u32 v6, v1, s40
	v_mul_lo_u32 v7, v1, s41
	;; [unrolled: 1-line block ×3, first 2 shown]
	v_lshrrev_b32_e32 v1, s47, v5
	v_mul_lo_u32 v5, v1, s39
	v_sub_u32_e32 v3, v3, v5
	s_addc_u32 s27, s45, 0
	s_add_i32 s30, s30, -2
	v_mul_lo_u32 v5, v3, s43
	v_mul_lo_u32 v9, v3, s48
	v_mul_lo_u32 v3, v3, s49
	s_cmp_eq_u32 s30, 0
	v_add3_u32 v0, v6, v0, v5
	v_add3_u32 v2, v8, v2, v3
	;; [unrolled: 1-line block ×3, first 2 shown]
	s_cbranch_scc0 .LBB39_44
; %bb.45:
	s_bitcmp1_b32 s35, 0
	s_cselect_b64 s[30:31], -1, 0
	s_and_b64 vcc, exec, s[30:31]
	s_cbranch_vccnz .LBB39_47
; %bb.46:
	s_load_dwordx2 s[30:31], s[26:27], 0x18
	s_load_dword s35, s[26:27], 0x20
	s_load_dword s38, s[26:27], 0xe0
	s_load_dwordx2 s[36:37], s[26:27], 0xd8
	s_waitcnt lgkmcnt(0)
	v_mul_hi_u32 v3, s31, v1
	v_add_u32_e32 v3, v1, v3
	v_lshrrev_b32_e32 v3, s35, v3
	v_mul_lo_u32 v3, v3, s30
	v_sub_u32_e32 v3, v1, v3
	v_mad_u64_u32 v[0:1], s[26:27], v3, s36, v[0:1]
	v_mad_u64_u32 v[4:5], s[26:27], v3, s37, v[4:5]
	;; [unrolled: 1-line block ×3, first 2 shown]
.LBB39_47:
	s_cbranch_execz .LBB39_49
	s_branch .LBB39_51
.LBB39_48:
                                        ; implicit-def: $vgpr2
                                        ; implicit-def: $vgpr4
                                        ; implicit-def: $vgpr0
.LBB39_49:
	s_waitcnt lgkmcnt(0)
	v_mul_hi_u32 v0, s13, v12
	v_add_u32_e32 v0, v12, v0
	v_lshrrev_b32_e32 v1, s14, v0
	v_mul_lo_u32 v0, v1, s12
	v_sub_u32_e32 v3, v12, v0
	v_mul_lo_u32 v0, v3, s8
	v_mul_lo_u32 v2, v3, s10
	s_andn2_b64 vcc, exec, s[24:25]
	v_mul_lo_u32 v4, v3, s9
	s_cbranch_vccnz .LBB39_51
; %bb.50:
	v_mul_hi_u32 v3, s22, v1
	v_add_u32_e32 v3, v1, v3
	v_lshrrev_b32_e32 v3, s23, v3
	v_mul_lo_u32 v3, v3, s15
	v_sub_u32_e32 v3, v1, v3
	v_mad_u64_u32 v[0:1], s[8:9], v3, s11, v[0:1]
	v_mad_u64_u32 v[4:5], s[8:9], v3, s20, v[4:5]
	;; [unrolled: 1-line block ×3, first 2 shown]
.LBB39_51:
	s_waitcnt lgkmcnt(0)
	global_load_ushort v1, v4, s[2:3]
	global_load_dword v5, v2, s[18:19]
	v_mov_b32_e32 v3, s1
	v_add_co_u32_e32 v2, vcc, s0, v0
	v_addc_co_u32_e32 v3, vcc, 0, v3, vcc
	s_mov_b32 s1, 0x800000
	v_mov_b32_e32 v4, 0x800000
	s_mov_b32 s8, 0x3f7ffffe
	v_mov_b32_e32 v6, 0x3f7ffffe
	s_mov_b64 s[30:31], exec
	s_waitcnt vmcnt(1)
	v_cvt_f32_f16_e32 v1, v1
	s_waitcnt vmcnt(0)
	v_div_scale_f32 v7, s[2:3], v5, v5, v1
	v_rcp_f32_e32 v8, v7
	v_div_scale_f32 v0, vcc, v1, v5, v1
	v_fma_f32 v9, -v7, v8, 1.0
	v_fmac_f32_e32 v8, v9, v8
	v_mul_f32_e32 v9, v0, v8
	v_fma_f32 v10, -v7, v9, v0
	v_fmac_f32_e32 v9, v10, v8
	v_fma_f32 v0, -v7, v9, v0
	v_div_fmas_f32 v0, v0, v8, v9
	v_div_fixup_f32 v0, v0, v5, v1
	v_cmp_ngt_f32_e32 vcc, s1, v0
	v_cndmask_b32_e32 v0, v4, v0, vcc
	v_cmp_nlt_f32_e32 vcc, s8, v0
	v_cndmask_b32_e32 v1, v6, v0, vcc
.LBB39_52:
	s_or_b64 exec, exec, s[28:29]
	s_waitcnt lgkmcnt(0)
	s_and_b64 s[12:13], s[30:31], exec
                                        ; implicit-def: $vgpr24
                                        ; implicit-def: $vgpr12
	s_andn2_saveexec_b64 s[14:15], s[16:17]
	s_cbranch_execz .LBB39_2
.LBB39_53:
	v_cndmask_b32_e64 v0, 0, 1, s[6:7]
	v_cmp_ne_u32_e64 s[0:1], 1, v0
	s_andn2_b64 vcc, exec, s[6:7]
	s_cbranch_vccnz .LBB39_59
; %bb.54:
	s_cmp_lg_u32 s33, 0
	v_mov_b32_e32 v2, 0
	v_mov_b32_e32 v4, 0
	;; [unrolled: 1-line block ×3, first 2 shown]
	s_cbranch_scc0 .LBB39_60
; %bb.55:
	s_min_u32 s6, s34, 15
	s_add_i32 s2, s6, 1
	s_and_b32 s7, s2, 30
	s_add_u32 s2, s4, 0xffffffec
	s_addc_u32 s3, s5, -1
	v_mov_b32_e32 v0, 0
	v_mov_b32_e32 v1, v12
	;; [unrolled: 1-line block ×4, first 2 shown]
.LBB39_56:                              ; =>This Inner Loop Header: Depth=1
	s_mov_b64 s[20:21], s[2:3]
	s_load_dwordx4 s[8:11], s[20:21], 0x18
	s_load_dwordx2 s[22:23], s[20:21], 0x28
	s_load_dwordx2 s[24:25], s[20:21], 0xe8
	s_load_dwordx4 s[16:19], s[20:21], 0xd8
	s_add_u32 s2, s20, 24
	s_waitcnt lgkmcnt(0)
	v_mul_hi_u32 v3, s9, v1
	v_add_u32_e32 v3, v1, v3
	v_lshrrev_b32_e32 v3, s10, v3
	v_mul_lo_u32 v5, v3, s8
	v_mul_hi_u32 v6, s22, v3
	v_sub_u32_e32 v1, v1, v5
	v_add_u32_e32 v5, v3, v6
	v_mul_lo_u32 v6, v1, s16
	v_mul_lo_u32 v7, v1, s17
	;; [unrolled: 1-line block ×3, first 2 shown]
	v_lshrrev_b32_e32 v1, s23, v5
	v_mul_lo_u32 v5, v1, s11
	v_sub_u32_e32 v3, v3, v5
	s_addc_u32 s3, s21, 0
	s_add_i32 s7, s7, -2
	v_mul_lo_u32 v5, v3, s19
	v_mul_lo_u32 v9, v3, s24
	;; [unrolled: 1-line block ×3, first 2 shown]
	s_cmp_lg_u32 s7, 0
	v_add3_u32 v0, v6, v0, v5
	v_add3_u32 v2, v8, v2, v3
	;; [unrolled: 1-line block ×3, first 2 shown]
	s_cbranch_scc1 .LBB39_56
; %bb.57:
	s_bitcmp1_b32 s6, 0
	s_cselect_b64 s[6:7], -1, 0
	s_and_b64 vcc, exec, s[6:7]
	s_cbranch_vccnz .LBB39_60
; %bb.58:
	s_load_dwordx2 s[6:7], s[2:3], 0x18
	s_load_dword s10, s[2:3], 0x20
	s_load_dword s11, s[2:3], 0xe0
	s_load_dwordx2 s[8:9], s[2:3], 0xd8
	s_waitcnt lgkmcnt(0)
	v_mul_hi_u32 v3, s7, v1
	v_add_u32_e32 v3, v1, v3
	v_lshrrev_b32_e32 v3, s10, v3
	v_mul_lo_u32 v3, v3, s6
	v_sub_u32_e32 v3, v1, v3
	v_mad_u64_u32 v[0:1], s[2:3], v3, s8, v[0:1]
	v_mad_u64_u32 v[4:5], s[2:3], v3, s9, v[4:5]
	;; [unrolled: 1-line block ×3, first 2 shown]
	s_cbranch_execz .LBB39_61
	s_branch .LBB39_63
.LBB39_59:
                                        ; implicit-def: $vgpr2
                                        ; implicit-def: $vgpr4
                                        ; implicit-def: $vgpr0
	s_branch .LBB39_61
.LBB39_60:
	s_cbranch_execnz .LBB39_63
.LBB39_61:
	s_load_dwordx4 s[8:11], s[4:5], 0x4
	s_load_dwordx4 s[16:19], s[4:5], 0xc4
	s_cmp_lt_u32 s33, 2
	s_waitcnt lgkmcnt(0)
	v_mul_hi_u32 v0, s9, v12
	v_add_u32_e32 v0, v12, v0
	v_lshrrev_b32_e32 v1, s10, v0
	v_mul_lo_u32 v0, v1, s8
	v_sub_u32_e32 v3, v12, v0
	v_mul_lo_u32 v0, v3, s16
	v_mul_lo_u32 v2, v3, s18
	;; [unrolled: 1-line block ×3, first 2 shown]
	s_cbranch_scc1 .LBB39_63
; %bb.62:
	s_load_dwordx4 s[8:11], s[4:5], 0x10
	s_load_dwordx4 s[16:19], s[4:5], 0xd0
	s_waitcnt lgkmcnt(0)
	v_mul_hi_u32 v3, s9, v1
	v_add_u32_e32 v3, v1, v3
	v_lshrrev_b32_e32 v3, s10, v3
	v_mul_lo_u32 v3, v3, s8
	v_sub_u32_e32 v3, v1, v3
	v_mad_u64_u32 v[0:1], s[2:3], v3, s16, v[0:1]
	v_mad_u64_u32 v[4:5], s[2:3], v3, s17, v[4:5]
	;; [unrolled: 1-line block ×3, first 2 shown]
.LBB39_63:
	s_and_b64 vcc, exec, s[0:1]
	v_add_u32_e32 v1, 0x80, v12
	s_cbranch_vccnz .LBB39_69
; %bb.64:
	s_cmp_lg_u32 s33, 0
	v_mov_b32_e32 v8, 0
	v_mov_b32_e32 v10, 0
	v_mov_b32_e32 v6, 0
	s_cbranch_scc0 .LBB39_70
; %bb.65:
	s_min_u32 s6, s34, 15
	s_add_i32 s2, s6, 1
	s_and_b32 s7, s2, 30
	s_add_u32 s2, s4, 0xffffffec
	s_addc_u32 s3, s5, -1
	v_mov_b32_e32 v6, 0
	v_mov_b32_e32 v3, v1
	v_mov_b32_e32 v10, 0
	v_mov_b32_e32 v8, 0
.LBB39_66:                              ; =>This Inner Loop Header: Depth=1
	s_mov_b64 s[20:21], s[2:3]
	s_load_dwordx4 s[8:11], s[20:21], 0x18
	s_load_dwordx2 s[22:23], s[20:21], 0x28
	s_load_dwordx2 s[24:25], s[20:21], 0xe8
	s_load_dwordx4 s[16:19], s[20:21], 0xd8
	s_add_u32 s2, s20, 24
	s_waitcnt lgkmcnt(0)
	v_mul_hi_u32 v5, s9, v3
	v_add_u32_e32 v5, v3, v5
	v_lshrrev_b32_e32 v5, s10, v5
	v_mul_lo_u32 v7, v5, s8
	v_mul_hi_u32 v9, s22, v5
	v_sub_u32_e32 v3, v3, v7
	v_add_u32_e32 v7, v5, v9
	v_mul_lo_u32 v9, v3, s16
	v_mul_lo_u32 v11, v3, s17
	;; [unrolled: 1-line block ×3, first 2 shown]
	v_lshrrev_b32_e32 v3, s23, v7
	v_mul_lo_u32 v7, v3, s11
	v_sub_u32_e32 v5, v5, v7
	s_addc_u32 s3, s21, 0
	s_add_i32 s7, s7, -2
	v_mul_lo_u32 v7, v5, s19
	v_mul_lo_u32 v14, v5, s24
	;; [unrolled: 1-line block ×3, first 2 shown]
	s_cmp_lg_u32 s7, 0
	v_add3_u32 v6, v9, v6, v7
	v_add3_u32 v8, v13, v8, v5
	;; [unrolled: 1-line block ×3, first 2 shown]
	s_cbranch_scc1 .LBB39_66
; %bb.67:
	s_bitcmp1_b32 s6, 0
	s_cselect_b64 s[6:7], -1, 0
	s_and_b64 vcc, exec, s[6:7]
	s_cbranch_vccnz .LBB39_70
; %bb.68:
	s_load_dwordx2 s[6:7], s[2:3], 0x18
	s_load_dword s10, s[2:3], 0x20
	s_load_dword s11, s[2:3], 0xe0
	s_load_dwordx2 s[8:9], s[2:3], 0xd8
	s_waitcnt lgkmcnt(0)
	v_mul_hi_u32 v5, s7, v3
	v_add_u32_e32 v5, v3, v5
	v_lshrrev_b32_e32 v5, s10, v5
	v_mul_lo_u32 v5, v5, s6
	v_sub_u32_e32 v3, v3, v5
	v_mad_u64_u32 v[6:7], s[2:3], v3, s8, v[6:7]
	v_mad_u64_u32 v[10:11], s[2:3], v3, s9, v[10:11]
	;; [unrolled: 1-line block ×3, first 2 shown]
	s_cbranch_execz .LBB39_71
	s_branch .LBB39_73
.LBB39_69:
                                        ; implicit-def: $vgpr8
                                        ; implicit-def: $vgpr10
                                        ; implicit-def: $vgpr6
	s_branch .LBB39_71
.LBB39_70:
	s_cbranch_execnz .LBB39_73
.LBB39_71:
	s_load_dwordx4 s[8:11], s[4:5], 0x4
	s_load_dwordx4 s[16:19], s[4:5], 0xc4
	s_cmp_lt_u32 s33, 2
	s_waitcnt lgkmcnt(0)
	v_mul_hi_u32 v3, s9, v1
	v_add_u32_e32 v3, v1, v3
	v_lshrrev_b32_e32 v3, s10, v3
	v_mul_lo_u32 v5, v3, s8
	v_sub_u32_e32 v1, v1, v5
	v_mul_lo_u32 v6, v1, s16
	v_mul_lo_u32 v8, v1, s18
	;; [unrolled: 1-line block ×3, first 2 shown]
	s_cbranch_scc1 .LBB39_73
; %bb.72:
	s_load_dwordx4 s[8:11], s[4:5], 0x10
	s_load_dwordx4 s[16:19], s[4:5], 0xd0
	s_waitcnt lgkmcnt(0)
	v_mul_hi_u32 v1, s9, v3
	v_add_u32_e32 v1, v3, v1
	v_lshrrev_b32_e32 v1, s10, v1
	v_mul_lo_u32 v1, v1, s8
	v_sub_u32_e32 v1, v3, v1
	v_mad_u64_u32 v[6:7], s[2:3], v1, s16, v[6:7]
	v_mad_u64_u32 v[10:11], s[2:3], v1, s17, v[10:11]
	;; [unrolled: 1-line block ×3, first 2 shown]
.LBB39_73:
	s_and_b64 vcc, exec, s[0:1]
	v_add_u32_e32 v1, 0x100, v12
	s_cbranch_vccnz .LBB39_79
; %bb.74:
	s_cmp_lg_u32 s33, 0
	v_mov_b32_e32 v14, 0
	v_mov_b32_e32 v16, 0
	;; [unrolled: 1-line block ×3, first 2 shown]
	s_cbranch_scc0 .LBB39_80
; %bb.75:
	s_min_u32 s6, s34, 15
	s_add_i32 s2, s6, 1
	s_and_b32 s7, s2, 30
	s_add_u32 s2, s4, 0xffffffec
	s_addc_u32 s3, s5, -1
	v_mov_b32_e32 v12, 0
	v_mov_b32_e32 v3, v1
	;; [unrolled: 1-line block ×4, first 2 shown]
.LBB39_76:                              ; =>This Inner Loop Header: Depth=1
	s_mov_b64 s[20:21], s[2:3]
	s_load_dwordx4 s[8:11], s[20:21], 0x18
	s_load_dwordx2 s[22:23], s[20:21], 0x28
	s_load_dwordx2 s[24:25], s[20:21], 0xe8
	s_load_dwordx4 s[16:19], s[20:21], 0xd8
	s_add_u32 s2, s20, 24
	s_waitcnt lgkmcnt(0)
	v_mul_hi_u32 v5, s9, v3
	v_add_u32_e32 v5, v3, v5
	v_lshrrev_b32_e32 v5, s10, v5
	v_mul_lo_u32 v7, v5, s8
	v_mul_hi_u32 v9, s22, v5
	v_sub_u32_e32 v3, v3, v7
	v_add_u32_e32 v7, v5, v9
	v_mul_lo_u32 v9, v3, s16
	v_mul_lo_u32 v11, v3, s17
	;; [unrolled: 1-line block ×3, first 2 shown]
	v_lshrrev_b32_e32 v3, s23, v7
	v_mul_lo_u32 v7, v3, s11
	v_sub_u32_e32 v5, v5, v7
	s_addc_u32 s3, s21, 0
	s_add_i32 s7, s7, -2
	v_mul_lo_u32 v7, v5, s19
	v_mul_lo_u32 v15, v5, s24
	;; [unrolled: 1-line block ×3, first 2 shown]
	s_cmp_lg_u32 s7, 0
	v_add3_u32 v12, v9, v12, v7
	v_add3_u32 v14, v13, v14, v5
	;; [unrolled: 1-line block ×3, first 2 shown]
	s_cbranch_scc1 .LBB39_76
; %bb.77:
	s_bitcmp1_b32 s6, 0
	s_cselect_b64 s[6:7], -1, 0
	s_and_b64 vcc, exec, s[6:7]
	s_cbranch_vccnz .LBB39_80
; %bb.78:
	s_load_dwordx2 s[6:7], s[2:3], 0x18
	s_load_dword s10, s[2:3], 0x20
	s_load_dword s11, s[2:3], 0xe0
	s_load_dwordx2 s[8:9], s[2:3], 0xd8
	s_waitcnt lgkmcnt(0)
	v_mul_hi_u32 v5, s7, v3
	v_add_u32_e32 v5, v3, v5
	v_lshrrev_b32_e32 v5, s10, v5
	v_mul_lo_u32 v5, v5, s6
	v_sub_u32_e32 v3, v3, v5
	v_mad_u64_u32 v[12:13], s[2:3], v3, s8, v[12:13]
	v_mad_u64_u32 v[16:17], s[2:3], v3, s9, v[16:17]
	;; [unrolled: 1-line block ×3, first 2 shown]
	s_cbranch_execz .LBB39_81
	s_branch .LBB39_83
.LBB39_79:
                                        ; implicit-def: $vgpr14
                                        ; implicit-def: $vgpr16
                                        ; implicit-def: $vgpr12
	s_branch .LBB39_81
.LBB39_80:
	s_cbranch_execnz .LBB39_83
.LBB39_81:
	s_load_dwordx4 s[8:11], s[4:5], 0x4
	s_load_dwordx4 s[16:19], s[4:5], 0xc4
	s_cmp_lt_u32 s33, 2
	s_waitcnt lgkmcnt(0)
	v_mul_hi_u32 v3, s9, v1
	v_add_u32_e32 v3, v1, v3
	v_lshrrev_b32_e32 v3, s10, v3
	v_mul_lo_u32 v5, v3, s8
	v_sub_u32_e32 v1, v1, v5
	v_mul_lo_u32 v12, v1, s16
	v_mul_lo_u32 v14, v1, s18
	;; [unrolled: 1-line block ×3, first 2 shown]
	s_cbranch_scc1 .LBB39_83
; %bb.82:
	s_load_dwordx4 s[8:11], s[4:5], 0x10
	s_load_dwordx4 s[16:19], s[4:5], 0xd0
	s_waitcnt lgkmcnt(0)
	v_mul_hi_u32 v1, s9, v3
	v_add_u32_e32 v1, v3, v1
	v_lshrrev_b32_e32 v1, s10, v1
	v_mul_lo_u32 v1, v1, s8
	v_sub_u32_e32 v1, v3, v1
	v_mad_u64_u32 v[12:13], s[2:3], v1, s16, v[12:13]
	v_mad_u64_u32 v[16:17], s[2:3], v1, s17, v[16:17]
	v_mad_u64_u32 v[14:15], s[2:3], v1, s18, v[14:15]
.LBB39_83:
	s_and_b64 vcc, exec, s[0:1]
	s_cbranch_vccnz .LBB39_89
; %bb.84:
	s_cmp_lg_u32 s33, 0
	v_mov_b32_e32 v20, 0
	v_mov_b32_e32 v22, 0
	;; [unrolled: 1-line block ×3, first 2 shown]
	s_cbranch_scc0 .LBB39_90
; %bb.85:
	s_min_u32 s2, s34, 15
	s_add_i32 s0, s2, 1
	s_and_b32 s3, s0, 30
	s_add_u32 s0, s4, 0xffffffec
	s_addc_u32 s1, s5, -1
	v_mov_b32_e32 v18, 0
	v_mov_b32_e32 v1, v24
	;; [unrolled: 1-line block ×4, first 2 shown]
.LBB39_86:                              ; =>This Inner Loop Header: Depth=1
	s_mov_b64 s[6:7], s[0:1]
	s_load_dwordx4 s[8:11], s[6:7], 0x18
	s_load_dwordx2 s[20:21], s[6:7], 0x28
	s_load_dwordx2 s[22:23], s[6:7], 0xe8
	s_load_dwordx4 s[16:19], s[6:7], 0xd8
	s_add_u32 s0, s6, 24
	s_waitcnt lgkmcnt(0)
	v_mul_hi_u32 v3, s9, v1
	v_add_u32_e32 v3, v1, v3
	v_lshrrev_b32_e32 v3, s10, v3
	v_mul_lo_u32 v5, v3, s8
	v_mul_hi_u32 v7, s20, v3
	v_sub_u32_e32 v1, v1, v5
	v_add_u32_e32 v5, v3, v7
	v_mul_lo_u32 v7, v1, s16
	v_mul_lo_u32 v9, v1, s17
	;; [unrolled: 1-line block ×3, first 2 shown]
	v_lshrrev_b32_e32 v1, s21, v5
	v_mul_lo_u32 v5, v1, s11
	v_sub_u32_e32 v3, v3, v5
	s_addc_u32 s1, s7, 0
	s_add_i32 s3, s3, -2
	v_mul_lo_u32 v5, v3, s19
	v_mul_lo_u32 v13, v3, s22
	;; [unrolled: 1-line block ×3, first 2 shown]
	s_cmp_lg_u32 s3, 0
	v_add3_u32 v18, v7, v18, v5
	v_add3_u32 v20, v11, v20, v3
	v_add3_u32 v22, v9, v22, v13
	s_cbranch_scc1 .LBB39_86
; %bb.87:
	s_bitcmp1_b32 s2, 0
	s_cselect_b64 s[2:3], -1, 0
	s_and_b64 vcc, exec, s[2:3]
	s_cbranch_vccnz .LBB39_90
; %bb.88:
	s_load_dwordx2 s[2:3], s[0:1], 0x18
	s_load_dword s8, s[0:1], 0x20
	s_load_dword s9, s[0:1], 0xe0
	s_load_dwordx2 s[6:7], s[0:1], 0xd8
	s_waitcnt lgkmcnt(0)
	v_mul_hi_u32 v3, s3, v1
	v_add_u32_e32 v3, v1, v3
	v_lshrrev_b32_e32 v3, s8, v3
	v_mul_lo_u32 v3, v3, s2
	v_sub_u32_e32 v1, v1, v3
	v_mad_u64_u32 v[18:19], s[0:1], v1, s6, v[18:19]
	v_mad_u64_u32 v[22:23], s[0:1], v1, s7, v[22:23]
	;; [unrolled: 1-line block ×3, first 2 shown]
	s_cbranch_execz .LBB39_91
	s_branch .LBB39_93
.LBB39_89:
                                        ; implicit-def: $vgpr20
                                        ; implicit-def: $vgpr22
                                        ; implicit-def: $vgpr18
	s_branch .LBB39_91
.LBB39_90:
	s_cbranch_execnz .LBB39_93
.LBB39_91:
	s_load_dwordx4 s[0:3], s[4:5], 0x4
	s_load_dwordx4 s[8:11], s[4:5], 0xc4
	s_cmp_lt_u32 s33, 2
	s_waitcnt lgkmcnt(0)
	v_mul_hi_u32 v1, s1, v24
	v_add_u32_e32 v1, v24, v1
	v_lshrrev_b32_e32 v1, s2, v1
	v_mul_lo_u32 v3, v1, s0
	v_sub_u32_e32 v3, v24, v3
	v_mul_lo_u32 v18, v3, s8
	v_mul_lo_u32 v20, v3, s10
	;; [unrolled: 1-line block ×3, first 2 shown]
	s_cbranch_scc1 .LBB39_93
; %bb.92:
	s_load_dwordx4 s[0:3], s[4:5], 0x10
	s_load_dwordx4 s[8:11], s[4:5], 0xd0
	s_waitcnt lgkmcnt(0)
	v_mul_hi_u32 v3, s1, v1
	v_add_u32_e32 v3, v1, v3
	v_lshrrev_b32_e32 v3, s2, v3
	v_mul_lo_u32 v3, v3, s0
	v_sub_u32_e32 v1, v1, v3
	v_mad_u64_u32 v[18:19], s[0:1], v1, s8, v[18:19]
	v_mad_u64_u32 v[22:23], s[0:1], v1, s9, v[22:23]
	;; [unrolled: 1-line block ×3, first 2 shown]
.LBB39_93:
	s_load_dwordx4 s[8:11], s[4:5], 0x188
	s_load_dwordx2 s[0:1], s[4:5], 0x198
	s_mov_b32 s6, 0x800000
	s_mov_b32 s7, 0x3f7ffffe
	s_or_b64 s[12:13], s[12:13], exec
	s_waitcnt lgkmcnt(0)
	v_mov_b32_e32 v3, s9
	global_load_ushort v1, v4, s[10:11]
	global_load_ushort v5, v10, s[10:11]
	;; [unrolled: 1-line block ×4, first 2 shown]
	global_load_dword v11, v2, s[0:1]
	global_load_dword v13, v8, s[0:1]
	;; [unrolled: 1-line block ×4, first 2 shown]
	v_add_co_u32_e32 v2, vcc, s8, v18
	v_addc_co_u32_e32 v3, vcc, 0, v3, vcc
	v_mov_b32_e32 v4, 0x800000
	v_mov_b32_e32 v8, 0x3f7ffffe
	s_waitcnt vmcnt(7)
	v_cvt_f32_f16_e32 v1, v1
	s_waitcnt vmcnt(6)
	v_cvt_f32_f16_e32 v5, v5
	;; [unrolled: 2-line block ×4, first 2 shown]
	s_waitcnt vmcnt(3)
	v_div_scale_f32 v10, s[0:1], v11, v11, v1
	v_rcp_f32_e32 v23, v10
	s_waitcnt vmcnt(2)
	v_div_scale_f32 v16, s[0:1], v13, v13, v5
	v_rcp_f32_e32 v24, v16
	;; [unrolled: 3-line block ×3, first 2 shown]
	v_fma_f32 v27, -v10, v23, 1.0
	v_div_scale_f32 v14, vcc, v1, v11, v1
	v_fmac_f32_e32 v23, v27, v23
	s_waitcnt vmcnt(0)
	v_div_scale_f32 v21, s[4:5], v17, v17, v9
	v_fma_f32 v28, -v16, v24, 1.0
	v_mul_f32_e32 v27, v14, v23
	v_div_scale_f32 v18, s[0:1], v5, v13, v5
	v_rcp_f32_e32 v26, v21
	v_fmac_f32_e32 v24, v28, v24
	v_fma_f32 v31, -v10, v27, v14
	v_fma_f32 v29, -v19, v25, 1.0
	v_mul_f32_e32 v28, v18, v24
	v_fmac_f32_e32 v27, v31, v23
	v_div_scale_f32 v20, s[2:3], v7, v15, v7
	v_fmac_f32_e32 v25, v29, v25
	v_fma_f32 v32, -v16, v28, v18
	v_fma_f32 v10, -v10, v27, v14
	v_mul_f32_e32 v29, v20, v25
	v_fmac_f32_e32 v28, v32, v24
	v_div_fmas_f32 v10, v10, v23, v27
	v_fma_f32 v30, -v21, v26, 1.0
	v_fma_f32 v33, -v19, v29, v20
	v_fma_f32 v14, -v16, v28, v18
	v_div_fixup_f32 v1, v10, v11, v1
	s_mov_b64 vcc, s[0:1]
	v_div_scale_f32 v22, s[4:5], v9, v17, v9
	v_fmac_f32_e32 v26, v30, v26
	v_fmac_f32_e32 v29, v33, v25
	v_div_fmas_f32 v10, v14, v24, v28
	v_cmp_ngt_f32_e32 vcc, s6, v1
	v_mul_f32_e32 v30, v22, v26
	v_fma_f32 v16, -v19, v29, v20
	v_cndmask_b32_e32 v1, v4, v1, vcc
	s_mov_b64 vcc, s[2:3]
	v_fma_f32 v34, -v21, v30, v22
	v_div_fixup_f32 v5, v10, v13, v5
	v_div_fmas_f32 v10, v16, v25, v29
	v_cmp_nlt_f32_e32 vcc, s7, v1
	v_fmac_f32_e32 v30, v34, v26
	v_cndmask_b32_e32 v1, v8, v1, vcc
	v_cmp_ngt_f32_e32 vcc, s6, v5
	v_fma_f32 v18, -v21, v30, v22
	v_cndmask_b32_e32 v5, v4, v5, vcc
	s_mov_b64 vcc, s[4:5]
	v_div_fixup_f32 v7, v10, v15, v7
	v_div_fmas_f32 v10, v18, v26, v30
	v_cmp_nlt_f32_e32 vcc, s7, v5
	v_cndmask_b32_e32 v5, v8, v5, vcc
	v_cmp_ngt_f32_e32 vcc, s6, v7
	v_cndmask_b32_e32 v7, v4, v7, vcc
	v_div_fixup_f32 v9, v10, v17, v9
	v_cvt_f16_f32_e32 v10, v1
	v_cmp_nlt_f32_e32 vcc, s7, v7
	v_cndmask_b32_e32 v1, v8, v7, vcc
	v_cmp_ngt_f32_e32 vcc, s6, v9
	v_cvt_f16_f32_e32 v5, v5
	v_cndmask_b32_e32 v4, v4, v9, vcc
	v_cvt_f16_f32_e32 v7, v1
	v_cmp_nlt_f32_e32 vcc, s7, v4
	v_cndmask_b32_e32 v1, v8, v4, vcc
	global_store_short v0, v10, s[8:9]
	global_store_short v6, v5, s[8:9]
	;; [unrolled: 1-line block ×3, first 2 shown]
	s_or_b64 exec, exec, s[14:15]
	s_and_saveexec_b64 s[0:1], s[12:13]
	s_cbranch_execz .LBB39_3
.LBB39_94:
	v_cvt_f16_f32_e32 v0, v1
	global_store_short v[2:3], v0, off
	s_endpgm
	.section	.rodata,"a",@progbits
	.p2align	6, 0x0
	.amdhsa_kernel _ZN2at6native32elementwise_kernel_manual_unrollILi128ELi4EZNS0_12_GLOBAL__N_142type_specialized_broadcast_kernel_launcherILi5EE5applyIZZZNS0_23launch_dirichlet_kernelERNS_18TensorIteratorBaseEENKUlvE_clEvENKUlvE0_clEvEUlffE_St5arrayIPcLm3EESB_IN3c1010ScalarTypeELm3EE16OffsetCalculatorILi3EjLb0EEEEvlT_T0_T1_T2_EUlibE_EEviSL_
		.amdhsa_group_segment_fixed_size 0
		.amdhsa_private_segment_fixed_size 0
		.amdhsa_kernarg_size 432
		.amdhsa_user_sgpr_count 6
		.amdhsa_user_sgpr_private_segment_buffer 1
		.amdhsa_user_sgpr_dispatch_ptr 0
		.amdhsa_user_sgpr_queue_ptr 0
		.amdhsa_user_sgpr_kernarg_segment_ptr 1
		.amdhsa_user_sgpr_dispatch_id 0
		.amdhsa_user_sgpr_flat_scratch_init 0
		.amdhsa_user_sgpr_kernarg_preload_length 0
		.amdhsa_user_sgpr_kernarg_preload_offset 0
		.amdhsa_user_sgpr_private_segment_size 0
		.amdhsa_uses_dynamic_stack 0
		.amdhsa_system_sgpr_private_segment_wavefront_offset 0
		.amdhsa_system_sgpr_workgroup_id_x 1
		.amdhsa_system_sgpr_workgroup_id_y 0
		.amdhsa_system_sgpr_workgroup_id_z 0
		.amdhsa_system_sgpr_workgroup_info 0
		.amdhsa_system_vgpr_workitem_id 0
		.amdhsa_next_free_vgpr 35
		.amdhsa_next_free_sgpr 52
		.amdhsa_accum_offset 36
		.amdhsa_reserve_vcc 1
		.amdhsa_reserve_flat_scratch 0
		.amdhsa_float_round_mode_32 0
		.amdhsa_float_round_mode_16_64 0
		.amdhsa_float_denorm_mode_32 3
		.amdhsa_float_denorm_mode_16_64 3
		.amdhsa_dx10_clamp 1
		.amdhsa_ieee_mode 1
		.amdhsa_fp16_overflow 0
		.amdhsa_tg_split 0
		.amdhsa_exception_fp_ieee_invalid_op 0
		.amdhsa_exception_fp_denorm_src 0
		.amdhsa_exception_fp_ieee_div_zero 0
		.amdhsa_exception_fp_ieee_overflow 0
		.amdhsa_exception_fp_ieee_underflow 0
		.amdhsa_exception_fp_ieee_inexact 0
		.amdhsa_exception_int_div_zero 0
	.end_amdhsa_kernel
	.section	.text._ZN2at6native32elementwise_kernel_manual_unrollILi128ELi4EZNS0_12_GLOBAL__N_142type_specialized_broadcast_kernel_launcherILi5EE5applyIZZZNS0_23launch_dirichlet_kernelERNS_18TensorIteratorBaseEENKUlvE_clEvENKUlvE0_clEvEUlffE_St5arrayIPcLm3EESB_IN3c1010ScalarTypeELm3EE16OffsetCalculatorILi3EjLb0EEEEvlT_T0_T1_T2_EUlibE_EEviSL_,"axG",@progbits,_ZN2at6native32elementwise_kernel_manual_unrollILi128ELi4EZNS0_12_GLOBAL__N_142type_specialized_broadcast_kernel_launcherILi5EE5applyIZZZNS0_23launch_dirichlet_kernelERNS_18TensorIteratorBaseEENKUlvE_clEvENKUlvE0_clEvEUlffE_St5arrayIPcLm3EESB_IN3c1010ScalarTypeELm3EE16OffsetCalculatorILi3EjLb0EEEEvlT_T0_T1_T2_EUlibE_EEviSL_,comdat
.Lfunc_end39:
	.size	_ZN2at6native32elementwise_kernel_manual_unrollILi128ELi4EZNS0_12_GLOBAL__N_142type_specialized_broadcast_kernel_launcherILi5EE5applyIZZZNS0_23launch_dirichlet_kernelERNS_18TensorIteratorBaseEENKUlvE_clEvENKUlvE0_clEvEUlffE_St5arrayIPcLm3EESB_IN3c1010ScalarTypeELm3EE16OffsetCalculatorILi3EjLb0EEEEvlT_T0_T1_T2_EUlibE_EEviSL_, .Lfunc_end39-_ZN2at6native32elementwise_kernel_manual_unrollILi128ELi4EZNS0_12_GLOBAL__N_142type_specialized_broadcast_kernel_launcherILi5EE5applyIZZZNS0_23launch_dirichlet_kernelERNS_18TensorIteratorBaseEENKUlvE_clEvENKUlvE0_clEvEUlffE_St5arrayIPcLm3EESB_IN3c1010ScalarTypeELm3EE16OffsetCalculatorILi3EjLb0EEEEvlT_T0_T1_T2_EUlibE_EEviSL_
                                        ; -- End function
	.section	.AMDGPU.csdata,"",@progbits
; Kernel info:
; codeLenInByte = 5640
; NumSgprs: 56
; NumVgprs: 35
; NumAgprs: 0
; TotalNumVgprs: 35
; ScratchSize: 0
; MemoryBound: 0
; FloatMode: 240
; IeeeMode: 1
; LDSByteSize: 0 bytes/workgroup (compile time only)
; SGPRBlocks: 6
; VGPRBlocks: 4
; NumSGPRsForWavesPerEU: 56
; NumVGPRsForWavesPerEU: 35
; AccumOffset: 36
; Occupancy: 8
; WaveLimiterHint : 1
; COMPUTE_PGM_RSRC2:SCRATCH_EN: 0
; COMPUTE_PGM_RSRC2:USER_SGPR: 6
; COMPUTE_PGM_RSRC2:TRAP_HANDLER: 0
; COMPUTE_PGM_RSRC2:TGID_X_EN: 1
; COMPUTE_PGM_RSRC2:TGID_Y_EN: 0
; COMPUTE_PGM_RSRC2:TGID_Z_EN: 0
; COMPUTE_PGM_RSRC2:TIDIG_COMP_CNT: 0
; COMPUTE_PGM_RSRC3_GFX90A:ACCUM_OFFSET: 8
; COMPUTE_PGM_RSRC3_GFX90A:TG_SPLIT: 0
	.section	.text._ZN2at6native32elementwise_kernel_manual_unrollILi128ELi4EZNS0_15gpu_kernel_implIZZZNS0_23launch_dirichlet_kernelERNS_18TensorIteratorBaseEENKUlvE_clEvENKUlvE0_clEvEUlffE_EEvS4_RKT_EUlibE0_EEviT1_,"axG",@progbits,_ZN2at6native32elementwise_kernel_manual_unrollILi128ELi4EZNS0_15gpu_kernel_implIZZZNS0_23launch_dirichlet_kernelERNS_18TensorIteratorBaseEENKUlvE_clEvENKUlvE0_clEvEUlffE_EEvS4_RKT_EUlibE0_EEviT1_,comdat
	.globl	_ZN2at6native32elementwise_kernel_manual_unrollILi128ELi4EZNS0_15gpu_kernel_implIZZZNS0_23launch_dirichlet_kernelERNS_18TensorIteratorBaseEENKUlvE_clEvENKUlvE0_clEvEUlffE_EEvS4_RKT_EUlibE0_EEviT1_ ; -- Begin function _ZN2at6native32elementwise_kernel_manual_unrollILi128ELi4EZNS0_15gpu_kernel_implIZZZNS0_23launch_dirichlet_kernelERNS_18TensorIteratorBaseEENKUlvE_clEvENKUlvE0_clEvEUlffE_EEvS4_RKT_EUlibE0_EEviT1_
	.p2align	8
	.type	_ZN2at6native32elementwise_kernel_manual_unrollILi128ELi4EZNS0_15gpu_kernel_implIZZZNS0_23launch_dirichlet_kernelERNS_18TensorIteratorBaseEENKUlvE_clEvENKUlvE0_clEvEUlffE_EEvS4_RKT_EUlibE0_EEviT1_,@function
_ZN2at6native32elementwise_kernel_manual_unrollILi128ELi4EZNS0_15gpu_kernel_implIZZZNS0_23launch_dirichlet_kernelERNS_18TensorIteratorBaseEENKUlvE_clEvENKUlvE0_clEvEUlffE_EEvS4_RKT_EUlibE0_EEviT1_: ; @_ZN2at6native32elementwise_kernel_manual_unrollILi128ELi4EZNS0_15gpu_kernel_implIZZZNS0_23launch_dirichlet_kernelERNS_18TensorIteratorBaseEENKUlvE_clEvENKUlvE0_clEvEUlffE_EEvS4_RKT_EUlibE0_EEviT1_
; %bb.0:
	s_load_dword s70, s[4:5], 0x0
	s_load_dword s33, s[4:5], 0x8
	s_or_b32 s20, s4, 8
	v_lshl_or_b32 v8, s6, 9, v0
	v_or_b32_e32 v24, 0x180, v8
	s_mov_b32 s21, s5
	s_waitcnt lgkmcnt(0)
	s_add_i32 s68, s33, -1
	s_cmp_gt_u32 s68, 1
	v_cmp_le_i32_e32 vcc, s70, v24
	s_cselect_b64 s[24:25], -1, 0
	s_mov_b64 s[22:23], 0
	s_mov_b64 s[6:7], 0
	s_and_saveexec_b64 s[0:1], vcc
	s_xor_b64 s[26:27], exec, s[0:1]
	s_cbranch_execz .LBB40_1585
; %bb.1:
	v_mov_b32_e32 v0, 0
	global_load_ushort v6, v0, s[20:21] offset:417
	global_load_sbyte v7, v0, s[20:21] offset:419
	s_load_dwordx4 s[16:19], s[20:21], 0x4
	s_load_dwordx2 s[34:35], s[20:21], 0x14
	s_load_dwordx4 s[12:15], s[20:21], 0xc4
	s_load_dwordx2 s[30:31], s[20:21], 0xd4
	s_load_dwordx2 s[28:29], s[20:21], 0x198
	s_load_dwordx4 s[8:11], s[20:21], 0x188
	s_cmp_lg_u32 s33, 0
	s_cselect_b64 s[38:39], -1, 0
	s_min_u32 s69, s68, 15
	s_cmp_gt_u32 s33, 1
	v_cmp_gt_i32_e32 vcc, s70, v8
	s_mov_b64 s[0:1], -1
	s_mov_b64 s[50:51], 0
	s_mov_b64 s[44:45], 0
	;; [unrolled: 1-line block ×3, first 2 shown]
	s_cselect_b64 s[36:37], -1, 0
	s_mov_b64 s[40:41], 0
	s_waitcnt vmcnt(1)
	v_lshrrev_b32_e32 v9, 8, v6
	s_and_saveexec_b64 s[46:47], vcc
	s_cbranch_execz .LBB40_393
; %bb.2:
	s_andn2_b64 vcc, exec, s[24:25]
	s_cbranch_vccnz .LBB40_9
; %bb.3:
	s_andn2_b64 vcc, exec, s[38:39]
	v_mov_b32_e32 v2, 0
	v_mov_b32_e32 v4, 0
	;; [unrolled: 1-line block ×3, first 2 shown]
	s_cbranch_vccnz .LBB40_8
; %bb.4:
	s_add_i32 s0, s69, 1
	s_and_b32 s2, s0, 30
	s_add_u32 s0, s20, 0xffffffec
	s_addc_u32 s1, s21, -1
	v_mov_b32_e32 v0, 0
	v_mov_b32_e32 v1, v8
	;; [unrolled: 1-line block ×4, first 2 shown]
.LBB40_5:                               ; =>This Inner Loop Header: Depth=1
	s_mov_b64 s[6:7], s[0:1]
	s_load_dwordx4 s[40:43], s[6:7], 0x18
	s_load_dwordx2 s[44:45], s[6:7], 0x28
	s_load_dwordx2 s[48:49], s[6:7], 0xe8
	s_load_dwordx4 s[52:55], s[6:7], 0xd8
	s_add_u32 s0, s6, 24
	s_waitcnt lgkmcnt(0)
	v_mul_hi_u32 v3, s41, v1
	v_add_u32_e32 v3, v1, v3
	v_lshrrev_b32_e32 v3, s42, v3
	v_mul_lo_u32 v5, v3, s40
	v_mul_hi_u32 v10, s44, v3
	v_sub_u32_e32 v1, v1, v5
	v_add_u32_e32 v5, v3, v10
	v_mul_lo_u32 v10, v1, s52
	v_mul_lo_u32 v11, v1, s53
	;; [unrolled: 1-line block ×3, first 2 shown]
	v_lshrrev_b32_e32 v1, s45, v5
	v_mul_lo_u32 v5, v1, s43
	v_sub_u32_e32 v3, v3, v5
	s_addc_u32 s1, s7, 0
	s_add_i32 s2, s2, -2
	v_mul_lo_u32 v5, v3, s55
	v_mul_lo_u32 v13, v3, s48
	;; [unrolled: 1-line block ×3, first 2 shown]
	s_cmp_lg_u32 s2, 0
	v_add3_u32 v0, v10, v0, v5
	v_add3_u32 v2, v12, v2, v3
	;; [unrolled: 1-line block ×3, first 2 shown]
	s_cbranch_scc1 .LBB40_5
; %bb.6:
	s_bitcmp1_b32 s69, 0
	s_cselect_b64 s[2:3], -1, 0
	s_and_b64 vcc, exec, s[2:3]
	s_cbranch_vccnz .LBB40_8
; %bb.7:
	s_load_dwordx2 s[2:3], s[0:1], 0x18
	s_load_dword s6, s[0:1], 0x20
	s_load_dword s7, s[0:1], 0xe0
	s_nop 0
	s_load_dwordx2 s[0:1], s[0:1], 0xd8
	s_waitcnt lgkmcnt(0)
	v_mul_hi_u32 v3, s3, v1
	v_add_u32_e32 v3, v1, v3
	v_lshrrev_b32_e32 v3, s6, v3
	v_mul_lo_u32 v3, v3, s2
	v_sub_u32_e32 v3, v1, v3
	v_mad_u64_u32 v[0:1], s[2:3], v3, s0, v[0:1]
	v_mad_u64_u32 v[4:5], s[0:1], v3, s1, v[4:5]
	;; [unrolled: 1-line block ×3, first 2 shown]
.LBB40_8:
	s_cbranch_execz .LBB40_10
	s_branch .LBB40_12
.LBB40_9:
                                        ; implicit-def: $vgpr2
                                        ; implicit-def: $vgpr4
                                        ; implicit-def: $vgpr0
	s_andn2_b64 vcc, exec, s[0:1]
	s_cbranch_vccnz .LBB40_12
.LBB40_10:
	s_waitcnt lgkmcnt(0)
	v_mul_hi_u32 v0, s17, v8
	v_add_u32_e32 v0, v8, v0
	v_lshrrev_b32_e32 v1, s18, v0
	v_mul_lo_u32 v0, v1, s16
	v_sub_u32_e32 v3, v8, v0
	v_mul_lo_u32 v0, v3, s12
	v_mul_lo_u32 v2, v3, s14
	s_andn2_b64 vcc, exec, s[36:37]
	v_mul_lo_u32 v4, v3, s13
	s_cbranch_vccnz .LBB40_12
; %bb.11:
	v_mul_hi_u32 v3, s34, v1
	v_add_u32_e32 v3, v1, v3
	v_lshrrev_b32_e32 v3, s35, v3
	v_mul_lo_u32 v3, v3, s19
	v_sub_u32_e32 v3, v1, v3
	v_mad_u64_u32 v[0:1], s[0:1], v3, s15, v[0:1]
	v_mad_u64_u32 v[4:5], s[0:1], v3, s30, v[4:5]
	;; [unrolled: 1-line block ×3, first 2 shown]
.LBB40_12:
	s_waitcnt lgkmcnt(0)
	v_mov_b32_e32 v1, s11
	v_add_co_u32_e32 v4, vcc, s10, v4
	v_addc_co_u32_e32 v5, vcc, 0, v1, vcc
	v_mov_b32_e32 v1, 11
	v_cmp_lt_i16_sdwa s[0:1], v9, v1 src0_sel:BYTE_0 src1_sel:DWORD
	s_and_b64 vcc, exec, s[0:1]
	s_cbranch_vccnz .LBB40_19
; %bb.13:
	v_mov_b32_e32 v1, 25
	v_cmp_gt_i16_sdwa s[0:1], v9, v1 src0_sel:BYTE_0 src1_sel:DWORD
	s_and_b64 vcc, exec, s[0:1]
	s_cbranch_vccz .LBB40_28
; %bb.14:
	v_mov_b32_e32 v1, 28
	v_cmp_gt_i16_sdwa s[0:1], v9, v1 src0_sel:BYTE_0 src1_sel:DWORD
	s_and_b64 vcc, exec, s[0:1]
	s_cbranch_vccz .LBB40_38
	;; [unrolled: 5-line block ×4, first 2 shown]
; %bb.17:
	v_mov_b32_e32 v1, 46
	v_cmp_eq_u16_sdwa s[0:1], v9, v1 src0_sel:BYTE_0 src1_sel:DWORD
	s_mov_b64 s[2:3], 0
	s_and_b64 vcc, exec, s[0:1]
	s_cbranch_vccz .LBB40_47
; %bb.18:
	global_load_dword v1, v[4:5], off
	s_mov_b64 s[0:1], -1
	s_mov_b64 s[44:45], 0
	s_waitcnt vmcnt(0)
	v_lshlrev_b32_e32 v1, 16, v1
	s_branch .LBB40_49
.LBB40_19:
	s_mov_b64 s[44:45], 0
                                        ; implicit-def: $vgpr1
	s_mov_b64 s[0:1], 0
	s_cbranch_execnz .LBB40_115
.LBB40_20:
	s_andn2_b64 vcc, exec, s[0:1]
	s_cbranch_vccnz .LBB40_162
.LBB40_21:
	v_mov_b32_e32 v3, s29
	v_add_co_u32_e32 v2, vcc, s28, v2
	v_mov_b32_e32 v4, 11
	v_addc_co_u32_e32 v3, vcc, 0, v3, vcc
	s_waitcnt vmcnt(0)
	v_cmp_lt_i16_sdwa s[0:1], v7, v4 src0_sel:BYTE_0 src1_sel:DWORD
	s_and_b64 vcc, exec, s[0:1]
	s_cbranch_vccnz .LBB40_29
; %bb.22:
	v_mov_b32_e32 v4, 25
	v_cmp_gt_i16_sdwa s[0:1], v7, v4 src0_sel:BYTE_0 src1_sel:DWORD
	s_and_b64 vcc, exec, s[0:1]
	s_cbranch_vccz .LBB40_39
; %bb.23:
	v_mov_b32_e32 v4, 28
	v_cmp_gt_i16_sdwa s[0:1], v7, v4 src0_sel:BYTE_0 src1_sel:DWORD
	s_and_b64 vcc, exec, s[0:1]
	s_cbranch_vccz .LBB40_42
	;; [unrolled: 5-line block ×4, first 2 shown]
; %bb.26:
	v_mov_b32_e32 v4, 46
	v_cmp_eq_u16_sdwa s[0:1], v7, v4 src0_sel:BYTE_0 src1_sel:DWORD
	s_mov_b64 s[2:3], 0
	s_and_b64 vcc, exec, s[0:1]
	s_cbranch_vccz .LBB40_163
; %bb.27:
	global_load_dword v4, v[2:3], off
	s_mov_b64 s[0:1], -1
	s_mov_b64 s[42:43], 0
	s_waitcnt vmcnt(0)
	v_lshlrev_b32_e32 v4, 16, v4
	s_branch .LBB40_165
.LBB40_28:
	s_mov_b64 s[44:45], 0
	s_mov_b64 s[0:1], 0
                                        ; implicit-def: $vgpr1
	s_cbranch_execnz .LBB40_80
	s_branch .LBB40_114
.LBB40_29:
	s_mov_b64 s[42:43], 0
                                        ; implicit-def: $vgpr4
	s_mov_b64 s[0:1], 0
	s_cbranch_execnz .LBB40_342
.LBB40_30:
	s_andn2_b64 vcc, exec, s[0:1]
	s_cbranch_vccnz .LBB40_390
.LBB40_31:
	s_waitcnt vmcnt(0)
	v_div_scale_f32 v2, s[0:1], v4, v4, v1
	v_rcp_f32_e32 v3, v2
	v_div_scale_f32 v5, vcc, v1, v4, v1
	s_mov_b32 s0, 0x800000
	v_fma_f32 v10, -v2, v3, 1.0
	v_fmac_f32_e32 v3, v10, v3
	v_mul_f32_e32 v10, v5, v3
	v_fma_f32 v11, -v2, v10, v5
	v_fmac_f32_e32 v10, v11, v3
	v_fma_f32 v2, -v2, v10, v5
	v_div_fmas_f32 v2, v2, v3, v10
	v_div_fixup_f32 v3, v2, v4, v1
	v_mov_b32_e32 v1, 0x800000
	v_cmp_gt_f32_e64 s[0:1], s0, v3
	v_cndmask_b32_e64 v1, v3, v1, s[0:1]
	s_mov_b32 s2, 0x3f7ffffe
	v_mov_b32_e32 v2, 0x3f7ffffe
	v_cmp_lt_f32_e64 s[2:3], s2, v1
	v_cndmask_b32_e64 v2, v1, v2, s[2:3]
	v_mov_b32_e32 v1, s9
	v_add_co_u32_e32 v0, vcc, s8, v0
	v_mov_b32_e32 v4, 11
	v_addc_co_u32_e32 v1, vcc, 0, v1, vcc
	v_cmp_lt_i16_sdwa s[6:7], v6, v4 src0_sel:BYTE_0 src1_sel:DWORD
	s_and_b64 vcc, exec, s[6:7]
	s_cbranch_vccnz .LBB40_40
; %bb.32:
	v_mov_b32_e32 v4, 25
	v_cmp_gt_i16_sdwa s[6:7], v6, v4 src0_sel:BYTE_0 src1_sel:DWORD
	s_and_b64 vcc, exec, s[6:7]
	s_cbranch_vccz .LBB40_43
; %bb.33:
	v_mov_b32_e32 v4, 28
	v_cmp_gt_i16_sdwa s[6:7], v6, v4 src0_sel:BYTE_0 src1_sel:DWORD
	s_and_b64 vcc, exec, s[6:7]
	s_cbranch_vccz .LBB40_46
	;; [unrolled: 5-line block ×4, first 2 shown]
; %bb.36:
	v_mov_b32_e32 v4, 46
	v_cmp_eq_u16_sdwa s[40:41], v6, v4 src0_sel:BYTE_0 src1_sel:DWORD
	s_mov_b64 s[48:49], 0
	s_mov_b64 s[6:7], -1
	s_and_b64 vcc, exec, s[40:41]
	s_mov_b64 s[40:41], 0
	s_cbranch_vccz .LBB40_169
; %bb.37:
	v_bfe_u32 v4, v2, 16, 1
	s_movk_i32 s6, 0x7fff
	v_add3_u32 v4, v2, v4, s6
	v_lshrrev_b32_e32 v4, 16, v4
	v_mov_b32_e32 v5, 0x7fc0
	v_cmp_o_f32_e32 vcc, v2, v2
	v_cndmask_b32_e32 v4, v5, v4, vcc
	global_store_dword v[0:1], v4, off
	s_mov_b64 s[40:41], -1
	s_mov_b64 s[6:7], 0
	s_branch .LBB40_169
.LBB40_38:
	s_mov_b64 s[2:3], -1
	s_mov_b64 s[44:45], 0
	s_mov_b64 s[0:1], 0
                                        ; implicit-def: $vgpr1
	s_branch .LBB40_61
.LBB40_39:
	s_mov_b64 s[2:3], -1
	s_mov_b64 s[42:43], 0
	s_mov_b64 s[0:1], 0
                                        ; implicit-def: $vgpr4
	s_branch .LBB40_306
.LBB40_40:
	s_mov_b64 s[0:1], -1
	s_mov_b64 s[6:7], 0
	s_mov_b64 s[40:41], 0
	s_branch .LBB40_238
.LBB40_41:
	s_mov_b64 s[2:3], -1
	s_mov_b64 s[44:45], 0
	s_mov_b64 s[0:1], 0
                                        ; implicit-def: $vgpr1
	s_branch .LBB40_56
.LBB40_42:
	s_mov_b64 s[2:3], -1
	s_mov_b64 s[42:43], 0
	s_mov_b64 s[0:1], 0
                                        ; implicit-def: $vgpr4
	s_branch .LBB40_287
.LBB40_43:
	s_mov_b64 s[48:49], -1
	s_mov_b64 s[6:7], 0
	s_mov_b64 s[40:41], 0
	s_branch .LBB40_196
.LBB40_44:
	s_mov_b64 s[2:3], -1
	s_mov_b64 s[44:45], 0
	s_branch .LBB40_48
.LBB40_45:
	s_mov_b64 s[2:3], -1
	s_mov_b64 s[42:43], 0
	s_mov_b64 s[0:1], 0
                                        ; implicit-def: $vgpr4
	s_branch .LBB40_282
.LBB40_46:
	s_mov_b64 s[48:49], -1
	s_mov_b64 s[6:7], 0
	s_mov_b64 s[40:41], 0
	s_branch .LBB40_179
.LBB40_47:
	s_mov_b64 s[44:45], -1
.LBB40_48:
	s_mov_b64 s[0:1], 0
                                        ; implicit-def: $vgpr1
.LBB40_49:
	s_and_b64 vcc, exec, s[2:3]
	s_cbranch_vccz .LBB40_55
; %bb.50:
	v_mov_b32_e32 v1, 44
	v_cmp_eq_u16_sdwa s[2:3], v9, v1 src0_sel:BYTE_0 src1_sel:DWORD
	s_and_b64 vcc, exec, s[2:3]
	s_cbranch_vccz .LBB40_54
; %bb.51:
	global_load_ubyte v1, v[4:5], off
	s_movk_i32 s2, 0xff
	v_mov_b32_e32 v3, 0x7f800001
	v_mov_b32_e32 v10, 0x400000
	s_mov_b64 s[0:1], -1
	s_mov_b64 s[44:45], 0
	s_waitcnt vmcnt(0)
	v_lshlrev_b32_e32 v11, 23, v1
	v_cmp_ne_u32_e32 vcc, s2, v1
	v_cndmask_b32_e32 v3, v3, v11, vcc
	v_cmp_ne_u32_e32 vcc, 0, v1
	v_cndmask_b32_e32 v1, v10, v3, vcc
	s_branch .LBB40_55
.LBB40_52:
	s_mov_b64 s[2:3], -1
	s_mov_b64 s[42:43], 0
	s_branch .LBB40_164
.LBB40_53:
	s_mov_b64 s[48:49], -1
	s_mov_b64 s[6:7], 0
	s_mov_b64 s[40:41], 0
	s_branch .LBB40_175
.LBB40_54:
	s_mov_b64 s[44:45], -1
                                        ; implicit-def: $vgpr1
.LBB40_55:
	s_mov_b64 s[2:3], 0
.LBB40_56:
	s_and_b64 vcc, exec, s[2:3]
	s_cbranch_vccz .LBB40_60
; %bb.57:
	v_mov_b32_e32 v1, 29
	v_cmp_eq_u16_sdwa s[2:3], v9, v1 src0_sel:BYTE_0 src1_sel:DWORD
	s_and_b64 vcc, exec, s[2:3]
	s_cbranch_vccz .LBB40_59
; %bb.58:
	global_load_dwordx2 v[10:11], v[4:5], off
	s_mov_b64 s[0:1], -1
	s_mov_b64 s[44:45], 0
	s_mov_b64 s[2:3], 0
	s_waitcnt vmcnt(0)
	v_ffbh_u32_e32 v1, v11
	v_min_u32_e32 v1, 32, v1
	v_lshlrev_b64 v[10:11], v1, v[10:11]
	v_min_u32_e32 v3, 1, v10
	v_or_b32_e32 v3, v11, v3
	v_cvt_f32_u32_e32 v3, v3
	v_sub_u32_e32 v1, 32, v1
	v_ldexp_f32 v1, v3, v1
	s_branch .LBB40_61
.LBB40_59:
	s_mov_b64 s[44:45], -1
                                        ; implicit-def: $vgpr1
.LBB40_60:
	s_mov_b64 s[2:3], 0
.LBB40_61:
	s_and_b64 vcc, exec, s[2:3]
	s_cbranch_vccz .LBB40_79
; %bb.62:
	v_mov_b32_e32 v1, 27
	v_cmp_lt_i16_sdwa s[0:1], v9, v1 src0_sel:BYTE_0 src1_sel:DWORD
	s_and_b64 vcc, exec, s[0:1]
	s_cbranch_vccnz .LBB40_65
; %bb.63:
	v_cmp_gt_i16_sdwa s[0:1], v9, v1 src0_sel:BYTE_0 src1_sel:DWORD
	s_and_b64 vcc, exec, s[0:1]
	s_cbranch_vccz .LBB40_66
; %bb.64:
	global_load_dword v1, v[4:5], off
	s_mov_b64 s[0:1], 0
	s_waitcnt vmcnt(0)
	v_cvt_f32_u32_e32 v1, v1
	s_branch .LBB40_67
.LBB40_65:
	s_mov_b64 s[0:1], -1
                                        ; implicit-def: $vgpr1
	s_branch .LBB40_70
.LBB40_66:
	s_mov_b64 s[0:1], -1
                                        ; implicit-def: $vgpr1
.LBB40_67:
	s_andn2_b64 vcc, exec, s[0:1]
	s_cbranch_vccnz .LBB40_69
; %bb.68:
	global_load_ushort v1, v[4:5], off
	s_waitcnt vmcnt(0)
	v_cvt_f32_u32_e32 v1, v1
.LBB40_69:
	s_mov_b64 s[0:1], 0
.LBB40_70:
	s_andn2_b64 vcc, exec, s[0:1]
	s_cbranch_vccnz .LBB40_78
; %bb.71:
	global_load_ubyte v3, v[4:5], off
	s_movk_i32 s0, 0x7f
                                        ; implicit-def: $sgpr40
	s_waitcnt vmcnt(0)
	v_cmp_lt_i16_e32 vcc, s0, v3
	s_mov_b64 s[0:1], 0
	s_and_saveexec_b64 s[2:3], vcc
	s_xor_b64 s[2:3], exec, s[2:3]
	s_cbranch_execz .LBB40_91
; %bb.72:
	s_movk_i32 s0, 0x80
	v_cmp_eq_u16_e32 vcc, s0, v3
	s_mov_b64 s[0:1], -1
                                        ; implicit-def: $sgpr40
	s_and_saveexec_b64 s[6:7], vcc
; %bb.73:
	s_mov_b32 s40, 0x7f800001
	s_xor_b64 s[0:1], exec, -1
; %bb.74:
	s_or_b64 exec, exec, s[6:7]
	s_and_b64 s[0:1], s[0:1], exec
	s_or_saveexec_b64 s[2:3], s[2:3]
	v_mov_b32_e32 v1, s40
	s_xor_b64 exec, exec, s[2:3]
	s_cbranch_execnz .LBB40_92
.LBB40_75:
	s_or_b64 exec, exec, s[2:3]
	s_and_saveexec_b64 s[2:3], s[0:1]
	s_cbranch_execz .LBB40_77
.LBB40_76:
	v_lshlrev_b32_e32 v1, 24, v3
	v_and_b32_e32 v3, 0xffff, v3
	v_and_b32_e32 v10, 7, v3
	v_ffbh_u32_e32 v12, v10
	v_min_u32_e32 v12, 32, v12
	v_subrev_u32_e32 v13, 28, v12
	v_bfe_u32 v11, v3, 3, 4
	v_lshlrev_b32_e32 v3, v13, v3
	v_sub_u32_e32 v12, 29, v12
	v_and_b32_e32 v3, 7, v3
	v_cmp_eq_u32_e32 vcc, 0, v11
	v_cndmask_b32_e32 v11, v11, v12, vcc
	v_cndmask_b32_e32 v3, v10, v3, vcc
	v_mov_b32_e32 v10, 0x3b800000
	v_lshlrev_b32_e32 v3, 20, v3
	v_and_b32_e32 v1, 0x80000000, v1
	v_lshl_add_u32 v10, v11, 23, v10
	v_or3_b32 v1, v1, v10, v3
.LBB40_77:
	s_or_b64 exec, exec, s[2:3]
.LBB40_78:
	s_mov_b64 s[0:1], -1
.LBB40_79:
	s_branch .LBB40_114
.LBB40_80:
	v_mov_b32_e32 v1, 22
	v_cmp_gt_i16_sdwa s[2:3], v9, v1 src0_sel:BYTE_0 src1_sel:DWORD
	s_and_b64 vcc, exec, s[2:3]
	s_cbranch_vccz .LBB40_90
; %bb.81:
	v_mov_b32_e32 v1, 24
	v_cmp_lt_i16_sdwa s[0:1], v9, v1 src0_sel:BYTE_0 src1_sel:DWORD
	s_and_b64 vcc, exec, s[0:1]
	s_cbranch_vccnz .LBB40_93
; %bb.82:
	v_cmp_gt_i16_sdwa s[0:1], v9, v1 src0_sel:BYTE_0 src1_sel:DWORD
	s_and_b64 vcc, exec, s[0:1]
	s_cbranch_vccz .LBB40_94
; %bb.83:
	global_load_ubyte v3, v[4:5], off
	s_movk_i32 s0, 0x7f
                                        ; implicit-def: $sgpr40
	s_waitcnt vmcnt(0)
	v_cmp_lt_i16_e32 vcc, s0, v3
	s_mov_b64 s[0:1], 0
	s_and_saveexec_b64 s[2:3], vcc
	s_xor_b64 s[2:3], exec, s[2:3]
	s_cbranch_execz .LBB40_106
; %bb.84:
	s_movk_i32 s0, 0x80
	v_cmp_eq_u16_e32 vcc, s0, v3
	s_mov_b64 s[0:1], -1
                                        ; implicit-def: $sgpr40
	s_and_saveexec_b64 s[6:7], vcc
; %bb.85:
	s_mov_b32 s40, 0x7f800001
	s_xor_b64 s[0:1], exec, -1
; %bb.86:
	s_or_b64 exec, exec, s[6:7]
	s_and_b64 s[0:1], s[0:1], exec
	s_or_saveexec_b64 s[2:3], s[2:3]
	v_mov_b32_e32 v1, s40
	s_xor_b64 exec, exec, s[2:3]
	s_cbranch_execnz .LBB40_107
.LBB40_87:
	s_or_b64 exec, exec, s[2:3]
	s_and_saveexec_b64 s[2:3], s[0:1]
	s_cbranch_execz .LBB40_89
.LBB40_88:
	v_lshlrev_b32_e32 v1, 24, v3
	v_and_b32_e32 v3, 0xffff, v3
	v_and_b32_e32 v10, 3, v3
	v_ffbh_u32_e32 v12, v10
	v_min_u32_e32 v12, 32, v12
	v_subrev_u32_e32 v13, 29, v12
	v_bfe_u32 v11, v3, 2, 5
	v_lshlrev_b32_e32 v3, v13, v3
	v_sub_u32_e32 v12, 30, v12
	v_and_b32_e32 v3, 3, v3
	v_cmp_eq_u32_e32 vcc, 0, v11
	v_cndmask_b32_e32 v11, v11, v12, vcc
	v_cndmask_b32_e32 v3, v10, v3, vcc
	v_mov_b32_e32 v10, 0x37800000
	v_lshlrev_b32_e32 v3, 21, v3
	v_and_b32_e32 v1, 0x80000000, v1
	v_lshl_add_u32 v10, v11, 23, v10
	v_or3_b32 v1, v1, v10, v3
.LBB40_89:
	s_or_b64 exec, exec, s[2:3]
	s_mov_b64 s[0:1], 0
	s_branch .LBB40_95
.LBB40_90:
	s_mov_b64 s[2:3], -1
                                        ; implicit-def: $vgpr1
	s_branch .LBB40_101
.LBB40_91:
	s_or_saveexec_b64 s[2:3], s[2:3]
	v_mov_b32_e32 v1, s40
	s_xor_b64 exec, exec, s[2:3]
	s_cbranch_execz .LBB40_75
.LBB40_92:
	v_cmp_ne_u16_e32 vcc, 0, v3
	s_andn2_b64 s[0:1], s[0:1], exec
	s_and_b64 s[6:7], vcc, exec
	v_mov_b32_e32 v1, 0
	s_or_b64 s[0:1], s[0:1], s[6:7]
	s_or_b64 exec, exec, s[2:3]
	s_and_saveexec_b64 s[2:3], s[0:1]
	s_cbranch_execnz .LBB40_76
	s_branch .LBB40_77
.LBB40_93:
	s_mov_b64 s[0:1], -1
                                        ; implicit-def: $vgpr1
	s_branch .LBB40_98
.LBB40_94:
	s_mov_b64 s[0:1], -1
                                        ; implicit-def: $vgpr1
.LBB40_95:
	s_and_b64 vcc, exec, s[0:1]
	s_cbranch_vccz .LBB40_97
; %bb.96:
	global_load_ubyte v1, v[4:5], off
	s_mov_b32 s0, 0x7f800000
	s_waitcnt vmcnt(0)
	v_lshlrev_b32_e32 v1, 24, v1
	v_and_b32_e32 v3, 0x7f000000, v1
	v_ffbh_u32_e32 v10, v3
	v_min_u32_e32 v10, 32, v10
	v_sub_u32_e64 v10, v10, 4 clamp
	v_lshlrev_b32_e32 v12, v10, v3
	v_lshlrev_b32_e32 v10, 23, v10
	v_lshrrev_b32_e32 v12, 4, v12
	v_add_u32_e32 v11, 0x1000000, v3
	v_sub_u32_e32 v10, v12, v10
	v_ashrrev_i32_e32 v11, 8, v11
	v_add_u32_e32 v10, 0x3c000000, v10
	v_and_or_b32 v10, v11, s0, v10
	v_cmp_ne_u32_e32 vcc, 0, v3
	v_cndmask_b32_e32 v3, 0, v10, vcc
	s_brev_b32 s0, 1
	v_and_or_b32 v1, v1, s0, v3
.LBB40_97:
	s_mov_b64 s[0:1], 0
.LBB40_98:
	s_andn2_b64 vcc, exec, s[0:1]
	s_cbranch_vccnz .LBB40_100
; %bb.99:
	global_load_ubyte v1, v[4:5], off
	s_movk_i32 s0, 0x7f00
	s_brev_b32 s1, 16
	s_waitcnt vmcnt(0)
	v_lshlrev_b16_e32 v3, 8, v1
	v_lshlrev_b32_e32 v1, 25, v1
	v_lshrrev_b32_e32 v10, 4, v1
	v_and_or_b32 v11, v3, s0, 0.5
	v_or_b32_e32 v10, 0x70000000, v10
	v_add_f32_e32 v11, -0.5, v11
	v_mul_f32_e32 v10, 0x7800000, v10
	v_cmp_gt_u32_e32 vcc, s1, v1
	v_bfe_i32 v3, v3, 0, 16
	v_cndmask_b32_e32 v1, v10, v11, vcc
	s_brev_b32 s0, 1
	v_and_or_b32 v1, v3, s0, v1
.LBB40_100:
	s_mov_b64 s[2:3], 0
	s_mov_b64 s[0:1], -1
.LBB40_101:
	s_andn2_b64 vcc, exec, s[2:3]
	s_cbranch_vccnz .LBB40_114
; %bb.102:
	v_mov_b32_e32 v1, 14
	v_cmp_gt_i16_sdwa s[2:3], v9, v1 src0_sel:BYTE_0 src1_sel:DWORD
	s_and_b64 vcc, exec, s[2:3]
	s_cbranch_vccz .LBB40_105
; %bb.103:
	v_mov_b32_e32 v1, 15
	v_cmp_eq_u16_sdwa s[2:3], v9, v1 src0_sel:BYTE_0 src1_sel:DWORD
	s_and_b64 vcc, exec, s[2:3]
	s_cbranch_vccz .LBB40_108
; %bb.104:
	global_load_ushort v1, v[4:5], off
	s_mov_b64 s[0:1], -1
	s_mov_b64 s[44:45], 0
	s_waitcnt vmcnt(0)
	v_lshlrev_b32_e32 v1, 16, v1
	s_branch .LBB40_109
.LBB40_105:
	s_mov_b64 s[2:3], -1
                                        ; implicit-def: $vgpr1
	s_branch .LBB40_110
.LBB40_106:
	s_or_saveexec_b64 s[2:3], s[2:3]
	v_mov_b32_e32 v1, s40
	s_xor_b64 exec, exec, s[2:3]
	s_cbranch_execz .LBB40_87
.LBB40_107:
	v_cmp_ne_u16_e32 vcc, 0, v3
	s_andn2_b64 s[0:1], s[0:1], exec
	s_and_b64 s[6:7], vcc, exec
	v_mov_b32_e32 v1, 0
	s_or_b64 s[0:1], s[0:1], s[6:7]
	s_or_b64 exec, exec, s[2:3]
	s_and_saveexec_b64 s[2:3], s[0:1]
	s_cbranch_execnz .LBB40_88
	s_branch .LBB40_89
.LBB40_108:
	s_mov_b64 s[44:45], -1
                                        ; implicit-def: $vgpr1
.LBB40_109:
	s_mov_b64 s[2:3], 0
.LBB40_110:
	s_and_b64 vcc, exec, s[2:3]
	s_cbranch_vccz .LBB40_114
; %bb.111:
	v_mov_b32_e32 v1, 11
	v_cmp_eq_u16_sdwa s[2:3], v9, v1 src0_sel:BYTE_0 src1_sel:DWORD
	s_and_b64 vcc, exec, s[2:3]
	s_cbranch_vccz .LBB40_113
; %bb.112:
	global_load_ubyte v1, v[4:5], off
	s_mov_b64 s[0:1], -1
	s_mov_b64 s[44:45], 0
	s_waitcnt vmcnt(0)
	v_cmp_ne_u16_e32 vcc, 0, v1
	v_cndmask_b32_e64 v1, 0, 1.0, vcc
	s_branch .LBB40_114
.LBB40_113:
	s_mov_b64 s[44:45], -1
                                        ; implicit-def: $vgpr1
.LBB40_114:
	s_branch .LBB40_20
.LBB40_115:
	v_mov_b32_e32 v1, 5
	v_cmp_lt_i16_sdwa s[0:1], v9, v1 src0_sel:BYTE_0 src1_sel:DWORD
	s_and_b64 vcc, exec, s[0:1]
	s_cbranch_vccnz .LBB40_120
; %bb.116:
	v_mov_b32_e32 v1, 8
	v_cmp_lt_i16_sdwa s[0:1], v9, v1 src0_sel:BYTE_0 src1_sel:DWORD
	s_and_b64 vcc, exec, s[0:1]
	s_cbranch_vccnz .LBB40_121
; %bb.117:
	;; [unrolled: 5-line block ×3, first 2 shown]
	v_cmp_gt_i16_sdwa s[0:1], v9, v1 src0_sel:BYTE_0 src1_sel:DWORD
	s_and_b64 vcc, exec, s[0:1]
	s_cbranch_vccz .LBB40_123
; %bb.119:
	global_load_dwordx2 v[10:11], v[4:5], off
	s_mov_b64 s[0:1], 0
	s_waitcnt vmcnt(0)
	v_cvt_f32_f64_e32 v1, v[10:11]
	s_branch .LBB40_124
.LBB40_120:
                                        ; implicit-def: $vgpr1
	s_branch .LBB40_142
.LBB40_121:
	s_mov_b64 s[0:1], -1
                                        ; implicit-def: $vgpr1
	s_branch .LBB40_130
.LBB40_122:
	s_mov_b64 s[0:1], -1
                                        ; implicit-def: $vgpr1
	s_branch .LBB40_127
.LBB40_123:
	s_mov_b64 s[0:1], -1
                                        ; implicit-def: $vgpr1
.LBB40_124:
	s_andn2_b64 vcc, exec, s[0:1]
	s_cbranch_vccnz .LBB40_126
; %bb.125:
	global_load_dword v1, v[4:5], off
.LBB40_126:
	s_mov_b64 s[0:1], 0
.LBB40_127:
	s_andn2_b64 vcc, exec, s[0:1]
	s_cbranch_vccnz .LBB40_129
; %bb.128:
	global_load_dword v1, v[4:5], off
	s_waitcnt vmcnt(0)
	v_cvt_f32_f16_e32 v1, v1
.LBB40_129:
	s_mov_b64 s[0:1], 0
.LBB40_130:
	s_andn2_b64 vcc, exec, s[0:1]
	s_cbranch_vccnz .LBB40_141
; %bb.131:
	s_waitcnt vmcnt(0)
	v_mov_b32_e32 v1, 6
	v_cmp_lt_i16_sdwa s[0:1], v9, v1 src0_sel:BYTE_0 src1_sel:DWORD
	s_and_b64 vcc, exec, s[0:1]
	s_cbranch_vccnz .LBB40_134
; %bb.132:
	v_cmp_gt_i16_sdwa s[0:1], v9, v1 src0_sel:BYTE_0 src1_sel:DWORD
	s_and_b64 vcc, exec, s[0:1]
	s_cbranch_vccz .LBB40_135
; %bb.133:
	global_load_dwordx2 v[10:11], v[4:5], off
	s_mov_b64 s[0:1], 0
	s_waitcnt vmcnt(0)
	v_cvt_f32_f64_e32 v1, v[10:11]
	s_branch .LBB40_136
.LBB40_134:
	s_mov_b64 s[0:1], -1
                                        ; implicit-def: $vgpr1
	s_branch .LBB40_139
.LBB40_135:
	s_mov_b64 s[0:1], -1
                                        ; implicit-def: $vgpr1
.LBB40_136:
	s_andn2_b64 vcc, exec, s[0:1]
	s_cbranch_vccnz .LBB40_138
; %bb.137:
	global_load_dword v1, v[4:5], off
.LBB40_138:
	s_mov_b64 s[0:1], 0
.LBB40_139:
	s_andn2_b64 vcc, exec, s[0:1]
	s_cbranch_vccnz .LBB40_141
; %bb.140:
	global_load_ushort v1, v[4:5], off
	s_waitcnt vmcnt(0)
	v_cvt_f32_f16_e32 v1, v1
.LBB40_141:
	s_cbranch_execnz .LBB40_161
.LBB40_142:
	s_waitcnt vmcnt(0)
	v_mov_b32_e32 v1, 2
	v_cmp_lt_i16_sdwa s[0:1], v9, v1 src0_sel:BYTE_0 src1_sel:DWORD
	s_and_b64 vcc, exec, s[0:1]
	s_cbranch_vccnz .LBB40_146
; %bb.143:
	v_mov_b32_e32 v1, 3
	v_cmp_lt_i16_sdwa s[0:1], v9, v1 src0_sel:BYTE_0 src1_sel:DWORD
	s_and_b64 vcc, exec, s[0:1]
	s_cbranch_vccnz .LBB40_147
; %bb.144:
	v_cmp_gt_i16_sdwa s[0:1], v9, v1 src0_sel:BYTE_0 src1_sel:DWORD
	s_and_b64 vcc, exec, s[0:1]
	s_cbranch_vccz .LBB40_148
; %bb.145:
	global_load_dwordx2 v[10:11], v[4:5], off
	s_mov_b64 s[0:1], 0
	s_waitcnt vmcnt(0)
	v_xor_b32_e32 v3, v10, v11
	v_ffbh_i32_e32 v1, v11
	v_ashrrev_i32_e32 v3, 31, v3
	v_add_u32_e32 v1, -1, v1
	v_add_u32_e32 v3, 32, v3
	v_min_u32_e32 v1, v1, v3
	v_lshlrev_b64 v[10:11], v1, v[10:11]
	v_min_u32_e32 v3, 1, v10
	v_or_b32_e32 v3, v11, v3
	v_cvt_f32_i32_e32 v3, v3
	v_sub_u32_e32 v1, 32, v1
	v_ldexp_f32 v1, v3, v1
	s_branch .LBB40_149
.LBB40_146:
	s_mov_b64 s[0:1], -1
                                        ; implicit-def: $vgpr1
	s_branch .LBB40_155
.LBB40_147:
	s_mov_b64 s[0:1], -1
                                        ; implicit-def: $vgpr1
	s_branch .LBB40_152
.LBB40_148:
	s_mov_b64 s[0:1], -1
                                        ; implicit-def: $vgpr1
.LBB40_149:
	s_andn2_b64 vcc, exec, s[0:1]
	s_cbranch_vccnz .LBB40_151
; %bb.150:
	global_load_dword v1, v[4:5], off
	s_waitcnt vmcnt(0)
	v_cvt_f32_i32_e32 v1, v1
.LBB40_151:
	s_mov_b64 s[0:1], 0
.LBB40_152:
	s_andn2_b64 vcc, exec, s[0:1]
	s_cbranch_vccnz .LBB40_154
; %bb.153:
	global_load_sshort v1, v[4:5], off
	s_waitcnt vmcnt(0)
	v_cvt_f32_i32_e32 v1, v1
.LBB40_154:
	s_mov_b64 s[0:1], 0
.LBB40_155:
	s_andn2_b64 vcc, exec, s[0:1]
	s_cbranch_vccnz .LBB40_161
; %bb.156:
	v_mov_b32_e32 v1, 0
	v_cmp_gt_i16_sdwa s[0:1], v9, v1 src0_sel:BYTE_0 src1_sel:DWORD
	s_and_b64 vcc, exec, s[0:1]
	s_cbranch_vccz .LBB40_158
; %bb.157:
	global_load_sbyte v1, v[4:5], off
	s_mov_b64 s[0:1], 0
	s_waitcnt vmcnt(0)
	v_cvt_f32_i32_e32 v1, v1
	s_branch .LBB40_159
.LBB40_158:
	s_mov_b64 s[0:1], -1
                                        ; implicit-def: $vgpr1
.LBB40_159:
	s_andn2_b64 vcc, exec, s[0:1]
	s_cbranch_vccnz .LBB40_161
; %bb.160:
	global_load_ubyte v1, v[4:5], off
	s_waitcnt vmcnt(0)
	v_cvt_f32_ubyte0_e32 v1, v1
.LBB40_161:
	s_branch .LBB40_21
.LBB40_162:
	s_mov_b64 s[6:7], 0
	s_mov_b64 s[42:43], 0
	s_branch .LBB40_391
.LBB40_163:
	s_mov_b64 s[42:43], -1
.LBB40_164:
	s_mov_b64 s[0:1], 0
                                        ; implicit-def: $vgpr4
.LBB40_165:
	s_and_b64 vcc, exec, s[2:3]
	s_cbranch_vccz .LBB40_281
; %bb.166:
	v_mov_b32_e32 v4, 44
	v_cmp_eq_u16_sdwa s[2:3], v7, v4 src0_sel:BYTE_0 src1_sel:DWORD
	s_and_b64 vcc, exec, s[2:3]
	s_cbranch_vccz .LBB40_280
; %bb.167:
	global_load_ubyte v4, v[2:3], off
	s_movk_i32 s2, 0xff
	v_mov_b32_e32 v5, 0x7f800001
	v_mov_b32_e32 v10, 0x400000
	s_mov_b64 s[0:1], -1
	s_mov_b64 s[42:43], 0
	s_waitcnt vmcnt(0)
	v_lshlrev_b32_e32 v11, 23, v4
	v_cmp_ne_u32_e32 vcc, s2, v4
	v_cndmask_b32_e32 v5, v5, v11, vcc
	v_cmp_ne_u32_e32 vcc, 0, v4
	v_cndmask_b32_e32 v4, v10, v5, vcc
	s_branch .LBB40_281
.LBB40_168:
	s_mov_b64 s[48:49], -1
	s_mov_b64 s[6:7], 0
	s_mov_b64 s[40:41], 0
.LBB40_169:
	s_and_b64 vcc, exec, s[48:49]
	s_cbranch_vccz .LBB40_174
; %bb.170:
	v_mov_b32_e32 v4, 44
	v_cmp_eq_u16_sdwa s[48:49], v6, v4 src0_sel:BYTE_0 src1_sel:DWORD
	s_mov_b64 s[6:7], -1
	s_and_b64 vcc, exec, s[48:49]
	s_cbranch_vccz .LBB40_174
; %bb.171:
	v_bfe_u32 v4, v2, 23, 8
	s_movk_i32 s6, 0xff
	v_cmp_ne_u32_e32 vcc, s6, v4
	v_mov_b32_e32 v5, 0xff
	s_and_saveexec_b64 s[40:41], vcc
; %bb.172:
	s_mov_b32 s6, 0x3fffff
	v_and_b32_e32 v10, 0x400000, v2
	v_and_or_b32 v4, v2, s6, v4
	v_cmp_ne_u32_e32 vcc, 0, v10
	v_cmp_ne_u32_e64 s[6:7], 0, v4
	s_and_b64 s[6:7], vcc, s[6:7]
	v_lshrrev_b32_e32 v5, 23, v2
	v_cndmask_b32_e64 v4, 0, 1, s[6:7]
	v_add_u32_e32 v5, v5, v4
; %bb.173:
	s_or_b64 exec, exec, s[40:41]
	s_mov_b64 s[40:41], -1
	s_mov_b64 s[6:7], 0
	global_store_byte v[0:1], v5, off
.LBB40_174:
	s_mov_b64 s[48:49], 0
.LBB40_175:
	s_and_b64 vcc, exec, s[48:49]
	s_cbranch_vccz .LBB40_178
; %bb.176:
	v_mov_b32_e32 v4, 29
	v_cmp_eq_u16_sdwa s[48:49], v6, v4 src0_sel:BYTE_0 src1_sel:DWORD
	s_mov_b64 s[6:7], -1
	s_and_b64 vcc, exec, s[48:49]
	s_cbranch_vccz .LBB40_178
; %bb.177:
	v_trunc_f32_e32 v4, v2
	v_mul_f32_e32 v5, 0x2f800000, v4
	v_floor_f32_e32 v10, v5
	v_fmac_f32_e32 v4, 0xcf800000, v10
	v_cvt_u32_f32_e32 v5, v10
	v_cvt_u32_f32_e32 v4, v4
	s_mov_b64 s[40:41], -1
	s_mov_b64 s[6:7], 0
	s_mov_b64 s[48:49], 0
	global_store_dwordx2 v[0:1], v[4:5], off
	s_branch .LBB40_179
.LBB40_178:
	s_mov_b64 s[48:49], 0
.LBB40_179:
	s_and_b64 vcc, exec, s[48:49]
	s_cbranch_vccz .LBB40_195
; %bb.180:
	v_mov_b32_e32 v4, 27
	v_cmp_lt_i16_sdwa s[48:49], v6, v4 src0_sel:BYTE_0 src1_sel:DWORD
	s_mov_b64 s[40:41], -1
	s_and_b64 vcc, exec, s[48:49]
	s_cbranch_vccnz .LBB40_186
; %bb.181:
	v_cmp_gt_i16_sdwa s[48:49], v6, v4 src0_sel:BYTE_0 src1_sel:DWORD
	v_cvt_u32_f32_e32 v4, v2
	s_and_b64 vcc, exec, s[48:49]
	s_cbranch_vccz .LBB40_183
; %bb.182:
	s_mov_b64 s[40:41], 0
	global_store_dword v[0:1], v4, off
.LBB40_183:
	s_andn2_b64 vcc, exec, s[40:41]
	s_cbranch_vccnz .LBB40_185
; %bb.184:
	global_store_short v[0:1], v4, off
.LBB40_185:
	s_mov_b64 s[40:41], 0
.LBB40_186:
	s_andn2_b64 vcc, exec, s[40:41]
	s_cbranch_vccnz .LBB40_194
; %bb.187:
	v_mov_b32_e32 v4, 0x800000
	v_cndmask_b32_e64 v4, |v3|, v4, s[0:1]
	v_mov_b32_e32 v5, 0x3f7ffffe
	v_cndmask_b32_e64 v5, v4, v5, s[2:3]
	s_mov_b32 s40, 0x43800000
	v_cmp_gt_u32_e32 vcc, s40, v5
	v_mov_b32_e32 v10, 0x80
	s_and_saveexec_b64 s[40:41], vcc
	s_cbranch_execz .LBB40_193
; %bb.188:
	s_mov_b32 s48, 0x3bffffff
	v_cmp_lt_u32_e32 vcc, s48, v5
	s_mov_b64 s[48:49], 0
                                        ; implicit-def: $vgpr4
	s_and_saveexec_b64 s[52:53], vcc
	s_xor_b64 s[52:53], exec, s[52:53]
	s_cbranch_execz .LBB40_432
; %bb.189:
	v_bfe_u32 v4, v2, 20, 1
	s_mov_b32 s54, 0x487ffff
	v_add3_u32 v4, v2, v4, s54
	s_mov_b64 s[48:49], exec
	v_lshrrev_b32_e32 v4, 20, v4
                                        ; implicit-def: $vgpr5
	s_or_saveexec_b64 s[52:53], s[52:53]
                                        ; implicit-def: $sgpr54
	s_xor_b64 exec, exec, s[52:53]
	s_cbranch_execnz .LBB40_433
.LBB40_190:
	s_or_b64 exec, exec, s[52:53]
	v_mov_b32_e32 v10, s54
	s_and_saveexec_b64 s[52:53], s[48:49]
.LBB40_191:
	v_lshrrev_b32_e32 v5, 24, v2
	s_movk_i32 s48, 0x80
	v_and_or_b32 v10, v5, s48, v4
.LBB40_192:
	s_or_b64 exec, exec, s[52:53]
.LBB40_193:
	s_or_b64 exec, exec, s[40:41]
	global_store_byte v[0:1], v10, off
.LBB40_194:
	s_mov_b64 s[40:41], -1
.LBB40_195:
	s_mov_b64 s[48:49], 0
.LBB40_196:
	s_and_b64 vcc, exec, s[48:49]
	s_cbranch_vccz .LBB40_237
; %bb.197:
	v_mov_b32_e32 v4, 22
	v_cmp_gt_i16_sdwa s[52:53], v6, v4 src0_sel:BYTE_0 src1_sel:DWORD
	s_mov_b64 s[48:49], -1
	s_and_b64 vcc, exec, s[52:53]
	s_cbranch_vccz .LBB40_229
; %bb.198:
	v_mov_b32_e32 v4, 24
	v_cmp_lt_i16_sdwa s[48:49], v6, v4 src0_sel:BYTE_0 src1_sel:DWORD
	s_mov_b64 s[40:41], -1
	s_and_b64 vcc, exec, s[48:49]
	s_cbranch_vccnz .LBB40_218
; %bb.199:
	v_cmp_gt_i16_sdwa s[48:49], v6, v4 src0_sel:BYTE_0 src1_sel:DWORD
	s_and_b64 vcc, exec, s[48:49]
	s_cbranch_vccz .LBB40_207
; %bb.200:
	v_mov_b32_e32 v4, 0x800000
	v_cndmask_b32_e64 v4, |v3|, v4, s[0:1]
	v_mov_b32_e32 v5, 0x3f7ffffe
	v_cndmask_b32_e64 v5, v4, v5, s[2:3]
	s_mov_b32 s40, 0x47800000
	v_cmp_gt_u32_e32 vcc, s40, v5
	v_mov_b32_e32 v10, 0x80
	s_and_saveexec_b64 s[40:41], vcc
	s_cbranch_execz .LBB40_206
; %bb.201:
	s_mov_b32 s48, 0x37ffffff
	v_cmp_lt_u32_e32 vcc, s48, v5
	s_mov_b64 s[48:49], 0
                                        ; implicit-def: $vgpr4
	s_and_saveexec_b64 s[52:53], vcc
	s_xor_b64 s[52:53], exec, s[52:53]
	s_cbranch_execz .LBB40_551
; %bb.202:
	v_bfe_u32 v4, v2, 21, 1
	s_mov_b32 s54, 0x88fffff
	v_add3_u32 v4, v2, v4, s54
	s_mov_b64 s[48:49], exec
	v_lshrrev_b32_e32 v4, 21, v4
                                        ; implicit-def: $vgpr5
	s_or_saveexec_b64 s[52:53], s[52:53]
                                        ; implicit-def: $sgpr54
	s_xor_b64 exec, exec, s[52:53]
	s_cbranch_execnz .LBB40_552
.LBB40_203:
	s_or_b64 exec, exec, s[52:53]
	v_mov_b32_e32 v10, s54
	s_and_saveexec_b64 s[52:53], s[48:49]
.LBB40_204:
	v_lshrrev_b32_e32 v5, 24, v2
	s_movk_i32 s48, 0x80
	v_and_or_b32 v10, v5, s48, v4
.LBB40_205:
	s_or_b64 exec, exec, s[52:53]
.LBB40_206:
	s_or_b64 exec, exec, s[40:41]
	s_mov_b64 s[40:41], 0
	global_store_byte v[0:1], v10, off
.LBB40_207:
	s_and_b64 vcc, exec, s[40:41]
	s_cbranch_vccz .LBB40_217
; %bb.208:
	v_mov_b32_e32 v4, 0x800000
	v_cndmask_b32_e64 v4, |v3|, v4, s[0:1]
	v_mov_b32_e32 v5, 0x3f7ffffe
	v_cndmask_b32_e64 v5, v4, v5, s[2:3]
	s_mov_b32 s40, 0x43f00000
	v_cmp_gt_u32_e32 vcc, s40, v5
                                        ; implicit-def: $vgpr4
	s_and_saveexec_b64 s[40:41], vcc
	s_xor_b64 s[40:41], exec, s[40:41]
	s_cbranch_execz .LBB40_214
; %bb.209:
	s_mov_b32 s48, 0x3c7fffff
	v_cmp_lt_u32_e32 vcc, s48, v5
                                        ; implicit-def: $vgpr4
	s_and_saveexec_b64 s[48:49], vcc
	s_xor_b64 s[48:49], exec, s[48:49]
; %bb.210:
	v_bfe_u32 v4, v2, 20, 1
	s_mov_b32 s52, 0x407ffff
	v_add3_u32 v4, v2, v4, s52
	v_lshrrev_b32_e32 v5, 20, v4
	v_and_b32_e32 v4, 0xff00000, v4
	s_mov_b32 s52, 0x7f00000
	v_mov_b32_e32 v10, 0x7e
	v_cmp_ne_u32_e32 vcc, s52, v4
	v_cndmask_b32_e32 v4, v10, v5, vcc
                                        ; implicit-def: $vgpr5
; %bb.211:
	s_andn2_saveexec_b64 s[48:49], s[48:49]
; %bb.212:
	v_add_f32_e32 v4, 0x46800000, v5
; %bb.213:
	s_or_b64 exec, exec, s[48:49]
                                        ; implicit-def: $vgpr5
.LBB40_214:
	s_andn2_saveexec_b64 s[40:41], s[40:41]
; %bb.215:
	s_mov_b32 s48, 0x7f800000
	v_mov_b32_e32 v4, 0x7e
	v_mov_b32_e32 v10, 0x7f
	v_cmp_lt_u32_e32 vcc, s48, v5
	v_cndmask_b32_e32 v4, v4, v10, vcc
; %bb.216:
	s_or_b64 exec, exec, s[40:41]
	v_lshrrev_b32_e32 v5, 24, v2
	s_movk_i32 s40, 0x80
	v_and_or_b32 v4, v5, s40, v4
	global_store_byte v[0:1], v4, off
.LBB40_217:
	s_mov_b64 s[40:41], 0
.LBB40_218:
	s_andn2_b64 vcc, exec, s[40:41]
	s_cbranch_vccnz .LBB40_228
; %bb.219:
	v_mov_b32_e32 v4, 0x800000
	v_cndmask_b32_e64 v3, |v3|, v4, s[0:1]
	v_mov_b32_e32 v4, 0x3f7ffffe
	v_cndmask_b32_e64 v4, v3, v4, s[2:3]
	s_mov_b32 s0, 0x47800000
	v_cmp_gt_u32_e32 vcc, s0, v4
                                        ; implicit-def: $vgpr3
	s_and_saveexec_b64 s[0:1], vcc
	s_xor_b64 s[0:1], exec, s[0:1]
	s_cbranch_execz .LBB40_225
; %bb.220:
	s_mov_b32 s2, 0x387fffff
	v_cmp_lt_u32_e32 vcc, s2, v4
                                        ; implicit-def: $vgpr3
	s_and_saveexec_b64 s[2:3], vcc
	s_xor_b64 s[2:3], exec, s[2:3]
; %bb.221:
	v_bfe_u32 v3, v2, 21, 1
	s_mov_b32 s40, 0x80fffff
	v_add3_u32 v3, v2, v3, s40
	v_lshrrev_b32_e32 v3, 21, v3
                                        ; implicit-def: $vgpr4
; %bb.222:
	s_andn2_saveexec_b64 s[2:3], s[2:3]
; %bb.223:
	v_add_f32_e32 v3, 0x43000000, v4
; %bb.224:
	s_or_b64 exec, exec, s[2:3]
                                        ; implicit-def: $vgpr4
.LBB40_225:
	s_andn2_saveexec_b64 s[0:1], s[0:1]
; %bb.226:
	s_mov_b32 s2, 0x7f800000
	v_mov_b32_e32 v3, 0x7c
	v_mov_b32_e32 v5, 0x7f
	v_cmp_lt_u32_e32 vcc, s2, v4
	v_cndmask_b32_e32 v3, v3, v5, vcc
; %bb.227:
	s_or_b64 exec, exec, s[0:1]
	v_lshrrev_b32_e32 v4, 24, v2
	s_movk_i32 s0, 0x80
	v_and_or_b32 v3, v4, s0, v3
	global_store_byte v[0:1], v3, off
.LBB40_228:
	s_mov_b64 s[48:49], 0
	s_mov_b64 s[40:41], -1
.LBB40_229:
	s_andn2_b64 vcc, exec, s[48:49]
	s_cbranch_vccnz .LBB40_237
; %bb.230:
	v_mov_b32_e32 v3, 14
	v_cmp_gt_i16_sdwa s[2:3], v6, v3 src0_sel:BYTE_0 src1_sel:DWORD
	s_mov_b64 s[0:1], -1
	s_and_b64 vcc, exec, s[2:3]
	s_cbranch_vccz .LBB40_234
; %bb.231:
	v_mov_b32_e32 v3, 15
	v_cmp_eq_u16_sdwa s[0:1], v6, v3 src0_sel:BYTE_0 src1_sel:DWORD
	s_mov_b64 s[6:7], -1
	s_and_b64 vcc, exec, s[0:1]
	s_cbranch_vccz .LBB40_233
; %bb.232:
	v_bfe_u32 v3, v2, 16, 1
	s_movk_i32 s0, 0x7fff
	v_add3_u32 v3, v2, v3, s0
	v_lshrrev_b32_e32 v3, 16, v3
	v_mov_b32_e32 v4, 0x7fc0
	v_cmp_o_f32_e32 vcc, v2, v2
	v_cndmask_b32_e32 v3, v4, v3, vcc
	global_store_short v[0:1], v3, off
	s_mov_b64 s[40:41], -1
	s_mov_b64 s[6:7], 0
.LBB40_233:
	s_mov_b64 s[0:1], 0
.LBB40_234:
	s_and_b64 vcc, exec, s[0:1]
	s_cbranch_vccz .LBB40_237
; %bb.235:
	v_mov_b32_e32 v3, 11
	v_cmp_eq_u16_sdwa s[0:1], v6, v3 src0_sel:BYTE_0 src1_sel:DWORD
	s_mov_b64 s[6:7], -1
	s_and_b64 vcc, exec, s[0:1]
	s_cbranch_vccz .LBB40_237
; %bb.236:
	v_mov_b32_e32 v3, 1
	s_mov_b64 s[40:41], -1
	s_mov_b64 s[6:7], 0
	global_store_byte v[0:1], v3, off
.LBB40_237:
	s_mov_b64 s[0:1], 0
.LBB40_238:
	s_and_b64 vcc, exec, s[0:1]
	s_cbranch_vccz .LBB40_277
; %bb.239:
	v_mov_b32_e32 v3, 5
	v_cmp_lt_i16_sdwa s[2:3], v6, v3 src0_sel:BYTE_0 src1_sel:DWORD
	s_mov_b64 s[0:1], -1
	s_and_b64 vcc, exec, s[2:3]
	s_cbranch_vccnz .LBB40_260
; %bb.240:
	v_mov_b32_e32 v3, 8
	v_cmp_lt_i16_sdwa s[2:3], v6, v3 src0_sel:BYTE_0 src1_sel:DWORD
	s_and_b64 vcc, exec, s[2:3]
	s_cbranch_vccnz .LBB40_250
; %bb.241:
	v_mov_b32_e32 v3, 9
	v_cmp_lt_i16_sdwa s[2:3], v6, v3 src0_sel:BYTE_0 src1_sel:DWORD
	s_and_b64 vcc, exec, s[2:3]
	s_cbranch_vccnz .LBB40_247
; %bb.242:
	v_cmp_gt_i16_sdwa s[2:3], v6, v3 src0_sel:BYTE_0 src1_sel:DWORD
	s_and_b64 vcc, exec, s[2:3]
	s_cbranch_vccz .LBB40_244
; %bb.243:
	v_mov_b32_e32 v12, 0
	v_cvt_f64_f32_e32 v[10:11], v2
	v_mov_b32_e32 v13, v12
	global_store_dwordx4 v[0:1], v[10:13], off
	s_mov_b64 s[0:1], 0
.LBB40_244:
	s_andn2_b64 vcc, exec, s[0:1]
	s_cbranch_vccnz .LBB40_246
; %bb.245:
	v_mov_b32_e32 v3, 0
	global_store_dwordx2 v[0:1], v[2:3], off
.LBB40_246:
	s_mov_b64 s[0:1], 0
.LBB40_247:
	s_andn2_b64 vcc, exec, s[0:1]
	s_cbranch_vccnz .LBB40_249
; %bb.248:
	v_cvt_f16_f32_e32 v3, v2
	global_store_dword v[0:1], v3, off
.LBB40_249:
	s_mov_b64 s[0:1], 0
.LBB40_250:
	s_andn2_b64 vcc, exec, s[0:1]
	s_cbranch_vccnz .LBB40_259
; %bb.251:
	v_mov_b32_e32 v3, 6
	v_cmp_lt_i16_sdwa s[2:3], v6, v3 src0_sel:BYTE_0 src1_sel:DWORD
	s_mov_b64 s[0:1], -1
	s_and_b64 vcc, exec, s[2:3]
	s_cbranch_vccnz .LBB40_257
; %bb.252:
	v_cmp_gt_i16_sdwa s[2:3], v6, v3 src0_sel:BYTE_0 src1_sel:DWORD
	s_and_b64 vcc, exec, s[2:3]
	s_cbranch_vccz .LBB40_254
; %bb.253:
	v_cvt_f64_f32_e32 v[4:5], v2
	global_store_dwordx2 v[0:1], v[4:5], off
	s_mov_b64 s[0:1], 0
.LBB40_254:
	s_andn2_b64 vcc, exec, s[0:1]
	s_cbranch_vccnz .LBB40_256
; %bb.255:
	global_store_dword v[0:1], v2, off
.LBB40_256:
	s_mov_b64 s[0:1], 0
.LBB40_257:
	s_andn2_b64 vcc, exec, s[0:1]
	s_cbranch_vccnz .LBB40_259
; %bb.258:
	v_cvt_f16_f32_e32 v3, v2
	global_store_short v[0:1], v3, off
.LBB40_259:
	s_mov_b64 s[0:1], 0
.LBB40_260:
	s_andn2_b64 vcc, exec, s[0:1]
	s_cbranch_vccnz .LBB40_276
; %bb.261:
	v_mov_b32_e32 v3, 2
	v_cmp_lt_i16_sdwa s[2:3], v6, v3 src0_sel:BYTE_0 src1_sel:DWORD
	s_mov_b64 s[0:1], -1
	s_and_b64 vcc, exec, s[2:3]
	s_cbranch_vccnz .LBB40_271
; %bb.262:
	v_mov_b32_e32 v3, 3
	v_cmp_lt_i16_sdwa s[2:3], v6, v3 src0_sel:BYTE_0 src1_sel:DWORD
	s_and_b64 vcc, exec, s[2:3]
	s_cbranch_vccnz .LBB40_268
; %bb.263:
	v_cmp_gt_i16_sdwa s[2:3], v6, v3 src0_sel:BYTE_0 src1_sel:DWORD
	s_and_b64 vcc, exec, s[2:3]
	s_cbranch_vccz .LBB40_265
; %bb.264:
	v_trunc_f32_e32 v3, v2
	s_mov_b32 s0, 0x2f800000
	v_mul_f32_e64 v4, |v3|, s0
	v_floor_f32_e32 v4, v4
	s_mov_b32 s0, 0xcf800000
	v_cvt_u32_f32_e32 v5, v4
	v_fma_f32 v4, v4, s0, |v3|
	v_cvt_u32_f32_e32 v4, v4
	v_ashrrev_i32_e32 v3, 31, v3
	v_xor_b32_e32 v5, v5, v3
	s_mov_b64 s[0:1], 0
	v_xor_b32_e32 v4, v4, v3
	v_sub_co_u32_e32 v4, vcc, v4, v3
	v_subb_co_u32_e32 v5, vcc, v5, v3, vcc
	global_store_dwordx2 v[0:1], v[4:5], off
.LBB40_265:
	s_andn2_b64 vcc, exec, s[0:1]
	s_cbranch_vccnz .LBB40_267
; %bb.266:
	v_cvt_i32_f32_e32 v3, v2
	global_store_dword v[0:1], v3, off
.LBB40_267:
	s_mov_b64 s[0:1], 0
.LBB40_268:
	s_andn2_b64 vcc, exec, s[0:1]
	s_cbranch_vccnz .LBB40_270
; %bb.269:
	v_cvt_i32_f32_e32 v3, v2
	global_store_short v[0:1], v3, off
.LBB40_270:
	s_mov_b64 s[0:1], 0
.LBB40_271:
	s_andn2_b64 vcc, exec, s[0:1]
	s_cbranch_vccnz .LBB40_276
; %bb.272:
	v_mov_b32_e32 v3, 0
	v_cmp_gt_i16_sdwa s[2:3], v6, v3 src0_sel:BYTE_0 src1_sel:DWORD
	s_mov_b64 s[0:1], -1
	s_and_b64 vcc, exec, s[2:3]
	s_cbranch_vccz .LBB40_274
; %bb.273:
	v_cvt_i32_f32_e32 v3, v2
	s_mov_b64 s[0:1], 0
	global_store_byte v[0:1], v3, off
.LBB40_274:
	s_andn2_b64 vcc, exec, s[0:1]
	s_cbranch_vccnz .LBB40_276
; %bb.275:
	v_trunc_f32_e32 v2, v2
	s_mov_b32 s0, 0x2f800000
	v_mul_f32_e64 v3, |v2|, s0
	v_floor_f32_e32 v3, v3
	s_mov_b32 s0, 0xcf800000
	v_fma_f32 v3, v3, s0, |v2|
	v_cvt_u32_f32_e32 v3, v3
	v_ashrrev_i32_e32 v2, 31, v2
	v_xor_b32_e32 v3, v3, v2
	v_sub_u32_e32 v2, v3, v2
	global_store_byte v[0:1], v2, off
.LBB40_276:
	s_mov_b64 s[40:41], -1
.LBB40_277:
	s_andn2_b64 vcc, exec, s[40:41]
	s_cbranch_vccnz .LBB40_279
; %bb.278:
	v_add_u32_e32 v8, 0x80, v8
	s_mov_b64 s[0:1], -1
	s_branch .LBB40_392
.LBB40_279:
	s_mov_b64 s[0:1], 0
                                        ; implicit-def: $vgpr8
	s_branch .LBB40_392
.LBB40_280:
	s_mov_b64 s[42:43], -1
                                        ; implicit-def: $vgpr4
.LBB40_281:
	s_mov_b64 s[2:3], 0
.LBB40_282:
	s_and_b64 vcc, exec, s[2:3]
	s_cbranch_vccz .LBB40_286
; %bb.283:
	v_mov_b32_e32 v4, 29
	v_cmp_eq_u16_sdwa s[2:3], v7, v4 src0_sel:BYTE_0 src1_sel:DWORD
	s_and_b64 vcc, exec, s[2:3]
	s_cbranch_vccz .LBB40_285
; %bb.284:
	global_load_dwordx2 v[4:5], v[2:3], off
	s_mov_b64 s[0:1], -1
	s_mov_b64 s[42:43], 0
	s_mov_b64 s[2:3], 0
	s_waitcnt vmcnt(0)
	v_ffbh_u32_e32 v10, v5
	v_min_u32_e32 v10, 32, v10
	v_lshlrev_b64 v[4:5], v10, v[4:5]
	v_min_u32_e32 v4, 1, v4
	v_or_b32_e32 v4, v5, v4
	v_cvt_f32_u32_e32 v4, v4
	v_sub_u32_e32 v5, 32, v10
	v_ldexp_f32 v4, v4, v5
	s_branch .LBB40_287
.LBB40_285:
	s_mov_b64 s[42:43], -1
                                        ; implicit-def: $vgpr4
.LBB40_286:
	s_mov_b64 s[2:3], 0
.LBB40_287:
	s_and_b64 vcc, exec, s[2:3]
	s_cbranch_vccz .LBB40_305
; %bb.288:
	v_mov_b32_e32 v4, 27
	v_cmp_lt_i16_sdwa s[0:1], v7, v4 src0_sel:BYTE_0 src1_sel:DWORD
	s_and_b64 vcc, exec, s[0:1]
	s_cbranch_vccnz .LBB40_291
; %bb.289:
	v_cmp_gt_i16_sdwa s[0:1], v7, v4 src0_sel:BYTE_0 src1_sel:DWORD
	s_and_b64 vcc, exec, s[0:1]
	s_cbranch_vccz .LBB40_292
; %bb.290:
	global_load_dword v4, v[2:3], off
	s_mov_b64 s[0:1], 0
	s_waitcnt vmcnt(0)
	v_cvt_f32_u32_e32 v4, v4
	s_branch .LBB40_293
.LBB40_291:
	s_mov_b64 s[0:1], -1
                                        ; implicit-def: $vgpr4
	s_branch .LBB40_296
.LBB40_292:
	s_mov_b64 s[0:1], -1
                                        ; implicit-def: $vgpr4
.LBB40_293:
	s_andn2_b64 vcc, exec, s[0:1]
	s_cbranch_vccnz .LBB40_295
; %bb.294:
	global_load_ushort v4, v[2:3], off
	s_waitcnt vmcnt(0)
	v_cvt_f32_u32_e32 v4, v4
.LBB40_295:
	s_mov_b64 s[0:1], 0
.LBB40_296:
	s_andn2_b64 vcc, exec, s[0:1]
	s_cbranch_vccnz .LBB40_304
; %bb.297:
	global_load_ubyte v5, v[2:3], off
	s_movk_i32 s0, 0x7f
                                        ; implicit-def: $sgpr40
	s_waitcnt vmcnt(0)
	v_cmp_lt_i16_e32 vcc, s0, v5
	s_mov_b64 s[0:1], 0
	s_and_saveexec_b64 s[2:3], vcc
	s_xor_b64 s[2:3], exec, s[2:3]
	s_cbranch_execz .LBB40_318
; %bb.298:
	s_movk_i32 s0, 0x80
	v_cmp_eq_u16_e32 vcc, s0, v5
	s_mov_b64 s[0:1], -1
                                        ; implicit-def: $sgpr40
	s_and_saveexec_b64 s[6:7], vcc
; %bb.299:
	s_mov_b32 s40, 0x7f800001
	s_xor_b64 s[0:1], exec, -1
; %bb.300:
	s_or_b64 exec, exec, s[6:7]
	s_and_b64 s[0:1], s[0:1], exec
	s_or_saveexec_b64 s[2:3], s[2:3]
	v_mov_b32_e32 v4, s40
	s_xor_b64 exec, exec, s[2:3]
	s_cbranch_execnz .LBB40_319
.LBB40_301:
	s_or_b64 exec, exec, s[2:3]
	s_and_saveexec_b64 s[2:3], s[0:1]
	s_cbranch_execz .LBB40_303
.LBB40_302:
	v_lshlrev_b32_e32 v4, 24, v5
	v_and_b32_e32 v5, 0xffff, v5
	v_and_b32_e32 v10, 7, v5
	v_ffbh_u32_e32 v12, v10
	v_min_u32_e32 v12, 32, v12
	v_subrev_u32_e32 v13, 28, v12
	v_bfe_u32 v11, v5, 3, 4
	v_lshlrev_b32_e32 v5, v13, v5
	v_sub_u32_e32 v12, 29, v12
	v_and_b32_e32 v5, 7, v5
	v_cmp_eq_u32_e32 vcc, 0, v11
	v_cndmask_b32_e32 v11, v11, v12, vcc
	v_cndmask_b32_e32 v5, v10, v5, vcc
	v_mov_b32_e32 v10, 0x3b800000
	v_lshlrev_b32_e32 v5, 20, v5
	v_and_b32_e32 v4, 0x80000000, v4
	v_lshl_add_u32 v10, v11, 23, v10
	v_or3_b32 v4, v4, v10, v5
.LBB40_303:
	s_or_b64 exec, exec, s[2:3]
.LBB40_304:
	s_mov_b64 s[0:1], -1
.LBB40_305:
	s_mov_b64 s[2:3], 0
.LBB40_306:
	s_and_b64 vcc, exec, s[2:3]
	s_cbranch_vccz .LBB40_341
; %bb.307:
	v_mov_b32_e32 v4, 22
	v_cmp_gt_i16_sdwa s[2:3], v7, v4 src0_sel:BYTE_0 src1_sel:DWORD
	s_and_b64 vcc, exec, s[2:3]
	s_cbranch_vccz .LBB40_317
; %bb.308:
	v_mov_b32_e32 v4, 24
	v_cmp_lt_i16_sdwa s[0:1], v7, v4 src0_sel:BYTE_0 src1_sel:DWORD
	s_and_b64 vcc, exec, s[0:1]
	s_cbranch_vccnz .LBB40_320
; %bb.309:
	v_cmp_gt_i16_sdwa s[0:1], v7, v4 src0_sel:BYTE_0 src1_sel:DWORD
	s_and_b64 vcc, exec, s[0:1]
	s_cbranch_vccz .LBB40_321
; %bb.310:
	global_load_ubyte v5, v[2:3], off
	s_movk_i32 s0, 0x7f
                                        ; implicit-def: $sgpr40
	s_waitcnt vmcnt(0)
	v_cmp_lt_i16_e32 vcc, s0, v5
	s_mov_b64 s[0:1], 0
	s_and_saveexec_b64 s[2:3], vcc
	s_xor_b64 s[2:3], exec, s[2:3]
	s_cbranch_execz .LBB40_333
; %bb.311:
	s_movk_i32 s0, 0x80
	v_cmp_eq_u16_e32 vcc, s0, v5
	s_mov_b64 s[0:1], -1
                                        ; implicit-def: $sgpr40
	s_and_saveexec_b64 s[6:7], vcc
; %bb.312:
	s_mov_b32 s40, 0x7f800001
	s_xor_b64 s[0:1], exec, -1
; %bb.313:
	s_or_b64 exec, exec, s[6:7]
	s_and_b64 s[0:1], s[0:1], exec
	s_or_saveexec_b64 s[2:3], s[2:3]
	v_mov_b32_e32 v4, s40
	s_xor_b64 exec, exec, s[2:3]
	s_cbranch_execnz .LBB40_334
.LBB40_314:
	s_or_b64 exec, exec, s[2:3]
	s_and_saveexec_b64 s[2:3], s[0:1]
	s_cbranch_execz .LBB40_316
.LBB40_315:
	v_lshlrev_b32_e32 v4, 24, v5
	v_and_b32_e32 v5, 0xffff, v5
	v_and_b32_e32 v10, 3, v5
	v_ffbh_u32_e32 v12, v10
	v_min_u32_e32 v12, 32, v12
	v_subrev_u32_e32 v13, 29, v12
	v_bfe_u32 v11, v5, 2, 5
	v_lshlrev_b32_e32 v5, v13, v5
	v_sub_u32_e32 v12, 30, v12
	v_and_b32_e32 v5, 3, v5
	v_cmp_eq_u32_e32 vcc, 0, v11
	v_cndmask_b32_e32 v11, v11, v12, vcc
	v_cndmask_b32_e32 v5, v10, v5, vcc
	v_mov_b32_e32 v10, 0x37800000
	v_lshlrev_b32_e32 v5, 21, v5
	v_and_b32_e32 v4, 0x80000000, v4
	v_lshl_add_u32 v10, v11, 23, v10
	v_or3_b32 v4, v4, v10, v5
.LBB40_316:
	s_or_b64 exec, exec, s[2:3]
	s_mov_b64 s[0:1], 0
	s_branch .LBB40_322
.LBB40_317:
	s_mov_b64 s[2:3], -1
                                        ; implicit-def: $vgpr4
	s_branch .LBB40_328
.LBB40_318:
	s_or_saveexec_b64 s[2:3], s[2:3]
	v_mov_b32_e32 v4, s40
	s_xor_b64 exec, exec, s[2:3]
	s_cbranch_execz .LBB40_301
.LBB40_319:
	v_cmp_ne_u16_e32 vcc, 0, v5
	s_andn2_b64 s[0:1], s[0:1], exec
	s_and_b64 s[6:7], vcc, exec
	v_mov_b32_e32 v4, 0
	s_or_b64 s[0:1], s[0:1], s[6:7]
	s_or_b64 exec, exec, s[2:3]
	s_and_saveexec_b64 s[2:3], s[0:1]
	s_cbranch_execnz .LBB40_302
	s_branch .LBB40_303
.LBB40_320:
	s_mov_b64 s[0:1], -1
                                        ; implicit-def: $vgpr4
	s_branch .LBB40_325
.LBB40_321:
	s_mov_b64 s[0:1], -1
                                        ; implicit-def: $vgpr4
.LBB40_322:
	s_and_b64 vcc, exec, s[0:1]
	s_cbranch_vccz .LBB40_324
; %bb.323:
	global_load_ubyte v4, v[2:3], off
	s_mov_b32 s0, 0x7f800000
	s_waitcnt vmcnt(0)
	v_lshlrev_b32_e32 v4, 24, v4
	v_and_b32_e32 v5, 0x7f000000, v4
	v_ffbh_u32_e32 v10, v5
	v_min_u32_e32 v10, 32, v10
	v_sub_u32_e64 v10, v10, 4 clamp
	v_lshlrev_b32_e32 v12, v10, v5
	v_lshlrev_b32_e32 v10, 23, v10
	v_lshrrev_b32_e32 v12, 4, v12
	v_add_u32_e32 v11, 0x1000000, v5
	v_sub_u32_e32 v10, v12, v10
	v_ashrrev_i32_e32 v11, 8, v11
	v_add_u32_e32 v10, 0x3c000000, v10
	v_and_or_b32 v10, v11, s0, v10
	v_cmp_ne_u32_e32 vcc, 0, v5
	v_cndmask_b32_e32 v5, 0, v10, vcc
	s_brev_b32 s0, 1
	v_and_or_b32 v4, v4, s0, v5
.LBB40_324:
	s_mov_b64 s[0:1], 0
.LBB40_325:
	s_andn2_b64 vcc, exec, s[0:1]
	s_cbranch_vccnz .LBB40_327
; %bb.326:
	global_load_ubyte v4, v[2:3], off
	s_movk_i32 s0, 0x7f00
	s_brev_b32 s1, 16
	s_waitcnt vmcnt(0)
	v_lshlrev_b16_e32 v5, 8, v4
	v_lshlrev_b32_e32 v4, 25, v4
	v_lshrrev_b32_e32 v10, 4, v4
	v_and_or_b32 v11, v5, s0, 0.5
	v_or_b32_e32 v10, 0x70000000, v10
	v_add_f32_e32 v11, -0.5, v11
	v_mul_f32_e32 v10, 0x7800000, v10
	v_cmp_gt_u32_e32 vcc, s1, v4
	v_bfe_i32 v5, v5, 0, 16
	v_cndmask_b32_e32 v4, v10, v11, vcc
	s_brev_b32 s0, 1
	v_and_or_b32 v4, v5, s0, v4
.LBB40_327:
	s_mov_b64 s[2:3], 0
	s_mov_b64 s[0:1], -1
.LBB40_328:
	s_andn2_b64 vcc, exec, s[2:3]
	s_cbranch_vccnz .LBB40_341
; %bb.329:
	v_mov_b32_e32 v4, 14
	v_cmp_gt_i16_sdwa s[2:3], v7, v4 src0_sel:BYTE_0 src1_sel:DWORD
	s_and_b64 vcc, exec, s[2:3]
	s_cbranch_vccz .LBB40_332
; %bb.330:
	v_mov_b32_e32 v4, 15
	v_cmp_eq_u16_sdwa s[2:3], v7, v4 src0_sel:BYTE_0 src1_sel:DWORD
	s_and_b64 vcc, exec, s[2:3]
	s_cbranch_vccz .LBB40_335
; %bb.331:
	global_load_ushort v4, v[2:3], off
	s_mov_b64 s[0:1], -1
	s_mov_b64 s[42:43], 0
	s_waitcnt vmcnt(0)
	v_lshlrev_b32_e32 v4, 16, v4
	s_branch .LBB40_336
.LBB40_332:
	s_mov_b64 s[2:3], -1
                                        ; implicit-def: $vgpr4
	s_branch .LBB40_337
.LBB40_333:
	s_or_saveexec_b64 s[2:3], s[2:3]
	v_mov_b32_e32 v4, s40
	s_xor_b64 exec, exec, s[2:3]
	s_cbranch_execz .LBB40_314
.LBB40_334:
	v_cmp_ne_u16_e32 vcc, 0, v5
	s_andn2_b64 s[0:1], s[0:1], exec
	s_and_b64 s[6:7], vcc, exec
	v_mov_b32_e32 v4, 0
	s_or_b64 s[0:1], s[0:1], s[6:7]
	s_or_b64 exec, exec, s[2:3]
	s_and_saveexec_b64 s[2:3], s[0:1]
	s_cbranch_execnz .LBB40_315
	s_branch .LBB40_316
.LBB40_335:
	s_mov_b64 s[42:43], -1
                                        ; implicit-def: $vgpr4
.LBB40_336:
	s_mov_b64 s[2:3], 0
.LBB40_337:
	s_and_b64 vcc, exec, s[2:3]
	s_cbranch_vccz .LBB40_341
; %bb.338:
	v_mov_b32_e32 v4, 11
	v_cmp_eq_u16_sdwa s[2:3], v7, v4 src0_sel:BYTE_0 src1_sel:DWORD
	s_and_b64 vcc, exec, s[2:3]
	s_cbranch_vccz .LBB40_340
; %bb.339:
	global_load_ubyte v4, v[2:3], off
	s_mov_b64 s[0:1], -1
	s_mov_b64 s[42:43], 0
	s_waitcnt vmcnt(0)
	v_cmp_ne_u16_e32 vcc, 0, v4
	v_cndmask_b32_e64 v4, 0, 1.0, vcc
	s_branch .LBB40_341
.LBB40_340:
	s_mov_b64 s[42:43], -1
                                        ; implicit-def: $vgpr4
.LBB40_341:
	s_branch .LBB40_30
.LBB40_342:
	v_mov_b32_e32 v4, 5
	v_cmp_lt_i16_sdwa s[0:1], v7, v4 src0_sel:BYTE_0 src1_sel:DWORD
	s_and_b64 vcc, exec, s[0:1]
	s_cbranch_vccnz .LBB40_347
; %bb.343:
	v_mov_b32_e32 v4, 8
	v_cmp_lt_i16_sdwa s[0:1], v7, v4 src0_sel:BYTE_0 src1_sel:DWORD
	s_and_b64 vcc, exec, s[0:1]
	s_cbranch_vccnz .LBB40_348
; %bb.344:
	;; [unrolled: 5-line block ×3, first 2 shown]
	v_cmp_gt_i16_sdwa s[0:1], v7, v4 src0_sel:BYTE_0 src1_sel:DWORD
	s_and_b64 vcc, exec, s[0:1]
	s_cbranch_vccz .LBB40_350
; %bb.346:
	global_load_dwordx2 v[4:5], v[2:3], off
	s_mov_b64 s[0:1], 0
	s_waitcnt vmcnt(0)
	v_cvt_f32_f64_e32 v4, v[4:5]
	s_branch .LBB40_351
.LBB40_347:
	s_mov_b64 s[0:1], -1
                                        ; implicit-def: $vgpr4
	s_branch .LBB40_369
.LBB40_348:
	s_mov_b64 s[0:1], -1
                                        ; implicit-def: $vgpr4
	s_branch .LBB40_357
.LBB40_349:
	s_mov_b64 s[0:1], -1
                                        ; implicit-def: $vgpr4
	s_branch .LBB40_354
.LBB40_350:
	s_mov_b64 s[0:1], -1
                                        ; implicit-def: $vgpr4
.LBB40_351:
	s_andn2_b64 vcc, exec, s[0:1]
	s_cbranch_vccnz .LBB40_353
; %bb.352:
	global_load_dword v4, v[2:3], off
.LBB40_353:
	s_mov_b64 s[0:1], 0
.LBB40_354:
	s_andn2_b64 vcc, exec, s[0:1]
	s_cbranch_vccnz .LBB40_356
; %bb.355:
	global_load_dword v4, v[2:3], off
	s_waitcnt vmcnt(0)
	v_cvt_f32_f16_e32 v4, v4
.LBB40_356:
	s_mov_b64 s[0:1], 0
.LBB40_357:
	s_andn2_b64 vcc, exec, s[0:1]
	s_cbranch_vccnz .LBB40_368
; %bb.358:
	s_waitcnt vmcnt(0)
	v_mov_b32_e32 v4, 6
	v_cmp_lt_i16_sdwa s[0:1], v7, v4 src0_sel:BYTE_0 src1_sel:DWORD
	s_and_b64 vcc, exec, s[0:1]
	s_cbranch_vccnz .LBB40_361
; %bb.359:
	v_cmp_gt_i16_sdwa s[0:1], v7, v4 src0_sel:BYTE_0 src1_sel:DWORD
	s_and_b64 vcc, exec, s[0:1]
	s_cbranch_vccz .LBB40_362
; %bb.360:
	global_load_dwordx2 v[4:5], v[2:3], off
	s_mov_b64 s[0:1], 0
	s_waitcnt vmcnt(0)
	v_cvt_f32_f64_e32 v4, v[4:5]
	s_branch .LBB40_363
.LBB40_361:
	s_mov_b64 s[0:1], -1
                                        ; implicit-def: $vgpr4
	s_branch .LBB40_366
.LBB40_362:
	s_mov_b64 s[0:1], -1
                                        ; implicit-def: $vgpr4
.LBB40_363:
	s_andn2_b64 vcc, exec, s[0:1]
	s_cbranch_vccnz .LBB40_365
; %bb.364:
	global_load_dword v4, v[2:3], off
.LBB40_365:
	s_mov_b64 s[0:1], 0
.LBB40_366:
	s_andn2_b64 vcc, exec, s[0:1]
	s_cbranch_vccnz .LBB40_368
; %bb.367:
	global_load_ushort v4, v[2:3], off
	s_waitcnt vmcnt(0)
	v_cvt_f32_f16_e32 v4, v4
.LBB40_368:
	s_mov_b64 s[0:1], 0
.LBB40_369:
	s_andn2_b64 vcc, exec, s[0:1]
	s_cbranch_vccnz .LBB40_389
; %bb.370:
	s_waitcnt vmcnt(0)
	v_mov_b32_e32 v4, 2
	v_cmp_lt_i16_sdwa s[0:1], v7, v4 src0_sel:BYTE_0 src1_sel:DWORD
	s_and_b64 vcc, exec, s[0:1]
	s_cbranch_vccnz .LBB40_374
; %bb.371:
	v_mov_b32_e32 v4, 3
	v_cmp_lt_i16_sdwa s[0:1], v7, v4 src0_sel:BYTE_0 src1_sel:DWORD
	s_and_b64 vcc, exec, s[0:1]
	s_cbranch_vccnz .LBB40_375
; %bb.372:
	v_cmp_gt_i16_sdwa s[0:1], v7, v4 src0_sel:BYTE_0 src1_sel:DWORD
	s_and_b64 vcc, exec, s[0:1]
	s_cbranch_vccz .LBB40_376
; %bb.373:
	global_load_dwordx2 v[4:5], v[2:3], off
	s_mov_b64 s[0:1], 0
	s_waitcnt vmcnt(0)
	v_xor_b32_e32 v11, v4, v5
	v_ffbh_i32_e32 v10, v5
	v_ashrrev_i32_e32 v11, 31, v11
	v_add_u32_e32 v10, -1, v10
	v_add_u32_e32 v11, 32, v11
	v_min_u32_e32 v10, v10, v11
	v_lshlrev_b64 v[4:5], v10, v[4:5]
	v_min_u32_e32 v4, 1, v4
	v_or_b32_e32 v4, v5, v4
	v_cvt_f32_i32_e32 v4, v4
	v_sub_u32_e32 v5, 32, v10
	v_ldexp_f32 v4, v4, v5
	s_branch .LBB40_377
.LBB40_374:
	s_mov_b64 s[0:1], -1
                                        ; implicit-def: $vgpr4
	s_branch .LBB40_383
.LBB40_375:
	s_mov_b64 s[0:1], -1
                                        ; implicit-def: $vgpr4
	s_branch .LBB40_380
.LBB40_376:
	s_mov_b64 s[0:1], -1
                                        ; implicit-def: $vgpr4
.LBB40_377:
	s_andn2_b64 vcc, exec, s[0:1]
	s_cbranch_vccnz .LBB40_379
; %bb.378:
	global_load_dword v4, v[2:3], off
	s_waitcnt vmcnt(0)
	v_cvt_f32_i32_e32 v4, v4
.LBB40_379:
	s_mov_b64 s[0:1], 0
.LBB40_380:
	s_andn2_b64 vcc, exec, s[0:1]
	s_cbranch_vccnz .LBB40_382
; %bb.381:
	global_load_sshort v4, v[2:3], off
	s_waitcnt vmcnt(0)
	v_cvt_f32_i32_e32 v4, v4
.LBB40_382:
	s_mov_b64 s[0:1], 0
.LBB40_383:
	s_andn2_b64 vcc, exec, s[0:1]
	s_cbranch_vccnz .LBB40_389
; %bb.384:
	v_mov_b32_e32 v4, 0
	v_cmp_gt_i16_sdwa s[0:1], v7, v4 src0_sel:BYTE_0 src1_sel:DWORD
	s_and_b64 vcc, exec, s[0:1]
	s_cbranch_vccz .LBB40_386
; %bb.385:
	global_load_sbyte v4, v[2:3], off
	s_mov_b64 s[0:1], 0
	s_waitcnt vmcnt(0)
	v_cvt_f32_i32_e32 v4, v4
	s_branch .LBB40_387
.LBB40_386:
	s_mov_b64 s[0:1], -1
                                        ; implicit-def: $vgpr4
.LBB40_387:
	s_andn2_b64 vcc, exec, s[0:1]
	s_cbranch_vccnz .LBB40_389
; %bb.388:
	global_load_ubyte v2, v[2:3], off
	s_waitcnt vmcnt(0)
	v_cvt_f32_ubyte0_e32 v4, v2
.LBB40_389:
	s_branch .LBB40_31
.LBB40_390:
	s_mov_b64 s[6:7], 0
.LBB40_391:
                                        ; implicit-def: $vgpr8
	s_mov_b64 s[0:1], 0
.LBB40_392:
	s_and_b64 s[40:41], s[6:7], exec
	s_and_b64 s[42:43], s[42:43], exec
	;; [unrolled: 1-line block ×3, first 2 shown]
	s_orn2_b64 s[0:1], s[0:1], exec
.LBB40_393:
	s_or_b64 exec, exec, s[46:47]
	s_mov_b64 s[6:7], 0
	s_mov_b64 s[2:3], 0
                                        ; implicit-def: $vgpr3
                                        ; implicit-def: $vgpr4_vgpr5
                                        ; implicit-def: $vgpr2
                                        ; implicit-def: $vgpr0
                                        ; implicit-def: $vgpr1
	s_and_saveexec_b64 s[46:47], s[0:1]
	s_cbranch_execz .LBB40_402
; %bb.394:
	v_cmp_gt_i32_e32 vcc, s70, v8
	s_mov_b64 s[0:1], -1
	s_mov_b64 s[48:49], s[44:45]
	s_mov_b64 s[50:51], s[42:43]
	;; [unrolled: 1-line block ×3, first 2 shown]
	s_and_saveexec_b64 s[54:55], vcc
	s_cbranch_execz .LBB40_793
; %bb.395:
	s_andn2_b64 vcc, exec, s[24:25]
	s_cbranch_vccnz .LBB40_405
; %bb.396:
	s_andn2_b64 vcc, exec, s[38:39]
	v_mov_b32_e32 v2, 0
	s_waitcnt vmcnt(0)
	v_mov_b32_e32 v4, 0
	v_mov_b32_e32 v0, 0
	s_cbranch_vccnz .LBB40_401
; %bb.397:
	s_add_i32 s0, s69, 1
	s_and_b32 s2, s0, 30
	s_add_u32 s0, s20, 0xffffffec
	s_addc_u32 s1, s21, -1
	v_mov_b32_e32 v0, 0
	v_mov_b32_e32 v1, v8
	;; [unrolled: 1-line block ×4, first 2 shown]
.LBB40_398:                             ; =>This Inner Loop Header: Depth=1
	s_mov_b64 s[6:7], s[0:1]
	s_load_dwordx4 s[48:51], s[6:7], 0x18
	s_load_dwordx2 s[52:53], s[6:7], 0x28
	s_load_dwordx2 s[60:61], s[6:7], 0xe8
	s_load_dwordx4 s[56:59], s[6:7], 0xd8
	s_add_u32 s0, s6, 24
	s_waitcnt lgkmcnt(0)
	v_mul_hi_u32 v3, s49, v1
	v_add_u32_e32 v3, v1, v3
	v_lshrrev_b32_e32 v3, s50, v3
	v_mul_lo_u32 v5, v3, s48
	v_mul_hi_u32 v10, s52, v3
	v_sub_u32_e32 v1, v1, v5
	v_add_u32_e32 v5, v3, v10
	v_mul_lo_u32 v10, v1, s56
	v_mul_lo_u32 v11, v1, s57
	;; [unrolled: 1-line block ×3, first 2 shown]
	v_lshrrev_b32_e32 v1, s53, v5
	v_mul_lo_u32 v5, v1, s51
	v_sub_u32_e32 v3, v3, v5
	s_addc_u32 s1, s7, 0
	s_add_i32 s2, s2, -2
	v_mul_lo_u32 v5, v3, s59
	v_mul_lo_u32 v13, v3, s60
	;; [unrolled: 1-line block ×3, first 2 shown]
	s_cmp_eq_u32 s2, 0
	v_add3_u32 v0, v10, v0, v5
	v_add3_u32 v2, v12, v2, v3
	;; [unrolled: 1-line block ×3, first 2 shown]
	s_cbranch_scc0 .LBB40_398
; %bb.399:
	s_bitcmp1_b32 s69, 0
	s_cselect_b64 s[2:3], -1, 0
	s_and_b64 vcc, exec, s[2:3]
	s_cbranch_vccnz .LBB40_401
; %bb.400:
	s_load_dwordx2 s[2:3], s[0:1], 0x18
	s_load_dword s6, s[0:1], 0x20
	s_load_dword s7, s[0:1], 0xe0
	s_nop 0
	s_load_dwordx2 s[0:1], s[0:1], 0xd8
	s_waitcnt lgkmcnt(0)
	v_mul_hi_u32 v3, s3, v1
	v_add_u32_e32 v3, v1, v3
	v_lshrrev_b32_e32 v3, s6, v3
	v_mul_lo_u32 v3, v3, s2
	v_sub_u32_e32 v3, v1, v3
	v_mad_u64_u32 v[0:1], s[2:3], v3, s0, v[0:1]
	v_mad_u64_u32 v[4:5], s[0:1], v3, s1, v[4:5]
	;; [unrolled: 1-line block ×3, first 2 shown]
.LBB40_401:
	s_cbranch_execz .LBB40_406
	s_branch .LBB40_408
.LBB40_402:
	s_or_b64 exec, exec, s[46:47]
	s_waitcnt lgkmcnt(0)
	s_mov_b64 s[10:11], 0
	s_and_saveexec_b64 s[0:1], s[44:45]
	s_cbranch_execnz .LBB40_1289
.LBB40_403:
	s_or_b64 exec, exec, s[0:1]
	s_and_saveexec_b64 s[0:1], s[50:51]
	s_xor_b64 s[0:1], exec, s[0:1]
	s_cbranch_execz .LBB40_1290
.LBB40_404:
	s_waitcnt vmcnt(0)
	global_load_ubyte v1, v[4:5], off
	s_or_b64 s[2:3], s[2:3], exec
	s_waitcnt vmcnt(0)
	v_cmp_ne_u16_e32 vcc, 0, v1
	v_cndmask_b32_e64 v1, 0, 1.0, vcc
	s_or_b64 exec, exec, s[0:1]
	s_and_saveexec_b64 s[0:1], s[6:7]
	s_cbranch_execz .LBB40_1336
	s_branch .LBB40_1291
.LBB40_405:
                                        ; implicit-def: $vgpr2
                                        ; implicit-def: $vgpr4
                                        ; implicit-def: $vgpr0
	s_andn2_b64 vcc, exec, s[0:1]
	s_cbranch_vccnz .LBB40_408
.LBB40_406:
	s_waitcnt lgkmcnt(0)
	v_mul_hi_u32 v0, s17, v8
	v_add_u32_e32 v0, v8, v0
	s_waitcnt vmcnt(0)
	v_lshrrev_b32_e32 v1, s18, v0
	v_mul_lo_u32 v0, v1, s16
	v_sub_u32_e32 v3, v8, v0
	v_mul_lo_u32 v0, v3, s12
	v_mul_lo_u32 v2, v3, s14
	s_andn2_b64 vcc, exec, s[36:37]
	v_mul_lo_u32 v4, v3, s13
	s_cbranch_vccnz .LBB40_408
; %bb.407:
	v_mul_hi_u32 v3, s34, v1
	v_add_u32_e32 v3, v1, v3
	v_lshrrev_b32_e32 v3, s35, v3
	v_mul_lo_u32 v3, v3, s19
	v_sub_u32_e32 v3, v1, v3
	v_mad_u64_u32 v[0:1], s[0:1], v3, s15, v[0:1]
	v_mad_u64_u32 v[4:5], s[0:1], v3, s30, v[4:5]
	;; [unrolled: 1-line block ×3, first 2 shown]
.LBB40_408:
	s_waitcnt vmcnt(0) lgkmcnt(0)
	v_mov_b32_e32 v1, s11
	v_add_co_u32_e32 v4, vcc, s10, v4
	v_addc_co_u32_e32 v5, vcc, 0, v1, vcc
	v_mov_b32_e32 v1, 11
	v_cmp_lt_i16_sdwa s[0:1], v9, v1 src0_sel:BYTE_0 src1_sel:DWORD
	s_and_b64 vcc, exec, s[0:1]
	s_cbranch_vccnz .LBB40_415
; %bb.409:
	v_mov_b32_e32 v1, 25
	v_cmp_gt_i16_sdwa s[0:1], v9, v1 src0_sel:BYTE_0 src1_sel:DWORD
	s_and_b64 vcc, exec, s[0:1]
	s_cbranch_vccz .LBB40_424
; %bb.410:
	v_mov_b32_e32 v1, 28
	v_cmp_gt_i16_sdwa s[0:1], v9, v1 src0_sel:BYTE_0 src1_sel:DWORD
	s_and_b64 vcc, exec, s[0:1]
	s_cbranch_vccz .LBB40_426
	;; [unrolled: 5-line block ×4, first 2 shown]
; %bb.413:
	v_mov_b32_e32 v1, 46
	v_cmp_eq_u16_sdwa s[0:1], v9, v1 src0_sel:BYTE_0 src1_sel:DWORD
	s_mov_b64 s[2:3], 0
	s_and_b64 vcc, exec, s[0:1]
	s_cbranch_vccz .LBB40_434
; %bb.414:
	global_load_dword v1, v[4:5], off
	s_mov_b64 s[0:1], -1
	s_mov_b64 s[48:49], 0
	s_waitcnt vmcnt(0)
	v_lshlrev_b32_e32 v1, 16, v1
	s_branch .LBB40_435
.LBB40_415:
	s_mov_b64 s[0:1], 0
                                        ; implicit-def: $vgpr1
	s_mov_b64 s[48:49], s[44:45]
	s_cbranch_execnz .LBB40_501
.LBB40_416:
	s_andn2_b64 vcc, exec, s[0:1]
	s_cbranch_vccnz .LBB40_549
.LBB40_417:
	v_mov_b32_e32 v3, s29
	v_add_co_u32_e32 v2, vcc, s28, v2
	v_mov_b32_e32 v4, 11
	v_addc_co_u32_e32 v3, vcc, 0, v3, vcc
	v_cmp_lt_i16_sdwa s[0:1], v7, v4 src0_sel:BYTE_0 src1_sel:DWORD
	s_and_b64 vcc, exec, s[0:1]
	s_cbranch_vccnz .LBB40_425
; %bb.418:
	v_mov_b32_e32 v4, 25
	v_cmp_gt_i16_sdwa s[0:1], v7, v4 src0_sel:BYTE_0 src1_sel:DWORD
	s_and_b64 vcc, exec, s[0:1]
	s_cbranch_vccz .LBB40_427
; %bb.419:
	v_mov_b32_e32 v4, 28
	v_cmp_gt_i16_sdwa s[0:1], v7, v4 src0_sel:BYTE_0 src1_sel:DWORD
	s_and_b64 vcc, exec, s[0:1]
	s_cbranch_vccz .LBB40_429
	;; [unrolled: 5-line block ×4, first 2 shown]
; %bb.422:
	v_mov_b32_e32 v4, 46
	v_cmp_eq_u16_sdwa s[0:1], v7, v4 src0_sel:BYTE_0 src1_sel:DWORD
	s_mov_b64 s[2:3], 0
	s_and_b64 vcc, exec, s[0:1]
	s_cbranch_vccz .LBB40_553
; %bb.423:
	global_load_dword v4, v[2:3], off
	s_mov_b64 s[0:1], -1
	s_mov_b64 s[50:51], 0
	s_waitcnt vmcnt(0)
	v_lshlrev_b32_e32 v4, 16, v4
	s_branch .LBB40_554
.LBB40_424:
	s_mov_b64 s[2:3], -1
	s_mov_b64 s[0:1], 0
	s_mov_b64 s[48:49], s[44:45]
                                        ; implicit-def: $vgpr1
	s_branch .LBB40_465
.LBB40_425:
	s_mov_b64 s[2:3], -1
	s_mov_b64 s[0:1], 0
                                        ; implicit-def: $vgpr4
	s_mov_b64 s[50:51], s[42:43]
	s_branch .LBB40_619
.LBB40_426:
	s_mov_b64 s[2:3], -1
	s_mov_b64 s[0:1], 0
	s_mov_b64 s[48:49], s[44:45]
                                        ; implicit-def: $vgpr1
	s_branch .LBB40_446
.LBB40_427:
	s_mov_b64 s[2:3], -1
	s_mov_b64 s[0:1], 0
	s_mov_b64 s[50:51], s[42:43]
                                        ; implicit-def: $vgpr4
	s_branch .LBB40_583
.LBB40_428:
	s_mov_b64 s[2:3], -1
	s_mov_b64 s[0:1], 0
	s_mov_b64 s[48:49], s[44:45]
                                        ; implicit-def: $vgpr1
	s_branch .LBB40_441
.LBB40_429:
	s_mov_b64 s[2:3], -1
	s_mov_b64 s[0:1], 0
	s_mov_b64 s[50:51], s[42:43]
                                        ; implicit-def: $vgpr4
	s_branch .LBB40_564
.LBB40_430:
	s_mov_b64 s[2:3], -1
	s_mov_b64 s[0:1], 0
	s_mov_b64 s[48:49], s[44:45]
                                        ; implicit-def: $vgpr1
	s_branch .LBB40_435
.LBB40_431:
	s_mov_b64 s[2:3], -1
	s_mov_b64 s[0:1], 0
	s_mov_b64 s[50:51], s[42:43]
                                        ; implicit-def: $vgpr4
	s_branch .LBB40_559
.LBB40_432:
	s_or_saveexec_b64 s[52:53], s[52:53]
                                        ; implicit-def: $sgpr54
	s_xor_b64 exec, exec, s[52:53]
	s_cbranch_execz .LBB40_190
.LBB40_433:
	v_add_f32_e32 v4, 0x46000000, v5
	v_and_b32_e32 v4, 0xff, v4
	v_cmp_ne_u32_e32 vcc, 0, v4
	s_andn2_b64 s[48:49], s[48:49], exec
	s_and_b64 s[56:57], vcc, exec
	s_mov_b32 s54, 0
	s_or_b64 s[48:49], s[48:49], s[56:57]
	s_or_b64 exec, exec, s[52:53]
	v_mov_b32_e32 v10, s54
	s_and_saveexec_b64 s[52:53], s[48:49]
	s_cbranch_execnz .LBB40_191
	s_branch .LBB40_192
.LBB40_434:
	s_mov_b64 s[48:49], -1
                                        ; implicit-def: $vgpr1
	s_mov_b64 s[0:1], 0
.LBB40_435:
	s_and_b64 vcc, exec, s[2:3]
	s_cbranch_vccz .LBB40_440
; %bb.436:
	v_mov_b32_e32 v1, 44
	v_cmp_eq_u16_sdwa s[2:3], v9, v1 src0_sel:BYTE_0 src1_sel:DWORD
	s_and_b64 vcc, exec, s[2:3]
	s_cbranch_vccz .LBB40_439
; %bb.437:
	global_load_ubyte v1, v[4:5], off
	s_movk_i32 s2, 0xff
	v_mov_b32_e32 v3, 0x7f800001
	v_mov_b32_e32 v10, 0x400000
	s_mov_b64 s[0:1], -1
	s_mov_b64 s[48:49], 0
	s_waitcnt vmcnt(0)
	v_lshlrev_b32_e32 v11, 23, v1
	v_cmp_ne_u32_e32 vcc, s2, v1
	v_cndmask_b32_e32 v3, v3, v11, vcc
	v_cmp_ne_u32_e32 vcc, 0, v1
	v_cndmask_b32_e32 v1, v10, v3, vcc
	s_branch .LBB40_440
.LBB40_438:
	s_mov_b64 s[2:3], -1
	s_mov_b64 s[0:1], 0
	s_mov_b64 s[50:51], s[42:43]
                                        ; implicit-def: $vgpr4
	s_branch .LBB40_554
.LBB40_439:
	s_mov_b64 s[48:49], -1
                                        ; implicit-def: $vgpr1
.LBB40_440:
	s_mov_b64 s[2:3], 0
.LBB40_441:
	s_and_b64 vcc, exec, s[2:3]
	s_cbranch_vccz .LBB40_445
; %bb.442:
	v_mov_b32_e32 v1, 29
	v_cmp_eq_u16_sdwa s[2:3], v9, v1 src0_sel:BYTE_0 src1_sel:DWORD
	s_and_b64 vcc, exec, s[2:3]
	s_cbranch_vccz .LBB40_444
; %bb.443:
	global_load_dwordx2 v[10:11], v[4:5], off
	s_mov_b64 s[0:1], -1
	s_mov_b64 s[48:49], 0
	s_mov_b64 s[2:3], 0
	s_waitcnt vmcnt(0)
	v_ffbh_u32_e32 v1, v11
	v_min_u32_e32 v1, 32, v1
	v_lshlrev_b64 v[10:11], v1, v[10:11]
	v_min_u32_e32 v3, 1, v10
	v_or_b32_e32 v3, v11, v3
	v_cvt_f32_u32_e32 v3, v3
	v_sub_u32_e32 v1, 32, v1
	v_ldexp_f32 v1, v3, v1
	s_branch .LBB40_446
.LBB40_444:
	s_mov_b64 s[48:49], -1
                                        ; implicit-def: $vgpr1
.LBB40_445:
	s_mov_b64 s[2:3], 0
.LBB40_446:
	s_and_b64 vcc, exec, s[2:3]
	s_cbranch_vccz .LBB40_464
; %bb.447:
	v_mov_b32_e32 v1, 27
	v_cmp_lt_i16_sdwa s[0:1], v9, v1 src0_sel:BYTE_0 src1_sel:DWORD
	s_and_b64 vcc, exec, s[0:1]
	s_cbranch_vccnz .LBB40_450
; %bb.448:
	v_cmp_gt_i16_sdwa s[0:1], v9, v1 src0_sel:BYTE_0 src1_sel:DWORD
	s_and_b64 vcc, exec, s[0:1]
	s_cbranch_vccz .LBB40_451
; %bb.449:
	global_load_dword v1, v[4:5], off
	s_mov_b64 s[0:1], 0
	s_waitcnt vmcnt(0)
	v_cvt_f32_u32_e32 v1, v1
	s_branch .LBB40_452
.LBB40_450:
	s_mov_b64 s[0:1], -1
                                        ; implicit-def: $vgpr1
	s_branch .LBB40_455
.LBB40_451:
	s_mov_b64 s[0:1], -1
                                        ; implicit-def: $vgpr1
.LBB40_452:
	s_andn2_b64 vcc, exec, s[0:1]
	s_cbranch_vccnz .LBB40_454
; %bb.453:
	global_load_ushort v1, v[4:5], off
	s_waitcnt vmcnt(0)
	v_cvt_f32_u32_e32 v1, v1
.LBB40_454:
	s_mov_b64 s[0:1], 0
.LBB40_455:
	s_andn2_b64 vcc, exec, s[0:1]
	s_cbranch_vccnz .LBB40_463
; %bb.456:
	global_load_ubyte v3, v[4:5], off
	s_movk_i32 s0, 0x7f
                                        ; implicit-def: $sgpr50
	s_waitcnt vmcnt(0)
	v_cmp_lt_i16_e32 vcc, s0, v3
	s_mov_b64 s[0:1], 0
	s_and_saveexec_b64 s[2:3], vcc
	s_xor_b64 s[2:3], exec, s[2:3]
	s_cbranch_execz .LBB40_477
; %bb.457:
	s_movk_i32 s0, 0x80
	v_cmp_eq_u16_e32 vcc, s0, v3
	s_mov_b64 s[0:1], -1
                                        ; implicit-def: $sgpr50
	s_and_saveexec_b64 s[6:7], vcc
; %bb.458:
	s_mov_b32 s50, 0x7f800001
	s_xor_b64 s[0:1], exec, -1
; %bb.459:
	s_or_b64 exec, exec, s[6:7]
	s_and_b64 s[0:1], s[0:1], exec
	s_or_saveexec_b64 s[2:3], s[2:3]
	v_mov_b32_e32 v1, s50
	s_xor_b64 exec, exec, s[2:3]
	s_cbranch_execnz .LBB40_478
.LBB40_460:
	s_or_b64 exec, exec, s[2:3]
	s_and_saveexec_b64 s[2:3], s[0:1]
	s_cbranch_execz .LBB40_462
.LBB40_461:
	v_lshlrev_b32_e32 v1, 24, v3
	v_and_b32_e32 v3, 0xffff, v3
	v_and_b32_e32 v10, 7, v3
	v_ffbh_u32_e32 v12, v10
	v_min_u32_e32 v12, 32, v12
	v_subrev_u32_e32 v13, 28, v12
	v_bfe_u32 v11, v3, 3, 4
	v_lshlrev_b32_e32 v3, v13, v3
	v_sub_u32_e32 v12, 29, v12
	v_and_b32_e32 v3, 7, v3
	v_cmp_eq_u32_e32 vcc, 0, v11
	v_cndmask_b32_e32 v11, v11, v12, vcc
	v_cndmask_b32_e32 v3, v10, v3, vcc
	v_mov_b32_e32 v10, 0x3b800000
	v_lshlrev_b32_e32 v3, 20, v3
	v_and_b32_e32 v1, 0x80000000, v1
	v_lshl_add_u32 v10, v11, 23, v10
	v_or3_b32 v1, v1, v10, v3
.LBB40_462:
	s_or_b64 exec, exec, s[2:3]
.LBB40_463:
	s_mov_b64 s[0:1], -1
.LBB40_464:
	s_mov_b64 s[2:3], 0
.LBB40_465:
	s_and_b64 vcc, exec, s[2:3]
	s_cbranch_vccz .LBB40_500
; %bb.466:
	v_mov_b32_e32 v1, 22
	v_cmp_gt_i16_sdwa s[2:3], v9, v1 src0_sel:BYTE_0 src1_sel:DWORD
	s_and_b64 vcc, exec, s[2:3]
	s_cbranch_vccz .LBB40_476
; %bb.467:
	v_mov_b32_e32 v1, 24
	v_cmp_lt_i16_sdwa s[0:1], v9, v1 src0_sel:BYTE_0 src1_sel:DWORD
	s_and_b64 vcc, exec, s[0:1]
	s_cbranch_vccnz .LBB40_479
; %bb.468:
	v_cmp_gt_i16_sdwa s[0:1], v9, v1 src0_sel:BYTE_0 src1_sel:DWORD
	s_and_b64 vcc, exec, s[0:1]
	s_cbranch_vccz .LBB40_480
; %bb.469:
	global_load_ubyte v3, v[4:5], off
	s_movk_i32 s0, 0x7f
                                        ; implicit-def: $sgpr50
	s_waitcnt vmcnt(0)
	v_cmp_lt_i16_e32 vcc, s0, v3
	s_mov_b64 s[0:1], 0
	s_and_saveexec_b64 s[2:3], vcc
	s_xor_b64 s[2:3], exec, s[2:3]
	s_cbranch_execz .LBB40_492
; %bb.470:
	s_movk_i32 s0, 0x80
	v_cmp_eq_u16_e32 vcc, s0, v3
	s_mov_b64 s[0:1], -1
                                        ; implicit-def: $sgpr50
	s_and_saveexec_b64 s[6:7], vcc
; %bb.471:
	s_mov_b32 s50, 0x7f800001
	s_xor_b64 s[0:1], exec, -1
; %bb.472:
	s_or_b64 exec, exec, s[6:7]
	s_and_b64 s[0:1], s[0:1], exec
	s_or_saveexec_b64 s[2:3], s[2:3]
	v_mov_b32_e32 v1, s50
	s_xor_b64 exec, exec, s[2:3]
	s_cbranch_execnz .LBB40_493
.LBB40_473:
	s_or_b64 exec, exec, s[2:3]
	s_and_saveexec_b64 s[2:3], s[0:1]
	s_cbranch_execz .LBB40_475
.LBB40_474:
	v_lshlrev_b32_e32 v1, 24, v3
	v_and_b32_e32 v3, 0xffff, v3
	v_and_b32_e32 v10, 3, v3
	v_ffbh_u32_e32 v12, v10
	v_min_u32_e32 v12, 32, v12
	v_subrev_u32_e32 v13, 29, v12
	v_bfe_u32 v11, v3, 2, 5
	v_lshlrev_b32_e32 v3, v13, v3
	v_sub_u32_e32 v12, 30, v12
	v_and_b32_e32 v3, 3, v3
	v_cmp_eq_u32_e32 vcc, 0, v11
	v_cndmask_b32_e32 v11, v11, v12, vcc
	v_cndmask_b32_e32 v3, v10, v3, vcc
	v_mov_b32_e32 v10, 0x37800000
	v_lshlrev_b32_e32 v3, 21, v3
	v_and_b32_e32 v1, 0x80000000, v1
	v_lshl_add_u32 v10, v11, 23, v10
	v_or3_b32 v1, v1, v10, v3
.LBB40_475:
	s_or_b64 exec, exec, s[2:3]
	s_mov_b64 s[0:1], 0
	s_branch .LBB40_481
.LBB40_476:
	s_mov_b64 s[2:3], -1
                                        ; implicit-def: $vgpr1
	s_branch .LBB40_487
.LBB40_477:
	s_or_saveexec_b64 s[2:3], s[2:3]
	v_mov_b32_e32 v1, s50
	s_xor_b64 exec, exec, s[2:3]
	s_cbranch_execz .LBB40_460
.LBB40_478:
	v_cmp_ne_u16_e32 vcc, 0, v3
	s_andn2_b64 s[0:1], s[0:1], exec
	s_and_b64 s[6:7], vcc, exec
	v_mov_b32_e32 v1, 0
	s_or_b64 s[0:1], s[0:1], s[6:7]
	s_or_b64 exec, exec, s[2:3]
	s_and_saveexec_b64 s[2:3], s[0:1]
	s_cbranch_execnz .LBB40_461
	s_branch .LBB40_462
.LBB40_479:
	s_mov_b64 s[0:1], -1
                                        ; implicit-def: $vgpr1
	s_branch .LBB40_484
.LBB40_480:
	s_mov_b64 s[0:1], -1
                                        ; implicit-def: $vgpr1
.LBB40_481:
	s_and_b64 vcc, exec, s[0:1]
	s_cbranch_vccz .LBB40_483
; %bb.482:
	global_load_ubyte v1, v[4:5], off
	s_mov_b32 s0, 0x7f800000
	s_waitcnt vmcnt(0)
	v_lshlrev_b32_e32 v1, 24, v1
	v_and_b32_e32 v3, 0x7f000000, v1
	v_ffbh_u32_e32 v10, v3
	v_min_u32_e32 v10, 32, v10
	v_sub_u32_e64 v10, v10, 4 clamp
	v_lshlrev_b32_e32 v12, v10, v3
	v_lshlrev_b32_e32 v10, 23, v10
	v_lshrrev_b32_e32 v12, 4, v12
	v_add_u32_e32 v11, 0x1000000, v3
	v_sub_u32_e32 v10, v12, v10
	v_ashrrev_i32_e32 v11, 8, v11
	v_add_u32_e32 v10, 0x3c000000, v10
	v_and_or_b32 v10, v11, s0, v10
	v_cmp_ne_u32_e32 vcc, 0, v3
	v_cndmask_b32_e32 v3, 0, v10, vcc
	s_brev_b32 s0, 1
	v_and_or_b32 v1, v1, s0, v3
.LBB40_483:
	s_mov_b64 s[0:1], 0
.LBB40_484:
	s_andn2_b64 vcc, exec, s[0:1]
	s_cbranch_vccnz .LBB40_486
; %bb.485:
	global_load_ubyte v1, v[4:5], off
	s_movk_i32 s0, 0x7f00
	s_brev_b32 s1, 16
	s_waitcnt vmcnt(0)
	v_lshlrev_b16_e32 v3, 8, v1
	v_lshlrev_b32_e32 v1, 25, v1
	v_lshrrev_b32_e32 v10, 4, v1
	v_and_or_b32 v11, v3, s0, 0.5
	v_or_b32_e32 v10, 0x70000000, v10
	v_add_f32_e32 v11, -0.5, v11
	v_mul_f32_e32 v10, 0x7800000, v10
	v_cmp_gt_u32_e32 vcc, s1, v1
	v_bfe_i32 v3, v3, 0, 16
	v_cndmask_b32_e32 v1, v10, v11, vcc
	s_brev_b32 s0, 1
	v_and_or_b32 v1, v3, s0, v1
.LBB40_486:
	s_mov_b64 s[2:3], 0
	s_mov_b64 s[0:1], -1
.LBB40_487:
	s_andn2_b64 vcc, exec, s[2:3]
	s_cbranch_vccnz .LBB40_500
; %bb.488:
	v_mov_b32_e32 v1, 14
	v_cmp_gt_i16_sdwa s[2:3], v9, v1 src0_sel:BYTE_0 src1_sel:DWORD
	s_and_b64 vcc, exec, s[2:3]
	s_cbranch_vccz .LBB40_491
; %bb.489:
	v_mov_b32_e32 v1, 15
	v_cmp_eq_u16_sdwa s[2:3], v9, v1 src0_sel:BYTE_0 src1_sel:DWORD
	s_and_b64 vcc, exec, s[2:3]
	s_cbranch_vccz .LBB40_494
; %bb.490:
	global_load_ushort v1, v[4:5], off
	s_mov_b64 s[0:1], -1
	s_mov_b64 s[48:49], 0
	s_waitcnt vmcnt(0)
	v_lshlrev_b32_e32 v1, 16, v1
	s_branch .LBB40_495
.LBB40_491:
	s_mov_b64 s[2:3], -1
                                        ; implicit-def: $vgpr1
	s_branch .LBB40_496
.LBB40_492:
	s_or_saveexec_b64 s[2:3], s[2:3]
	v_mov_b32_e32 v1, s50
	s_xor_b64 exec, exec, s[2:3]
	s_cbranch_execz .LBB40_473
.LBB40_493:
	v_cmp_ne_u16_e32 vcc, 0, v3
	s_andn2_b64 s[0:1], s[0:1], exec
	s_and_b64 s[6:7], vcc, exec
	v_mov_b32_e32 v1, 0
	s_or_b64 s[0:1], s[0:1], s[6:7]
	s_or_b64 exec, exec, s[2:3]
	s_and_saveexec_b64 s[2:3], s[0:1]
	s_cbranch_execnz .LBB40_474
	s_branch .LBB40_475
.LBB40_494:
	s_mov_b64 s[48:49], -1
                                        ; implicit-def: $vgpr1
.LBB40_495:
	s_mov_b64 s[2:3], 0
.LBB40_496:
	s_and_b64 vcc, exec, s[2:3]
	s_cbranch_vccz .LBB40_500
; %bb.497:
	v_mov_b32_e32 v1, 11
	v_cmp_eq_u16_sdwa s[2:3], v9, v1 src0_sel:BYTE_0 src1_sel:DWORD
	s_and_b64 vcc, exec, s[2:3]
	s_cbranch_vccz .LBB40_499
; %bb.498:
	global_load_ubyte v1, v[4:5], off
	s_mov_b64 s[0:1], -1
	s_mov_b64 s[48:49], 0
	s_waitcnt vmcnt(0)
	v_cmp_ne_u16_e32 vcc, 0, v1
	v_cndmask_b32_e64 v1, 0, 1.0, vcc
	s_branch .LBB40_500
.LBB40_499:
	s_mov_b64 s[48:49], -1
                                        ; implicit-def: $vgpr1
.LBB40_500:
	s_branch .LBB40_416
.LBB40_501:
	v_mov_b32_e32 v1, 5
	v_cmp_lt_i16_sdwa s[0:1], v9, v1 src0_sel:BYTE_0 src1_sel:DWORD
	s_and_b64 vcc, exec, s[0:1]
	s_cbranch_vccnz .LBB40_506
; %bb.502:
	v_mov_b32_e32 v1, 8
	v_cmp_lt_i16_sdwa s[0:1], v9, v1 src0_sel:BYTE_0 src1_sel:DWORD
	s_and_b64 vcc, exec, s[0:1]
	s_cbranch_vccnz .LBB40_507
; %bb.503:
	;; [unrolled: 5-line block ×3, first 2 shown]
	v_cmp_gt_i16_sdwa s[0:1], v9, v1 src0_sel:BYTE_0 src1_sel:DWORD
	s_and_b64 vcc, exec, s[0:1]
	s_cbranch_vccz .LBB40_509
; %bb.505:
	global_load_dwordx2 v[10:11], v[4:5], off
	s_mov_b64 s[0:1], 0
	s_waitcnt vmcnt(0)
	v_cvt_f32_f64_e32 v1, v[10:11]
	s_branch .LBB40_510
.LBB40_506:
	s_mov_b64 s[0:1], -1
                                        ; implicit-def: $vgpr1
	s_branch .LBB40_528
.LBB40_507:
	s_mov_b64 s[0:1], -1
                                        ; implicit-def: $vgpr1
	s_branch .LBB40_516
.LBB40_508:
	s_mov_b64 s[0:1], -1
                                        ; implicit-def: $vgpr1
	s_branch .LBB40_513
.LBB40_509:
	s_mov_b64 s[0:1], -1
                                        ; implicit-def: $vgpr1
.LBB40_510:
	s_andn2_b64 vcc, exec, s[0:1]
	s_cbranch_vccnz .LBB40_512
; %bb.511:
	global_load_dword v1, v[4:5], off
.LBB40_512:
	s_mov_b64 s[0:1], 0
.LBB40_513:
	s_andn2_b64 vcc, exec, s[0:1]
	s_cbranch_vccnz .LBB40_515
; %bb.514:
	global_load_dword v1, v[4:5], off
	s_waitcnt vmcnt(0)
	v_cvt_f32_f16_e32 v1, v1
.LBB40_515:
	s_mov_b64 s[0:1], 0
.LBB40_516:
	s_andn2_b64 vcc, exec, s[0:1]
	s_cbranch_vccnz .LBB40_527
; %bb.517:
	s_waitcnt vmcnt(0)
	v_mov_b32_e32 v1, 6
	v_cmp_lt_i16_sdwa s[0:1], v9, v1 src0_sel:BYTE_0 src1_sel:DWORD
	s_and_b64 vcc, exec, s[0:1]
	s_cbranch_vccnz .LBB40_520
; %bb.518:
	v_cmp_gt_i16_sdwa s[0:1], v9, v1 src0_sel:BYTE_0 src1_sel:DWORD
	s_and_b64 vcc, exec, s[0:1]
	s_cbranch_vccz .LBB40_521
; %bb.519:
	global_load_dwordx2 v[10:11], v[4:5], off
	s_mov_b64 s[0:1], 0
	s_waitcnt vmcnt(0)
	v_cvt_f32_f64_e32 v1, v[10:11]
	s_branch .LBB40_522
.LBB40_520:
	s_mov_b64 s[0:1], -1
                                        ; implicit-def: $vgpr1
	s_branch .LBB40_525
.LBB40_521:
	s_mov_b64 s[0:1], -1
                                        ; implicit-def: $vgpr1
.LBB40_522:
	s_andn2_b64 vcc, exec, s[0:1]
	s_cbranch_vccnz .LBB40_524
; %bb.523:
	global_load_dword v1, v[4:5], off
.LBB40_524:
	s_mov_b64 s[0:1], 0
.LBB40_525:
	s_andn2_b64 vcc, exec, s[0:1]
	s_cbranch_vccnz .LBB40_527
; %bb.526:
	global_load_ushort v1, v[4:5], off
	s_waitcnt vmcnt(0)
	v_cvt_f32_f16_e32 v1, v1
.LBB40_527:
	s_mov_b64 s[0:1], 0
.LBB40_528:
	s_andn2_b64 vcc, exec, s[0:1]
	s_cbranch_vccnz .LBB40_548
; %bb.529:
	s_waitcnt vmcnt(0)
	v_mov_b32_e32 v1, 2
	v_cmp_lt_i16_sdwa s[0:1], v9, v1 src0_sel:BYTE_0 src1_sel:DWORD
	s_and_b64 vcc, exec, s[0:1]
	s_cbranch_vccnz .LBB40_533
; %bb.530:
	v_mov_b32_e32 v1, 3
	v_cmp_lt_i16_sdwa s[0:1], v9, v1 src0_sel:BYTE_0 src1_sel:DWORD
	s_and_b64 vcc, exec, s[0:1]
	s_cbranch_vccnz .LBB40_534
; %bb.531:
	v_cmp_gt_i16_sdwa s[0:1], v9, v1 src0_sel:BYTE_0 src1_sel:DWORD
	s_and_b64 vcc, exec, s[0:1]
	s_cbranch_vccz .LBB40_535
; %bb.532:
	global_load_dwordx2 v[10:11], v[4:5], off
	s_mov_b64 s[0:1], 0
	s_waitcnt vmcnt(0)
	v_xor_b32_e32 v3, v10, v11
	v_ffbh_i32_e32 v1, v11
	v_ashrrev_i32_e32 v3, 31, v3
	v_add_u32_e32 v1, -1, v1
	v_add_u32_e32 v3, 32, v3
	v_min_u32_e32 v1, v1, v3
	v_lshlrev_b64 v[10:11], v1, v[10:11]
	v_min_u32_e32 v3, 1, v10
	v_or_b32_e32 v3, v11, v3
	v_cvt_f32_i32_e32 v3, v3
	v_sub_u32_e32 v1, 32, v1
	v_ldexp_f32 v1, v3, v1
	s_branch .LBB40_536
.LBB40_533:
	s_mov_b64 s[0:1], -1
                                        ; implicit-def: $vgpr1
	s_branch .LBB40_542
.LBB40_534:
	s_mov_b64 s[0:1], -1
                                        ; implicit-def: $vgpr1
	s_branch .LBB40_539
.LBB40_535:
	s_mov_b64 s[0:1], -1
                                        ; implicit-def: $vgpr1
.LBB40_536:
	s_andn2_b64 vcc, exec, s[0:1]
	s_cbranch_vccnz .LBB40_538
; %bb.537:
	global_load_dword v1, v[4:5], off
	s_waitcnt vmcnt(0)
	v_cvt_f32_i32_e32 v1, v1
.LBB40_538:
	s_mov_b64 s[0:1], 0
.LBB40_539:
	s_andn2_b64 vcc, exec, s[0:1]
	s_cbranch_vccnz .LBB40_541
; %bb.540:
	global_load_sshort v1, v[4:5], off
	s_waitcnt vmcnt(0)
	v_cvt_f32_i32_e32 v1, v1
.LBB40_541:
	s_mov_b64 s[0:1], 0
.LBB40_542:
	s_andn2_b64 vcc, exec, s[0:1]
	s_cbranch_vccnz .LBB40_548
; %bb.543:
	v_mov_b32_e32 v1, 0
	v_cmp_gt_i16_sdwa s[0:1], v9, v1 src0_sel:BYTE_0 src1_sel:DWORD
	s_and_b64 vcc, exec, s[0:1]
	s_cbranch_vccz .LBB40_545
; %bb.544:
	global_load_sbyte v1, v[4:5], off
	s_mov_b64 s[0:1], 0
	s_waitcnt vmcnt(0)
	v_cvt_f32_i32_e32 v1, v1
	s_branch .LBB40_546
.LBB40_545:
	s_mov_b64 s[0:1], -1
                                        ; implicit-def: $vgpr1
.LBB40_546:
	s_andn2_b64 vcc, exec, s[0:1]
	s_cbranch_vccnz .LBB40_548
; %bb.547:
	global_load_ubyte v1, v[4:5], off
	s_waitcnt vmcnt(0)
	v_cvt_f32_ubyte0_e32 v1, v1
.LBB40_548:
	s_branch .LBB40_417
.LBB40_549:
	s_mov_b64 s[0:1], 0
	s_mov_b64 s[6:7], s[40:41]
	;; [unrolled: 1-line block ×3, first 2 shown]
.LBB40_550:
                                        ; implicit-def: $vgpr8
	s_branch .LBB40_792
.LBB40_551:
	s_or_saveexec_b64 s[52:53], s[52:53]
                                        ; implicit-def: $sgpr54
	s_xor_b64 exec, exec, s[52:53]
	s_cbranch_execz .LBB40_203
.LBB40_552:
	v_add_f32_e32 v4, 0x42800000, v5
	v_and_b32_e32 v4, 0xff, v4
	v_cmp_ne_u32_e32 vcc, 0, v4
	s_andn2_b64 s[48:49], s[48:49], exec
	s_and_b64 s[56:57], vcc, exec
	s_mov_b32 s54, 0
	s_or_b64 s[48:49], s[48:49], s[56:57]
	s_or_b64 exec, exec, s[52:53]
	v_mov_b32_e32 v10, s54
	s_and_saveexec_b64 s[52:53], s[48:49]
	s_cbranch_execnz .LBB40_204
	s_branch .LBB40_205
.LBB40_553:
	s_mov_b64 s[50:51], -1
                                        ; implicit-def: $vgpr4
	s_mov_b64 s[0:1], 0
.LBB40_554:
	s_and_b64 vcc, exec, s[2:3]
	s_cbranch_vccz .LBB40_558
; %bb.555:
	v_mov_b32_e32 v4, 44
	v_cmp_eq_u16_sdwa s[2:3], v7, v4 src0_sel:BYTE_0 src1_sel:DWORD
	s_and_b64 vcc, exec, s[2:3]
	s_cbranch_vccz .LBB40_557
; %bb.556:
	global_load_ubyte v4, v[2:3], off
	s_movk_i32 s2, 0xff
	v_mov_b32_e32 v5, 0x7f800001
	v_mov_b32_e32 v10, 0x400000
	s_mov_b64 s[0:1], -1
	s_mov_b64 s[50:51], 0
	s_waitcnt vmcnt(0)
	v_lshlrev_b32_e32 v11, 23, v4
	v_cmp_ne_u32_e32 vcc, s2, v4
	v_cndmask_b32_e32 v5, v5, v11, vcc
	v_cmp_ne_u32_e32 vcc, 0, v4
	v_cndmask_b32_e32 v4, v10, v5, vcc
	s_branch .LBB40_558
.LBB40_557:
	s_mov_b64 s[50:51], -1
                                        ; implicit-def: $vgpr4
.LBB40_558:
	s_mov_b64 s[2:3], 0
.LBB40_559:
	s_and_b64 vcc, exec, s[2:3]
	s_cbranch_vccz .LBB40_563
; %bb.560:
	v_mov_b32_e32 v4, 29
	v_cmp_eq_u16_sdwa s[2:3], v7, v4 src0_sel:BYTE_0 src1_sel:DWORD
	s_and_b64 vcc, exec, s[2:3]
	s_cbranch_vccz .LBB40_562
; %bb.561:
	global_load_dwordx2 v[4:5], v[2:3], off
	s_mov_b64 s[0:1], -1
	s_mov_b64 s[50:51], 0
	s_mov_b64 s[2:3], 0
	s_waitcnt vmcnt(0)
	v_ffbh_u32_e32 v10, v5
	v_min_u32_e32 v10, 32, v10
	v_lshlrev_b64 v[4:5], v10, v[4:5]
	v_min_u32_e32 v4, 1, v4
	v_or_b32_e32 v4, v5, v4
	v_cvt_f32_u32_e32 v4, v4
	v_sub_u32_e32 v5, 32, v10
	v_ldexp_f32 v4, v4, v5
	s_branch .LBB40_564
.LBB40_562:
	s_mov_b64 s[50:51], -1
                                        ; implicit-def: $vgpr4
.LBB40_563:
	s_mov_b64 s[2:3], 0
.LBB40_564:
	s_and_b64 vcc, exec, s[2:3]
	s_cbranch_vccz .LBB40_582
; %bb.565:
	v_mov_b32_e32 v4, 27
	v_cmp_lt_i16_sdwa s[0:1], v7, v4 src0_sel:BYTE_0 src1_sel:DWORD
	s_and_b64 vcc, exec, s[0:1]
	s_cbranch_vccnz .LBB40_568
; %bb.566:
	v_cmp_gt_i16_sdwa s[0:1], v7, v4 src0_sel:BYTE_0 src1_sel:DWORD
	s_and_b64 vcc, exec, s[0:1]
	s_cbranch_vccz .LBB40_569
; %bb.567:
	global_load_dword v4, v[2:3], off
	s_mov_b64 s[0:1], 0
	s_waitcnt vmcnt(0)
	v_cvt_f32_u32_e32 v4, v4
	s_branch .LBB40_570
.LBB40_568:
	s_mov_b64 s[0:1], -1
                                        ; implicit-def: $vgpr4
	s_branch .LBB40_573
.LBB40_569:
	s_mov_b64 s[0:1], -1
                                        ; implicit-def: $vgpr4
.LBB40_570:
	s_andn2_b64 vcc, exec, s[0:1]
	s_cbranch_vccnz .LBB40_572
; %bb.571:
	global_load_ushort v4, v[2:3], off
	s_waitcnt vmcnt(0)
	v_cvt_f32_u32_e32 v4, v4
.LBB40_572:
	s_mov_b64 s[0:1], 0
.LBB40_573:
	s_andn2_b64 vcc, exec, s[0:1]
	s_cbranch_vccnz .LBB40_581
; %bb.574:
	global_load_ubyte v5, v[2:3], off
	s_movk_i32 s0, 0x7f
                                        ; implicit-def: $sgpr52
	s_waitcnt vmcnt(0)
	v_cmp_lt_i16_e32 vcc, s0, v5
	s_mov_b64 s[0:1], 0
	s_and_saveexec_b64 s[2:3], vcc
	s_xor_b64 s[2:3], exec, s[2:3]
	s_cbranch_execz .LBB40_595
; %bb.575:
	s_movk_i32 s0, 0x80
	v_cmp_eq_u16_e32 vcc, s0, v5
	s_mov_b64 s[0:1], -1
                                        ; implicit-def: $sgpr52
	s_and_saveexec_b64 s[6:7], vcc
; %bb.576:
	s_mov_b32 s52, 0x7f800001
	s_xor_b64 s[0:1], exec, -1
; %bb.577:
	s_or_b64 exec, exec, s[6:7]
	s_and_b64 s[0:1], s[0:1], exec
	s_or_saveexec_b64 s[2:3], s[2:3]
	v_mov_b32_e32 v4, s52
	s_xor_b64 exec, exec, s[2:3]
	s_cbranch_execnz .LBB40_596
.LBB40_578:
	s_or_b64 exec, exec, s[2:3]
	s_and_saveexec_b64 s[2:3], s[0:1]
	s_cbranch_execz .LBB40_580
.LBB40_579:
	v_lshlrev_b32_e32 v4, 24, v5
	v_and_b32_e32 v5, 0xffff, v5
	v_and_b32_e32 v10, 7, v5
	v_ffbh_u32_e32 v12, v10
	v_min_u32_e32 v12, 32, v12
	v_subrev_u32_e32 v13, 28, v12
	v_bfe_u32 v11, v5, 3, 4
	v_lshlrev_b32_e32 v5, v13, v5
	v_sub_u32_e32 v12, 29, v12
	v_and_b32_e32 v5, 7, v5
	v_cmp_eq_u32_e32 vcc, 0, v11
	v_cndmask_b32_e32 v11, v11, v12, vcc
	v_cndmask_b32_e32 v5, v10, v5, vcc
	v_mov_b32_e32 v10, 0x3b800000
	v_lshlrev_b32_e32 v5, 20, v5
	v_and_b32_e32 v4, 0x80000000, v4
	v_lshl_add_u32 v10, v11, 23, v10
	v_or3_b32 v4, v4, v10, v5
.LBB40_580:
	s_or_b64 exec, exec, s[2:3]
.LBB40_581:
	s_mov_b64 s[0:1], -1
.LBB40_582:
	s_mov_b64 s[2:3], 0
.LBB40_583:
	s_and_b64 vcc, exec, s[2:3]
	s_cbranch_vccz .LBB40_618
; %bb.584:
	v_mov_b32_e32 v4, 22
	v_cmp_gt_i16_sdwa s[2:3], v7, v4 src0_sel:BYTE_0 src1_sel:DWORD
	s_and_b64 vcc, exec, s[2:3]
	s_cbranch_vccz .LBB40_594
; %bb.585:
	v_mov_b32_e32 v4, 24
	v_cmp_lt_i16_sdwa s[0:1], v7, v4 src0_sel:BYTE_0 src1_sel:DWORD
	s_and_b64 vcc, exec, s[0:1]
	s_cbranch_vccnz .LBB40_597
; %bb.586:
	v_cmp_gt_i16_sdwa s[0:1], v7, v4 src0_sel:BYTE_0 src1_sel:DWORD
	s_and_b64 vcc, exec, s[0:1]
	s_cbranch_vccz .LBB40_598
; %bb.587:
	global_load_ubyte v5, v[2:3], off
	s_movk_i32 s0, 0x7f
                                        ; implicit-def: $sgpr52
	s_waitcnt vmcnt(0)
	v_cmp_lt_i16_e32 vcc, s0, v5
	s_mov_b64 s[0:1], 0
	s_and_saveexec_b64 s[2:3], vcc
	s_xor_b64 s[2:3], exec, s[2:3]
	s_cbranch_execz .LBB40_610
; %bb.588:
	s_movk_i32 s0, 0x80
	v_cmp_eq_u16_e32 vcc, s0, v5
	s_mov_b64 s[0:1], -1
                                        ; implicit-def: $sgpr52
	s_and_saveexec_b64 s[6:7], vcc
; %bb.589:
	s_mov_b32 s52, 0x7f800001
	s_xor_b64 s[0:1], exec, -1
; %bb.590:
	s_or_b64 exec, exec, s[6:7]
	s_and_b64 s[0:1], s[0:1], exec
	s_or_saveexec_b64 s[2:3], s[2:3]
	v_mov_b32_e32 v4, s52
	s_xor_b64 exec, exec, s[2:3]
	s_cbranch_execnz .LBB40_611
.LBB40_591:
	s_or_b64 exec, exec, s[2:3]
	s_and_saveexec_b64 s[2:3], s[0:1]
	s_cbranch_execz .LBB40_593
.LBB40_592:
	v_lshlrev_b32_e32 v4, 24, v5
	v_and_b32_e32 v5, 0xffff, v5
	v_and_b32_e32 v10, 3, v5
	v_ffbh_u32_e32 v12, v10
	v_min_u32_e32 v12, 32, v12
	v_subrev_u32_e32 v13, 29, v12
	v_bfe_u32 v11, v5, 2, 5
	v_lshlrev_b32_e32 v5, v13, v5
	v_sub_u32_e32 v12, 30, v12
	v_and_b32_e32 v5, 3, v5
	v_cmp_eq_u32_e32 vcc, 0, v11
	v_cndmask_b32_e32 v11, v11, v12, vcc
	v_cndmask_b32_e32 v5, v10, v5, vcc
	v_mov_b32_e32 v10, 0x37800000
	v_lshlrev_b32_e32 v5, 21, v5
	v_and_b32_e32 v4, 0x80000000, v4
	v_lshl_add_u32 v10, v11, 23, v10
	v_or3_b32 v4, v4, v10, v5
.LBB40_593:
	s_or_b64 exec, exec, s[2:3]
	s_mov_b64 s[0:1], 0
	s_branch .LBB40_599
.LBB40_594:
	s_mov_b64 s[2:3], -1
                                        ; implicit-def: $vgpr4
	s_branch .LBB40_605
.LBB40_595:
	s_or_saveexec_b64 s[2:3], s[2:3]
	v_mov_b32_e32 v4, s52
	s_xor_b64 exec, exec, s[2:3]
	s_cbranch_execz .LBB40_578
.LBB40_596:
	v_cmp_ne_u16_e32 vcc, 0, v5
	s_andn2_b64 s[0:1], s[0:1], exec
	s_and_b64 s[6:7], vcc, exec
	v_mov_b32_e32 v4, 0
	s_or_b64 s[0:1], s[0:1], s[6:7]
	s_or_b64 exec, exec, s[2:3]
	s_and_saveexec_b64 s[2:3], s[0:1]
	s_cbranch_execnz .LBB40_579
	s_branch .LBB40_580
.LBB40_597:
	s_mov_b64 s[0:1], -1
                                        ; implicit-def: $vgpr4
	s_branch .LBB40_602
.LBB40_598:
	s_mov_b64 s[0:1], -1
                                        ; implicit-def: $vgpr4
.LBB40_599:
	s_and_b64 vcc, exec, s[0:1]
	s_cbranch_vccz .LBB40_601
; %bb.600:
	global_load_ubyte v4, v[2:3], off
	s_mov_b32 s0, 0x7f800000
	s_waitcnt vmcnt(0)
	v_lshlrev_b32_e32 v4, 24, v4
	v_and_b32_e32 v5, 0x7f000000, v4
	v_ffbh_u32_e32 v10, v5
	v_min_u32_e32 v10, 32, v10
	v_sub_u32_e64 v10, v10, 4 clamp
	v_lshlrev_b32_e32 v12, v10, v5
	v_lshlrev_b32_e32 v10, 23, v10
	v_lshrrev_b32_e32 v12, 4, v12
	v_add_u32_e32 v11, 0x1000000, v5
	v_sub_u32_e32 v10, v12, v10
	v_ashrrev_i32_e32 v11, 8, v11
	v_add_u32_e32 v10, 0x3c000000, v10
	v_and_or_b32 v10, v11, s0, v10
	v_cmp_ne_u32_e32 vcc, 0, v5
	v_cndmask_b32_e32 v5, 0, v10, vcc
	s_brev_b32 s0, 1
	v_and_or_b32 v4, v4, s0, v5
.LBB40_601:
	s_mov_b64 s[0:1], 0
.LBB40_602:
	s_andn2_b64 vcc, exec, s[0:1]
	s_cbranch_vccnz .LBB40_604
; %bb.603:
	global_load_ubyte v4, v[2:3], off
	s_movk_i32 s0, 0x7f00
	s_brev_b32 s1, 16
	s_waitcnt vmcnt(0)
	v_lshlrev_b16_e32 v5, 8, v4
	v_lshlrev_b32_e32 v4, 25, v4
	v_lshrrev_b32_e32 v10, 4, v4
	v_and_or_b32 v11, v5, s0, 0.5
	v_or_b32_e32 v10, 0x70000000, v10
	v_add_f32_e32 v11, -0.5, v11
	v_mul_f32_e32 v10, 0x7800000, v10
	v_cmp_gt_u32_e32 vcc, s1, v4
	v_bfe_i32 v5, v5, 0, 16
	v_cndmask_b32_e32 v4, v10, v11, vcc
	s_brev_b32 s0, 1
	v_and_or_b32 v4, v5, s0, v4
.LBB40_604:
	s_mov_b64 s[2:3], 0
	s_mov_b64 s[0:1], -1
.LBB40_605:
	s_andn2_b64 vcc, exec, s[2:3]
	s_cbranch_vccnz .LBB40_618
; %bb.606:
	v_mov_b32_e32 v4, 14
	v_cmp_gt_i16_sdwa s[2:3], v7, v4 src0_sel:BYTE_0 src1_sel:DWORD
	s_and_b64 vcc, exec, s[2:3]
	s_cbranch_vccz .LBB40_609
; %bb.607:
	v_mov_b32_e32 v4, 15
	v_cmp_eq_u16_sdwa s[2:3], v7, v4 src0_sel:BYTE_0 src1_sel:DWORD
	s_and_b64 vcc, exec, s[2:3]
	s_cbranch_vccz .LBB40_612
; %bb.608:
	global_load_ushort v4, v[2:3], off
	s_mov_b64 s[0:1], -1
	s_mov_b64 s[50:51], 0
	s_waitcnt vmcnt(0)
	v_lshlrev_b32_e32 v4, 16, v4
	s_branch .LBB40_613
.LBB40_609:
	s_mov_b64 s[2:3], -1
                                        ; implicit-def: $vgpr4
	s_branch .LBB40_614
.LBB40_610:
	s_or_saveexec_b64 s[2:3], s[2:3]
	v_mov_b32_e32 v4, s52
	s_xor_b64 exec, exec, s[2:3]
	s_cbranch_execz .LBB40_591
.LBB40_611:
	v_cmp_ne_u16_e32 vcc, 0, v5
	s_andn2_b64 s[0:1], s[0:1], exec
	s_and_b64 s[6:7], vcc, exec
	v_mov_b32_e32 v4, 0
	s_or_b64 s[0:1], s[0:1], s[6:7]
	s_or_b64 exec, exec, s[2:3]
	s_and_saveexec_b64 s[2:3], s[0:1]
	s_cbranch_execnz .LBB40_592
	s_branch .LBB40_593
.LBB40_612:
	s_mov_b64 s[50:51], -1
                                        ; implicit-def: $vgpr4
.LBB40_613:
	s_mov_b64 s[2:3], 0
.LBB40_614:
	s_and_b64 vcc, exec, s[2:3]
	s_cbranch_vccz .LBB40_618
; %bb.615:
	v_mov_b32_e32 v4, 11
	v_cmp_eq_u16_sdwa s[2:3], v7, v4 src0_sel:BYTE_0 src1_sel:DWORD
	s_and_b64 vcc, exec, s[2:3]
	s_cbranch_vccz .LBB40_617
; %bb.616:
	global_load_ubyte v4, v[2:3], off
	s_mov_b64 s[0:1], -1
	s_mov_b64 s[50:51], 0
	s_waitcnt vmcnt(0)
	v_cmp_ne_u16_e32 vcc, 0, v4
	v_cndmask_b32_e64 v4, 0, 1.0, vcc
	s_branch .LBB40_618
.LBB40_617:
	s_mov_b64 s[50:51], -1
                                        ; implicit-def: $vgpr4
.LBB40_618:
	s_mov_b64 s[2:3], 0
.LBB40_619:
	s_and_b64 vcc, exec, s[2:3]
	s_cbranch_vccz .LBB40_668
; %bb.620:
	v_mov_b32_e32 v4, 5
	v_cmp_lt_i16_sdwa s[0:1], v7, v4 src0_sel:BYTE_0 src1_sel:DWORD
	s_and_b64 vcc, exec, s[0:1]
	s_cbranch_vccnz .LBB40_625
; %bb.621:
	v_mov_b32_e32 v4, 8
	v_cmp_lt_i16_sdwa s[0:1], v7, v4 src0_sel:BYTE_0 src1_sel:DWORD
	s_and_b64 vcc, exec, s[0:1]
	s_cbranch_vccnz .LBB40_626
	;; [unrolled: 5-line block ×3, first 2 shown]
; %bb.623:
	v_cmp_gt_i16_sdwa s[0:1], v7, v4 src0_sel:BYTE_0 src1_sel:DWORD
	s_and_b64 vcc, exec, s[0:1]
	s_cbranch_vccz .LBB40_628
; %bb.624:
	global_load_dwordx2 v[4:5], v[2:3], off
	s_mov_b64 s[0:1], 0
	s_waitcnt vmcnt(0)
	v_cvt_f32_f64_e32 v4, v[4:5]
	s_branch .LBB40_629
.LBB40_625:
	s_mov_b64 s[0:1], -1
                                        ; implicit-def: $vgpr4
	s_branch .LBB40_647
.LBB40_626:
	s_mov_b64 s[0:1], -1
                                        ; implicit-def: $vgpr4
	s_branch .LBB40_635
.LBB40_627:
	s_mov_b64 s[0:1], -1
                                        ; implicit-def: $vgpr4
	s_branch .LBB40_632
.LBB40_628:
	s_mov_b64 s[0:1], -1
                                        ; implicit-def: $vgpr4
.LBB40_629:
	s_andn2_b64 vcc, exec, s[0:1]
	s_cbranch_vccnz .LBB40_631
; %bb.630:
	global_load_dword v4, v[2:3], off
.LBB40_631:
	s_mov_b64 s[0:1], 0
.LBB40_632:
	s_andn2_b64 vcc, exec, s[0:1]
	s_cbranch_vccnz .LBB40_634
; %bb.633:
	global_load_dword v4, v[2:3], off
	s_waitcnt vmcnt(0)
	v_cvt_f32_f16_e32 v4, v4
.LBB40_634:
	s_mov_b64 s[0:1], 0
.LBB40_635:
	s_andn2_b64 vcc, exec, s[0:1]
	s_cbranch_vccnz .LBB40_646
; %bb.636:
	s_waitcnt vmcnt(0)
	v_mov_b32_e32 v4, 6
	v_cmp_lt_i16_sdwa s[0:1], v7, v4 src0_sel:BYTE_0 src1_sel:DWORD
	s_and_b64 vcc, exec, s[0:1]
	s_cbranch_vccnz .LBB40_639
; %bb.637:
	v_cmp_gt_i16_sdwa s[0:1], v7, v4 src0_sel:BYTE_0 src1_sel:DWORD
	s_and_b64 vcc, exec, s[0:1]
	s_cbranch_vccz .LBB40_640
; %bb.638:
	global_load_dwordx2 v[4:5], v[2:3], off
	s_mov_b64 s[0:1], 0
	s_waitcnt vmcnt(0)
	v_cvt_f32_f64_e32 v4, v[4:5]
	s_branch .LBB40_641
.LBB40_639:
	s_mov_b64 s[0:1], -1
                                        ; implicit-def: $vgpr4
	s_branch .LBB40_644
.LBB40_640:
	s_mov_b64 s[0:1], -1
                                        ; implicit-def: $vgpr4
.LBB40_641:
	s_andn2_b64 vcc, exec, s[0:1]
	s_cbranch_vccnz .LBB40_643
; %bb.642:
	global_load_dword v4, v[2:3], off
.LBB40_643:
	s_mov_b64 s[0:1], 0
.LBB40_644:
	s_andn2_b64 vcc, exec, s[0:1]
	s_cbranch_vccnz .LBB40_646
; %bb.645:
	global_load_ushort v4, v[2:3], off
	s_waitcnt vmcnt(0)
	v_cvt_f32_f16_e32 v4, v4
.LBB40_646:
	s_mov_b64 s[0:1], 0
.LBB40_647:
	s_andn2_b64 vcc, exec, s[0:1]
	s_cbranch_vccnz .LBB40_667
; %bb.648:
	s_waitcnt vmcnt(0)
	v_mov_b32_e32 v4, 2
	v_cmp_lt_i16_sdwa s[0:1], v7, v4 src0_sel:BYTE_0 src1_sel:DWORD
	s_and_b64 vcc, exec, s[0:1]
	s_cbranch_vccnz .LBB40_652
; %bb.649:
	v_mov_b32_e32 v4, 3
	v_cmp_lt_i16_sdwa s[0:1], v7, v4 src0_sel:BYTE_0 src1_sel:DWORD
	s_and_b64 vcc, exec, s[0:1]
	s_cbranch_vccnz .LBB40_653
; %bb.650:
	v_cmp_gt_i16_sdwa s[0:1], v7, v4 src0_sel:BYTE_0 src1_sel:DWORD
	s_and_b64 vcc, exec, s[0:1]
	s_cbranch_vccz .LBB40_654
; %bb.651:
	global_load_dwordx2 v[4:5], v[2:3], off
	s_mov_b64 s[0:1], 0
	s_waitcnt vmcnt(0)
	v_xor_b32_e32 v11, v4, v5
	v_ffbh_i32_e32 v10, v5
	v_ashrrev_i32_e32 v11, 31, v11
	v_add_u32_e32 v10, -1, v10
	v_add_u32_e32 v11, 32, v11
	v_min_u32_e32 v10, v10, v11
	v_lshlrev_b64 v[4:5], v10, v[4:5]
	v_min_u32_e32 v4, 1, v4
	v_or_b32_e32 v4, v5, v4
	v_cvt_f32_i32_e32 v4, v4
	v_sub_u32_e32 v5, 32, v10
	v_ldexp_f32 v4, v4, v5
	s_branch .LBB40_655
.LBB40_652:
	s_mov_b64 s[0:1], -1
                                        ; implicit-def: $vgpr4
	s_branch .LBB40_661
.LBB40_653:
	s_mov_b64 s[0:1], -1
                                        ; implicit-def: $vgpr4
	s_branch .LBB40_658
.LBB40_654:
	s_mov_b64 s[0:1], -1
                                        ; implicit-def: $vgpr4
.LBB40_655:
	s_andn2_b64 vcc, exec, s[0:1]
	s_cbranch_vccnz .LBB40_657
; %bb.656:
	global_load_dword v4, v[2:3], off
	s_waitcnt vmcnt(0)
	v_cvt_f32_i32_e32 v4, v4
.LBB40_657:
	s_mov_b64 s[0:1], 0
.LBB40_658:
	s_andn2_b64 vcc, exec, s[0:1]
	s_cbranch_vccnz .LBB40_660
; %bb.659:
	global_load_sshort v4, v[2:3], off
	s_waitcnt vmcnt(0)
	v_cvt_f32_i32_e32 v4, v4
.LBB40_660:
	s_mov_b64 s[0:1], 0
.LBB40_661:
	s_andn2_b64 vcc, exec, s[0:1]
	s_cbranch_vccnz .LBB40_667
; %bb.662:
	v_mov_b32_e32 v4, 0
	v_cmp_gt_i16_sdwa s[0:1], v7, v4 src0_sel:BYTE_0 src1_sel:DWORD
	s_and_b64 vcc, exec, s[0:1]
	s_cbranch_vccz .LBB40_664
; %bb.663:
	global_load_sbyte v4, v[2:3], off
	s_mov_b64 s[0:1], 0
	s_waitcnt vmcnt(0)
	v_cvt_f32_i32_e32 v4, v4
	s_branch .LBB40_665
.LBB40_664:
	s_mov_b64 s[0:1], -1
                                        ; implicit-def: $vgpr4
.LBB40_665:
	s_andn2_b64 vcc, exec, s[0:1]
	s_cbranch_vccnz .LBB40_667
; %bb.666:
	global_load_ubyte v2, v[2:3], off
	s_waitcnt vmcnt(0)
	v_cvt_f32_ubyte0_e32 v4, v2
.LBB40_667:
	s_mov_b64 s[0:1], -1
.LBB40_668:
	s_andn2_b64 vcc, exec, s[0:1]
	s_cbranch_vccnz .LBB40_676
; %bb.669:
	s_waitcnt vmcnt(0)
	v_div_scale_f32 v2, s[0:1], v4, v4, v1
	v_rcp_f32_e32 v3, v2
	v_div_scale_f32 v5, vcc, v1, v4, v1
	s_mov_b32 s0, 0x800000
	v_fma_f32 v10, -v2, v3, 1.0
	v_fmac_f32_e32 v3, v10, v3
	v_mul_f32_e32 v10, v5, v3
	v_fma_f32 v11, -v2, v10, v5
	v_fmac_f32_e32 v10, v11, v3
	v_fma_f32 v2, -v2, v10, v5
	v_div_fmas_f32 v2, v2, v3, v10
	v_div_fixup_f32 v3, v2, v4, v1
	v_mov_b32_e32 v1, 0x800000
	v_cmp_gt_f32_e64 s[0:1], s0, v3
	v_cndmask_b32_e64 v1, v3, v1, s[0:1]
	s_mov_b32 s2, 0x3f7ffffe
	v_mov_b32_e32 v2, 0x3f7ffffe
	v_cmp_lt_f32_e64 s[2:3], s2, v1
	v_cndmask_b32_e64 v2, v1, v2, s[2:3]
	v_mov_b32_e32 v1, s9
	v_add_co_u32_e32 v0, vcc, s8, v0
	v_mov_b32_e32 v4, 11
	v_addc_co_u32_e32 v1, vcc, 0, v1, vcc
	v_cmp_lt_i16_sdwa s[6:7], v6, v4 src0_sel:BYTE_0 src1_sel:DWORD
	s_and_b64 vcc, exec, s[6:7]
	s_cbranch_vccnz .LBB40_677
; %bb.670:
	v_mov_b32_e32 v4, 25
	v_cmp_gt_i16_sdwa s[6:7], v6, v4 src0_sel:BYTE_0 src1_sel:DWORD
	s_and_b64 vcc, exec, s[6:7]
	s_cbranch_vccz .LBB40_678
; %bb.671:
	v_mov_b32_e32 v4, 28
	v_cmp_gt_i16_sdwa s[6:7], v6, v4 src0_sel:BYTE_0 src1_sel:DWORD
	s_and_b64 vcc, exec, s[6:7]
	s_cbranch_vccz .LBB40_679
	;; [unrolled: 5-line block ×4, first 2 shown]
; %bb.674:
	v_mov_b32_e32 v4, 46
	v_cmp_eq_u16_sdwa s[52:53], v6, v4 src0_sel:BYTE_0 src1_sel:DWORD
	s_mov_b64 s[56:57], 0
	s_mov_b64 s[6:7], -1
	s_and_b64 vcc, exec, s[52:53]
	s_mov_b64 s[52:53], 0
	s_cbranch_vccz .LBB40_682
; %bb.675:
	v_bfe_u32 v4, v2, 16, 1
	s_movk_i32 s6, 0x7fff
	v_add3_u32 v4, v2, v4, s6
	v_lshrrev_b32_e32 v4, 16, v4
	v_mov_b32_e32 v5, 0x7fc0
	v_cmp_o_f32_e32 vcc, v2, v2
	v_cndmask_b32_e32 v4, v5, v4, vcc
	global_store_dword v[0:1], v4, off
	s_mov_b64 s[52:53], -1
	s_mov_b64 s[6:7], 0
	s_branch .LBB40_682
.LBB40_676:
	s_mov_b64 s[0:1], 0
                                        ; implicit-def: $vgpr8
	s_mov_b64 s[6:7], s[40:41]
	s_branch .LBB40_792
.LBB40_677:
	s_mov_b64 s[0:1], -1
	s_mov_b64 s[52:53], 0
	s_mov_b64 s[6:7], s[40:41]
	s_branch .LBB40_751
.LBB40_678:
	s_mov_b64 s[56:57], -1
	s_mov_b64 s[52:53], 0
	s_mov_b64 s[6:7], s[40:41]
	s_branch .LBB40_709
.LBB40_679:
	s_mov_b64 s[56:57], -1
	s_mov_b64 s[52:53], 0
	s_mov_b64 s[6:7], s[40:41]
	s_branch .LBB40_692
.LBB40_680:
	s_mov_b64 s[56:57], -1
	s_mov_b64 s[52:53], 0
	s_mov_b64 s[6:7], s[40:41]
	s_branch .LBB40_688
.LBB40_681:
	s_mov_b64 s[56:57], -1
	s_mov_b64 s[52:53], 0
	s_mov_b64 s[6:7], s[40:41]
.LBB40_682:
	s_and_b64 vcc, exec, s[56:57]
	s_cbranch_vccz .LBB40_687
; %bb.683:
	v_mov_b32_e32 v4, 44
	v_cmp_eq_u16_sdwa s[56:57], v6, v4 src0_sel:BYTE_0 src1_sel:DWORD
	s_mov_b64 s[6:7], -1
	s_and_b64 vcc, exec, s[56:57]
	s_cbranch_vccz .LBB40_687
; %bb.684:
	v_bfe_u32 v4, v2, 23, 8
	s_movk_i32 s6, 0xff
	v_cmp_ne_u32_e32 vcc, s6, v4
	v_mov_b32_e32 v5, 0xff
	s_and_saveexec_b64 s[52:53], vcc
; %bb.685:
	s_mov_b32 s6, 0x3fffff
	v_and_b32_e32 v10, 0x400000, v2
	v_and_or_b32 v4, v2, s6, v4
	v_cmp_ne_u32_e32 vcc, 0, v10
	v_cmp_ne_u32_e64 s[6:7], 0, v4
	s_and_b64 s[6:7], vcc, s[6:7]
	v_lshrrev_b32_e32 v5, 23, v2
	v_cndmask_b32_e64 v4, 0, 1, s[6:7]
	v_add_u32_e32 v5, v5, v4
; %bb.686:
	s_or_b64 exec, exec, s[52:53]
	s_mov_b64 s[52:53], -1
	s_mov_b64 s[6:7], 0
	global_store_byte v[0:1], v5, off
.LBB40_687:
	s_mov_b64 s[56:57], 0
.LBB40_688:
	s_and_b64 vcc, exec, s[56:57]
	s_cbranch_vccz .LBB40_691
; %bb.689:
	v_mov_b32_e32 v4, 29
	v_cmp_eq_u16_sdwa s[56:57], v6, v4 src0_sel:BYTE_0 src1_sel:DWORD
	s_mov_b64 s[6:7], -1
	s_and_b64 vcc, exec, s[56:57]
	s_cbranch_vccz .LBB40_691
; %bb.690:
	v_trunc_f32_e32 v4, v2
	v_mul_f32_e32 v5, 0x2f800000, v4
	v_floor_f32_e32 v10, v5
	v_fmac_f32_e32 v4, 0xcf800000, v10
	v_cvt_u32_f32_e32 v5, v10
	v_cvt_u32_f32_e32 v4, v4
	s_mov_b64 s[52:53], -1
	s_mov_b64 s[6:7], 0
	s_mov_b64 s[56:57], 0
	global_store_dwordx2 v[0:1], v[4:5], off
	s_branch .LBB40_692
.LBB40_691:
	s_mov_b64 s[56:57], 0
.LBB40_692:
	s_and_b64 vcc, exec, s[56:57]
	s_cbranch_vccz .LBB40_708
; %bb.693:
	v_mov_b32_e32 v4, 27
	v_cmp_lt_i16_sdwa s[56:57], v6, v4 src0_sel:BYTE_0 src1_sel:DWORD
	s_mov_b64 s[52:53], -1
	s_and_b64 vcc, exec, s[56:57]
	s_cbranch_vccnz .LBB40_699
; %bb.694:
	v_cmp_gt_i16_sdwa s[56:57], v6, v4 src0_sel:BYTE_0 src1_sel:DWORD
	v_cvt_u32_f32_e32 v4, v2
	s_and_b64 vcc, exec, s[56:57]
	s_cbranch_vccz .LBB40_696
; %bb.695:
	s_mov_b64 s[52:53], 0
	global_store_dword v[0:1], v4, off
.LBB40_696:
	s_andn2_b64 vcc, exec, s[52:53]
	s_cbranch_vccnz .LBB40_698
; %bb.697:
	global_store_short v[0:1], v4, off
.LBB40_698:
	s_mov_b64 s[52:53], 0
.LBB40_699:
	s_andn2_b64 vcc, exec, s[52:53]
	s_cbranch_vccnz .LBB40_707
; %bb.700:
	v_mov_b32_e32 v4, 0x800000
	v_cndmask_b32_e64 v4, |v3|, v4, s[0:1]
	v_mov_b32_e32 v5, 0x3f7ffffe
	v_cndmask_b32_e64 v5, v4, v5, s[2:3]
	s_mov_b32 s52, 0x43800000
	v_cmp_gt_u32_e32 vcc, s52, v5
	v_mov_b32_e32 v10, 0x80
	s_and_saveexec_b64 s[52:53], vcc
	s_cbranch_execz .LBB40_706
; %bb.701:
	s_mov_b32 s56, 0x3bffffff
	v_cmp_lt_u32_e32 vcc, s56, v5
	s_mov_b64 s[56:57], 0
                                        ; implicit-def: $vgpr4
	s_and_saveexec_b64 s[58:59], vcc
	s_xor_b64 s[58:59], exec, s[58:59]
	s_cbranch_execz .LBB40_819
; %bb.702:
	v_bfe_u32 v4, v2, 20, 1
	s_mov_b32 s60, 0x487ffff
	v_add3_u32 v4, v2, v4, s60
	s_mov_b64 s[56:57], exec
	v_lshrrev_b32_e32 v4, 20, v4
                                        ; implicit-def: $vgpr5
	s_or_saveexec_b64 s[58:59], s[58:59]
                                        ; implicit-def: $sgpr60
	s_xor_b64 exec, exec, s[58:59]
	s_cbranch_execnz .LBB40_820
.LBB40_703:
	s_or_b64 exec, exec, s[58:59]
	v_mov_b32_e32 v10, s60
	s_and_saveexec_b64 s[58:59], s[56:57]
.LBB40_704:
	v_lshrrev_b32_e32 v5, 24, v2
	s_movk_i32 s56, 0x80
	v_and_or_b32 v10, v5, s56, v4
.LBB40_705:
	s_or_b64 exec, exec, s[58:59]
.LBB40_706:
	s_or_b64 exec, exec, s[52:53]
	global_store_byte v[0:1], v10, off
.LBB40_707:
	s_mov_b64 s[52:53], -1
.LBB40_708:
	s_mov_b64 s[56:57], 0
.LBB40_709:
	s_and_b64 vcc, exec, s[56:57]
	s_cbranch_vccz .LBB40_750
; %bb.710:
	v_mov_b32_e32 v4, 22
	v_cmp_gt_i16_sdwa s[58:59], v6, v4 src0_sel:BYTE_0 src1_sel:DWORD
	s_mov_b64 s[56:57], -1
	s_and_b64 vcc, exec, s[58:59]
	s_cbranch_vccz .LBB40_742
; %bb.711:
	v_mov_b32_e32 v4, 24
	v_cmp_lt_i16_sdwa s[56:57], v6, v4 src0_sel:BYTE_0 src1_sel:DWORD
	s_mov_b64 s[52:53], -1
	s_and_b64 vcc, exec, s[56:57]
	s_cbranch_vccnz .LBB40_731
; %bb.712:
	v_cmp_gt_i16_sdwa s[56:57], v6, v4 src0_sel:BYTE_0 src1_sel:DWORD
	s_and_b64 vcc, exec, s[56:57]
	s_cbranch_vccz .LBB40_720
; %bb.713:
	v_mov_b32_e32 v4, 0x800000
	v_cndmask_b32_e64 v4, |v3|, v4, s[0:1]
	v_mov_b32_e32 v5, 0x3f7ffffe
	v_cndmask_b32_e64 v5, v4, v5, s[2:3]
	s_mov_b32 s52, 0x47800000
	v_cmp_gt_u32_e32 vcc, s52, v5
	v_mov_b32_e32 v10, 0x80
	s_and_saveexec_b64 s[52:53], vcc
	s_cbranch_execz .LBB40_719
; %bb.714:
	s_mov_b32 s56, 0x37ffffff
	v_cmp_lt_u32_e32 vcc, s56, v5
	s_mov_b64 s[56:57], 0
                                        ; implicit-def: $vgpr4
	s_and_saveexec_b64 s[58:59], vcc
	s_xor_b64 s[58:59], exec, s[58:59]
	s_cbranch_execz .LBB40_951
; %bb.715:
	v_bfe_u32 v4, v2, 21, 1
	s_mov_b32 s60, 0x88fffff
	v_add3_u32 v4, v2, v4, s60
	s_mov_b64 s[56:57], exec
	v_lshrrev_b32_e32 v4, 21, v4
                                        ; implicit-def: $vgpr5
	s_or_saveexec_b64 s[58:59], s[58:59]
                                        ; implicit-def: $sgpr60
	s_xor_b64 exec, exec, s[58:59]
	s_cbranch_execnz .LBB40_952
.LBB40_716:
	s_or_b64 exec, exec, s[58:59]
	v_mov_b32_e32 v10, s60
	s_and_saveexec_b64 s[58:59], s[56:57]
.LBB40_717:
	v_lshrrev_b32_e32 v5, 24, v2
	s_movk_i32 s56, 0x80
	v_and_or_b32 v10, v5, s56, v4
.LBB40_718:
	s_or_b64 exec, exec, s[58:59]
.LBB40_719:
	s_or_b64 exec, exec, s[52:53]
	s_mov_b64 s[52:53], 0
	global_store_byte v[0:1], v10, off
.LBB40_720:
	s_and_b64 vcc, exec, s[52:53]
	s_cbranch_vccz .LBB40_730
; %bb.721:
	v_mov_b32_e32 v4, 0x800000
	v_cndmask_b32_e64 v4, |v3|, v4, s[0:1]
	v_mov_b32_e32 v5, 0x3f7ffffe
	v_cndmask_b32_e64 v5, v4, v5, s[2:3]
	s_mov_b32 s52, 0x43f00000
	v_cmp_gt_u32_e32 vcc, s52, v5
                                        ; implicit-def: $vgpr4
	s_and_saveexec_b64 s[52:53], vcc
	s_xor_b64 s[52:53], exec, s[52:53]
	s_cbranch_execz .LBB40_727
; %bb.722:
	s_mov_b32 s56, 0x3c7fffff
	v_cmp_lt_u32_e32 vcc, s56, v5
                                        ; implicit-def: $vgpr4
	s_and_saveexec_b64 s[56:57], vcc
	s_xor_b64 s[56:57], exec, s[56:57]
; %bb.723:
	v_bfe_u32 v4, v2, 20, 1
	s_mov_b32 s58, 0x407ffff
	v_add3_u32 v4, v2, v4, s58
	v_lshrrev_b32_e32 v5, 20, v4
	v_and_b32_e32 v4, 0xff00000, v4
	s_mov_b32 s58, 0x7f00000
	v_mov_b32_e32 v10, 0x7e
	v_cmp_ne_u32_e32 vcc, s58, v4
	v_cndmask_b32_e32 v4, v10, v5, vcc
                                        ; implicit-def: $vgpr5
; %bb.724:
	s_andn2_saveexec_b64 s[56:57], s[56:57]
; %bb.725:
	v_add_f32_e32 v4, 0x46800000, v5
; %bb.726:
	s_or_b64 exec, exec, s[56:57]
                                        ; implicit-def: $vgpr5
.LBB40_727:
	s_andn2_saveexec_b64 s[52:53], s[52:53]
; %bb.728:
	s_mov_b32 s56, 0x7f800000
	v_mov_b32_e32 v4, 0x7e
	v_mov_b32_e32 v10, 0x7f
	v_cmp_lt_u32_e32 vcc, s56, v5
	v_cndmask_b32_e32 v4, v4, v10, vcc
; %bb.729:
	s_or_b64 exec, exec, s[52:53]
	v_lshrrev_b32_e32 v5, 24, v2
	s_movk_i32 s52, 0x80
	v_and_or_b32 v4, v5, s52, v4
	global_store_byte v[0:1], v4, off
.LBB40_730:
	s_mov_b64 s[52:53], 0
.LBB40_731:
	s_andn2_b64 vcc, exec, s[52:53]
	s_cbranch_vccnz .LBB40_741
; %bb.732:
	v_mov_b32_e32 v4, 0x800000
	v_cndmask_b32_e64 v3, |v3|, v4, s[0:1]
	v_mov_b32_e32 v4, 0x3f7ffffe
	v_cndmask_b32_e64 v4, v3, v4, s[2:3]
	s_mov_b32 s0, 0x47800000
	v_cmp_gt_u32_e32 vcc, s0, v4
                                        ; implicit-def: $vgpr3
	s_and_saveexec_b64 s[0:1], vcc
	s_xor_b64 s[0:1], exec, s[0:1]
	s_cbranch_execz .LBB40_738
; %bb.733:
	s_mov_b32 s2, 0x387fffff
	v_cmp_lt_u32_e32 vcc, s2, v4
                                        ; implicit-def: $vgpr3
	s_and_saveexec_b64 s[2:3], vcc
	s_xor_b64 s[2:3], exec, s[2:3]
; %bb.734:
	v_bfe_u32 v3, v2, 21, 1
	s_mov_b32 s52, 0x80fffff
	v_add3_u32 v3, v2, v3, s52
	v_lshrrev_b32_e32 v3, 21, v3
                                        ; implicit-def: $vgpr4
; %bb.735:
	s_andn2_saveexec_b64 s[2:3], s[2:3]
; %bb.736:
	v_add_f32_e32 v3, 0x43000000, v4
; %bb.737:
	s_or_b64 exec, exec, s[2:3]
                                        ; implicit-def: $vgpr4
.LBB40_738:
	s_andn2_saveexec_b64 s[0:1], s[0:1]
; %bb.739:
	s_mov_b32 s2, 0x7f800000
	v_mov_b32_e32 v3, 0x7c
	v_mov_b32_e32 v5, 0x7f
	v_cmp_lt_u32_e32 vcc, s2, v4
	v_cndmask_b32_e32 v3, v3, v5, vcc
; %bb.740:
	s_or_b64 exec, exec, s[0:1]
	v_lshrrev_b32_e32 v4, 24, v2
	s_movk_i32 s0, 0x80
	v_and_or_b32 v3, v4, s0, v3
	global_store_byte v[0:1], v3, off
.LBB40_741:
	s_mov_b64 s[56:57], 0
	s_mov_b64 s[52:53], -1
.LBB40_742:
	s_andn2_b64 vcc, exec, s[56:57]
	s_cbranch_vccnz .LBB40_750
; %bb.743:
	v_mov_b32_e32 v3, 14
	v_cmp_gt_i16_sdwa s[2:3], v6, v3 src0_sel:BYTE_0 src1_sel:DWORD
	s_mov_b64 s[0:1], -1
	s_and_b64 vcc, exec, s[2:3]
	s_cbranch_vccz .LBB40_747
; %bb.744:
	v_mov_b32_e32 v3, 15
	v_cmp_eq_u16_sdwa s[0:1], v6, v3 src0_sel:BYTE_0 src1_sel:DWORD
	s_mov_b64 s[6:7], -1
	s_and_b64 vcc, exec, s[0:1]
	s_cbranch_vccz .LBB40_746
; %bb.745:
	v_bfe_u32 v3, v2, 16, 1
	s_movk_i32 s0, 0x7fff
	v_add3_u32 v3, v2, v3, s0
	v_lshrrev_b32_e32 v3, 16, v3
	v_mov_b32_e32 v4, 0x7fc0
	v_cmp_o_f32_e32 vcc, v2, v2
	v_cndmask_b32_e32 v3, v4, v3, vcc
	global_store_short v[0:1], v3, off
	s_mov_b64 s[52:53], -1
	s_mov_b64 s[6:7], 0
.LBB40_746:
	s_mov_b64 s[0:1], 0
.LBB40_747:
	s_and_b64 vcc, exec, s[0:1]
	s_cbranch_vccz .LBB40_750
; %bb.748:
	v_mov_b32_e32 v3, 11
	v_cmp_eq_u16_sdwa s[0:1], v6, v3 src0_sel:BYTE_0 src1_sel:DWORD
	s_mov_b64 s[6:7], -1
	s_and_b64 vcc, exec, s[0:1]
	s_cbranch_vccz .LBB40_750
; %bb.749:
	v_mov_b32_e32 v3, 1
	s_mov_b64 s[52:53], -1
	s_mov_b64 s[6:7], 0
	global_store_byte v[0:1], v3, off
.LBB40_750:
	s_mov_b64 s[0:1], 0
.LBB40_751:
	s_and_b64 vcc, exec, s[0:1]
	s_cbranch_vccz .LBB40_790
; %bb.752:
	v_mov_b32_e32 v3, 5
	v_cmp_lt_i16_sdwa s[2:3], v6, v3 src0_sel:BYTE_0 src1_sel:DWORD
	s_mov_b64 s[0:1], -1
	s_and_b64 vcc, exec, s[2:3]
	s_cbranch_vccnz .LBB40_773
; %bb.753:
	v_mov_b32_e32 v3, 8
	v_cmp_lt_i16_sdwa s[2:3], v6, v3 src0_sel:BYTE_0 src1_sel:DWORD
	s_and_b64 vcc, exec, s[2:3]
	s_cbranch_vccnz .LBB40_763
; %bb.754:
	v_mov_b32_e32 v3, 9
	v_cmp_lt_i16_sdwa s[2:3], v6, v3 src0_sel:BYTE_0 src1_sel:DWORD
	s_and_b64 vcc, exec, s[2:3]
	s_cbranch_vccnz .LBB40_760
; %bb.755:
	v_cmp_gt_i16_sdwa s[2:3], v6, v3 src0_sel:BYTE_0 src1_sel:DWORD
	s_and_b64 vcc, exec, s[2:3]
	s_cbranch_vccz .LBB40_757
; %bb.756:
	v_mov_b32_e32 v12, 0
	v_cvt_f64_f32_e32 v[10:11], v2
	v_mov_b32_e32 v13, v12
	s_mov_b64 s[0:1], 0
	global_store_dwordx4 v[0:1], v[10:13], off
.LBB40_757:
	s_andn2_b64 vcc, exec, s[0:1]
	s_cbranch_vccnz .LBB40_759
; %bb.758:
	v_mov_b32_e32 v3, 0
	global_store_dwordx2 v[0:1], v[2:3], off
.LBB40_759:
	s_mov_b64 s[0:1], 0
.LBB40_760:
	s_andn2_b64 vcc, exec, s[0:1]
	s_cbranch_vccnz .LBB40_762
; %bb.761:
	v_cvt_f16_f32_e32 v3, v2
	global_store_dword v[0:1], v3, off
.LBB40_762:
	s_mov_b64 s[0:1], 0
.LBB40_763:
	s_andn2_b64 vcc, exec, s[0:1]
	s_cbranch_vccnz .LBB40_772
; %bb.764:
	v_mov_b32_e32 v3, 6
	v_cmp_lt_i16_sdwa s[2:3], v6, v3 src0_sel:BYTE_0 src1_sel:DWORD
	s_mov_b64 s[0:1], -1
	s_and_b64 vcc, exec, s[2:3]
	s_cbranch_vccnz .LBB40_770
; %bb.765:
	v_cmp_gt_i16_sdwa s[2:3], v6, v3 src0_sel:BYTE_0 src1_sel:DWORD
	s_and_b64 vcc, exec, s[2:3]
	s_cbranch_vccz .LBB40_767
; %bb.766:
	v_cvt_f64_f32_e32 v[4:5], v2
	s_mov_b64 s[0:1], 0
	global_store_dwordx2 v[0:1], v[4:5], off
.LBB40_767:
	s_andn2_b64 vcc, exec, s[0:1]
	s_cbranch_vccnz .LBB40_769
; %bb.768:
	global_store_dword v[0:1], v2, off
.LBB40_769:
	s_mov_b64 s[0:1], 0
.LBB40_770:
	s_andn2_b64 vcc, exec, s[0:1]
	s_cbranch_vccnz .LBB40_772
; %bb.771:
	v_cvt_f16_f32_e32 v3, v2
	global_store_short v[0:1], v3, off
.LBB40_772:
	s_mov_b64 s[0:1], 0
.LBB40_773:
	s_andn2_b64 vcc, exec, s[0:1]
	s_cbranch_vccnz .LBB40_789
; %bb.774:
	v_mov_b32_e32 v3, 2
	v_cmp_lt_i16_sdwa s[2:3], v6, v3 src0_sel:BYTE_0 src1_sel:DWORD
	s_mov_b64 s[0:1], -1
	s_and_b64 vcc, exec, s[2:3]
	s_cbranch_vccnz .LBB40_784
; %bb.775:
	v_mov_b32_e32 v3, 3
	v_cmp_lt_i16_sdwa s[2:3], v6, v3 src0_sel:BYTE_0 src1_sel:DWORD
	s_and_b64 vcc, exec, s[2:3]
	s_cbranch_vccnz .LBB40_781
; %bb.776:
	v_cmp_gt_i16_sdwa s[2:3], v6, v3 src0_sel:BYTE_0 src1_sel:DWORD
	s_and_b64 vcc, exec, s[2:3]
	s_cbranch_vccz .LBB40_778
; %bb.777:
	v_trunc_f32_e32 v3, v2
	s_mov_b32 s0, 0x2f800000
	v_mul_f32_e64 v4, |v3|, s0
	v_floor_f32_e32 v4, v4
	s_mov_b32 s0, 0xcf800000
	v_cvt_u32_f32_e32 v5, v4
	v_fma_f32 v4, v4, s0, |v3|
	v_cvt_u32_f32_e32 v4, v4
	v_ashrrev_i32_e32 v3, 31, v3
	v_xor_b32_e32 v5, v5, v3
	s_mov_b64 s[0:1], 0
	v_xor_b32_e32 v4, v4, v3
	v_sub_co_u32_e32 v4, vcc, v4, v3
	v_subb_co_u32_e32 v5, vcc, v5, v3, vcc
	global_store_dwordx2 v[0:1], v[4:5], off
.LBB40_778:
	s_andn2_b64 vcc, exec, s[0:1]
	s_cbranch_vccnz .LBB40_780
; %bb.779:
	v_cvt_i32_f32_e32 v3, v2
	global_store_dword v[0:1], v3, off
.LBB40_780:
	s_mov_b64 s[0:1], 0
.LBB40_781:
	s_andn2_b64 vcc, exec, s[0:1]
	s_cbranch_vccnz .LBB40_783
; %bb.782:
	v_cvt_i32_f32_e32 v3, v2
	global_store_short v[0:1], v3, off
.LBB40_783:
	s_mov_b64 s[0:1], 0
.LBB40_784:
	s_andn2_b64 vcc, exec, s[0:1]
	s_cbranch_vccnz .LBB40_789
; %bb.785:
	v_mov_b32_e32 v3, 0
	v_cmp_gt_i16_sdwa s[2:3], v6, v3 src0_sel:BYTE_0 src1_sel:DWORD
	s_mov_b64 s[0:1], -1
	s_and_b64 vcc, exec, s[2:3]
	s_cbranch_vccz .LBB40_787
; %bb.786:
	v_cvt_i32_f32_e32 v3, v2
	s_mov_b64 s[0:1], 0
	global_store_byte v[0:1], v3, off
.LBB40_787:
	s_andn2_b64 vcc, exec, s[0:1]
	s_cbranch_vccnz .LBB40_789
; %bb.788:
	v_trunc_f32_e32 v2, v2
	s_mov_b32 s0, 0x2f800000
	v_mul_f32_e64 v3, |v2|, s0
	v_floor_f32_e32 v3, v3
	s_mov_b32 s0, 0xcf800000
	v_fma_f32 v3, v3, s0, |v2|
	v_cvt_u32_f32_e32 v3, v3
	v_ashrrev_i32_e32 v2, 31, v2
	v_xor_b32_e32 v3, v3, v2
	v_sub_u32_e32 v2, v3, v2
	global_store_byte v[0:1], v2, off
.LBB40_789:
	s_mov_b64 s[52:53], -1
.LBB40_790:
	s_andn2_b64 vcc, exec, s[52:53]
	s_cbranch_vccnz .LBB40_814
; %bb.791:
	v_add_u32_e32 v8, 0x80, v8
	s_mov_b64 s[0:1], -1
.LBB40_792:
	s_andn2_b64 s[2:3], s[40:41], exec
	s_and_b64 s[6:7], s[6:7], exec
	s_or_b64 s[52:53], s[2:3], s[6:7]
	s_andn2_b64 s[2:3], s[42:43], exec
	s_and_b64 s[6:7], s[50:51], exec
	s_or_b64 s[50:51], s[2:3], s[6:7]
	;; [unrolled: 3-line block ×3, first 2 shown]
	s_orn2_b64 s[0:1], s[0:1], exec
.LBB40_793:
	s_or_b64 exec, exec, s[54:55]
	s_mov_b64 s[56:57], 0
	s_mov_b64 s[6:7], 0
	;; [unrolled: 1-line block ×3, first 2 shown]
                                        ; implicit-def: $vgpr3
                                        ; implicit-def: $vgpr4_vgpr5
                                        ; implicit-def: $vgpr2
                                        ; implicit-def: $vgpr0
                                        ; implicit-def: $vgpr1
	s_and_saveexec_b64 s[54:55], s[0:1]
	s_cbranch_execz .LBB40_1288
; %bb.794:
	v_cmp_gt_i32_e32 vcc, s70, v8
	s_mov_b64 s[64:65], -1
	s_mov_b64 s[0:1], s[48:49]
	s_mov_b64 s[2:3], s[50:51]
	;; [unrolled: 1-line block ×3, first 2 shown]
	s_and_saveexec_b64 s[56:57], vcc
	s_cbranch_execz .LBB40_1193
; %bb.795:
	s_andn2_b64 vcc, exec, s[24:25]
	s_cbranch_vccnz .LBB40_802
; %bb.796:
	s_andn2_b64 vcc, exec, s[38:39]
	v_mov_b32_e32 v2, 0
	s_waitcnt vmcnt(0)
	v_mov_b32_e32 v4, 0
	v_mov_b32_e32 v0, 0
	s_cbranch_vccnz .LBB40_801
; %bb.797:
	s_add_i32 s0, s69, 1
	s_and_b32 s2, s0, 30
	s_add_u32 s0, s20, 0xffffffec
	s_addc_u32 s1, s21, -1
	v_mov_b32_e32 v0, 0
	v_mov_b32_e32 v1, v8
	;; [unrolled: 1-line block ×4, first 2 shown]
.LBB40_798:                             ; =>This Inner Loop Header: Depth=1
	s_mov_b64 s[6:7], s[0:1]
	s_load_dwordx4 s[60:63], s[6:7], 0x18
	s_load_dwordx2 s[58:59], s[6:7], 0x28
	s_load_dwordx2 s[72:73], s[6:7], 0xe8
	s_load_dwordx4 s[64:67], s[6:7], 0xd8
	s_add_u32 s0, s6, 24
	s_waitcnt lgkmcnt(0)
	v_mul_hi_u32 v3, s61, v1
	v_add_u32_e32 v3, v1, v3
	v_lshrrev_b32_e32 v3, s62, v3
	v_mul_lo_u32 v5, v3, s60
	v_mul_hi_u32 v10, s58, v3
	v_sub_u32_e32 v1, v1, v5
	v_add_u32_e32 v5, v3, v10
	v_mul_lo_u32 v10, v1, s64
	v_mul_lo_u32 v11, v1, s65
	;; [unrolled: 1-line block ×3, first 2 shown]
	v_lshrrev_b32_e32 v1, s59, v5
	v_mul_lo_u32 v5, v1, s63
	v_sub_u32_e32 v3, v3, v5
	s_addc_u32 s1, s7, 0
	s_add_i32 s2, s2, -2
	v_mul_lo_u32 v5, v3, s67
	v_mul_lo_u32 v13, v3, s72
	;; [unrolled: 1-line block ×3, first 2 shown]
	s_cmp_eq_u32 s2, 0
	v_add3_u32 v0, v10, v0, v5
	v_add3_u32 v2, v12, v2, v3
	;; [unrolled: 1-line block ×3, first 2 shown]
	s_cbranch_scc0 .LBB40_798
; %bb.799:
	s_bitcmp1_b32 s69, 0
	s_cselect_b64 s[2:3], -1, 0
	s_and_b64 vcc, exec, s[2:3]
	s_cbranch_vccnz .LBB40_801
; %bb.800:
	s_load_dwordx2 s[2:3], s[0:1], 0x18
	s_load_dword s6, s[0:1], 0x20
	s_load_dword s7, s[0:1], 0xe0
	s_nop 0
	s_load_dwordx2 s[0:1], s[0:1], 0xd8
	s_waitcnt lgkmcnt(0)
	v_mul_hi_u32 v3, s3, v1
	v_add_u32_e32 v3, v1, v3
	v_lshrrev_b32_e32 v3, s6, v3
	v_mul_lo_u32 v3, v3, s2
	v_sub_u32_e32 v3, v1, v3
	v_mad_u64_u32 v[0:1], s[2:3], v3, s0, v[0:1]
	v_mad_u64_u32 v[4:5], s[0:1], v3, s1, v[4:5]
	;; [unrolled: 1-line block ×3, first 2 shown]
.LBB40_801:
	s_mov_b64 s[0:1], 0
	s_branch .LBB40_803
.LBB40_802:
	s_mov_b64 s[0:1], -1
                                        ; implicit-def: $vgpr2
                                        ; implicit-def: $vgpr4
                                        ; implicit-def: $vgpr0
.LBB40_803:
	s_andn2_b64 vcc, exec, s[0:1]
	s_cbranch_vccnz .LBB40_806
; %bb.804:
	s_waitcnt lgkmcnt(0)
	v_mul_hi_u32 v0, s17, v8
	v_add_u32_e32 v0, v8, v0
	s_waitcnt vmcnt(0)
	v_lshrrev_b32_e32 v1, s18, v0
	v_mul_lo_u32 v0, v1, s16
	v_sub_u32_e32 v3, v8, v0
	v_mul_lo_u32 v0, v3, s12
	v_mul_lo_u32 v2, v3, s14
	s_andn2_b64 vcc, exec, s[36:37]
	v_mul_lo_u32 v4, v3, s13
	s_cbranch_vccnz .LBB40_806
; %bb.805:
	v_mul_hi_u32 v3, s34, v1
	v_add_u32_e32 v3, v1, v3
	v_lshrrev_b32_e32 v3, s35, v3
	v_mul_lo_u32 v3, v3, s19
	v_sub_u32_e32 v3, v1, v3
	v_mad_u64_u32 v[0:1], s[0:1], v3, s15, v[0:1]
	v_mad_u64_u32 v[4:5], s[0:1], v3, s30, v[4:5]
	;; [unrolled: 1-line block ×3, first 2 shown]
.LBB40_806:
	s_waitcnt vmcnt(0) lgkmcnt(0)
	v_mov_b32_e32 v1, s11
	v_add_co_u32_e32 v4, vcc, s10, v4
	v_addc_co_u32_e32 v5, vcc, 0, v1, vcc
	v_mov_b32_e32 v1, 11
	v_cmp_lt_i16_sdwa s[0:1], v9, v1 src0_sel:BYTE_0 src1_sel:DWORD
	s_and_b64 vcc, exec, s[0:1]
	s_cbranch_vccnz .LBB40_813
; %bb.807:
	v_mov_b32_e32 v1, 25
	v_cmp_gt_i16_sdwa s[0:1], v9, v1 src0_sel:BYTE_0 src1_sel:DWORD
	s_and_b64 vcc, exec, s[0:1]
	s_cbranch_vccz .LBB40_815
; %bb.808:
	v_mov_b32_e32 v1, 28
	v_cmp_gt_i16_sdwa s[0:1], v9, v1 src0_sel:BYTE_0 src1_sel:DWORD
	s_and_b64 vcc, exec, s[0:1]
	s_cbranch_vccz .LBB40_816
	;; [unrolled: 5-line block ×4, first 2 shown]
; %bb.811:
	v_mov_b32_e32 v1, 46
	v_cmp_eq_u16_sdwa s[0:1], v9, v1 src0_sel:BYTE_0 src1_sel:DWORD
	s_mov_b64 s[2:3], 0
	s_and_b64 vcc, exec, s[0:1]
	s_cbranch_vccz .LBB40_821
; %bb.812:
	global_load_dword v1, v[4:5], off
	s_mov_b64 s[0:1], -1
	s_mov_b64 s[58:59], 0
	s_waitcnt vmcnt(0)
	v_lshlrev_b32_e32 v1, 16, v1
	s_branch .LBB40_822
.LBB40_813:
	s_mov_b64 s[2:3], -1
	s_mov_b64 s[0:1], 0
                                        ; implicit-def: $vgpr1
	s_mov_b64 s[58:59], s[48:49]
	s_branch .LBB40_887
.LBB40_814:
	s_mov_b64 s[0:1], 0
	s_branch .LBB40_550
.LBB40_815:
	s_mov_b64 s[2:3], -1
	s_mov_b64 s[0:1], 0
	s_mov_b64 s[58:59], s[48:49]
                                        ; implicit-def: $vgpr1
	s_branch .LBB40_851
.LBB40_816:
	s_mov_b64 s[2:3], -1
	s_mov_b64 s[0:1], 0
	s_mov_b64 s[58:59], s[48:49]
                                        ; implicit-def: $vgpr1
	s_branch .LBB40_832
.LBB40_817:
	s_mov_b64 s[2:3], -1
	s_mov_b64 s[0:1], 0
	s_mov_b64 s[58:59], s[48:49]
                                        ; implicit-def: $vgpr1
	s_branch .LBB40_827
.LBB40_818:
	s_mov_b64 s[2:3], -1
	s_mov_b64 s[0:1], 0
	s_mov_b64 s[58:59], s[48:49]
                                        ; implicit-def: $vgpr1
	s_branch .LBB40_822
.LBB40_819:
	s_or_saveexec_b64 s[58:59], s[58:59]
                                        ; implicit-def: $sgpr60
	s_xor_b64 exec, exec, s[58:59]
	s_cbranch_execz .LBB40_703
.LBB40_820:
	v_add_f32_e32 v4, 0x46000000, v5
	v_and_b32_e32 v4, 0xff, v4
	v_cmp_ne_u32_e32 vcc, 0, v4
	s_andn2_b64 s[56:57], s[56:57], exec
	s_and_b64 s[62:63], vcc, exec
	s_mov_b32 s60, 0
	s_or_b64 s[56:57], s[56:57], s[62:63]
	s_or_b64 exec, exec, s[58:59]
	v_mov_b32_e32 v10, s60
	s_and_saveexec_b64 s[58:59], s[56:57]
	s_cbranch_execnz .LBB40_704
	s_branch .LBB40_705
.LBB40_821:
	s_mov_b64 s[58:59], -1
                                        ; implicit-def: $vgpr1
	s_mov_b64 s[0:1], 0
.LBB40_822:
	s_and_b64 vcc, exec, s[2:3]
	s_cbranch_vccz .LBB40_826
; %bb.823:
	v_mov_b32_e32 v1, 44
	v_cmp_eq_u16_sdwa s[2:3], v9, v1 src0_sel:BYTE_0 src1_sel:DWORD
	s_and_b64 vcc, exec, s[2:3]
	s_cbranch_vccz .LBB40_825
; %bb.824:
	global_load_ubyte v1, v[4:5], off
	s_movk_i32 s2, 0xff
	v_mov_b32_e32 v3, 0x7f800001
	v_mov_b32_e32 v10, 0x400000
	s_mov_b64 s[0:1], -1
	s_mov_b64 s[58:59], 0
	s_waitcnt vmcnt(0)
	v_lshlrev_b32_e32 v11, 23, v1
	v_cmp_ne_u32_e32 vcc, s2, v1
	v_cndmask_b32_e32 v3, v3, v11, vcc
	v_cmp_ne_u32_e32 vcc, 0, v1
	v_cndmask_b32_e32 v1, v10, v3, vcc
	s_branch .LBB40_826
.LBB40_825:
	s_mov_b64 s[58:59], -1
                                        ; implicit-def: $vgpr1
.LBB40_826:
	s_mov_b64 s[2:3], 0
.LBB40_827:
	s_and_b64 vcc, exec, s[2:3]
	s_cbranch_vccz .LBB40_831
; %bb.828:
	v_mov_b32_e32 v1, 29
	v_cmp_eq_u16_sdwa s[2:3], v9, v1 src0_sel:BYTE_0 src1_sel:DWORD
	s_and_b64 vcc, exec, s[2:3]
	s_cbranch_vccz .LBB40_830
; %bb.829:
	global_load_dwordx2 v[10:11], v[4:5], off
	s_mov_b64 s[0:1], -1
	s_mov_b64 s[58:59], 0
	s_mov_b64 s[2:3], 0
	s_waitcnt vmcnt(0)
	v_ffbh_u32_e32 v1, v11
	v_min_u32_e32 v1, 32, v1
	v_lshlrev_b64 v[10:11], v1, v[10:11]
	v_min_u32_e32 v3, 1, v10
	v_or_b32_e32 v3, v11, v3
	v_cvt_f32_u32_e32 v3, v3
	v_sub_u32_e32 v1, 32, v1
	v_ldexp_f32 v1, v3, v1
	s_branch .LBB40_832
.LBB40_830:
	s_mov_b64 s[58:59], -1
                                        ; implicit-def: $vgpr1
.LBB40_831:
	s_mov_b64 s[2:3], 0
.LBB40_832:
	s_and_b64 vcc, exec, s[2:3]
	s_cbranch_vccz .LBB40_850
; %bb.833:
	v_mov_b32_e32 v1, 27
	v_cmp_lt_i16_sdwa s[0:1], v9, v1 src0_sel:BYTE_0 src1_sel:DWORD
	s_and_b64 vcc, exec, s[0:1]
	s_cbranch_vccnz .LBB40_836
; %bb.834:
	v_cmp_gt_i16_sdwa s[0:1], v9, v1 src0_sel:BYTE_0 src1_sel:DWORD
	s_and_b64 vcc, exec, s[0:1]
	s_cbranch_vccz .LBB40_837
; %bb.835:
	global_load_dword v1, v[4:5], off
	s_mov_b64 s[0:1], 0
	s_waitcnt vmcnt(0)
	v_cvt_f32_u32_e32 v1, v1
	s_branch .LBB40_838
.LBB40_836:
	s_mov_b64 s[0:1], -1
                                        ; implicit-def: $vgpr1
	s_branch .LBB40_841
.LBB40_837:
	s_mov_b64 s[0:1], -1
                                        ; implicit-def: $vgpr1
.LBB40_838:
	s_andn2_b64 vcc, exec, s[0:1]
	s_cbranch_vccnz .LBB40_840
; %bb.839:
	global_load_ushort v1, v[4:5], off
	s_waitcnt vmcnt(0)
	v_cvt_f32_u32_e32 v1, v1
.LBB40_840:
	s_mov_b64 s[0:1], 0
.LBB40_841:
	s_andn2_b64 vcc, exec, s[0:1]
	s_cbranch_vccnz .LBB40_849
; %bb.842:
	global_load_ubyte v3, v[4:5], off
	s_movk_i32 s0, 0x7f
                                        ; implicit-def: $sgpr60
	s_waitcnt vmcnt(0)
	v_cmp_lt_i16_e32 vcc, s0, v3
	s_mov_b64 s[0:1], 0
	s_and_saveexec_b64 s[2:3], vcc
	s_xor_b64 s[2:3], exec, s[2:3]
	s_cbranch_execz .LBB40_863
; %bb.843:
	s_movk_i32 s0, 0x80
	v_cmp_eq_u16_e32 vcc, s0, v3
	s_mov_b64 s[0:1], -1
                                        ; implicit-def: $sgpr60
	s_and_saveexec_b64 s[6:7], vcc
; %bb.844:
	s_mov_b32 s60, 0x7f800001
	s_xor_b64 s[0:1], exec, -1
; %bb.845:
	s_or_b64 exec, exec, s[6:7]
	s_and_b64 s[0:1], s[0:1], exec
	s_or_saveexec_b64 s[2:3], s[2:3]
	v_mov_b32_e32 v1, s60
	s_xor_b64 exec, exec, s[2:3]
	s_cbranch_execnz .LBB40_864
.LBB40_846:
	s_or_b64 exec, exec, s[2:3]
	s_and_saveexec_b64 s[2:3], s[0:1]
	s_cbranch_execz .LBB40_848
.LBB40_847:
	v_lshlrev_b32_e32 v1, 24, v3
	v_and_b32_e32 v3, 0xffff, v3
	v_and_b32_e32 v10, 7, v3
	v_ffbh_u32_e32 v12, v10
	v_min_u32_e32 v12, 32, v12
	v_subrev_u32_e32 v13, 28, v12
	v_bfe_u32 v11, v3, 3, 4
	v_lshlrev_b32_e32 v3, v13, v3
	v_sub_u32_e32 v12, 29, v12
	v_and_b32_e32 v3, 7, v3
	v_cmp_eq_u32_e32 vcc, 0, v11
	v_cndmask_b32_e32 v11, v11, v12, vcc
	v_cndmask_b32_e32 v3, v10, v3, vcc
	v_mov_b32_e32 v10, 0x3b800000
	v_lshlrev_b32_e32 v3, 20, v3
	v_and_b32_e32 v1, 0x80000000, v1
	v_lshl_add_u32 v10, v11, 23, v10
	v_or3_b32 v1, v1, v10, v3
.LBB40_848:
	s_or_b64 exec, exec, s[2:3]
.LBB40_849:
	s_mov_b64 s[0:1], -1
.LBB40_850:
	s_mov_b64 s[2:3], 0
.LBB40_851:
	s_and_b64 vcc, exec, s[2:3]
	s_cbranch_vccz .LBB40_886
; %bb.852:
	v_mov_b32_e32 v1, 22
	v_cmp_gt_i16_sdwa s[2:3], v9, v1 src0_sel:BYTE_0 src1_sel:DWORD
	s_and_b64 vcc, exec, s[2:3]
	s_cbranch_vccz .LBB40_862
; %bb.853:
	v_mov_b32_e32 v1, 24
	v_cmp_lt_i16_sdwa s[0:1], v9, v1 src0_sel:BYTE_0 src1_sel:DWORD
	s_and_b64 vcc, exec, s[0:1]
	s_cbranch_vccnz .LBB40_865
; %bb.854:
	v_cmp_gt_i16_sdwa s[0:1], v9, v1 src0_sel:BYTE_0 src1_sel:DWORD
	s_and_b64 vcc, exec, s[0:1]
	s_cbranch_vccz .LBB40_866
; %bb.855:
	global_load_ubyte v3, v[4:5], off
	s_movk_i32 s0, 0x7f
                                        ; implicit-def: $sgpr60
	s_waitcnt vmcnt(0)
	v_cmp_lt_i16_e32 vcc, s0, v3
	s_mov_b64 s[0:1], 0
	s_and_saveexec_b64 s[2:3], vcc
	s_xor_b64 s[2:3], exec, s[2:3]
	s_cbranch_execz .LBB40_878
; %bb.856:
	s_movk_i32 s0, 0x80
	v_cmp_eq_u16_e32 vcc, s0, v3
	s_mov_b64 s[0:1], -1
                                        ; implicit-def: $sgpr60
	s_and_saveexec_b64 s[6:7], vcc
; %bb.857:
	s_mov_b32 s60, 0x7f800001
	s_xor_b64 s[0:1], exec, -1
; %bb.858:
	s_or_b64 exec, exec, s[6:7]
	s_and_b64 s[0:1], s[0:1], exec
	s_or_saveexec_b64 s[2:3], s[2:3]
	v_mov_b32_e32 v1, s60
	s_xor_b64 exec, exec, s[2:3]
	s_cbranch_execnz .LBB40_879
.LBB40_859:
	s_or_b64 exec, exec, s[2:3]
	s_and_saveexec_b64 s[2:3], s[0:1]
	s_cbranch_execz .LBB40_861
.LBB40_860:
	v_lshlrev_b32_e32 v1, 24, v3
	v_and_b32_e32 v3, 0xffff, v3
	v_and_b32_e32 v10, 3, v3
	v_ffbh_u32_e32 v12, v10
	v_min_u32_e32 v12, 32, v12
	v_subrev_u32_e32 v13, 29, v12
	v_bfe_u32 v11, v3, 2, 5
	v_lshlrev_b32_e32 v3, v13, v3
	v_sub_u32_e32 v12, 30, v12
	v_and_b32_e32 v3, 3, v3
	v_cmp_eq_u32_e32 vcc, 0, v11
	v_cndmask_b32_e32 v11, v11, v12, vcc
	v_cndmask_b32_e32 v3, v10, v3, vcc
	v_mov_b32_e32 v10, 0x37800000
	v_lshlrev_b32_e32 v3, 21, v3
	v_and_b32_e32 v1, 0x80000000, v1
	v_lshl_add_u32 v10, v11, 23, v10
	v_or3_b32 v1, v1, v10, v3
.LBB40_861:
	s_or_b64 exec, exec, s[2:3]
	s_mov_b64 s[0:1], 0
	s_branch .LBB40_867
.LBB40_862:
	s_mov_b64 s[2:3], -1
                                        ; implicit-def: $vgpr1
	s_branch .LBB40_873
.LBB40_863:
	s_or_saveexec_b64 s[2:3], s[2:3]
	v_mov_b32_e32 v1, s60
	s_xor_b64 exec, exec, s[2:3]
	s_cbranch_execz .LBB40_846
.LBB40_864:
	v_cmp_ne_u16_e32 vcc, 0, v3
	s_andn2_b64 s[0:1], s[0:1], exec
	s_and_b64 s[6:7], vcc, exec
	v_mov_b32_e32 v1, 0
	s_or_b64 s[0:1], s[0:1], s[6:7]
	s_or_b64 exec, exec, s[2:3]
	s_and_saveexec_b64 s[2:3], s[0:1]
	s_cbranch_execnz .LBB40_847
	s_branch .LBB40_848
.LBB40_865:
	s_mov_b64 s[0:1], -1
                                        ; implicit-def: $vgpr1
	s_branch .LBB40_870
.LBB40_866:
	s_mov_b64 s[0:1], -1
                                        ; implicit-def: $vgpr1
.LBB40_867:
	s_and_b64 vcc, exec, s[0:1]
	s_cbranch_vccz .LBB40_869
; %bb.868:
	global_load_ubyte v1, v[4:5], off
	s_mov_b32 s0, 0x7f800000
	s_waitcnt vmcnt(0)
	v_lshlrev_b32_e32 v1, 24, v1
	v_and_b32_e32 v3, 0x7f000000, v1
	v_ffbh_u32_e32 v10, v3
	v_min_u32_e32 v10, 32, v10
	v_sub_u32_e64 v10, v10, 4 clamp
	v_lshlrev_b32_e32 v12, v10, v3
	v_lshlrev_b32_e32 v10, 23, v10
	v_lshrrev_b32_e32 v12, 4, v12
	v_add_u32_e32 v11, 0x1000000, v3
	v_sub_u32_e32 v10, v12, v10
	v_ashrrev_i32_e32 v11, 8, v11
	v_add_u32_e32 v10, 0x3c000000, v10
	v_and_or_b32 v10, v11, s0, v10
	v_cmp_ne_u32_e32 vcc, 0, v3
	v_cndmask_b32_e32 v3, 0, v10, vcc
	s_brev_b32 s0, 1
	v_and_or_b32 v1, v1, s0, v3
.LBB40_869:
	s_mov_b64 s[0:1], 0
.LBB40_870:
	s_andn2_b64 vcc, exec, s[0:1]
	s_cbranch_vccnz .LBB40_872
; %bb.871:
	global_load_ubyte v1, v[4:5], off
	s_movk_i32 s0, 0x7f00
	s_brev_b32 s1, 16
	s_waitcnt vmcnt(0)
	v_lshlrev_b16_e32 v3, 8, v1
	v_lshlrev_b32_e32 v1, 25, v1
	v_lshrrev_b32_e32 v10, 4, v1
	v_and_or_b32 v11, v3, s0, 0.5
	v_or_b32_e32 v10, 0x70000000, v10
	v_add_f32_e32 v11, -0.5, v11
	v_mul_f32_e32 v10, 0x7800000, v10
	v_cmp_gt_u32_e32 vcc, s1, v1
	v_bfe_i32 v3, v3, 0, 16
	v_cndmask_b32_e32 v1, v10, v11, vcc
	s_brev_b32 s0, 1
	v_and_or_b32 v1, v3, s0, v1
.LBB40_872:
	s_mov_b64 s[2:3], 0
	s_mov_b64 s[0:1], -1
.LBB40_873:
	s_andn2_b64 vcc, exec, s[2:3]
	s_cbranch_vccnz .LBB40_886
; %bb.874:
	v_mov_b32_e32 v1, 14
	v_cmp_gt_i16_sdwa s[2:3], v9, v1 src0_sel:BYTE_0 src1_sel:DWORD
	s_and_b64 vcc, exec, s[2:3]
	s_cbranch_vccz .LBB40_877
; %bb.875:
	v_mov_b32_e32 v1, 15
	v_cmp_eq_u16_sdwa s[2:3], v9, v1 src0_sel:BYTE_0 src1_sel:DWORD
	s_and_b64 vcc, exec, s[2:3]
	s_cbranch_vccz .LBB40_880
; %bb.876:
	global_load_ushort v1, v[4:5], off
	s_mov_b64 s[0:1], -1
	s_mov_b64 s[58:59], 0
	s_waitcnt vmcnt(0)
	v_lshlrev_b32_e32 v1, 16, v1
	s_branch .LBB40_881
.LBB40_877:
	s_mov_b64 s[2:3], -1
                                        ; implicit-def: $vgpr1
	s_branch .LBB40_882
.LBB40_878:
	s_or_saveexec_b64 s[2:3], s[2:3]
	v_mov_b32_e32 v1, s60
	s_xor_b64 exec, exec, s[2:3]
	s_cbranch_execz .LBB40_859
.LBB40_879:
	v_cmp_ne_u16_e32 vcc, 0, v3
	s_andn2_b64 s[0:1], s[0:1], exec
	s_and_b64 s[6:7], vcc, exec
	v_mov_b32_e32 v1, 0
	s_or_b64 s[0:1], s[0:1], s[6:7]
	s_or_b64 exec, exec, s[2:3]
	s_and_saveexec_b64 s[2:3], s[0:1]
	s_cbranch_execnz .LBB40_860
	s_branch .LBB40_861
.LBB40_880:
	s_mov_b64 s[58:59], -1
                                        ; implicit-def: $vgpr1
.LBB40_881:
	s_mov_b64 s[2:3], 0
.LBB40_882:
	s_and_b64 vcc, exec, s[2:3]
	s_cbranch_vccz .LBB40_886
; %bb.883:
	v_mov_b32_e32 v1, 11
	v_cmp_eq_u16_sdwa s[2:3], v9, v1 src0_sel:BYTE_0 src1_sel:DWORD
	s_and_b64 vcc, exec, s[2:3]
	s_cbranch_vccz .LBB40_885
; %bb.884:
	global_load_ubyte v1, v[4:5], off
	s_mov_b64 s[0:1], -1
	s_mov_b64 s[58:59], 0
	s_waitcnt vmcnt(0)
	v_cmp_ne_u16_e32 vcc, 0, v1
	v_cndmask_b32_e64 v1, 0, 1.0, vcc
	s_branch .LBB40_886
.LBB40_885:
	s_mov_b64 s[58:59], -1
                                        ; implicit-def: $vgpr1
.LBB40_886:
	s_mov_b64 s[2:3], 0
.LBB40_887:
	s_and_b64 vcc, exec, s[2:3]
	s_cbranch_vccz .LBB40_936
; %bb.888:
	v_mov_b32_e32 v1, 5
	v_cmp_lt_i16_sdwa s[0:1], v9, v1 src0_sel:BYTE_0 src1_sel:DWORD
	s_and_b64 vcc, exec, s[0:1]
	s_cbranch_vccnz .LBB40_893
; %bb.889:
	v_mov_b32_e32 v1, 8
	v_cmp_lt_i16_sdwa s[0:1], v9, v1 src0_sel:BYTE_0 src1_sel:DWORD
	s_and_b64 vcc, exec, s[0:1]
	s_cbranch_vccnz .LBB40_894
	;; [unrolled: 5-line block ×3, first 2 shown]
; %bb.891:
	v_cmp_gt_i16_sdwa s[0:1], v9, v1 src0_sel:BYTE_0 src1_sel:DWORD
	s_and_b64 vcc, exec, s[0:1]
	s_cbranch_vccz .LBB40_896
; %bb.892:
	global_load_dwordx2 v[10:11], v[4:5], off
	s_mov_b64 s[0:1], 0
	s_waitcnt vmcnt(0)
	v_cvt_f32_f64_e32 v1, v[10:11]
	s_branch .LBB40_897
.LBB40_893:
	s_mov_b64 s[0:1], -1
                                        ; implicit-def: $vgpr1
	s_branch .LBB40_915
.LBB40_894:
	s_mov_b64 s[0:1], -1
                                        ; implicit-def: $vgpr1
	s_branch .LBB40_903
.LBB40_895:
	s_mov_b64 s[0:1], -1
                                        ; implicit-def: $vgpr1
	s_branch .LBB40_900
.LBB40_896:
	s_mov_b64 s[0:1], -1
                                        ; implicit-def: $vgpr1
.LBB40_897:
	s_andn2_b64 vcc, exec, s[0:1]
	s_cbranch_vccnz .LBB40_899
; %bb.898:
	global_load_dword v1, v[4:5], off
.LBB40_899:
	s_mov_b64 s[0:1], 0
.LBB40_900:
	s_andn2_b64 vcc, exec, s[0:1]
	s_cbranch_vccnz .LBB40_902
; %bb.901:
	global_load_dword v1, v[4:5], off
	s_waitcnt vmcnt(0)
	v_cvt_f32_f16_e32 v1, v1
.LBB40_902:
	s_mov_b64 s[0:1], 0
.LBB40_903:
	s_andn2_b64 vcc, exec, s[0:1]
	s_cbranch_vccnz .LBB40_914
; %bb.904:
	s_waitcnt vmcnt(0)
	v_mov_b32_e32 v1, 6
	v_cmp_lt_i16_sdwa s[0:1], v9, v1 src0_sel:BYTE_0 src1_sel:DWORD
	s_and_b64 vcc, exec, s[0:1]
	s_cbranch_vccnz .LBB40_907
; %bb.905:
	v_cmp_gt_i16_sdwa s[0:1], v9, v1 src0_sel:BYTE_0 src1_sel:DWORD
	s_and_b64 vcc, exec, s[0:1]
	s_cbranch_vccz .LBB40_908
; %bb.906:
	global_load_dwordx2 v[10:11], v[4:5], off
	s_mov_b64 s[0:1], 0
	s_waitcnt vmcnt(0)
	v_cvt_f32_f64_e32 v1, v[10:11]
	s_branch .LBB40_909
.LBB40_907:
	s_mov_b64 s[0:1], -1
                                        ; implicit-def: $vgpr1
	s_branch .LBB40_912
.LBB40_908:
	s_mov_b64 s[0:1], -1
                                        ; implicit-def: $vgpr1
.LBB40_909:
	s_andn2_b64 vcc, exec, s[0:1]
	s_cbranch_vccnz .LBB40_911
; %bb.910:
	global_load_dword v1, v[4:5], off
.LBB40_911:
	s_mov_b64 s[0:1], 0
.LBB40_912:
	s_andn2_b64 vcc, exec, s[0:1]
	s_cbranch_vccnz .LBB40_914
; %bb.913:
	global_load_ushort v1, v[4:5], off
	s_waitcnt vmcnt(0)
	v_cvt_f32_f16_e32 v1, v1
.LBB40_914:
	s_mov_b64 s[0:1], 0
.LBB40_915:
	s_andn2_b64 vcc, exec, s[0:1]
	s_cbranch_vccnz .LBB40_935
; %bb.916:
	s_waitcnt vmcnt(0)
	v_mov_b32_e32 v1, 2
	v_cmp_lt_i16_sdwa s[0:1], v9, v1 src0_sel:BYTE_0 src1_sel:DWORD
	s_and_b64 vcc, exec, s[0:1]
	s_cbranch_vccnz .LBB40_920
; %bb.917:
	v_mov_b32_e32 v1, 3
	v_cmp_lt_i16_sdwa s[0:1], v9, v1 src0_sel:BYTE_0 src1_sel:DWORD
	s_and_b64 vcc, exec, s[0:1]
	s_cbranch_vccnz .LBB40_921
; %bb.918:
	v_cmp_gt_i16_sdwa s[0:1], v9, v1 src0_sel:BYTE_0 src1_sel:DWORD
	s_and_b64 vcc, exec, s[0:1]
	s_cbranch_vccz .LBB40_922
; %bb.919:
	global_load_dwordx2 v[10:11], v[4:5], off
	s_mov_b64 s[0:1], 0
	s_waitcnt vmcnt(0)
	v_xor_b32_e32 v3, v10, v11
	v_ffbh_i32_e32 v1, v11
	v_ashrrev_i32_e32 v3, 31, v3
	v_add_u32_e32 v1, -1, v1
	v_add_u32_e32 v3, 32, v3
	v_min_u32_e32 v1, v1, v3
	v_lshlrev_b64 v[10:11], v1, v[10:11]
	v_min_u32_e32 v3, 1, v10
	v_or_b32_e32 v3, v11, v3
	v_cvt_f32_i32_e32 v3, v3
	v_sub_u32_e32 v1, 32, v1
	v_ldexp_f32 v1, v3, v1
	s_branch .LBB40_923
.LBB40_920:
	s_mov_b64 s[0:1], -1
                                        ; implicit-def: $vgpr1
	s_branch .LBB40_929
.LBB40_921:
	s_mov_b64 s[0:1], -1
                                        ; implicit-def: $vgpr1
	s_branch .LBB40_926
.LBB40_922:
	s_mov_b64 s[0:1], -1
                                        ; implicit-def: $vgpr1
.LBB40_923:
	s_andn2_b64 vcc, exec, s[0:1]
	s_cbranch_vccnz .LBB40_925
; %bb.924:
	global_load_dword v1, v[4:5], off
	s_waitcnt vmcnt(0)
	v_cvt_f32_i32_e32 v1, v1
.LBB40_925:
	s_mov_b64 s[0:1], 0
.LBB40_926:
	s_andn2_b64 vcc, exec, s[0:1]
	s_cbranch_vccnz .LBB40_928
; %bb.927:
	global_load_sshort v1, v[4:5], off
	s_waitcnt vmcnt(0)
	v_cvt_f32_i32_e32 v1, v1
.LBB40_928:
	s_mov_b64 s[0:1], 0
.LBB40_929:
	s_andn2_b64 vcc, exec, s[0:1]
	s_cbranch_vccnz .LBB40_935
; %bb.930:
	v_mov_b32_e32 v1, 0
	v_cmp_gt_i16_sdwa s[0:1], v9, v1 src0_sel:BYTE_0 src1_sel:DWORD
	s_and_b64 vcc, exec, s[0:1]
	s_cbranch_vccz .LBB40_932
; %bb.931:
	global_load_sbyte v1, v[4:5], off
	s_mov_b64 s[0:1], 0
	s_waitcnt vmcnt(0)
	v_cvt_f32_i32_e32 v1, v1
	s_branch .LBB40_933
.LBB40_932:
	s_mov_b64 s[0:1], -1
                                        ; implicit-def: $vgpr1
.LBB40_933:
	s_andn2_b64 vcc, exec, s[0:1]
	s_cbranch_vccnz .LBB40_935
; %bb.934:
	global_load_ubyte v1, v[4:5], off
	s_waitcnt vmcnt(0)
	v_cvt_f32_ubyte0_e32 v1, v1
.LBB40_935:
	s_mov_b64 s[0:1], -1
.LBB40_936:
	s_andn2_b64 vcc, exec, s[0:1]
	s_cbranch_vccnz .LBB40_944
; %bb.937:
	v_mov_b32_e32 v3, s29
	v_add_co_u32_e32 v2, vcc, s28, v2
	v_mov_b32_e32 v4, 11
	v_addc_co_u32_e32 v3, vcc, 0, v3, vcc
	v_cmp_lt_i16_sdwa s[0:1], v7, v4 src0_sel:BYTE_0 src1_sel:DWORD
	s_and_b64 vcc, exec, s[0:1]
	s_cbranch_vccnz .LBB40_946
; %bb.938:
	v_mov_b32_e32 v4, 25
	v_cmp_gt_i16_sdwa s[0:1], v7, v4 src0_sel:BYTE_0 src1_sel:DWORD
	s_and_b64 vcc, exec, s[0:1]
	s_cbranch_vccz .LBB40_947
; %bb.939:
	v_mov_b32_e32 v4, 28
	v_cmp_gt_i16_sdwa s[0:1], v7, v4 src0_sel:BYTE_0 src1_sel:DWORD
	s_and_b64 vcc, exec, s[0:1]
	s_cbranch_vccz .LBB40_948
	;; [unrolled: 5-line block ×4, first 2 shown]
; %bb.942:
	v_mov_b32_e32 v4, 46
	v_cmp_eq_u16_sdwa s[0:1], v7, v4 src0_sel:BYTE_0 src1_sel:DWORD
	s_mov_b64 s[2:3], 0
	s_and_b64 vcc, exec, s[0:1]
	s_cbranch_vccz .LBB40_953
; %bb.943:
	global_load_dword v4, v[2:3], off
	s_mov_b64 s[0:1], -1
	s_mov_b64 s[60:61], 0
	s_waitcnt vmcnt(0)
	v_lshlrev_b32_e32 v4, 16, v4
	s_branch .LBB40_954
.LBB40_944:
	s_mov_b64 s[62:63], 0
	s_mov_b64 s[6:7], s[52:53]
	;; [unrolled: 1-line block ×3, first 2 shown]
.LBB40_945:
                                        ; implicit-def: $vgpr8
	s_branch .LBB40_1192
.LBB40_946:
	s_mov_b64 s[2:3], -1
	s_mov_b64 s[0:1], 0
                                        ; implicit-def: $vgpr4
	s_mov_b64 s[60:61], s[50:51]
	s_branch .LBB40_1019
.LBB40_947:
	s_mov_b64 s[2:3], -1
	s_mov_b64 s[0:1], 0
	s_mov_b64 s[60:61], s[50:51]
                                        ; implicit-def: $vgpr4
	s_branch .LBB40_983
.LBB40_948:
	s_mov_b64 s[2:3], -1
	s_mov_b64 s[0:1], 0
	s_mov_b64 s[60:61], s[50:51]
                                        ; implicit-def: $vgpr4
	s_branch .LBB40_964
.LBB40_949:
	s_mov_b64 s[2:3], -1
	s_mov_b64 s[0:1], 0
	s_mov_b64 s[60:61], s[50:51]
                                        ; implicit-def: $vgpr4
	s_branch .LBB40_959
.LBB40_950:
	s_mov_b64 s[2:3], -1
	s_mov_b64 s[0:1], 0
	s_mov_b64 s[60:61], s[50:51]
                                        ; implicit-def: $vgpr4
	s_branch .LBB40_954
.LBB40_951:
	s_or_saveexec_b64 s[58:59], s[58:59]
                                        ; implicit-def: $sgpr60
	s_xor_b64 exec, exec, s[58:59]
	s_cbranch_execz .LBB40_716
.LBB40_952:
	v_add_f32_e32 v4, 0x42800000, v5
	v_and_b32_e32 v4, 0xff, v4
	v_cmp_ne_u32_e32 vcc, 0, v4
	s_andn2_b64 s[56:57], s[56:57], exec
	s_and_b64 s[62:63], vcc, exec
	s_mov_b32 s60, 0
	s_or_b64 s[56:57], s[56:57], s[62:63]
	s_or_b64 exec, exec, s[58:59]
	v_mov_b32_e32 v10, s60
	s_and_saveexec_b64 s[58:59], s[56:57]
	s_cbranch_execnz .LBB40_717
	s_branch .LBB40_718
.LBB40_953:
	s_mov_b64 s[60:61], -1
                                        ; implicit-def: $vgpr4
	s_mov_b64 s[0:1], 0
.LBB40_954:
	s_and_b64 vcc, exec, s[2:3]
	s_cbranch_vccz .LBB40_958
; %bb.955:
	v_mov_b32_e32 v4, 44
	v_cmp_eq_u16_sdwa s[2:3], v7, v4 src0_sel:BYTE_0 src1_sel:DWORD
	s_and_b64 vcc, exec, s[2:3]
	s_cbranch_vccz .LBB40_957
; %bb.956:
	global_load_ubyte v4, v[2:3], off
	s_movk_i32 s2, 0xff
	v_mov_b32_e32 v5, 0x7f800001
	v_mov_b32_e32 v10, 0x400000
	s_mov_b64 s[0:1], -1
	s_mov_b64 s[60:61], 0
	s_waitcnt vmcnt(0)
	v_lshlrev_b32_e32 v11, 23, v4
	v_cmp_ne_u32_e32 vcc, s2, v4
	v_cndmask_b32_e32 v5, v5, v11, vcc
	v_cmp_ne_u32_e32 vcc, 0, v4
	v_cndmask_b32_e32 v4, v10, v5, vcc
	s_branch .LBB40_958
.LBB40_957:
	s_mov_b64 s[60:61], -1
                                        ; implicit-def: $vgpr4
.LBB40_958:
	s_mov_b64 s[2:3], 0
.LBB40_959:
	s_and_b64 vcc, exec, s[2:3]
	s_cbranch_vccz .LBB40_963
; %bb.960:
	v_mov_b32_e32 v4, 29
	v_cmp_eq_u16_sdwa s[2:3], v7, v4 src0_sel:BYTE_0 src1_sel:DWORD
	s_and_b64 vcc, exec, s[2:3]
	s_cbranch_vccz .LBB40_962
; %bb.961:
	global_load_dwordx2 v[4:5], v[2:3], off
	s_mov_b64 s[0:1], -1
	s_mov_b64 s[60:61], 0
	s_mov_b64 s[2:3], 0
	s_waitcnt vmcnt(0)
	v_ffbh_u32_e32 v10, v5
	v_min_u32_e32 v10, 32, v10
	v_lshlrev_b64 v[4:5], v10, v[4:5]
	v_min_u32_e32 v4, 1, v4
	v_or_b32_e32 v4, v5, v4
	v_cvt_f32_u32_e32 v4, v4
	v_sub_u32_e32 v5, 32, v10
	v_ldexp_f32 v4, v4, v5
	s_branch .LBB40_964
.LBB40_962:
	s_mov_b64 s[60:61], -1
                                        ; implicit-def: $vgpr4
.LBB40_963:
	s_mov_b64 s[2:3], 0
.LBB40_964:
	s_and_b64 vcc, exec, s[2:3]
	s_cbranch_vccz .LBB40_982
; %bb.965:
	v_mov_b32_e32 v4, 27
	v_cmp_lt_i16_sdwa s[0:1], v7, v4 src0_sel:BYTE_0 src1_sel:DWORD
	s_and_b64 vcc, exec, s[0:1]
	s_cbranch_vccnz .LBB40_968
; %bb.966:
	v_cmp_gt_i16_sdwa s[0:1], v7, v4 src0_sel:BYTE_0 src1_sel:DWORD
	s_and_b64 vcc, exec, s[0:1]
	s_cbranch_vccz .LBB40_969
; %bb.967:
	global_load_dword v4, v[2:3], off
	s_mov_b64 s[0:1], 0
	s_waitcnt vmcnt(0)
	v_cvt_f32_u32_e32 v4, v4
	s_branch .LBB40_970
.LBB40_968:
	s_mov_b64 s[0:1], -1
                                        ; implicit-def: $vgpr4
	s_branch .LBB40_973
.LBB40_969:
	s_mov_b64 s[0:1], -1
                                        ; implicit-def: $vgpr4
.LBB40_970:
	s_andn2_b64 vcc, exec, s[0:1]
	s_cbranch_vccnz .LBB40_972
; %bb.971:
	global_load_ushort v4, v[2:3], off
	s_waitcnt vmcnt(0)
	v_cvt_f32_u32_e32 v4, v4
.LBB40_972:
	s_mov_b64 s[0:1], 0
.LBB40_973:
	s_andn2_b64 vcc, exec, s[0:1]
	s_cbranch_vccnz .LBB40_981
; %bb.974:
	global_load_ubyte v5, v[2:3], off
	s_movk_i32 s0, 0x7f
                                        ; implicit-def: $sgpr62
	s_waitcnt vmcnt(0)
	v_cmp_lt_i16_e32 vcc, s0, v5
	s_mov_b64 s[0:1], 0
	s_and_saveexec_b64 s[2:3], vcc
	s_xor_b64 s[2:3], exec, s[2:3]
	s_cbranch_execz .LBB40_995
; %bb.975:
	s_movk_i32 s0, 0x80
	v_cmp_eq_u16_e32 vcc, s0, v5
	s_mov_b64 s[0:1], -1
                                        ; implicit-def: $sgpr62
	s_and_saveexec_b64 s[6:7], vcc
; %bb.976:
	s_mov_b32 s62, 0x7f800001
	s_xor_b64 s[0:1], exec, -1
; %bb.977:
	s_or_b64 exec, exec, s[6:7]
	s_and_b64 s[0:1], s[0:1], exec
	s_or_saveexec_b64 s[2:3], s[2:3]
	v_mov_b32_e32 v4, s62
	s_xor_b64 exec, exec, s[2:3]
	s_cbranch_execnz .LBB40_996
.LBB40_978:
	s_or_b64 exec, exec, s[2:3]
	s_and_saveexec_b64 s[2:3], s[0:1]
	s_cbranch_execz .LBB40_980
.LBB40_979:
	v_lshlrev_b32_e32 v4, 24, v5
	v_and_b32_e32 v5, 0xffff, v5
	v_and_b32_e32 v10, 7, v5
	v_ffbh_u32_e32 v12, v10
	v_min_u32_e32 v12, 32, v12
	v_subrev_u32_e32 v13, 28, v12
	v_bfe_u32 v11, v5, 3, 4
	v_lshlrev_b32_e32 v5, v13, v5
	v_sub_u32_e32 v12, 29, v12
	v_and_b32_e32 v5, 7, v5
	v_cmp_eq_u32_e32 vcc, 0, v11
	v_cndmask_b32_e32 v11, v11, v12, vcc
	v_cndmask_b32_e32 v5, v10, v5, vcc
	v_mov_b32_e32 v10, 0x3b800000
	v_lshlrev_b32_e32 v5, 20, v5
	v_and_b32_e32 v4, 0x80000000, v4
	v_lshl_add_u32 v10, v11, 23, v10
	v_or3_b32 v4, v4, v10, v5
.LBB40_980:
	s_or_b64 exec, exec, s[2:3]
.LBB40_981:
	s_mov_b64 s[0:1], -1
.LBB40_982:
	s_mov_b64 s[2:3], 0
.LBB40_983:
	s_and_b64 vcc, exec, s[2:3]
	s_cbranch_vccz .LBB40_1018
; %bb.984:
	v_mov_b32_e32 v4, 22
	v_cmp_gt_i16_sdwa s[2:3], v7, v4 src0_sel:BYTE_0 src1_sel:DWORD
	s_and_b64 vcc, exec, s[2:3]
	s_cbranch_vccz .LBB40_994
; %bb.985:
	v_mov_b32_e32 v4, 24
	v_cmp_lt_i16_sdwa s[0:1], v7, v4 src0_sel:BYTE_0 src1_sel:DWORD
	s_and_b64 vcc, exec, s[0:1]
	s_cbranch_vccnz .LBB40_997
; %bb.986:
	v_cmp_gt_i16_sdwa s[0:1], v7, v4 src0_sel:BYTE_0 src1_sel:DWORD
	s_and_b64 vcc, exec, s[0:1]
	s_cbranch_vccz .LBB40_998
; %bb.987:
	global_load_ubyte v5, v[2:3], off
	s_movk_i32 s0, 0x7f
                                        ; implicit-def: $sgpr62
	s_waitcnt vmcnt(0)
	v_cmp_lt_i16_e32 vcc, s0, v5
	s_mov_b64 s[0:1], 0
	s_and_saveexec_b64 s[2:3], vcc
	s_xor_b64 s[2:3], exec, s[2:3]
	s_cbranch_execz .LBB40_1010
; %bb.988:
	s_movk_i32 s0, 0x80
	v_cmp_eq_u16_e32 vcc, s0, v5
	s_mov_b64 s[0:1], -1
                                        ; implicit-def: $sgpr62
	s_and_saveexec_b64 s[6:7], vcc
; %bb.989:
	s_mov_b32 s62, 0x7f800001
	s_xor_b64 s[0:1], exec, -1
; %bb.990:
	s_or_b64 exec, exec, s[6:7]
	s_and_b64 s[0:1], s[0:1], exec
	s_or_saveexec_b64 s[2:3], s[2:3]
	v_mov_b32_e32 v4, s62
	s_xor_b64 exec, exec, s[2:3]
	s_cbranch_execnz .LBB40_1011
.LBB40_991:
	s_or_b64 exec, exec, s[2:3]
	s_and_saveexec_b64 s[2:3], s[0:1]
	s_cbranch_execz .LBB40_993
.LBB40_992:
	v_lshlrev_b32_e32 v4, 24, v5
	v_and_b32_e32 v5, 0xffff, v5
	v_and_b32_e32 v10, 3, v5
	v_ffbh_u32_e32 v12, v10
	v_min_u32_e32 v12, 32, v12
	v_subrev_u32_e32 v13, 29, v12
	v_bfe_u32 v11, v5, 2, 5
	v_lshlrev_b32_e32 v5, v13, v5
	v_sub_u32_e32 v12, 30, v12
	v_and_b32_e32 v5, 3, v5
	v_cmp_eq_u32_e32 vcc, 0, v11
	v_cndmask_b32_e32 v11, v11, v12, vcc
	v_cndmask_b32_e32 v5, v10, v5, vcc
	v_mov_b32_e32 v10, 0x37800000
	v_lshlrev_b32_e32 v5, 21, v5
	v_and_b32_e32 v4, 0x80000000, v4
	v_lshl_add_u32 v10, v11, 23, v10
	v_or3_b32 v4, v4, v10, v5
.LBB40_993:
	s_or_b64 exec, exec, s[2:3]
	s_mov_b64 s[0:1], 0
	s_branch .LBB40_999
.LBB40_994:
	s_mov_b64 s[2:3], -1
                                        ; implicit-def: $vgpr4
	s_branch .LBB40_1005
.LBB40_995:
	s_or_saveexec_b64 s[2:3], s[2:3]
	v_mov_b32_e32 v4, s62
	s_xor_b64 exec, exec, s[2:3]
	s_cbranch_execz .LBB40_978
.LBB40_996:
	v_cmp_ne_u16_e32 vcc, 0, v5
	s_andn2_b64 s[0:1], s[0:1], exec
	s_and_b64 s[6:7], vcc, exec
	v_mov_b32_e32 v4, 0
	s_or_b64 s[0:1], s[0:1], s[6:7]
	s_or_b64 exec, exec, s[2:3]
	s_and_saveexec_b64 s[2:3], s[0:1]
	s_cbranch_execnz .LBB40_979
	s_branch .LBB40_980
.LBB40_997:
	s_mov_b64 s[0:1], -1
                                        ; implicit-def: $vgpr4
	s_branch .LBB40_1002
.LBB40_998:
	s_mov_b64 s[0:1], -1
                                        ; implicit-def: $vgpr4
.LBB40_999:
	s_and_b64 vcc, exec, s[0:1]
	s_cbranch_vccz .LBB40_1001
; %bb.1000:
	global_load_ubyte v4, v[2:3], off
	s_mov_b32 s0, 0x7f800000
	s_waitcnt vmcnt(0)
	v_lshlrev_b32_e32 v4, 24, v4
	v_and_b32_e32 v5, 0x7f000000, v4
	v_ffbh_u32_e32 v10, v5
	v_min_u32_e32 v10, 32, v10
	v_sub_u32_e64 v10, v10, 4 clamp
	v_lshlrev_b32_e32 v12, v10, v5
	v_lshlrev_b32_e32 v10, 23, v10
	v_lshrrev_b32_e32 v12, 4, v12
	v_add_u32_e32 v11, 0x1000000, v5
	v_sub_u32_e32 v10, v12, v10
	v_ashrrev_i32_e32 v11, 8, v11
	v_add_u32_e32 v10, 0x3c000000, v10
	v_and_or_b32 v10, v11, s0, v10
	v_cmp_ne_u32_e32 vcc, 0, v5
	v_cndmask_b32_e32 v5, 0, v10, vcc
	s_brev_b32 s0, 1
	v_and_or_b32 v4, v4, s0, v5
.LBB40_1001:
	s_mov_b64 s[0:1], 0
.LBB40_1002:
	s_andn2_b64 vcc, exec, s[0:1]
	s_cbranch_vccnz .LBB40_1004
; %bb.1003:
	global_load_ubyte v4, v[2:3], off
	s_movk_i32 s0, 0x7f00
	s_brev_b32 s1, 16
	s_waitcnt vmcnt(0)
	v_lshlrev_b16_e32 v5, 8, v4
	v_lshlrev_b32_e32 v4, 25, v4
	v_lshrrev_b32_e32 v10, 4, v4
	v_and_or_b32 v11, v5, s0, 0.5
	v_or_b32_e32 v10, 0x70000000, v10
	v_add_f32_e32 v11, -0.5, v11
	v_mul_f32_e32 v10, 0x7800000, v10
	v_cmp_gt_u32_e32 vcc, s1, v4
	v_bfe_i32 v5, v5, 0, 16
	v_cndmask_b32_e32 v4, v10, v11, vcc
	s_brev_b32 s0, 1
	v_and_or_b32 v4, v5, s0, v4
.LBB40_1004:
	s_mov_b64 s[2:3], 0
	s_mov_b64 s[0:1], -1
.LBB40_1005:
	s_andn2_b64 vcc, exec, s[2:3]
	s_cbranch_vccnz .LBB40_1018
; %bb.1006:
	v_mov_b32_e32 v4, 14
	v_cmp_gt_i16_sdwa s[2:3], v7, v4 src0_sel:BYTE_0 src1_sel:DWORD
	s_and_b64 vcc, exec, s[2:3]
	s_cbranch_vccz .LBB40_1009
; %bb.1007:
	v_mov_b32_e32 v4, 15
	v_cmp_eq_u16_sdwa s[2:3], v7, v4 src0_sel:BYTE_0 src1_sel:DWORD
	s_and_b64 vcc, exec, s[2:3]
	s_cbranch_vccz .LBB40_1012
; %bb.1008:
	global_load_ushort v4, v[2:3], off
	s_mov_b64 s[0:1], -1
	s_mov_b64 s[60:61], 0
	s_waitcnt vmcnt(0)
	v_lshlrev_b32_e32 v4, 16, v4
	s_branch .LBB40_1013
.LBB40_1009:
	s_mov_b64 s[2:3], -1
                                        ; implicit-def: $vgpr4
	s_branch .LBB40_1014
.LBB40_1010:
	s_or_saveexec_b64 s[2:3], s[2:3]
	v_mov_b32_e32 v4, s62
	s_xor_b64 exec, exec, s[2:3]
	s_cbranch_execz .LBB40_991
.LBB40_1011:
	v_cmp_ne_u16_e32 vcc, 0, v5
	s_andn2_b64 s[0:1], s[0:1], exec
	s_and_b64 s[6:7], vcc, exec
	v_mov_b32_e32 v4, 0
	s_or_b64 s[0:1], s[0:1], s[6:7]
	s_or_b64 exec, exec, s[2:3]
	s_and_saveexec_b64 s[2:3], s[0:1]
	s_cbranch_execnz .LBB40_992
	s_branch .LBB40_993
.LBB40_1012:
	s_mov_b64 s[60:61], -1
                                        ; implicit-def: $vgpr4
.LBB40_1013:
	s_mov_b64 s[2:3], 0
.LBB40_1014:
	s_and_b64 vcc, exec, s[2:3]
	s_cbranch_vccz .LBB40_1018
; %bb.1015:
	v_mov_b32_e32 v4, 11
	v_cmp_eq_u16_sdwa s[2:3], v7, v4 src0_sel:BYTE_0 src1_sel:DWORD
	s_and_b64 vcc, exec, s[2:3]
	s_cbranch_vccz .LBB40_1017
; %bb.1016:
	global_load_ubyte v4, v[2:3], off
	s_mov_b64 s[0:1], -1
	s_mov_b64 s[60:61], 0
	s_waitcnt vmcnt(0)
	v_cmp_ne_u16_e32 vcc, 0, v4
	v_cndmask_b32_e64 v4, 0, 1.0, vcc
	s_branch .LBB40_1018
.LBB40_1017:
	s_mov_b64 s[60:61], -1
                                        ; implicit-def: $vgpr4
.LBB40_1018:
	s_mov_b64 s[2:3], 0
.LBB40_1019:
	s_and_b64 vcc, exec, s[2:3]
	s_cbranch_vccz .LBB40_1068
; %bb.1020:
	v_mov_b32_e32 v4, 5
	v_cmp_lt_i16_sdwa s[0:1], v7, v4 src0_sel:BYTE_0 src1_sel:DWORD
	s_and_b64 vcc, exec, s[0:1]
	s_cbranch_vccnz .LBB40_1025
; %bb.1021:
	v_mov_b32_e32 v4, 8
	v_cmp_lt_i16_sdwa s[0:1], v7, v4 src0_sel:BYTE_0 src1_sel:DWORD
	s_and_b64 vcc, exec, s[0:1]
	s_cbranch_vccnz .LBB40_1026
	;; [unrolled: 5-line block ×3, first 2 shown]
; %bb.1023:
	v_cmp_gt_i16_sdwa s[0:1], v7, v4 src0_sel:BYTE_0 src1_sel:DWORD
	s_and_b64 vcc, exec, s[0:1]
	s_cbranch_vccz .LBB40_1028
; %bb.1024:
	global_load_dwordx2 v[4:5], v[2:3], off
	s_mov_b64 s[0:1], 0
	s_waitcnt vmcnt(0)
	v_cvt_f32_f64_e32 v4, v[4:5]
	s_branch .LBB40_1029
.LBB40_1025:
	s_mov_b64 s[0:1], -1
                                        ; implicit-def: $vgpr4
	s_branch .LBB40_1047
.LBB40_1026:
	s_mov_b64 s[0:1], -1
                                        ; implicit-def: $vgpr4
	s_branch .LBB40_1035
.LBB40_1027:
	s_mov_b64 s[0:1], -1
                                        ; implicit-def: $vgpr4
	s_branch .LBB40_1032
.LBB40_1028:
	s_mov_b64 s[0:1], -1
                                        ; implicit-def: $vgpr4
.LBB40_1029:
	s_andn2_b64 vcc, exec, s[0:1]
	s_cbranch_vccnz .LBB40_1031
; %bb.1030:
	global_load_dword v4, v[2:3], off
.LBB40_1031:
	s_mov_b64 s[0:1], 0
.LBB40_1032:
	s_andn2_b64 vcc, exec, s[0:1]
	s_cbranch_vccnz .LBB40_1034
; %bb.1033:
	global_load_dword v4, v[2:3], off
	s_waitcnt vmcnt(0)
	v_cvt_f32_f16_e32 v4, v4
.LBB40_1034:
	s_mov_b64 s[0:1], 0
.LBB40_1035:
	s_andn2_b64 vcc, exec, s[0:1]
	s_cbranch_vccnz .LBB40_1046
; %bb.1036:
	s_waitcnt vmcnt(0)
	v_mov_b32_e32 v4, 6
	v_cmp_lt_i16_sdwa s[0:1], v7, v4 src0_sel:BYTE_0 src1_sel:DWORD
	s_and_b64 vcc, exec, s[0:1]
	s_cbranch_vccnz .LBB40_1039
; %bb.1037:
	v_cmp_gt_i16_sdwa s[0:1], v7, v4 src0_sel:BYTE_0 src1_sel:DWORD
	s_and_b64 vcc, exec, s[0:1]
	s_cbranch_vccz .LBB40_1040
; %bb.1038:
	global_load_dwordx2 v[4:5], v[2:3], off
	s_mov_b64 s[0:1], 0
	s_waitcnt vmcnt(0)
	v_cvt_f32_f64_e32 v4, v[4:5]
	s_branch .LBB40_1041
.LBB40_1039:
	s_mov_b64 s[0:1], -1
                                        ; implicit-def: $vgpr4
	s_branch .LBB40_1044
.LBB40_1040:
	s_mov_b64 s[0:1], -1
                                        ; implicit-def: $vgpr4
.LBB40_1041:
	s_andn2_b64 vcc, exec, s[0:1]
	s_cbranch_vccnz .LBB40_1043
; %bb.1042:
	global_load_dword v4, v[2:3], off
.LBB40_1043:
	s_mov_b64 s[0:1], 0
.LBB40_1044:
	s_andn2_b64 vcc, exec, s[0:1]
	s_cbranch_vccnz .LBB40_1046
; %bb.1045:
	global_load_ushort v4, v[2:3], off
	s_waitcnt vmcnt(0)
	v_cvt_f32_f16_e32 v4, v4
.LBB40_1046:
	s_mov_b64 s[0:1], 0
.LBB40_1047:
	s_andn2_b64 vcc, exec, s[0:1]
	s_cbranch_vccnz .LBB40_1067
; %bb.1048:
	s_waitcnt vmcnt(0)
	v_mov_b32_e32 v4, 2
	v_cmp_lt_i16_sdwa s[0:1], v7, v4 src0_sel:BYTE_0 src1_sel:DWORD
	s_and_b64 vcc, exec, s[0:1]
	s_cbranch_vccnz .LBB40_1052
; %bb.1049:
	v_mov_b32_e32 v4, 3
	v_cmp_lt_i16_sdwa s[0:1], v7, v4 src0_sel:BYTE_0 src1_sel:DWORD
	s_and_b64 vcc, exec, s[0:1]
	s_cbranch_vccnz .LBB40_1053
; %bb.1050:
	v_cmp_gt_i16_sdwa s[0:1], v7, v4 src0_sel:BYTE_0 src1_sel:DWORD
	s_and_b64 vcc, exec, s[0:1]
	s_cbranch_vccz .LBB40_1054
; %bb.1051:
	global_load_dwordx2 v[4:5], v[2:3], off
	s_mov_b64 s[0:1], 0
	s_waitcnt vmcnt(0)
	v_xor_b32_e32 v11, v4, v5
	v_ffbh_i32_e32 v10, v5
	v_ashrrev_i32_e32 v11, 31, v11
	v_add_u32_e32 v10, -1, v10
	v_add_u32_e32 v11, 32, v11
	v_min_u32_e32 v10, v10, v11
	v_lshlrev_b64 v[4:5], v10, v[4:5]
	v_min_u32_e32 v4, 1, v4
	v_or_b32_e32 v4, v5, v4
	v_cvt_f32_i32_e32 v4, v4
	v_sub_u32_e32 v5, 32, v10
	v_ldexp_f32 v4, v4, v5
	s_branch .LBB40_1055
.LBB40_1052:
	s_mov_b64 s[0:1], -1
                                        ; implicit-def: $vgpr4
	s_branch .LBB40_1061
.LBB40_1053:
	s_mov_b64 s[0:1], -1
                                        ; implicit-def: $vgpr4
	s_branch .LBB40_1058
.LBB40_1054:
	s_mov_b64 s[0:1], -1
                                        ; implicit-def: $vgpr4
.LBB40_1055:
	s_andn2_b64 vcc, exec, s[0:1]
	s_cbranch_vccnz .LBB40_1057
; %bb.1056:
	global_load_dword v4, v[2:3], off
	s_waitcnt vmcnt(0)
	v_cvt_f32_i32_e32 v4, v4
.LBB40_1057:
	s_mov_b64 s[0:1], 0
.LBB40_1058:
	s_andn2_b64 vcc, exec, s[0:1]
	s_cbranch_vccnz .LBB40_1060
; %bb.1059:
	global_load_sshort v4, v[2:3], off
	s_waitcnt vmcnt(0)
	v_cvt_f32_i32_e32 v4, v4
.LBB40_1060:
	s_mov_b64 s[0:1], 0
.LBB40_1061:
	s_andn2_b64 vcc, exec, s[0:1]
	s_cbranch_vccnz .LBB40_1067
; %bb.1062:
	v_mov_b32_e32 v4, 0
	v_cmp_gt_i16_sdwa s[0:1], v7, v4 src0_sel:BYTE_0 src1_sel:DWORD
	s_and_b64 vcc, exec, s[0:1]
	s_cbranch_vccz .LBB40_1064
; %bb.1063:
	global_load_sbyte v4, v[2:3], off
	s_mov_b64 s[0:1], 0
	s_waitcnt vmcnt(0)
	v_cvt_f32_i32_e32 v4, v4
	s_branch .LBB40_1065
.LBB40_1064:
	s_mov_b64 s[0:1], -1
                                        ; implicit-def: $vgpr4
.LBB40_1065:
	s_andn2_b64 vcc, exec, s[0:1]
	s_cbranch_vccnz .LBB40_1067
; %bb.1066:
	global_load_ubyte v2, v[2:3], off
	s_waitcnt vmcnt(0)
	v_cvt_f32_ubyte0_e32 v4, v2
.LBB40_1067:
	s_mov_b64 s[0:1], -1
.LBB40_1068:
	s_andn2_b64 vcc, exec, s[0:1]
	s_cbranch_vccnz .LBB40_1076
; %bb.1069:
	s_waitcnt vmcnt(0)
	v_div_scale_f32 v2, s[0:1], v4, v4, v1
	v_rcp_f32_e32 v3, v2
	v_div_scale_f32 v5, vcc, v1, v4, v1
	s_mov_b32 s0, 0x800000
	v_fma_f32 v10, -v2, v3, 1.0
	v_fmac_f32_e32 v3, v10, v3
	v_mul_f32_e32 v10, v5, v3
	v_fma_f32 v11, -v2, v10, v5
	v_fmac_f32_e32 v10, v11, v3
	v_fma_f32 v2, -v2, v10, v5
	v_div_fmas_f32 v2, v2, v3, v10
	v_div_fixup_f32 v3, v2, v4, v1
	v_mov_b32_e32 v1, 0x800000
	v_cmp_gt_f32_e64 s[0:1], s0, v3
	v_cndmask_b32_e64 v1, v3, v1, s[0:1]
	s_mov_b32 s2, 0x3f7ffffe
	v_mov_b32_e32 v2, 0x3f7ffffe
	v_cmp_lt_f32_e64 s[2:3], s2, v1
	v_cndmask_b32_e64 v2, v1, v2, s[2:3]
	v_mov_b32_e32 v1, s9
	v_add_co_u32_e32 v0, vcc, s8, v0
	v_mov_b32_e32 v4, 11
	v_addc_co_u32_e32 v1, vcc, 0, v1, vcc
	v_cmp_lt_i16_sdwa s[6:7], v6, v4 src0_sel:BYTE_0 src1_sel:DWORD
	s_and_b64 vcc, exec, s[6:7]
	s_cbranch_vccnz .LBB40_1077
; %bb.1070:
	v_mov_b32_e32 v4, 25
	v_cmp_gt_i16_sdwa s[6:7], v6, v4 src0_sel:BYTE_0 src1_sel:DWORD
	s_and_b64 vcc, exec, s[6:7]
	s_cbranch_vccz .LBB40_1078
; %bb.1071:
	v_mov_b32_e32 v4, 28
	v_cmp_gt_i16_sdwa s[6:7], v6, v4 src0_sel:BYTE_0 src1_sel:DWORD
	s_and_b64 vcc, exec, s[6:7]
	s_cbranch_vccz .LBB40_1079
	;; [unrolled: 5-line block ×4, first 2 shown]
; %bb.1074:
	v_mov_b32_e32 v4, 46
	v_cmp_eq_u16_sdwa s[62:63], v6, v4 src0_sel:BYTE_0 src1_sel:DWORD
	s_mov_b64 s[64:65], 0
	s_mov_b64 s[6:7], -1
	s_and_b64 vcc, exec, s[62:63]
	s_mov_b64 s[62:63], 0
	s_cbranch_vccz .LBB40_1082
; %bb.1075:
	v_bfe_u32 v4, v2, 16, 1
	s_movk_i32 s6, 0x7fff
	v_add3_u32 v4, v2, v4, s6
	v_lshrrev_b32_e32 v4, 16, v4
	v_mov_b32_e32 v5, 0x7fc0
	v_cmp_o_f32_e32 vcc, v2, v2
	v_cndmask_b32_e32 v4, v5, v4, vcc
	global_store_dword v[0:1], v4, off
	s_mov_b64 s[62:63], -1
	s_mov_b64 s[6:7], 0
	s_branch .LBB40_1082
.LBB40_1076:
	s_mov_b64 s[62:63], 0
                                        ; implicit-def: $vgpr8
	s_mov_b64 s[6:7], s[52:53]
	s_branch .LBB40_1192
.LBB40_1077:
	s_mov_b64 s[0:1], -1
	s_mov_b64 s[62:63], 0
	s_mov_b64 s[6:7], s[52:53]
	s_branch .LBB40_1151
.LBB40_1078:
	s_mov_b64 s[64:65], -1
	s_mov_b64 s[62:63], 0
	s_mov_b64 s[6:7], s[52:53]
	s_branch .LBB40_1109
.LBB40_1079:
	s_mov_b64 s[64:65], -1
	s_mov_b64 s[62:63], 0
	s_mov_b64 s[6:7], s[52:53]
	s_branch .LBB40_1092
.LBB40_1080:
	s_mov_b64 s[64:65], -1
	s_mov_b64 s[62:63], 0
	s_mov_b64 s[6:7], s[52:53]
	s_branch .LBB40_1088
.LBB40_1081:
	s_mov_b64 s[64:65], -1
	s_mov_b64 s[62:63], 0
	s_mov_b64 s[6:7], s[52:53]
.LBB40_1082:
	s_and_b64 vcc, exec, s[64:65]
	s_cbranch_vccz .LBB40_1087
; %bb.1083:
	v_mov_b32_e32 v4, 44
	v_cmp_eq_u16_sdwa s[64:65], v6, v4 src0_sel:BYTE_0 src1_sel:DWORD
	s_mov_b64 s[6:7], -1
	s_and_b64 vcc, exec, s[64:65]
	s_cbranch_vccz .LBB40_1087
; %bb.1084:
	v_bfe_u32 v4, v2, 23, 8
	s_movk_i32 s6, 0xff
	v_cmp_ne_u32_e32 vcc, s6, v4
	v_mov_b32_e32 v5, 0xff
	s_and_saveexec_b64 s[62:63], vcc
; %bb.1085:
	s_mov_b32 s6, 0x3fffff
	v_and_b32_e32 v10, 0x400000, v2
	v_and_or_b32 v4, v2, s6, v4
	v_cmp_ne_u32_e32 vcc, 0, v10
	v_cmp_ne_u32_e64 s[6:7], 0, v4
	s_and_b64 s[6:7], vcc, s[6:7]
	v_lshrrev_b32_e32 v5, 23, v2
	v_cndmask_b32_e64 v4, 0, 1, s[6:7]
	v_add_u32_e32 v5, v5, v4
; %bb.1086:
	s_or_b64 exec, exec, s[62:63]
	s_mov_b64 s[62:63], -1
	s_mov_b64 s[6:7], 0
	global_store_byte v[0:1], v5, off
.LBB40_1087:
	s_mov_b64 s[64:65], 0
.LBB40_1088:
	s_and_b64 vcc, exec, s[64:65]
	s_cbranch_vccz .LBB40_1091
; %bb.1089:
	v_mov_b32_e32 v4, 29
	v_cmp_eq_u16_sdwa s[64:65], v6, v4 src0_sel:BYTE_0 src1_sel:DWORD
	s_mov_b64 s[6:7], -1
	s_and_b64 vcc, exec, s[64:65]
	s_cbranch_vccz .LBB40_1091
; %bb.1090:
	v_trunc_f32_e32 v4, v2
	v_mul_f32_e32 v5, 0x2f800000, v4
	v_floor_f32_e32 v10, v5
	v_fmac_f32_e32 v4, 0xcf800000, v10
	v_cvt_u32_f32_e32 v5, v10
	v_cvt_u32_f32_e32 v4, v4
	s_mov_b64 s[62:63], -1
	s_mov_b64 s[6:7], 0
	s_mov_b64 s[64:65], 0
	global_store_dwordx2 v[0:1], v[4:5], off
	s_branch .LBB40_1092
.LBB40_1091:
	s_mov_b64 s[64:65], 0
.LBB40_1092:
	s_and_b64 vcc, exec, s[64:65]
	s_cbranch_vccz .LBB40_1108
; %bb.1093:
	v_mov_b32_e32 v4, 27
	v_cmp_lt_i16_sdwa s[64:65], v6, v4 src0_sel:BYTE_0 src1_sel:DWORD
	s_mov_b64 s[62:63], -1
	s_and_b64 vcc, exec, s[64:65]
	s_cbranch_vccnz .LBB40_1099
; %bb.1094:
	v_cmp_gt_i16_sdwa s[64:65], v6, v4 src0_sel:BYTE_0 src1_sel:DWORD
	s_and_b64 vcc, exec, s[64:65]
	s_cbranch_vccz .LBB40_1096
; %bb.1095:
	v_cvt_u32_f32_e32 v4, v2
	s_mov_b64 s[62:63], 0
	global_store_dword v[0:1], v4, off
.LBB40_1096:
	s_andn2_b64 vcc, exec, s[62:63]
	s_cbranch_vccnz .LBB40_1098
; %bb.1097:
	v_cvt_u32_f32_e32 v4, v2
	global_store_short v[0:1], v4, off
.LBB40_1098:
	s_mov_b64 s[62:63], 0
.LBB40_1099:
	s_andn2_b64 vcc, exec, s[62:63]
	s_cbranch_vccnz .LBB40_1107
; %bb.1100:
	v_mov_b32_e32 v4, 0x800000
	v_cndmask_b32_e64 v4, |v3|, v4, s[0:1]
	v_mov_b32_e32 v5, 0x3f7ffffe
	v_cndmask_b32_e64 v5, v4, v5, s[2:3]
	s_mov_b32 s62, 0x43800000
	v_cmp_gt_u32_e32 vcc, s62, v5
	v_mov_b32_e32 v10, 0x80
	s_and_saveexec_b64 s[62:63], vcc
	s_cbranch_execz .LBB40_1106
; %bb.1101:
	s_mov_b32 s64, 0x3bffffff
	v_cmp_lt_u32_e32 vcc, s64, v5
	s_mov_b64 s[64:65], 0
                                        ; implicit-def: $vgpr4
	s_and_saveexec_b64 s[66:67], vcc
	s_xor_b64 s[66:67], exec, s[66:67]
	s_cbranch_execz .LBB40_1219
; %bb.1102:
	v_bfe_u32 v4, v2, 20, 1
	s_mov_b32 s71, 0x487ffff
	v_add3_u32 v4, v2, v4, s71
	s_mov_b64 s[64:65], exec
	v_lshrrev_b32_e32 v4, 20, v4
                                        ; implicit-def: $vgpr5
	s_or_saveexec_b64 s[66:67], s[66:67]
                                        ; implicit-def: $sgpr71
	s_xor_b64 exec, exec, s[66:67]
	s_cbranch_execnz .LBB40_1220
.LBB40_1103:
	s_or_b64 exec, exec, s[66:67]
	v_mov_b32_e32 v10, s71
	s_and_saveexec_b64 s[66:67], s[64:65]
.LBB40_1104:
	v_lshrrev_b32_e32 v5, 24, v2
	s_movk_i32 s64, 0x80
	v_and_or_b32 v10, v5, s64, v4
.LBB40_1105:
	s_or_b64 exec, exec, s[66:67]
.LBB40_1106:
	s_or_b64 exec, exec, s[62:63]
	global_store_byte v[0:1], v10, off
.LBB40_1107:
	s_mov_b64 s[62:63], -1
.LBB40_1108:
	s_mov_b64 s[64:65], 0
.LBB40_1109:
	s_and_b64 vcc, exec, s[64:65]
	s_cbranch_vccz .LBB40_1150
; %bb.1110:
	v_mov_b32_e32 v4, 22
	v_cmp_gt_i16_sdwa s[66:67], v6, v4 src0_sel:BYTE_0 src1_sel:DWORD
	s_mov_b64 s[64:65], -1
	s_and_b64 vcc, exec, s[66:67]
	s_cbranch_vccz .LBB40_1142
; %bb.1111:
	v_mov_b32_e32 v4, 24
	v_cmp_lt_i16_sdwa s[64:65], v6, v4 src0_sel:BYTE_0 src1_sel:DWORD
	s_mov_b64 s[62:63], -1
	s_and_b64 vcc, exec, s[64:65]
	s_cbranch_vccnz .LBB40_1131
; %bb.1112:
	v_cmp_gt_i16_sdwa s[64:65], v6, v4 src0_sel:BYTE_0 src1_sel:DWORD
	s_and_b64 vcc, exec, s[64:65]
	s_cbranch_vccz .LBB40_1120
; %bb.1113:
	v_mov_b32_e32 v4, 0x800000
	v_cndmask_b32_e64 v4, |v3|, v4, s[0:1]
	v_mov_b32_e32 v5, 0x3f7ffffe
	v_cndmask_b32_e64 v5, v4, v5, s[2:3]
	s_mov_b32 s62, 0x47800000
	v_cmp_gt_u32_e32 vcc, s62, v5
	v_mov_b32_e32 v10, 0x80
	s_and_saveexec_b64 s[62:63], vcc
	s_cbranch_execz .LBB40_1119
; %bb.1114:
	s_mov_b32 s64, 0x37ffffff
	v_cmp_lt_u32_e32 vcc, s64, v5
	s_mov_b64 s[64:65], 0
                                        ; implicit-def: $vgpr4
	s_and_saveexec_b64 s[66:67], vcc
	s_xor_b64 s[66:67], exec, s[66:67]
	s_cbranch_execz .LBB40_2281
; %bb.1115:
	v_bfe_u32 v4, v2, 21, 1
	s_mov_b32 s71, 0x88fffff
	v_add3_u32 v4, v2, v4, s71
	s_mov_b64 s[64:65], exec
	v_lshrrev_b32_e32 v4, 21, v4
                                        ; implicit-def: $vgpr5
	s_or_saveexec_b64 s[66:67], s[66:67]
                                        ; implicit-def: $sgpr71
	s_xor_b64 exec, exec, s[66:67]
	s_cbranch_execnz .LBB40_2282
.LBB40_1116:
	s_or_b64 exec, exec, s[66:67]
	v_mov_b32_e32 v10, s71
	s_and_saveexec_b64 s[66:67], s[64:65]
.LBB40_1117:
	v_lshrrev_b32_e32 v5, 24, v2
	s_movk_i32 s64, 0x80
	v_and_or_b32 v10, v5, s64, v4
.LBB40_1118:
	s_or_b64 exec, exec, s[66:67]
.LBB40_1119:
	s_or_b64 exec, exec, s[62:63]
	s_mov_b64 s[62:63], 0
	global_store_byte v[0:1], v10, off
.LBB40_1120:
	s_and_b64 vcc, exec, s[62:63]
	s_cbranch_vccz .LBB40_1130
; %bb.1121:
	v_mov_b32_e32 v4, 0x800000
	v_cndmask_b32_e64 v4, |v3|, v4, s[0:1]
	v_mov_b32_e32 v5, 0x3f7ffffe
	v_cndmask_b32_e64 v5, v4, v5, s[2:3]
	s_mov_b32 s62, 0x43f00000
	v_cmp_gt_u32_e32 vcc, s62, v5
                                        ; implicit-def: $vgpr4
	s_and_saveexec_b64 s[62:63], vcc
	s_xor_b64 s[62:63], exec, s[62:63]
	s_cbranch_execz .LBB40_1127
; %bb.1122:
	s_mov_b32 s64, 0x3c7fffff
	v_cmp_lt_u32_e32 vcc, s64, v5
                                        ; implicit-def: $vgpr4
	s_and_saveexec_b64 s[64:65], vcc
	s_xor_b64 s[64:65], exec, s[64:65]
; %bb.1123:
	v_bfe_u32 v4, v2, 20, 1
	s_mov_b32 s66, 0x407ffff
	v_add3_u32 v4, v2, v4, s66
	v_lshrrev_b32_e32 v5, 20, v4
	v_and_b32_e32 v4, 0xff00000, v4
	s_mov_b32 s66, 0x7f00000
	v_mov_b32_e32 v10, 0x7e
	v_cmp_ne_u32_e32 vcc, s66, v4
	v_cndmask_b32_e32 v4, v10, v5, vcc
                                        ; implicit-def: $vgpr5
; %bb.1124:
	s_andn2_saveexec_b64 s[64:65], s[64:65]
; %bb.1125:
	v_add_f32_e32 v4, 0x46800000, v5
; %bb.1126:
	s_or_b64 exec, exec, s[64:65]
                                        ; implicit-def: $vgpr5
.LBB40_1127:
	s_andn2_saveexec_b64 s[62:63], s[62:63]
; %bb.1128:
	s_mov_b32 s64, 0x7f800000
	v_mov_b32_e32 v4, 0x7e
	v_mov_b32_e32 v10, 0x7f
	v_cmp_lt_u32_e32 vcc, s64, v5
	v_cndmask_b32_e32 v4, v4, v10, vcc
; %bb.1129:
	s_or_b64 exec, exec, s[62:63]
	v_lshrrev_b32_e32 v5, 24, v2
	s_movk_i32 s62, 0x80
	v_and_or_b32 v4, v5, s62, v4
	global_store_byte v[0:1], v4, off
.LBB40_1130:
	s_mov_b64 s[62:63], 0
.LBB40_1131:
	s_andn2_b64 vcc, exec, s[62:63]
	s_cbranch_vccnz .LBB40_1141
; %bb.1132:
	v_mov_b32_e32 v4, 0x800000
	v_cndmask_b32_e64 v3, |v3|, v4, s[0:1]
	v_mov_b32_e32 v4, 0x3f7ffffe
	v_cndmask_b32_e64 v4, v3, v4, s[2:3]
	s_mov_b32 s0, 0x47800000
	v_cmp_gt_u32_e32 vcc, s0, v4
                                        ; implicit-def: $vgpr3
	s_and_saveexec_b64 s[0:1], vcc
	s_xor_b64 s[0:1], exec, s[0:1]
	s_cbranch_execz .LBB40_1138
; %bb.1133:
	s_mov_b32 s2, 0x387fffff
	v_cmp_lt_u32_e32 vcc, s2, v4
                                        ; implicit-def: $vgpr3
	s_and_saveexec_b64 s[2:3], vcc
	s_xor_b64 s[2:3], exec, s[2:3]
; %bb.1134:
	v_bfe_u32 v3, v2, 21, 1
	s_mov_b32 s62, 0x80fffff
	v_add3_u32 v3, v2, v3, s62
	v_lshrrev_b32_e32 v3, 21, v3
                                        ; implicit-def: $vgpr4
; %bb.1135:
	s_andn2_saveexec_b64 s[2:3], s[2:3]
; %bb.1136:
	v_add_f32_e32 v3, 0x43000000, v4
; %bb.1137:
	s_or_b64 exec, exec, s[2:3]
                                        ; implicit-def: $vgpr4
.LBB40_1138:
	s_andn2_saveexec_b64 s[0:1], s[0:1]
; %bb.1139:
	s_mov_b32 s2, 0x7f800000
	v_mov_b32_e32 v3, 0x7c
	v_mov_b32_e32 v5, 0x7f
	v_cmp_lt_u32_e32 vcc, s2, v4
	v_cndmask_b32_e32 v3, v3, v5, vcc
; %bb.1140:
	s_or_b64 exec, exec, s[0:1]
	v_lshrrev_b32_e32 v4, 24, v2
	s_movk_i32 s0, 0x80
	v_and_or_b32 v3, v4, s0, v3
	global_store_byte v[0:1], v3, off
.LBB40_1141:
	s_mov_b64 s[64:65], 0
	s_mov_b64 s[62:63], -1
.LBB40_1142:
	s_andn2_b64 vcc, exec, s[64:65]
	s_cbranch_vccnz .LBB40_1150
; %bb.1143:
	v_mov_b32_e32 v3, 14
	v_cmp_gt_i16_sdwa s[2:3], v6, v3 src0_sel:BYTE_0 src1_sel:DWORD
	s_mov_b64 s[0:1], -1
	s_and_b64 vcc, exec, s[2:3]
	s_cbranch_vccz .LBB40_1147
; %bb.1144:
	v_mov_b32_e32 v3, 15
	v_cmp_eq_u16_sdwa s[0:1], v6, v3 src0_sel:BYTE_0 src1_sel:DWORD
	s_mov_b64 s[6:7], -1
	s_and_b64 vcc, exec, s[0:1]
	s_cbranch_vccz .LBB40_1146
; %bb.1145:
	v_bfe_u32 v3, v2, 16, 1
	s_movk_i32 s0, 0x7fff
	v_add3_u32 v3, v2, v3, s0
	v_lshrrev_b32_e32 v3, 16, v3
	v_mov_b32_e32 v4, 0x7fc0
	v_cmp_o_f32_e32 vcc, v2, v2
	v_cndmask_b32_e32 v3, v4, v3, vcc
	global_store_short v[0:1], v3, off
	s_mov_b64 s[62:63], -1
	s_mov_b64 s[6:7], 0
.LBB40_1146:
	s_mov_b64 s[0:1], 0
.LBB40_1147:
	s_and_b64 vcc, exec, s[0:1]
	s_cbranch_vccz .LBB40_1150
; %bb.1148:
	v_mov_b32_e32 v3, 11
	v_cmp_eq_u16_sdwa s[0:1], v6, v3 src0_sel:BYTE_0 src1_sel:DWORD
	s_mov_b64 s[6:7], -1
	s_and_b64 vcc, exec, s[0:1]
	s_cbranch_vccz .LBB40_1150
; %bb.1149:
	v_mov_b32_e32 v3, 1
	s_mov_b64 s[62:63], -1
	s_mov_b64 s[6:7], 0
	global_store_byte v[0:1], v3, off
.LBB40_1150:
	s_mov_b64 s[0:1], 0
.LBB40_1151:
	s_and_b64 vcc, exec, s[0:1]
	s_cbranch_vccz .LBB40_1190
; %bb.1152:
	v_mov_b32_e32 v3, 5
	v_cmp_lt_i16_sdwa s[2:3], v6, v3 src0_sel:BYTE_0 src1_sel:DWORD
	s_mov_b64 s[0:1], -1
	s_and_b64 vcc, exec, s[2:3]
	s_cbranch_vccnz .LBB40_1173
; %bb.1153:
	v_mov_b32_e32 v3, 8
	v_cmp_lt_i16_sdwa s[2:3], v6, v3 src0_sel:BYTE_0 src1_sel:DWORD
	s_and_b64 vcc, exec, s[2:3]
	s_cbranch_vccnz .LBB40_1163
; %bb.1154:
	v_mov_b32_e32 v3, 9
	v_cmp_lt_i16_sdwa s[2:3], v6, v3 src0_sel:BYTE_0 src1_sel:DWORD
	s_and_b64 vcc, exec, s[2:3]
	s_cbranch_vccnz .LBB40_1160
; %bb.1155:
	v_cmp_gt_i16_sdwa s[2:3], v6, v3 src0_sel:BYTE_0 src1_sel:DWORD
	s_and_b64 vcc, exec, s[2:3]
	s_cbranch_vccz .LBB40_1157
; %bb.1156:
	v_mov_b32_e32 v12, 0
	v_cvt_f64_f32_e32 v[10:11], v2
	v_mov_b32_e32 v13, v12
	s_mov_b64 s[0:1], 0
	global_store_dwordx4 v[0:1], v[10:13], off
.LBB40_1157:
	s_andn2_b64 vcc, exec, s[0:1]
	s_cbranch_vccnz .LBB40_1159
; %bb.1158:
	v_mov_b32_e32 v3, 0
	global_store_dwordx2 v[0:1], v[2:3], off
.LBB40_1159:
	s_mov_b64 s[0:1], 0
.LBB40_1160:
	s_andn2_b64 vcc, exec, s[0:1]
	s_cbranch_vccnz .LBB40_1162
; %bb.1161:
	v_cvt_f16_f32_e32 v3, v2
	global_store_dword v[0:1], v3, off
.LBB40_1162:
	s_mov_b64 s[0:1], 0
.LBB40_1163:
	s_andn2_b64 vcc, exec, s[0:1]
	s_cbranch_vccnz .LBB40_1172
; %bb.1164:
	v_mov_b32_e32 v3, 6
	v_cmp_lt_i16_sdwa s[2:3], v6, v3 src0_sel:BYTE_0 src1_sel:DWORD
	s_mov_b64 s[0:1], -1
	s_and_b64 vcc, exec, s[2:3]
	s_cbranch_vccnz .LBB40_1170
; %bb.1165:
	v_cmp_gt_i16_sdwa s[2:3], v6, v3 src0_sel:BYTE_0 src1_sel:DWORD
	s_and_b64 vcc, exec, s[2:3]
	s_cbranch_vccz .LBB40_1167
; %bb.1166:
	v_cvt_f64_f32_e32 v[4:5], v2
	s_mov_b64 s[0:1], 0
	global_store_dwordx2 v[0:1], v[4:5], off
.LBB40_1167:
	s_andn2_b64 vcc, exec, s[0:1]
	s_cbranch_vccnz .LBB40_1169
; %bb.1168:
	global_store_dword v[0:1], v2, off
.LBB40_1169:
	s_mov_b64 s[0:1], 0
.LBB40_1170:
	s_andn2_b64 vcc, exec, s[0:1]
	s_cbranch_vccnz .LBB40_1172
; %bb.1171:
	v_cvt_f16_f32_e32 v3, v2
	global_store_short v[0:1], v3, off
.LBB40_1172:
	s_mov_b64 s[0:1], 0
.LBB40_1173:
	s_andn2_b64 vcc, exec, s[0:1]
	s_cbranch_vccnz .LBB40_1189
; %bb.1174:
	v_mov_b32_e32 v3, 2
	v_cmp_lt_i16_sdwa s[2:3], v6, v3 src0_sel:BYTE_0 src1_sel:DWORD
	s_mov_b64 s[0:1], -1
	s_and_b64 vcc, exec, s[2:3]
	s_cbranch_vccnz .LBB40_1184
; %bb.1175:
	v_mov_b32_e32 v3, 3
	v_cmp_lt_i16_sdwa s[2:3], v6, v3 src0_sel:BYTE_0 src1_sel:DWORD
	s_and_b64 vcc, exec, s[2:3]
	s_cbranch_vccnz .LBB40_1181
; %bb.1176:
	v_cmp_gt_i16_sdwa s[2:3], v6, v3 src0_sel:BYTE_0 src1_sel:DWORD
	s_and_b64 vcc, exec, s[2:3]
	s_cbranch_vccz .LBB40_1178
; %bb.1177:
	v_trunc_f32_e32 v3, v2
	s_mov_b32 s0, 0x2f800000
	v_mul_f32_e64 v4, |v3|, s0
	v_floor_f32_e32 v4, v4
	s_mov_b32 s0, 0xcf800000
	v_cvt_u32_f32_e32 v5, v4
	v_fma_f32 v4, v4, s0, |v3|
	v_cvt_u32_f32_e32 v4, v4
	v_ashrrev_i32_e32 v3, 31, v3
	v_xor_b32_e32 v5, v5, v3
	s_mov_b64 s[0:1], 0
	v_xor_b32_e32 v4, v4, v3
	v_sub_co_u32_e32 v4, vcc, v4, v3
	v_subb_co_u32_e32 v5, vcc, v5, v3, vcc
	global_store_dwordx2 v[0:1], v[4:5], off
.LBB40_1178:
	s_andn2_b64 vcc, exec, s[0:1]
	s_cbranch_vccnz .LBB40_1180
; %bb.1179:
	v_cvt_i32_f32_e32 v3, v2
	global_store_dword v[0:1], v3, off
.LBB40_1180:
	s_mov_b64 s[0:1], 0
.LBB40_1181:
	s_andn2_b64 vcc, exec, s[0:1]
	s_cbranch_vccnz .LBB40_1183
; %bb.1182:
	v_cvt_i32_f32_e32 v3, v2
	global_store_short v[0:1], v3, off
.LBB40_1183:
	s_mov_b64 s[0:1], 0
.LBB40_1184:
	s_andn2_b64 vcc, exec, s[0:1]
	s_cbranch_vccnz .LBB40_1189
; %bb.1185:
	v_mov_b32_e32 v3, 0
	v_cmp_gt_i16_sdwa s[2:3], v6, v3 src0_sel:BYTE_0 src1_sel:DWORD
	s_mov_b64 s[0:1], -1
	s_and_b64 vcc, exec, s[2:3]
	s_cbranch_vccz .LBB40_1187
; %bb.1186:
	v_cvt_i32_f32_e32 v3, v2
	s_mov_b64 s[0:1], 0
	global_store_byte v[0:1], v3, off
.LBB40_1187:
	s_andn2_b64 vcc, exec, s[0:1]
	s_cbranch_vccnz .LBB40_1189
; %bb.1188:
	v_trunc_f32_e32 v2, v2
	s_mov_b32 s0, 0x2f800000
	v_mul_f32_e64 v3, |v2|, s0
	v_floor_f32_e32 v3, v3
	s_mov_b32 s0, 0xcf800000
	v_fma_f32 v3, v3, s0, |v2|
	v_cvt_u32_f32_e32 v3, v3
	v_ashrrev_i32_e32 v2, 31, v2
	v_xor_b32_e32 v3, v3, v2
	v_sub_u32_e32 v2, v3, v2
	global_store_byte v[0:1], v2, off
.LBB40_1189:
	s_mov_b64 s[62:63], -1
.LBB40_1190:
	s_andn2_b64 vcc, exec, s[62:63]
	s_cbranch_vccnz .LBB40_1214
; %bb.1191:
	v_add_u32_e32 v8, 0x80, v8
	s_mov_b64 s[62:63], -1
.LBB40_1192:
	s_andn2_b64 s[0:1], s[52:53], exec
	s_and_b64 s[2:3], s[6:7], exec
	s_or_b64 s[6:7], s[0:1], s[2:3]
	s_andn2_b64 s[0:1], s[50:51], exec
	s_and_b64 s[2:3], s[60:61], exec
	s_or_b64 s[2:3], s[0:1], s[2:3]
	;; [unrolled: 3-line block ×3, first 2 shown]
	s_orn2_b64 s[64:65], s[62:63], exec
.LBB40_1193:
	s_or_b64 exec, exec, s[56:57]
	s_mov_b64 s[58:59], 0
	s_mov_b64 s[60:61], 0
	;; [unrolled: 1-line block ×3, first 2 shown]
                                        ; implicit-def: $vgpr3
                                        ; implicit-def: $vgpr4_vgpr5
                                        ; implicit-def: $vgpr2
                                        ; implicit-def: $vgpr0
                                        ; implicit-def: $vgpr1
	s_and_saveexec_b64 s[56:57], s[64:65]
	s_cbranch_execz .LBB40_1287
; %bb.1194:
	v_cmp_gt_i32_e32 vcc, s70, v8
	s_mov_b64 s[64:65], 0
	s_mov_b64 s[66:67], s[0:1]
                                        ; implicit-def: $vgpr3
                                        ; implicit-def: $vgpr4_vgpr5
                                        ; implicit-def: $vgpr2
                                        ; implicit-def: $vgpr0
                                        ; implicit-def: $vgpr1
	s_and_saveexec_b64 s[58:59], vcc
	s_cbranch_execz .LBB40_1286
; %bb.1195:
	s_andn2_b64 vcc, exec, s[24:25]
	s_cbranch_vccnz .LBB40_1202
; %bb.1196:
	s_andn2_b64 vcc, exec, s[38:39]
	v_mov_b32_e32 v2, 0
	s_waitcnt vmcnt(0)
	v_mov_b32_e32 v4, 0
	v_mov_b32_e32 v0, 0
	s_cbranch_vccnz .LBB40_1201
; %bb.1197:
	s_add_i32 s38, s69, 1
	s_and_b32 s60, s38, 30
	s_add_u32 s38, s20, 0xffffffec
	s_addc_u32 s39, s21, -1
	v_mov_b32_e32 v0, 0
	v_mov_b32_e32 v1, v8
	;; [unrolled: 1-line block ×4, first 2 shown]
.LBB40_1198:                            ; =>This Inner Loop Header: Depth=1
	s_mov_b64 s[62:63], s[38:39]
	s_load_dwordx4 s[64:67], s[62:63], 0x18
	s_load_dwordx2 s[70:71], s[62:63], 0x28
	s_load_dwordx2 s[76:77], s[62:63], 0xe8
	s_load_dwordx4 s[72:75], s[62:63], 0xd8
	s_add_u32 s38, s62, 24
	s_waitcnt lgkmcnt(0)
	v_mul_hi_u32 v3, s65, v1
	v_add_u32_e32 v3, v1, v3
	v_lshrrev_b32_e32 v3, s66, v3
	v_mul_lo_u32 v5, v3, s64
	v_mul_hi_u32 v10, s70, v3
	v_sub_u32_e32 v1, v1, v5
	v_add_u32_e32 v5, v3, v10
	v_mul_lo_u32 v10, v1, s72
	v_mul_lo_u32 v11, v1, s73
	v_mul_lo_u32 v12, v1, s74
	v_lshrrev_b32_e32 v1, s71, v5
	v_mul_lo_u32 v5, v1, s67
	v_sub_u32_e32 v3, v3, v5
	s_addc_u32 s39, s63, 0
	s_add_i32 s60, s60, -2
	v_mul_lo_u32 v5, v3, s75
	v_mul_lo_u32 v13, v3, s76
	;; [unrolled: 1-line block ×3, first 2 shown]
	s_cmp_eq_u32 s60, 0
	v_add3_u32 v0, v10, v0, v5
	v_add3_u32 v2, v12, v2, v3
	;; [unrolled: 1-line block ×3, first 2 shown]
	s_cbranch_scc0 .LBB40_1198
; %bb.1199:
	s_bitcmp1_b32 s69, 0
	s_cselect_b64 s[60:61], -1, 0
	s_and_b64 vcc, exec, s[60:61]
	s_cbranch_vccnz .LBB40_1201
; %bb.1200:
	s_load_dwordx2 s[60:61], s[38:39], 0x18
	s_load_dword s62, s[38:39], 0x20
	s_load_dword s63, s[38:39], 0xe0
	s_nop 0
	s_load_dwordx2 s[38:39], s[38:39], 0xd8
	s_waitcnt lgkmcnt(0)
	v_mul_hi_u32 v3, s61, v1
	v_add_u32_e32 v3, v1, v3
	v_lshrrev_b32_e32 v3, s62, v3
	v_mul_lo_u32 v3, v3, s60
	v_sub_u32_e32 v3, v1, v3
	v_mad_u64_u32 v[0:1], s[60:61], v3, s38, v[0:1]
	v_mad_u64_u32 v[4:5], s[38:39], v3, s39, v[4:5]
	;; [unrolled: 1-line block ×3, first 2 shown]
.LBB40_1201:
	s_mov_b64 s[38:39], 0
	s_branch .LBB40_1203
.LBB40_1202:
	s_mov_b64 s[38:39], -1
                                        ; implicit-def: $vgpr2
                                        ; implicit-def: $vgpr4
                                        ; implicit-def: $vgpr0
.LBB40_1203:
	s_andn2_b64 vcc, exec, s[38:39]
	s_cbranch_vccnz .LBB40_1206
; %bb.1204:
	s_waitcnt lgkmcnt(0)
	v_mul_hi_u32 v0, s17, v8
	v_add_u32_e32 v0, v8, v0
	s_waitcnt vmcnt(0)
	v_lshrrev_b32_e32 v1, s18, v0
	v_mul_lo_u32 v0, v1, s16
	v_sub_u32_e32 v3, v8, v0
	v_mul_lo_u32 v0, v3, s12
	v_mul_lo_u32 v2, v3, s14
	s_andn2_b64 vcc, exec, s[36:37]
	v_mul_lo_u32 v4, v3, s13
	s_cbranch_vccnz .LBB40_1206
; %bb.1205:
	v_mul_hi_u32 v3, s34, v1
	v_add_u32_e32 v3, v1, v3
	v_lshrrev_b32_e32 v3, s35, v3
	v_mul_lo_u32 v3, v3, s19
	v_sub_u32_e32 v3, v1, v3
	v_mad_u64_u32 v[0:1], s[12:13], v3, s15, v[0:1]
	v_mad_u64_u32 v[4:5], s[12:13], v3, s30, v[4:5]
	;; [unrolled: 1-line block ×3, first 2 shown]
.LBB40_1206:
	s_waitcnt vmcnt(0) lgkmcnt(0)
	v_mov_b32_e32 v1, s11
	v_add_co_u32_e32 v4, vcc, s10, v4
	v_addc_co_u32_e32 v5, vcc, 0, v1, vcc
	v_and_b32_e32 v3, 0xff, v9
	v_cmp_gt_i16_e32 vcc, 11, v3
	s_cbranch_vccnz .LBB40_1213
; %bb.1207:
	v_cmp_lt_i16_e32 vcc, 25, v3
	s_mov_b64 s[12:13], 0
	s_cbranch_vccz .LBB40_1215
; %bb.1208:
	v_cmp_lt_i16_e32 vcc, 28, v3
	s_cbranch_vccz .LBB40_1216
; %bb.1209:
	v_cmp_lt_i16_e32 vcc, 43, v3
	;; [unrolled: 3-line block ×3, first 2 shown]
	s_cbranch_vccz .LBB40_1218
; %bb.1211:
	v_cmp_eq_u16_e32 vcc, 46, v3
	s_mov_b64 s[16:17], 0
	s_cbranch_vccz .LBB40_1221
; %bb.1212:
	global_load_dword v1, v[4:5], off
	s_mov_b64 s[10:11], 0
	s_mov_b64 s[14:15], -1
	s_waitcnt vmcnt(0)
	v_lshlrev_b32_e32 v1, 16, v1
	s_branch .LBB40_1222
.LBB40_1213:
	s_mov_b64 s[16:17], -1
	s_mov_b64 s[14:15], 0
	s_mov_b64 s[12:13], 0
	;; [unrolled: 1-line block ×3, first 2 shown]
                                        ; implicit-def: $vgpr1
	s_branch .LBB40_1285
.LBB40_1214:
	s_mov_b64 s[62:63], 0
	s_branch .LBB40_945
.LBB40_1215:
	s_mov_b64 s[16:17], -1
	s_mov_b64 s[14:15], 0
	s_mov_b64 s[10:11], s[0:1]
                                        ; implicit-def: $vgpr1
	s_branch .LBB40_1251
.LBB40_1216:
	s_mov_b64 s[16:17], -1
	s_mov_b64 s[14:15], 0
	s_mov_b64 s[10:11], s[0:1]
                                        ; implicit-def: $vgpr1
	s_branch .LBB40_1232
.LBB40_1217:
	s_mov_b64 s[16:17], -1
	s_mov_b64 s[14:15], 0
	s_mov_b64 s[10:11], s[0:1]
                                        ; implicit-def: $vgpr1
	s_branch .LBB40_1227
.LBB40_1218:
	s_mov_b64 s[16:17], -1
	s_mov_b64 s[14:15], 0
	s_mov_b64 s[10:11], s[0:1]
                                        ; implicit-def: $vgpr1
	s_branch .LBB40_1222
.LBB40_1219:
	s_or_saveexec_b64 s[66:67], s[66:67]
                                        ; implicit-def: $sgpr71
	s_xor_b64 exec, exec, s[66:67]
	s_cbranch_execz .LBB40_1103
.LBB40_1220:
	v_add_f32_e32 v4, 0x46000000, v5
	v_and_b32_e32 v4, 0xff, v4
	v_cmp_ne_u32_e32 vcc, 0, v4
	s_andn2_b64 s[64:65], s[64:65], exec
	s_and_b64 s[72:73], vcc, exec
	s_mov_b32 s71, 0
	s_or_b64 s[64:65], s[64:65], s[72:73]
	s_or_b64 exec, exec, s[66:67]
	v_mov_b32_e32 v10, s71
	s_and_saveexec_b64 s[66:67], s[64:65]
	s_cbranch_execnz .LBB40_1104
	s_branch .LBB40_1105
.LBB40_1221:
	s_mov_b64 s[10:11], -1
                                        ; implicit-def: $vgpr1
	s_mov_b64 s[14:15], 0
.LBB40_1222:
	s_and_b64 vcc, exec, s[16:17]
	s_cbranch_vccz .LBB40_1226
; %bb.1223:
	v_cmp_eq_u16_e32 vcc, 44, v3
	s_cbranch_vccz .LBB40_1225
; %bb.1224:
	global_load_ubyte v1, v[4:5], off
	s_movk_i32 s14, 0xff
	v_mov_b32_e32 v8, 0x7f800001
	v_mov_b32_e32 v9, 0x400000
	s_mov_b64 s[10:11], 0
	s_waitcnt vmcnt(0)
	v_lshlrev_b32_e32 v10, 23, v1
	v_cmp_ne_u32_e32 vcc, s14, v1
	v_cndmask_b32_e32 v8, v8, v10, vcc
	v_cmp_ne_u32_e32 vcc, 0, v1
	v_cndmask_b32_e32 v1, v9, v8, vcc
	s_mov_b64 s[14:15], -1
	s_branch .LBB40_1226
.LBB40_1225:
	s_mov_b64 s[10:11], -1
                                        ; implicit-def: $vgpr1
.LBB40_1226:
	s_mov_b64 s[16:17], 0
.LBB40_1227:
	s_and_b64 vcc, exec, s[16:17]
	s_cbranch_vccz .LBB40_1231
; %bb.1228:
	v_cmp_eq_u16_e32 vcc, 29, v3
	s_cbranch_vccz .LBB40_1230
; %bb.1229:
	global_load_dwordx2 v[8:9], v[4:5], off
	s_mov_b64 s[10:11], 0
	s_mov_b64 s[14:15], -1
	s_mov_b64 s[16:17], 0
	s_waitcnt vmcnt(0)
	v_ffbh_u32_e32 v1, v9
	v_min_u32_e32 v1, 32, v1
	v_lshlrev_b64 v[8:9], v1, v[8:9]
	v_min_u32_e32 v8, 1, v8
	v_or_b32_e32 v8, v9, v8
	v_cvt_f32_u32_e32 v8, v8
	v_sub_u32_e32 v1, 32, v1
	v_ldexp_f32 v1, v8, v1
	s_branch .LBB40_1232
.LBB40_1230:
	s_mov_b64 s[10:11], -1
                                        ; implicit-def: $vgpr1
.LBB40_1231:
	s_mov_b64 s[16:17], 0
.LBB40_1232:
	s_and_b64 vcc, exec, s[16:17]
	s_cbranch_vccz .LBB40_1250
; %bb.1233:
	v_cmp_gt_i16_e32 vcc, 27, v3
	s_cbranch_vccnz .LBB40_1236
; %bb.1234:
	v_cmp_lt_i16_e32 vcc, 27, v3
	s_cbranch_vccz .LBB40_1237
; %bb.1235:
	global_load_dword v1, v[4:5], off
	s_mov_b64 s[14:15], 0
	s_waitcnt vmcnt(0)
	v_cvt_f32_u32_e32 v1, v1
	s_branch .LBB40_1238
.LBB40_1236:
	s_mov_b64 s[14:15], -1
                                        ; implicit-def: $vgpr1
	s_branch .LBB40_1241
.LBB40_1237:
	s_mov_b64 s[14:15], -1
                                        ; implicit-def: $vgpr1
.LBB40_1238:
	s_andn2_b64 vcc, exec, s[14:15]
	s_cbranch_vccnz .LBB40_1240
; %bb.1239:
	global_load_ushort v1, v[4:5], off
	s_waitcnt vmcnt(0)
	v_cvt_f32_u32_e32 v1, v1
.LBB40_1240:
	s_mov_b64 s[14:15], 0
.LBB40_1241:
	s_andn2_b64 vcc, exec, s[14:15]
	s_cbranch_vccnz .LBB40_1249
; %bb.1242:
	global_load_ubyte v8, v[4:5], off
	s_movk_i32 s14, 0x7f
                                        ; implicit-def: $sgpr30
	s_waitcnt vmcnt(0)
	v_cmp_lt_i16_e32 vcc, s14, v8
	s_mov_b64 s[14:15], 0
	s_and_saveexec_b64 s[16:17], vcc
	s_xor_b64 s[16:17], exec, s[16:17]
	s_cbranch_execz .LBB40_1263
; %bb.1243:
	s_movk_i32 s14, 0x80
	v_cmp_eq_u16_e32 vcc, s14, v8
	s_mov_b64 s[14:15], -1
                                        ; implicit-def: $sgpr30
	s_and_saveexec_b64 s[18:19], vcc
; %bb.1244:
	s_mov_b32 s30, 0x7f800001
	s_xor_b64 s[14:15], exec, -1
; %bb.1245:
	s_or_b64 exec, exec, s[18:19]
	s_and_b64 s[14:15], s[14:15], exec
	s_or_saveexec_b64 s[16:17], s[16:17]
	v_mov_b32_e32 v1, s30
	s_xor_b64 exec, exec, s[16:17]
	s_cbranch_execnz .LBB40_1264
.LBB40_1246:
	s_or_b64 exec, exec, s[16:17]
	s_and_saveexec_b64 s[16:17], s[14:15]
	s_cbranch_execz .LBB40_1248
.LBB40_1247:
	v_lshlrev_b32_e32 v1, 24, v8
	v_and_b32_e32 v8, 0xffff, v8
	v_and_b32_e32 v9, 7, v8
	v_ffbh_u32_e32 v11, v9
	v_min_u32_e32 v11, 32, v11
	v_subrev_u32_e32 v12, 28, v11
	v_bfe_u32 v10, v8, 3, 4
	v_lshlrev_b32_e32 v8, v12, v8
	v_sub_u32_e32 v11, 29, v11
	v_and_b32_e32 v8, 7, v8
	v_cmp_eq_u32_e32 vcc, 0, v10
	v_cndmask_b32_e32 v10, v10, v11, vcc
	v_cndmask_b32_e32 v8, v9, v8, vcc
	v_mov_b32_e32 v9, 0x3b800000
	v_lshlrev_b32_e32 v8, 20, v8
	v_and_b32_e32 v1, 0x80000000, v1
	v_lshl_add_u32 v9, v10, 23, v9
	v_or3_b32 v1, v1, v9, v8
.LBB40_1248:
	s_or_b64 exec, exec, s[16:17]
.LBB40_1249:
	s_mov_b64 s[14:15], -1
.LBB40_1250:
	s_mov_b64 s[16:17], 0
.LBB40_1251:
	s_and_b64 vcc, exec, s[16:17]
	s_cbranch_vccz .LBB40_1284
; %bb.1252:
	v_cmp_lt_i16_e32 vcc, 22, v3
	s_cbranch_vccz .LBB40_1262
; %bb.1253:
	v_cmp_gt_i16_e32 vcc, 24, v3
	s_cbranch_vccnz .LBB40_1265
; %bb.1254:
	v_cmp_lt_i16_e32 vcc, 24, v3
	s_cbranch_vccz .LBB40_1266
; %bb.1255:
	global_load_ubyte v8, v[4:5], off
	s_movk_i32 s12, 0x7f
                                        ; implicit-def: $sgpr18
	s_waitcnt vmcnt(0)
	v_cmp_lt_i16_e32 vcc, s12, v8
	s_mov_b64 s[12:13], 0
	s_and_saveexec_b64 s[14:15], vcc
	s_xor_b64 s[14:15], exec, s[14:15]
	s_cbranch_execz .LBB40_1278
; %bb.1256:
	s_movk_i32 s12, 0x80
	v_cmp_eq_u16_e32 vcc, s12, v8
	s_mov_b64 s[12:13], -1
                                        ; implicit-def: $sgpr18
	s_and_saveexec_b64 s[16:17], vcc
; %bb.1257:
	s_mov_b32 s18, 0x7f800001
	s_xor_b64 s[12:13], exec, -1
; %bb.1258:
	s_or_b64 exec, exec, s[16:17]
	s_and_b64 s[12:13], s[12:13], exec
	s_or_saveexec_b64 s[14:15], s[14:15]
	v_mov_b32_e32 v1, s18
	s_xor_b64 exec, exec, s[14:15]
	s_cbranch_execnz .LBB40_1279
.LBB40_1259:
	s_or_b64 exec, exec, s[14:15]
	s_and_saveexec_b64 s[14:15], s[12:13]
	s_cbranch_execz .LBB40_1261
.LBB40_1260:
	v_lshlrev_b32_e32 v1, 24, v8
	v_and_b32_e32 v8, 0xffff, v8
	v_and_b32_e32 v9, 3, v8
	v_ffbh_u32_e32 v11, v9
	v_min_u32_e32 v11, 32, v11
	v_subrev_u32_e32 v12, 29, v11
	v_bfe_u32 v10, v8, 2, 5
	v_lshlrev_b32_e32 v8, v12, v8
	v_sub_u32_e32 v11, 30, v11
	v_and_b32_e32 v8, 3, v8
	v_cmp_eq_u32_e32 vcc, 0, v10
	v_cndmask_b32_e32 v10, v10, v11, vcc
	v_cndmask_b32_e32 v8, v9, v8, vcc
	v_mov_b32_e32 v9, 0x37800000
	v_lshlrev_b32_e32 v8, 21, v8
	v_and_b32_e32 v1, 0x80000000, v1
	v_lshl_add_u32 v9, v10, 23, v9
	v_or3_b32 v1, v1, v9, v8
.LBB40_1261:
	s_or_b64 exec, exec, s[14:15]
	s_mov_b64 s[12:13], 0
	s_branch .LBB40_1267
.LBB40_1262:
	s_mov_b64 s[12:13], -1
                                        ; implicit-def: $vgpr1
	s_branch .LBB40_1273
.LBB40_1263:
	s_or_saveexec_b64 s[16:17], s[16:17]
	v_mov_b32_e32 v1, s30
	s_xor_b64 exec, exec, s[16:17]
	s_cbranch_execz .LBB40_1246
.LBB40_1264:
	v_cmp_ne_u16_e32 vcc, 0, v8
	s_andn2_b64 s[14:15], s[14:15], exec
	s_and_b64 s[18:19], vcc, exec
	v_mov_b32_e32 v1, 0
	s_or_b64 s[14:15], s[14:15], s[18:19]
	s_or_b64 exec, exec, s[16:17]
	s_and_saveexec_b64 s[16:17], s[14:15]
	s_cbranch_execnz .LBB40_1247
	s_branch .LBB40_1248
.LBB40_1265:
	s_mov_b64 s[12:13], -1
                                        ; implicit-def: $vgpr1
	s_branch .LBB40_1270
.LBB40_1266:
	s_mov_b64 s[12:13], -1
                                        ; implicit-def: $vgpr1
.LBB40_1267:
	s_and_b64 vcc, exec, s[12:13]
	s_cbranch_vccz .LBB40_1269
; %bb.1268:
	global_load_ubyte v1, v[4:5], off
	s_mov_b32 s12, 0x7f800000
	s_waitcnt vmcnt(0)
	v_lshlrev_b32_e32 v1, 24, v1
	v_and_b32_e32 v8, 0x7f000000, v1
	v_ffbh_u32_e32 v9, v8
	v_min_u32_e32 v9, 32, v9
	v_sub_u32_e64 v9, v9, 4 clamp
	v_lshlrev_b32_e32 v11, v9, v8
	v_lshlrev_b32_e32 v9, 23, v9
	v_lshrrev_b32_e32 v11, 4, v11
	v_add_u32_e32 v10, 0x1000000, v8
	v_sub_u32_e32 v9, v11, v9
	v_ashrrev_i32_e32 v10, 8, v10
	v_add_u32_e32 v9, 0x3c000000, v9
	v_and_or_b32 v9, v10, s12, v9
	v_cmp_ne_u32_e32 vcc, 0, v8
	v_cndmask_b32_e32 v8, 0, v9, vcc
	s_brev_b32 s12, 1
	v_and_or_b32 v1, v1, s12, v8
.LBB40_1269:
	s_mov_b64 s[12:13], 0
.LBB40_1270:
	s_andn2_b64 vcc, exec, s[12:13]
	s_cbranch_vccnz .LBB40_1272
; %bb.1271:
	global_load_ubyte v1, v[4:5], off
	s_movk_i32 s12, 0x7f00
	s_brev_b32 s13, 16
	s_waitcnt vmcnt(0)
	v_lshlrev_b16_e32 v8, 8, v1
	v_lshlrev_b32_e32 v1, 25, v1
	v_lshrrev_b32_e32 v9, 4, v1
	v_and_or_b32 v10, v8, s12, 0.5
	v_or_b32_e32 v9, 0x70000000, v9
	v_add_f32_e32 v10, -0.5, v10
	v_mul_f32_e32 v9, 0x7800000, v9
	v_cmp_gt_u32_e32 vcc, s13, v1
	v_bfe_i32 v8, v8, 0, 16
	v_cndmask_b32_e32 v1, v9, v10, vcc
	s_brev_b32 s12, 1
	v_and_or_b32 v1, v8, s12, v1
.LBB40_1272:
	s_mov_b64 s[12:13], 0
	s_mov_b64 s[14:15], -1
.LBB40_1273:
	s_andn2_b64 vcc, exec, s[12:13]
	s_mov_b64 s[12:13], 0
	s_cbranch_vccnz .LBB40_1284
; %bb.1274:
	v_cmp_lt_i16_e32 vcc, 14, v3
	s_cbranch_vccz .LBB40_1277
; %bb.1275:
	v_cmp_eq_u16_e32 vcc, 15, v3
	s_cbranch_vccz .LBB40_1280
; %bb.1276:
	global_load_ushort v1, v[4:5], off
	s_mov_b64 s[10:11], 0
	s_mov_b64 s[14:15], -1
	s_waitcnt vmcnt(0)
	v_lshlrev_b32_e32 v1, 16, v1
	s_branch .LBB40_1281
.LBB40_1277:
	s_mov_b64 s[16:17], -1
                                        ; implicit-def: $vgpr1
	s_branch .LBB40_1282
.LBB40_1278:
	s_or_saveexec_b64 s[14:15], s[14:15]
	v_mov_b32_e32 v1, s18
	s_xor_b64 exec, exec, s[14:15]
	s_cbranch_execz .LBB40_1259
.LBB40_1279:
	v_cmp_ne_u16_e32 vcc, 0, v8
	s_andn2_b64 s[12:13], s[12:13], exec
	s_and_b64 s[16:17], vcc, exec
	v_mov_b32_e32 v1, 0
	s_or_b64 s[12:13], s[12:13], s[16:17]
	s_or_b64 exec, exec, s[14:15]
	s_and_saveexec_b64 s[14:15], s[12:13]
	s_cbranch_execnz .LBB40_1260
	s_branch .LBB40_1261
.LBB40_1280:
	s_mov_b64 s[10:11], -1
                                        ; implicit-def: $vgpr1
.LBB40_1281:
	s_mov_b64 s[16:17], 0
.LBB40_1282:
	s_and_b64 vcc, exec, s[16:17]
	s_cbranch_vccz .LBB40_1284
; %bb.1283:
	v_cmp_ne_u16_e32 vcc, 11, v3
	s_andn2_b64 s[10:11], s[10:11], exec
	s_and_b64 s[16:17], vcc, exec
	s_mov_b64 s[12:13], -1
	s_or_b64 s[10:11], s[10:11], s[16:17]
                                        ; implicit-def: $vgpr1
.LBB40_1284:
	s_mov_b64 s[16:17], 0
.LBB40_1285:
	s_and_b64 s[64:65], s[12:13], exec
	s_andn2_b64 s[12:13], s[0:1], exec
	s_and_b64 s[10:11], s[10:11], exec
	s_and_b64 s[62:63], s[14:15], exec
	;; [unrolled: 1-line block ×3, first 2 shown]
	s_or_b64 s[66:67], s[12:13], s[10:11]
.LBB40_1286:
	s_or_b64 exec, exec, s[58:59]
	s_andn2_b64 s[0:1], s[0:1], exec
	s_waitcnt lgkmcnt(0)
	s_and_b64 s[10:11], s[66:67], exec
	s_and_b64 s[62:63], s[62:63], exec
	;; [unrolled: 1-line block ×4, first 2 shown]
	s_or_b64 s[0:1], s[0:1], s[10:11]
.LBB40_1287:
	s_or_b64 exec, exec, s[56:57]
	s_waitcnt lgkmcnt(0)
	s_andn2_b64 s[10:11], s[52:53], exec
	s_and_b64 s[6:7], s[6:7], exec
	s_or_b64 s[52:53], s[10:11], s[6:7]
	s_andn2_b64 s[6:7], s[50:51], exec
	s_and_b64 s[2:3], s[2:3], exec
	s_andn2_b64 s[10:11], s[48:49], exec
	s_and_b64 s[0:1], s[0:1], exec
	s_or_b64 s[50:51], s[6:7], s[2:3]
	s_and_b64 s[2:3], s[62:63], exec
	s_and_b64 s[6:7], s[60:61], exec
	;; [unrolled: 1-line block ×3, first 2 shown]
	s_or_b64 s[48:49], s[10:11], s[0:1]
.LBB40_1288:
	s_or_b64 exec, exec, s[54:55]
	s_andn2_b64 s[0:1], s[40:41], exec
	s_waitcnt lgkmcnt(0)
	s_and_b64 s[10:11], s[52:53], exec
	s_or_b64 s[40:41], s[0:1], s[10:11]
	s_andn2_b64 s[0:1], s[42:43], exec
	s_and_b64 s[10:11], s[50:51], exec
	s_or_b64 s[42:43], s[0:1], s[10:11]
	s_andn2_b64 s[0:1], s[44:45], exec
	s_and_b64 s[10:11], s[48:49], exec
	s_and_b64 s[2:3], s[2:3], exec
	;; [unrolled: 1-line block ×4, first 2 shown]
	s_or_b64 s[44:45], s[0:1], s[10:11]
	s_or_b64 exec, exec, s[46:47]
	s_mov_b64 s[10:11], 0
	s_and_saveexec_b64 s[0:1], s[44:45]
	s_cbranch_execz .LBB40_403
.LBB40_1289:
	s_mov_b64 s[10:11], exec
	s_andn2_b64 s[50:51], s[50:51], exec
	s_trap 2
                                        ; implicit-def: $vgpr1
	s_or_b64 exec, exec, s[0:1]
	s_and_saveexec_b64 s[0:1], s[50:51]
	s_xor_b64 s[0:1], exec, s[0:1]
	s_cbranch_execnz .LBB40_404
.LBB40_1290:
	s_or_b64 exec, exec, s[0:1]
	s_and_saveexec_b64 s[0:1], s[6:7]
	s_cbranch_execz .LBB40_1336
.LBB40_1291:
	v_cmp_gt_i16_e32 vcc, 5, v3
	s_cbranch_vccnz .LBB40_1296
; %bb.1292:
	v_cmp_gt_i16_e32 vcc, 8, v3
	s_cbranch_vccnz .LBB40_1297
; %bb.1293:
	v_cmp_gt_i16_e32 vcc, 9, v3
	s_cbranch_vccnz .LBB40_1298
; %bb.1294:
	v_cmp_lt_i16_e32 vcc, 9, v3
	s_cbranch_vccz .LBB40_1299
; %bb.1295:
	s_waitcnt vmcnt(0)
	global_load_dwordx2 v[8:9], v[4:5], off
	s_mov_b64 s[6:7], 0
	s_waitcnt vmcnt(0)
	v_cvt_f32_f64_e32 v1, v[8:9]
	s_branch .LBB40_1300
.LBB40_1296:
                                        ; implicit-def: $vgpr1
	s_branch .LBB40_1317
.LBB40_1297:
                                        ; implicit-def: $vgpr1
	s_branch .LBB40_1306
.LBB40_1298:
	s_mov_b64 s[6:7], -1
                                        ; implicit-def: $vgpr1
	s_branch .LBB40_1303
.LBB40_1299:
	s_mov_b64 s[6:7], -1
                                        ; implicit-def: $vgpr1
.LBB40_1300:
	s_andn2_b64 vcc, exec, s[6:7]
	s_cbranch_vccnz .LBB40_1302
; %bb.1301:
	s_waitcnt vmcnt(0)
	global_load_dword v1, v[4:5], off
.LBB40_1302:
	s_mov_b64 s[6:7], 0
.LBB40_1303:
	s_andn2_b64 vcc, exec, s[6:7]
	s_cbranch_vccnz .LBB40_1305
; %bb.1304:
	s_waitcnt vmcnt(0)
	global_load_dword v1, v[4:5], off
	s_waitcnt vmcnt(0)
	v_cvt_f32_f16_e32 v1, v1
.LBB40_1305:
	s_cbranch_execnz .LBB40_1316
.LBB40_1306:
	v_cmp_gt_i16_e32 vcc, 6, v3
	s_cbranch_vccnz .LBB40_1309
; %bb.1307:
	v_cmp_lt_i16_e32 vcc, 6, v3
	s_cbranch_vccz .LBB40_1310
; %bb.1308:
	s_waitcnt vmcnt(0)
	global_load_dwordx2 v[8:9], v[4:5], off
	s_mov_b64 s[6:7], 0
	s_waitcnt vmcnt(0)
	v_cvt_f32_f64_e32 v1, v[8:9]
	s_branch .LBB40_1311
.LBB40_1309:
	s_mov_b64 s[6:7], -1
                                        ; implicit-def: $vgpr1
	s_branch .LBB40_1314
.LBB40_1310:
	s_mov_b64 s[6:7], -1
                                        ; implicit-def: $vgpr1
.LBB40_1311:
	s_andn2_b64 vcc, exec, s[6:7]
	s_cbranch_vccnz .LBB40_1313
; %bb.1312:
	s_waitcnt vmcnt(0)
	global_load_dword v1, v[4:5], off
.LBB40_1313:
	s_mov_b64 s[6:7], 0
.LBB40_1314:
	s_andn2_b64 vcc, exec, s[6:7]
	s_cbranch_vccnz .LBB40_1316
; %bb.1315:
	s_waitcnt vmcnt(0)
	global_load_ushort v1, v[4:5], off
	s_waitcnt vmcnt(0)
	v_cvt_f32_f16_e32 v1, v1
.LBB40_1316:
	s_cbranch_execnz .LBB40_1335
.LBB40_1317:
	v_cmp_gt_i16_e32 vcc, 2, v3
	s_cbranch_vccnz .LBB40_1321
; %bb.1318:
	v_cmp_gt_i16_e32 vcc, 3, v3
	s_cbranch_vccnz .LBB40_1322
; %bb.1319:
	v_cmp_lt_i16_e32 vcc, 3, v3
	s_cbranch_vccz .LBB40_1323
; %bb.1320:
	s_waitcnt vmcnt(0)
	global_load_dwordx2 v[8:9], v[4:5], off
	s_mov_b64 s[6:7], 0
	s_waitcnt vmcnt(0)
	v_xor_b32_e32 v10, v8, v9
	v_ffbh_i32_e32 v1, v9
	v_ashrrev_i32_e32 v10, 31, v10
	v_add_u32_e32 v1, -1, v1
	v_add_u32_e32 v10, 32, v10
	v_min_u32_e32 v1, v1, v10
	v_lshlrev_b64 v[8:9], v1, v[8:9]
	v_min_u32_e32 v8, 1, v8
	v_or_b32_e32 v8, v9, v8
	v_cvt_f32_i32_e32 v8, v8
	v_sub_u32_e32 v1, 32, v1
	v_ldexp_f32 v1, v8, v1
	s_branch .LBB40_1324
.LBB40_1321:
                                        ; implicit-def: $vgpr1
	s_branch .LBB40_1330
.LBB40_1322:
	s_mov_b64 s[6:7], -1
                                        ; implicit-def: $vgpr1
	s_branch .LBB40_1327
.LBB40_1323:
	s_mov_b64 s[6:7], -1
                                        ; implicit-def: $vgpr1
.LBB40_1324:
	s_andn2_b64 vcc, exec, s[6:7]
	s_cbranch_vccnz .LBB40_1326
; %bb.1325:
	s_waitcnt vmcnt(0)
	global_load_dword v1, v[4:5], off
	s_waitcnt vmcnt(0)
	v_cvt_f32_i32_e32 v1, v1
.LBB40_1326:
	s_mov_b64 s[6:7], 0
.LBB40_1327:
	s_andn2_b64 vcc, exec, s[6:7]
	s_cbranch_vccnz .LBB40_1329
; %bb.1328:
	s_waitcnt vmcnt(0)
	global_load_sshort v1, v[4:5], off
	s_waitcnt vmcnt(0)
	v_cvt_f32_i32_e32 v1, v1
.LBB40_1329:
	s_cbranch_execnz .LBB40_1335
.LBB40_1330:
	v_cmp_lt_i16_e32 vcc, 0, v3
	s_cbranch_vccz .LBB40_1332
; %bb.1331:
	s_waitcnt vmcnt(0)
	global_load_sbyte v1, v[4:5], off
	s_mov_b64 s[6:7], 0
	s_waitcnt vmcnt(0)
	v_cvt_f32_i32_e32 v1, v1
	s_branch .LBB40_1333
.LBB40_1332:
	s_mov_b64 s[6:7], -1
                                        ; implicit-def: $vgpr1
.LBB40_1333:
	s_andn2_b64 vcc, exec, s[6:7]
	s_cbranch_vccnz .LBB40_1335
; %bb.1334:
	s_waitcnt vmcnt(0)
	global_load_ubyte v1, v[4:5], off
	s_waitcnt vmcnt(0)
	v_cvt_f32_ubyte0_e32 v1, v1
.LBB40_1335:
	s_or_b64 s[2:3], s[2:3], exec
.LBB40_1336:
	s_or_b64 exec, exec, s[0:1]
	s_mov_b64 s[6:7], 0
	s_mov_b64 s[12:13], 0
	s_mov_b64 s[14:15], 0
                                        ; implicit-def: $vgpr3
                                        ; implicit-def: $vgpr4_vgpr5
                                        ; implicit-def: $vgpr8
	s_and_saveexec_b64 s[0:1], s[2:3]
	s_cbranch_execz .LBB40_1344
; %bb.1337:
	v_mov_b32_e32 v3, s29
	s_waitcnt vmcnt(0)
	v_add_co_u32_e32 v4, vcc, s28, v2
	v_addc_co_u32_e32 v5, vcc, 0, v3, vcc
	v_and_b32_e32 v3, 0xff, v7
	v_cmp_gt_i16_e32 vcc, 11, v3
	s_cbranch_vccnz .LBB40_1347
; %bb.1338:
	v_cmp_lt_i16_e32 vcc, 25, v3
	s_cbranch_vccz .LBB40_1348
; %bb.1339:
	v_cmp_lt_i16_e32 vcc, 28, v3
	s_cbranch_vccz .LBB40_1349
	;; [unrolled: 3-line block ×4, first 2 shown]
; %bb.1342:
	v_cmp_eq_u16_e32 vcc, 46, v3
	s_cbranch_vccz .LBB40_1352
; %bb.1343:
	global_load_dword v2, v[4:5], off
	s_mov_b64 s[2:3], 0
	s_mov_b64 s[12:13], -1
	s_waitcnt vmcnt(0)
	v_lshlrev_b32_e32 v8, 16, v2
	s_branch .LBB40_1354
.LBB40_1344:
	s_or_b64 exec, exec, s[0:1]
	s_and_saveexec_b64 s[0:1], s[42:43]
	s_cbranch_execnz .LBB40_1417
.LBB40_1345:
	s_or_b64 exec, exec, s[0:1]
	s_and_saveexec_b64 s[0:1], s[6:7]
	s_xor_b64 s[0:1], exec, s[0:1]
	s_cbranch_execz .LBB40_1418
.LBB40_1346:
	s_waitcnt vmcnt(0)
	global_load_ubyte v2, v[4:5], off
	s_or_b64 s[14:15], s[14:15], exec
	s_waitcnt vmcnt(0)
	v_cmp_ne_u16_e32 vcc, 0, v2
	v_cndmask_b32_e64 v8, 0, 1.0, vcc
	s_or_b64 exec, exec, s[0:1]
	s_and_saveexec_b64 s[0:1], s[12:13]
	s_cbranch_execz .LBB40_1464
	s_branch .LBB40_1419
.LBB40_1347:
	s_mov_b64 s[16:17], -1
                                        ; implicit-def: $vgpr8
	s_mov_b64 s[2:3], s[42:43]
	s_branch .LBB40_1416
.LBB40_1348:
	s_mov_b64 s[2:3], s[42:43]
                                        ; implicit-def: $vgpr8
	s_cbranch_execnz .LBB40_1383
	s_branch .LBB40_1415
.LBB40_1349:
	s_mov_b64 s[14:15], -1
	s_mov_b64 s[2:3], s[42:43]
                                        ; implicit-def: $vgpr8
	s_branch .LBB40_1364
.LBB40_1350:
	s_mov_b64 s[14:15], -1
	s_mov_b64 s[2:3], s[42:43]
                                        ; implicit-def: $vgpr8
	s_branch .LBB40_1359
.LBB40_1351:
	s_mov_b64 s[14:15], -1
	s_mov_b64 s[2:3], s[42:43]
	s_branch .LBB40_1353
.LBB40_1352:
	s_mov_b64 s[2:3], -1
.LBB40_1353:
                                        ; implicit-def: $vgpr8
.LBB40_1354:
	s_and_b64 vcc, exec, s[14:15]
	s_cbranch_vccz .LBB40_1358
; %bb.1355:
	v_cmp_eq_u16_e32 vcc, 44, v3
	s_cbranch_vccz .LBB40_1357
; %bb.1356:
	global_load_ubyte v2, v[4:5], off
	s_movk_i32 s12, 0xff
	v_mov_b32_e32 v7, 0x7f800001
	v_mov_b32_e32 v8, 0x400000
	s_mov_b64 s[2:3], 0
	s_waitcnt vmcnt(0)
	v_lshlrev_b32_e32 v9, 23, v2
	v_cmp_ne_u32_e32 vcc, s12, v2
	v_cndmask_b32_e32 v7, v7, v9, vcc
	v_cmp_ne_u32_e32 vcc, 0, v2
	v_cndmask_b32_e32 v8, v8, v7, vcc
	s_mov_b64 s[12:13], -1
	s_branch .LBB40_1358
.LBB40_1357:
	s_mov_b64 s[2:3], -1
                                        ; implicit-def: $vgpr8
.LBB40_1358:
	s_mov_b64 s[14:15], 0
.LBB40_1359:
	s_and_b64 vcc, exec, s[14:15]
	s_cbranch_vccz .LBB40_1363
; %bb.1360:
	v_cmp_eq_u16_e32 vcc, 29, v3
	s_cbranch_vccz .LBB40_1362
; %bb.1361:
	global_load_dwordx2 v[8:9], v[4:5], off
	s_mov_b64 s[2:3], 0
	s_mov_b64 s[12:13], -1
	s_mov_b64 s[14:15], 0
	s_waitcnt vmcnt(0)
	v_ffbh_u32_e32 v2, v9
	v_min_u32_e32 v2, 32, v2
	v_lshlrev_b64 v[8:9], v2, v[8:9]
	v_min_u32_e32 v7, 1, v8
	v_or_b32_e32 v7, v9, v7
	v_cvt_f32_u32_e32 v7, v7
	v_sub_u32_e32 v2, 32, v2
	v_ldexp_f32 v8, v7, v2
	s_branch .LBB40_1364
.LBB40_1362:
	s_mov_b64 s[2:3], -1
                                        ; implicit-def: $vgpr8
.LBB40_1363:
	s_mov_b64 s[14:15], 0
.LBB40_1364:
	s_and_b64 vcc, exec, s[14:15]
	s_cbranch_vccz .LBB40_1382
; %bb.1365:
	v_cmp_gt_i16_e32 vcc, 27, v3
	s_cbranch_vccnz .LBB40_1368
; %bb.1366:
	v_cmp_lt_i16_e32 vcc, 27, v3
	s_cbranch_vccz .LBB40_1369
; %bb.1367:
	global_load_dword v2, v[4:5], off
	s_mov_b64 s[12:13], 0
	s_waitcnt vmcnt(0)
	v_cvt_f32_u32_e32 v8, v2
	s_branch .LBB40_1370
.LBB40_1368:
	s_mov_b64 s[12:13], -1
                                        ; implicit-def: $vgpr8
	s_branch .LBB40_1373
.LBB40_1369:
	s_mov_b64 s[12:13], -1
                                        ; implicit-def: $vgpr8
.LBB40_1370:
	s_andn2_b64 vcc, exec, s[12:13]
	s_cbranch_vccnz .LBB40_1372
; %bb.1371:
	global_load_ushort v2, v[4:5], off
	s_waitcnt vmcnt(0)
	v_cvt_f32_u32_e32 v8, v2
.LBB40_1372:
	s_mov_b64 s[12:13], 0
.LBB40_1373:
	s_andn2_b64 vcc, exec, s[12:13]
	s_cbranch_vccnz .LBB40_1381
; %bb.1374:
	global_load_ubyte v2, v[4:5], off
	s_movk_i32 s12, 0x7f
                                        ; implicit-def: $sgpr18
	s_waitcnt vmcnt(0)
	v_cmp_lt_i16_e32 vcc, s12, v2
	s_mov_b64 s[12:13], 0
	s_and_saveexec_b64 s[14:15], vcc
	s_xor_b64 s[14:15], exec, s[14:15]
	s_cbranch_execz .LBB40_1394
; %bb.1375:
	s_movk_i32 s12, 0x80
	v_cmp_eq_u16_e32 vcc, s12, v2
	s_mov_b64 s[12:13], -1
                                        ; implicit-def: $sgpr18
	s_and_saveexec_b64 s[16:17], vcc
; %bb.1376:
	s_mov_b32 s18, 0x7f800001
	s_xor_b64 s[12:13], exec, -1
; %bb.1377:
	s_or_b64 exec, exec, s[16:17]
	s_and_b64 s[12:13], s[12:13], exec
	s_or_saveexec_b64 s[14:15], s[14:15]
	v_mov_b32_e32 v8, s18
	s_xor_b64 exec, exec, s[14:15]
	s_cbranch_execnz .LBB40_1395
.LBB40_1378:
	s_or_b64 exec, exec, s[14:15]
	s_and_saveexec_b64 s[14:15], s[12:13]
	s_cbranch_execz .LBB40_1380
.LBB40_1379:
	v_lshlrev_b32_e32 v7, 24, v2
	v_and_b32_e32 v2, 0xffff, v2
	v_and_b32_e32 v8, 7, v2
	v_ffbh_u32_e32 v10, v8
	v_min_u32_e32 v10, 32, v10
	v_subrev_u32_e32 v11, 28, v10
	v_bfe_u32 v9, v2, 3, 4
	v_lshlrev_b32_e32 v2, v11, v2
	v_sub_u32_e32 v10, 29, v10
	v_and_b32_e32 v2, 7, v2
	v_cmp_eq_u32_e32 vcc, 0, v9
	v_cndmask_b32_e32 v9, v9, v10, vcc
	v_cndmask_b32_e32 v2, v8, v2, vcc
	v_mov_b32_e32 v8, 0x3b800000
	v_lshlrev_b32_e32 v2, 20, v2
	v_and_b32_e32 v7, 0x80000000, v7
	v_lshl_add_u32 v8, v9, 23, v8
	v_or3_b32 v8, v7, v8, v2
.LBB40_1380:
	s_or_b64 exec, exec, s[14:15]
.LBB40_1381:
	s_mov_b64 s[12:13], -1
.LBB40_1382:
	s_branch .LBB40_1415
.LBB40_1383:
	v_cmp_lt_i16_e32 vcc, 22, v3
	s_cbranch_vccz .LBB40_1393
; %bb.1384:
	v_cmp_gt_i16_e32 vcc, 24, v3
	s_cbranch_vccnz .LBB40_1396
; %bb.1385:
	v_cmp_lt_i16_e32 vcc, 24, v3
	s_cbranch_vccz .LBB40_1397
; %bb.1386:
	global_load_ubyte v2, v[4:5], off
	s_movk_i32 s6, 0x7f
                                        ; implicit-def: $sgpr16
	s_waitcnt vmcnt(0)
	v_cmp_lt_i16_e32 vcc, s6, v2
	s_mov_b64 s[6:7], 0
	s_and_saveexec_b64 s[12:13], vcc
	s_xor_b64 s[12:13], exec, s[12:13]
	s_cbranch_execz .LBB40_1409
; %bb.1387:
	s_movk_i32 s6, 0x80
	v_cmp_eq_u16_e32 vcc, s6, v2
	s_mov_b64 s[6:7], -1
                                        ; implicit-def: $sgpr16
	s_and_saveexec_b64 s[14:15], vcc
; %bb.1388:
	s_mov_b32 s16, 0x7f800001
	s_xor_b64 s[6:7], exec, -1
; %bb.1389:
	s_or_b64 exec, exec, s[14:15]
	s_and_b64 s[6:7], s[6:7], exec
	s_or_saveexec_b64 s[12:13], s[12:13]
	v_mov_b32_e32 v8, s16
	s_xor_b64 exec, exec, s[12:13]
	s_cbranch_execnz .LBB40_1410
.LBB40_1390:
	s_or_b64 exec, exec, s[12:13]
	s_and_saveexec_b64 s[12:13], s[6:7]
	s_cbranch_execz .LBB40_1392
.LBB40_1391:
	v_lshlrev_b32_e32 v7, 24, v2
	v_and_b32_e32 v2, 0xffff, v2
	v_and_b32_e32 v8, 3, v2
	v_ffbh_u32_e32 v10, v8
	v_min_u32_e32 v10, 32, v10
	v_subrev_u32_e32 v11, 29, v10
	v_bfe_u32 v9, v2, 2, 5
	v_lshlrev_b32_e32 v2, v11, v2
	v_sub_u32_e32 v10, 30, v10
	v_and_b32_e32 v2, 3, v2
	v_cmp_eq_u32_e32 vcc, 0, v9
	v_cndmask_b32_e32 v9, v9, v10, vcc
	v_cndmask_b32_e32 v2, v8, v2, vcc
	v_mov_b32_e32 v8, 0x37800000
	v_lshlrev_b32_e32 v2, 21, v2
	v_and_b32_e32 v7, 0x80000000, v7
	v_lshl_add_u32 v8, v9, 23, v8
	v_or3_b32 v8, v7, v8, v2
.LBB40_1392:
	s_or_b64 exec, exec, s[12:13]
	s_mov_b64 s[6:7], 0
	s_branch .LBB40_1398
.LBB40_1393:
	s_mov_b64 s[6:7], -1
                                        ; implicit-def: $vgpr8
	s_branch .LBB40_1404
.LBB40_1394:
	s_or_saveexec_b64 s[14:15], s[14:15]
	v_mov_b32_e32 v8, s18
	s_xor_b64 exec, exec, s[14:15]
	s_cbranch_execz .LBB40_1378
.LBB40_1395:
	v_cmp_ne_u16_e32 vcc, 0, v2
	s_andn2_b64 s[12:13], s[12:13], exec
	s_and_b64 s[16:17], vcc, exec
	v_mov_b32_e32 v8, 0
	s_or_b64 s[12:13], s[12:13], s[16:17]
	s_or_b64 exec, exec, s[14:15]
	s_and_saveexec_b64 s[14:15], s[12:13]
	s_cbranch_execnz .LBB40_1379
	s_branch .LBB40_1380
.LBB40_1396:
	s_mov_b64 s[6:7], -1
                                        ; implicit-def: $vgpr8
	s_branch .LBB40_1401
.LBB40_1397:
	s_mov_b64 s[6:7], -1
                                        ; implicit-def: $vgpr8
.LBB40_1398:
	s_and_b64 vcc, exec, s[6:7]
	s_cbranch_vccz .LBB40_1400
; %bb.1399:
	global_load_ubyte v2, v[4:5], off
	s_mov_b32 s6, 0x7f800000
	s_waitcnt vmcnt(0)
	v_lshlrev_b32_e32 v2, 24, v2
	v_and_b32_e32 v7, 0x7f000000, v2
	v_ffbh_u32_e32 v8, v7
	v_min_u32_e32 v8, 32, v8
	v_sub_u32_e64 v8, v8, 4 clamp
	v_lshlrev_b32_e32 v10, v8, v7
	v_lshlrev_b32_e32 v8, 23, v8
	v_lshrrev_b32_e32 v10, 4, v10
	v_add_u32_e32 v9, 0x1000000, v7
	v_sub_u32_e32 v8, v10, v8
	v_ashrrev_i32_e32 v9, 8, v9
	v_add_u32_e32 v8, 0x3c000000, v8
	v_and_or_b32 v8, v9, s6, v8
	v_cmp_ne_u32_e32 vcc, 0, v7
	v_cndmask_b32_e32 v7, 0, v8, vcc
	s_brev_b32 s6, 1
	v_and_or_b32 v8, v2, s6, v7
.LBB40_1400:
	s_mov_b64 s[6:7], 0
.LBB40_1401:
	s_andn2_b64 vcc, exec, s[6:7]
	s_cbranch_vccnz .LBB40_1403
; %bb.1402:
	global_load_ubyte v2, v[4:5], off
	s_movk_i32 s6, 0x7f00
	s_brev_b32 s7, 16
	s_waitcnt vmcnt(0)
	v_lshlrev_b16_e32 v7, 8, v2
	v_lshlrev_b32_e32 v2, 25, v2
	v_lshrrev_b32_e32 v8, 4, v2
	v_and_or_b32 v9, v7, s6, 0.5
	v_or_b32_e32 v8, 0x70000000, v8
	v_add_f32_e32 v9, -0.5, v9
	v_mul_f32_e32 v8, 0x7800000, v8
	v_cmp_gt_u32_e32 vcc, s7, v2
	v_bfe_i32 v7, v7, 0, 16
	v_cndmask_b32_e32 v2, v8, v9, vcc
	s_brev_b32 s6, 1
	v_and_or_b32 v8, v7, s6, v2
.LBB40_1403:
	s_mov_b64 s[6:7], 0
	s_mov_b64 s[12:13], -1
.LBB40_1404:
	s_andn2_b64 vcc, exec, s[6:7]
	s_mov_b64 s[6:7], 0
	s_cbranch_vccnz .LBB40_1415
; %bb.1405:
	v_cmp_lt_i16_e32 vcc, 14, v3
	s_cbranch_vccz .LBB40_1408
; %bb.1406:
	v_cmp_eq_u16_e32 vcc, 15, v3
	s_cbranch_vccz .LBB40_1411
; %bb.1407:
	global_load_ushort v2, v[4:5], off
	s_mov_b64 s[2:3], 0
	s_mov_b64 s[12:13], -1
	s_waitcnt vmcnt(0)
	v_lshlrev_b32_e32 v8, 16, v2
	s_branch .LBB40_1412
.LBB40_1408:
	s_mov_b64 s[14:15], -1
                                        ; implicit-def: $vgpr8
	s_branch .LBB40_1413
.LBB40_1409:
	s_or_saveexec_b64 s[12:13], s[12:13]
	v_mov_b32_e32 v8, s16
	s_xor_b64 exec, exec, s[12:13]
	s_cbranch_execz .LBB40_1390
.LBB40_1410:
	v_cmp_ne_u16_e32 vcc, 0, v2
	s_andn2_b64 s[6:7], s[6:7], exec
	s_and_b64 s[14:15], vcc, exec
	v_mov_b32_e32 v8, 0
	s_or_b64 s[6:7], s[6:7], s[14:15]
	s_or_b64 exec, exec, s[12:13]
	s_and_saveexec_b64 s[12:13], s[6:7]
	s_cbranch_execnz .LBB40_1391
	s_branch .LBB40_1392
.LBB40_1411:
	s_mov_b64 s[2:3], -1
                                        ; implicit-def: $vgpr8
.LBB40_1412:
	s_mov_b64 s[14:15], 0
.LBB40_1413:
	s_and_b64 vcc, exec, s[14:15]
	s_cbranch_vccz .LBB40_1415
; %bb.1414:
	v_cmp_ne_u16_e32 vcc, 11, v3
	s_andn2_b64 s[2:3], s[2:3], exec
	s_and_b64 s[14:15], vcc, exec
	s_mov_b64 s[6:7], -1
	s_or_b64 s[2:3], s[2:3], s[14:15]
                                        ; implicit-def: $vgpr8
.LBB40_1415:
	s_mov_b64 s[16:17], 0
.LBB40_1416:
	s_and_b64 s[14:15], s[12:13], exec
	s_and_b64 s[12:13], s[16:17], exec
	s_andn2_b64 s[16:17], s[42:43], exec
	s_and_b64 s[2:3], s[2:3], exec
	s_and_b64 s[6:7], s[6:7], exec
	s_or_b64 s[42:43], s[16:17], s[2:3]
	s_or_b64 exec, exec, s[0:1]
	s_and_saveexec_b64 s[0:1], s[42:43]
	s_cbranch_execz .LBB40_1345
.LBB40_1417:
	s_or_b64 s[10:11], s[10:11], exec
	s_andn2_b64 s[6:7], s[6:7], exec
	s_trap 2
                                        ; implicit-def: $vgpr8
	s_or_b64 exec, exec, s[0:1]
	s_and_saveexec_b64 s[0:1], s[6:7]
	s_xor_b64 s[0:1], exec, s[0:1]
	s_cbranch_execnz .LBB40_1346
.LBB40_1418:
	s_or_b64 exec, exec, s[0:1]
	s_and_saveexec_b64 s[0:1], s[12:13]
	s_cbranch_execz .LBB40_1464
.LBB40_1419:
	v_cmp_gt_i16_e32 vcc, 5, v3
	s_cbranch_vccnz .LBB40_1424
; %bb.1420:
	v_cmp_gt_i16_e32 vcc, 8, v3
	s_cbranch_vccnz .LBB40_1425
; %bb.1421:
	;; [unrolled: 3-line block ×3, first 2 shown]
	v_cmp_lt_i16_e32 vcc, 9, v3
	s_cbranch_vccz .LBB40_1427
; %bb.1423:
	s_waitcnt vmcnt(0)
	global_load_dwordx2 v[8:9], v[4:5], off
	s_mov_b64 s[2:3], 0
	s_waitcnt vmcnt(0)
	v_cvt_f32_f64_e32 v8, v[8:9]
	s_branch .LBB40_1428
.LBB40_1424:
                                        ; implicit-def: $vgpr8
	s_branch .LBB40_1445
.LBB40_1425:
                                        ; implicit-def: $vgpr8
	s_branch .LBB40_1434
.LBB40_1426:
	s_mov_b64 s[2:3], -1
                                        ; implicit-def: $vgpr8
	s_branch .LBB40_1431
.LBB40_1427:
	s_mov_b64 s[2:3], -1
                                        ; implicit-def: $vgpr8
.LBB40_1428:
	s_andn2_b64 vcc, exec, s[2:3]
	s_cbranch_vccnz .LBB40_1430
; %bb.1429:
	s_waitcnt vmcnt(0)
	global_load_dword v8, v[4:5], off
.LBB40_1430:
	s_mov_b64 s[2:3], 0
.LBB40_1431:
	s_andn2_b64 vcc, exec, s[2:3]
	s_cbranch_vccnz .LBB40_1433
; %bb.1432:
	s_waitcnt vmcnt(0)
	global_load_dword v2, v[4:5], off
	s_waitcnt vmcnt(0)
	v_cvt_f32_f16_e32 v8, v2
.LBB40_1433:
	s_cbranch_execnz .LBB40_1444
.LBB40_1434:
	v_cmp_gt_i16_e32 vcc, 6, v3
	s_cbranch_vccnz .LBB40_1437
; %bb.1435:
	v_cmp_lt_i16_e32 vcc, 6, v3
	s_cbranch_vccz .LBB40_1438
; %bb.1436:
	s_waitcnt vmcnt(0)
	global_load_dwordx2 v[8:9], v[4:5], off
	s_mov_b64 s[2:3], 0
	s_waitcnt vmcnt(0)
	v_cvt_f32_f64_e32 v8, v[8:9]
	s_branch .LBB40_1439
.LBB40_1437:
	s_mov_b64 s[2:3], -1
                                        ; implicit-def: $vgpr8
	s_branch .LBB40_1442
.LBB40_1438:
	s_mov_b64 s[2:3], -1
                                        ; implicit-def: $vgpr8
.LBB40_1439:
	s_andn2_b64 vcc, exec, s[2:3]
	s_cbranch_vccnz .LBB40_1441
; %bb.1440:
	s_waitcnt vmcnt(0)
	global_load_dword v8, v[4:5], off
.LBB40_1441:
	s_mov_b64 s[2:3], 0
.LBB40_1442:
	s_andn2_b64 vcc, exec, s[2:3]
	s_cbranch_vccnz .LBB40_1444
; %bb.1443:
	s_waitcnt vmcnt(0)
	global_load_ushort v2, v[4:5], off
	s_waitcnt vmcnt(0)
	v_cvt_f32_f16_e32 v8, v2
.LBB40_1444:
	s_cbranch_execnz .LBB40_1463
.LBB40_1445:
	v_cmp_gt_i16_e32 vcc, 2, v3
	s_cbranch_vccnz .LBB40_1449
; %bb.1446:
	v_cmp_gt_i16_e32 vcc, 3, v3
	s_cbranch_vccnz .LBB40_1450
; %bb.1447:
	v_cmp_lt_i16_e32 vcc, 3, v3
	s_cbranch_vccz .LBB40_1451
; %bb.1448:
	s_waitcnt vmcnt(0)
	global_load_dwordx2 v[8:9], v[4:5], off
	s_mov_b64 s[2:3], 0
	s_waitcnt vmcnt(0)
	v_xor_b32_e32 v7, v8, v9
	v_ffbh_i32_e32 v2, v9
	v_ashrrev_i32_e32 v7, 31, v7
	v_add_u32_e32 v2, -1, v2
	v_add_u32_e32 v7, 32, v7
	v_min_u32_e32 v2, v2, v7
	v_lshlrev_b64 v[8:9], v2, v[8:9]
	v_min_u32_e32 v7, 1, v8
	v_or_b32_e32 v7, v9, v7
	v_cvt_f32_i32_e32 v7, v7
	v_sub_u32_e32 v2, 32, v2
	v_ldexp_f32 v8, v7, v2
	s_branch .LBB40_1452
.LBB40_1449:
                                        ; implicit-def: $vgpr8
	s_branch .LBB40_1458
.LBB40_1450:
	s_mov_b64 s[2:3], -1
                                        ; implicit-def: $vgpr8
	s_branch .LBB40_1455
.LBB40_1451:
	s_mov_b64 s[2:3], -1
                                        ; implicit-def: $vgpr8
.LBB40_1452:
	s_andn2_b64 vcc, exec, s[2:3]
	s_cbranch_vccnz .LBB40_1454
; %bb.1453:
	s_waitcnt vmcnt(0)
	global_load_dword v2, v[4:5], off
	s_waitcnt vmcnt(0)
	v_cvt_f32_i32_e32 v8, v2
.LBB40_1454:
	s_mov_b64 s[2:3], 0
.LBB40_1455:
	s_andn2_b64 vcc, exec, s[2:3]
	s_cbranch_vccnz .LBB40_1457
; %bb.1456:
	s_waitcnt vmcnt(0)
	global_load_sshort v2, v[4:5], off
	s_waitcnt vmcnt(0)
	v_cvt_f32_i32_e32 v8, v2
.LBB40_1457:
	s_cbranch_execnz .LBB40_1463
.LBB40_1458:
	v_cmp_lt_i16_e32 vcc, 0, v3
	s_cbranch_vccz .LBB40_1460
; %bb.1459:
	s_waitcnt vmcnt(0)
	global_load_sbyte v2, v[4:5], off
	s_mov_b64 s[2:3], 0
	s_waitcnt vmcnt(0)
	v_cvt_f32_i32_e32 v8, v2
	s_branch .LBB40_1461
.LBB40_1460:
	s_mov_b64 s[2:3], -1
                                        ; implicit-def: $vgpr8
.LBB40_1461:
	s_andn2_b64 vcc, exec, s[2:3]
	s_cbranch_vccnz .LBB40_1463
; %bb.1462:
	s_waitcnt vmcnt(0)
	global_load_ubyte v2, v[4:5], off
	s_waitcnt vmcnt(0)
	v_cvt_f32_ubyte0_e32 v8, v2
.LBB40_1463:
	s_or_b64 s[14:15], s[14:15], exec
.LBB40_1464:
	s_or_b64 exec, exec, s[0:1]
	s_mov_b64 s[2:3], 0
	s_mov_b64 s[0:1], 0
                                        ; implicit-def: $vgpr7
                                        ; implicit-def: $vgpr2_vgpr3
                                        ; implicit-def: $vgpr4
	s_and_saveexec_b64 s[12:13], s[14:15]
	s_cbranch_execz .LBB40_1482
; %bb.1465:
	s_waitcnt vmcnt(0)
	v_div_scale_f32 v2, s[0:1], v8, v8, v1
	v_rcp_f32_e32 v3, v2
	v_div_scale_f32 v4, vcc, v1, v8, v1
	s_mov_b32 s0, 0x800000
	v_fma_f32 v5, -v2, v3, 1.0
	v_fmac_f32_e32 v3, v5, v3
	v_mul_f32_e32 v5, v4, v3
	v_fma_f32 v7, -v2, v5, v4
	v_fmac_f32_e32 v5, v7, v3
	v_fma_f32 v2, -v2, v5, v4
	v_div_fmas_f32 v2, v2, v3, v5
	v_div_fixup_f32 v1, v2, v8, v1
	v_mov_b32_e32 v2, 0x800000
	v_cmp_gt_f32_e64 s[0:1], s0, v1
	v_cndmask_b32_e64 v2, v1, v2, s[0:1]
	s_mov_b32 s2, 0x3f7ffffe
	v_mov_b32_e32 v3, 0x3f7ffffe
	v_cmp_lt_f32_e64 s[2:3], s2, v2
	v_cndmask_b32_e64 v4, v2, v3, s[2:3]
	v_mov_b32_e32 v3, s9
	v_add_co_u32_e32 v2, vcc, s8, v0
	v_addc_co_u32_e32 v3, vcc, 0, v3, vcc
	v_and_b32_e32 v7, 0xff, v6
	v_cmp_gt_i16_e32 vcc, 11, v7
	s_cbranch_vccnz .LBB40_1485
; %bb.1466:
	v_cmp_lt_i16_e32 vcc, 25, v7
	s_mov_b64 s[14:15], -1
	s_mov_b64 s[6:7], s[40:41]
	s_cbranch_vccz .LBB40_1503
; %bb.1467:
	v_cmp_lt_i16_e32 vcc, 28, v7
	s_mov_b64 s[8:9], -1
	s_mov_b64 s[6:7], s[40:41]
	s_cbranch_vccz .LBB40_1487
; %bb.1468:
	v_cmp_lt_i16_e32 vcc, 43, v7
	s_mov_b64 s[6:7], s[40:41]
	s_cbranch_vccz .LBB40_1479
; %bb.1469:
	v_cmp_lt_i16_e32 vcc, 45, v7
	s_mov_b64 s[6:7], s[40:41]
	s_cbranch_vccz .LBB40_1473
; %bb.1470:
	v_cmp_eq_u16_e32 vcc, 46, v7
	s_mov_b64 s[6:7], -1
	s_cbranch_vccz .LBB40_1472
; %bb.1471:
	v_bfe_u32 v0, v4, 16, 1
	s_movk_i32 s6, 0x7fff
	v_add3_u32 v0, v4, v0, s6
	v_lshrrev_b32_e32 v0, 16, v0
	v_mov_b32_e32 v5, 0x7fc0
	v_cmp_o_f32_e32 vcc, v4, v4
	v_cndmask_b32_e32 v0, v5, v0, vcc
	global_store_dword v[2:3], v0, off
	s_mov_b64 s[6:7], 0
.LBB40_1472:
	s_mov_b64 s[8:9], 0
.LBB40_1473:
	s_and_b64 vcc, exec, s[8:9]
	s_cbranch_vccz .LBB40_1478
; %bb.1474:
	v_cmp_eq_u16_e32 vcc, 44, v7
	s_mov_b64 s[6:7], -1
	s_cbranch_vccz .LBB40_1478
; %bb.1475:
	v_bfe_u32 v0, v4, 23, 8
	s_movk_i32 s6, 0xff
	v_cmp_ne_u32_e32 vcc, s6, v0
	v_mov_b32_e32 v5, 0xff
	s_and_saveexec_b64 s[8:9], vcc
; %bb.1476:
	s_mov_b32 s6, 0x3fffff
	v_and_b32_e32 v6, 0x400000, v4
	v_and_or_b32 v0, v4, s6, v0
	v_cmp_ne_u32_e32 vcc, 0, v6
	v_cmp_ne_u32_e64 s[6:7], 0, v0
	s_and_b64 s[6:7], vcc, s[6:7]
	v_lshrrev_b32_e32 v5, 23, v4
	v_cndmask_b32_e64 v0, 0, 1, s[6:7]
	v_add_u32_e32 v5, v5, v0
; %bb.1477:
	s_or_b64 exec, exec, s[8:9]
	s_mov_b64 s[6:7], 0
	global_store_byte v[2:3], v5, off
.LBB40_1478:
	s_mov_b64 s[8:9], 0
.LBB40_1479:
	s_and_b64 vcc, exec, s[8:9]
	s_cbranch_vccz .LBB40_1486
; %bb.1480:
	v_cmp_eq_u16_e32 vcc, 29, v7
	s_mov_b64 s[6:7], -1
	s_cbranch_vccz .LBB40_1486
; %bb.1481:
	v_trunc_f32_e32 v0, v4
	v_mul_f32_e32 v5, 0x2f800000, v0
	v_floor_f32_e32 v5, v5
	v_fmac_f32_e32 v0, 0xcf800000, v5
	v_cvt_u32_f32_e32 v9, v5
	v_cvt_u32_f32_e32 v8, v0
	s_mov_b64 s[6:7], 0
	s_mov_b64 s[8:9], 0
	global_store_dwordx2 v[2:3], v[8:9], off
	s_branch .LBB40_1487
.LBB40_1482:
	s_or_b64 exec, exec, s[12:13]
	s_and_saveexec_b64 s[6:7], s[40:41]
	s_cbranch_execnz .LBB40_1545
.LBB40_1483:
	s_or_b64 exec, exec, s[6:7]
	s_and_saveexec_b64 s[6:7], s[2:3]
	s_xor_b64 s[2:3], exec, s[6:7]
	s_cbranch_execz .LBB40_1546
.LBB40_1484:
	v_mov_b32_e32 v0, 1
	global_store_byte v[2:3], v0, off
	s_or_b64 exec, exec, s[2:3]
	s_and_saveexec_b64 s[2:3], s[0:1]
	s_xor_b64 s[0:1], exec, s[2:3]
	s_cbranch_execz .LBB40_1584
	s_branch .LBB40_1547
.LBB40_1485:
	s_mov_b64 s[2:3], 0
	s_mov_b64 s[8:9], -1
	s_mov_b64 s[6:7], s[40:41]
	s_branch .LBB40_1544
.LBB40_1486:
	s_mov_b64 s[8:9], 0
.LBB40_1487:
	s_and_b64 vcc, exec, s[8:9]
	s_cbranch_vccz .LBB40_1502
; %bb.1488:
	v_cmp_gt_i16_e32 vcc, 27, v7
	s_mov_b64 s[8:9], -1
	s_cbranch_vccnz .LBB40_1494
; %bb.1489:
	v_cmp_lt_i16_e32 vcc, 27, v7
	s_cbranch_vccz .LBB40_1491
; %bb.1490:
	v_cvt_u32_f32_e32 v0, v4
	s_mov_b64 s[8:9], 0
	global_store_dword v[2:3], v0, off
.LBB40_1491:
	s_andn2_b64 vcc, exec, s[8:9]
	s_cbranch_vccnz .LBB40_1493
; %bb.1492:
	v_cvt_u32_f32_e32 v0, v4
	global_store_short v[2:3], v0, off
.LBB40_1493:
	s_mov_b64 s[8:9], 0
.LBB40_1494:
	s_andn2_b64 vcc, exec, s[8:9]
	s_cbranch_vccnz .LBB40_1502
; %bb.1495:
	v_mov_b32_e32 v0, 0x800000
	v_cndmask_b32_e64 v0, |v1|, v0, s[0:1]
	v_mov_b32_e32 v5, 0x3f7ffffe
	v_cndmask_b32_e64 v5, v0, v5, s[2:3]
	s_mov_b32 s8, 0x43800000
	v_cmp_gt_u32_e32 vcc, s8, v5
	v_mov_b32_e32 v6, 0x80
	s_and_saveexec_b64 s[8:9], vcc
	s_cbranch_execz .LBB40_1501
; %bb.1496:
	s_mov_b32 s14, 0x3bffffff
	v_cmp_lt_u32_e32 vcc, s14, v5
	s_mov_b64 s[14:15], 0
                                        ; implicit-def: $vgpr0
	s_and_saveexec_b64 s[16:17], vcc
	s_xor_b64 s[16:17], exec, s[16:17]
	s_cbranch_execz .LBB40_1639
; %bb.1497:
	v_bfe_u32 v0, v4, 20, 1
	s_mov_b32 s18, 0x487ffff
	v_add3_u32 v0, v4, v0, s18
	s_mov_b64 s[14:15], exec
	v_lshrrev_b32_e32 v0, 20, v0
                                        ; implicit-def: $vgpr5
	s_or_saveexec_b64 s[16:17], s[16:17]
                                        ; implicit-def: $sgpr18
	s_xor_b64 exec, exec, s[16:17]
	s_cbranch_execnz .LBB40_1640
.LBB40_1498:
	s_or_b64 exec, exec, s[16:17]
	v_mov_b32_e32 v6, s18
	s_and_saveexec_b64 s[16:17], s[14:15]
.LBB40_1499:
	v_lshrrev_b32_e32 v5, 24, v4
	s_movk_i32 s14, 0x80
	v_and_or_b32 v6, v5, s14, v0
.LBB40_1500:
	s_or_b64 exec, exec, s[16:17]
.LBB40_1501:
	s_or_b64 exec, exec, s[8:9]
	global_store_byte v[2:3], v6, off
.LBB40_1502:
	s_mov_b64 s[14:15], 0
.LBB40_1503:
	s_mov_b64 s[8:9], 0
	s_and_b64 vcc, exec, s[14:15]
	s_cbranch_vccz .LBB40_1543
; %bb.1504:
	v_cmp_lt_i16_e32 vcc, 22, v7
	s_mov_b64 s[14:15], -1
	s_cbranch_vccz .LBB40_1536
; %bb.1505:
	v_cmp_gt_i16_e32 vcc, 24, v7
	s_cbranch_vccnz .LBB40_1525
; %bb.1506:
	v_cmp_lt_i16_e32 vcc, 24, v7
	s_cbranch_vccz .LBB40_1514
; %bb.1507:
	v_mov_b32_e32 v0, 0x800000
	v_cndmask_b32_e64 v0, |v1|, v0, s[0:1]
	v_mov_b32_e32 v5, 0x3f7ffffe
	v_cndmask_b32_e64 v5, v0, v5, s[2:3]
	s_mov_b32 s14, 0x47800000
	v_cmp_gt_u32_e32 vcc, s14, v5
	v_mov_b32_e32 v6, 0x80
	s_and_saveexec_b64 s[14:15], vcc
	s_cbranch_execz .LBB40_1513
; %bb.1508:
	s_mov_b32 s16, 0x37ffffff
	v_cmp_lt_u32_e32 vcc, s16, v5
	s_mov_b64 s[16:17], 0
                                        ; implicit-def: $vgpr0
	s_and_saveexec_b64 s[18:19], vcc
	s_xor_b64 s[18:19], exec, s[18:19]
	s_cbranch_execz .LBB40_1764
; %bb.1509:
	v_bfe_u32 v0, v4, 21, 1
	s_mov_b32 s28, 0x88fffff
	v_add3_u32 v0, v4, v0, s28
	s_mov_b64 s[16:17], exec
	v_lshrrev_b32_e32 v0, 21, v0
                                        ; implicit-def: $vgpr5
	s_or_saveexec_b64 s[18:19], s[18:19]
                                        ; implicit-def: $sgpr28
	s_xor_b64 exec, exec, s[18:19]
	s_cbranch_execnz .LBB40_1765
.LBB40_1510:
	s_or_b64 exec, exec, s[18:19]
	v_mov_b32_e32 v6, s28
	s_and_saveexec_b64 s[18:19], s[16:17]
.LBB40_1511:
	v_lshrrev_b32_e32 v5, 24, v4
	s_movk_i32 s16, 0x80
	v_and_or_b32 v6, v5, s16, v0
.LBB40_1512:
	s_or_b64 exec, exec, s[18:19]
.LBB40_1513:
	s_or_b64 exec, exec, s[14:15]
	s_mov_b64 s[14:15], 0
	global_store_byte v[2:3], v6, off
.LBB40_1514:
	s_and_b64 vcc, exec, s[14:15]
	s_cbranch_vccz .LBB40_1524
; %bb.1515:
	v_mov_b32_e32 v0, 0x800000
	v_cndmask_b32_e64 v0, |v1|, v0, s[0:1]
	v_mov_b32_e32 v5, 0x3f7ffffe
	v_cndmask_b32_e64 v5, v0, v5, s[2:3]
	s_mov_b32 s14, 0x43f00000
	v_cmp_gt_u32_e32 vcc, s14, v5
                                        ; implicit-def: $vgpr0
	s_and_saveexec_b64 s[14:15], vcc
	s_xor_b64 s[14:15], exec, s[14:15]
	s_cbranch_execz .LBB40_1521
; %bb.1516:
	s_mov_b32 s16, 0x3c7fffff
	v_cmp_lt_u32_e32 vcc, s16, v5
                                        ; implicit-def: $vgpr0
	s_and_saveexec_b64 s[16:17], vcc
	s_xor_b64 s[16:17], exec, s[16:17]
; %bb.1517:
	v_bfe_u32 v0, v4, 20, 1
	s_mov_b32 s18, 0x407ffff
	v_add3_u32 v0, v4, v0, s18
	v_lshrrev_b32_e32 v5, 20, v0
	v_and_b32_e32 v0, 0xff00000, v0
	s_mov_b32 s18, 0x7f00000
	v_mov_b32_e32 v6, 0x7e
	v_cmp_ne_u32_e32 vcc, s18, v0
	v_cndmask_b32_e32 v0, v6, v5, vcc
                                        ; implicit-def: $vgpr5
; %bb.1518:
	s_andn2_saveexec_b64 s[16:17], s[16:17]
; %bb.1519:
	v_add_f32_e32 v0, 0x46800000, v5
; %bb.1520:
	s_or_b64 exec, exec, s[16:17]
                                        ; implicit-def: $vgpr5
.LBB40_1521:
	s_andn2_saveexec_b64 s[14:15], s[14:15]
; %bb.1522:
	s_mov_b32 s16, 0x7f800000
	v_mov_b32_e32 v0, 0x7e
	v_mov_b32_e32 v6, 0x7f
	v_cmp_lt_u32_e32 vcc, s16, v5
	v_cndmask_b32_e32 v0, v0, v6, vcc
; %bb.1523:
	s_or_b64 exec, exec, s[14:15]
	v_lshrrev_b32_e32 v5, 24, v4
	s_movk_i32 s14, 0x80
	v_and_or_b32 v0, v5, s14, v0
	global_store_byte v[2:3], v0, off
.LBB40_1524:
	s_mov_b64 s[14:15], 0
.LBB40_1525:
	s_andn2_b64 vcc, exec, s[14:15]
	s_cbranch_vccnz .LBB40_1535
; %bb.1526:
	v_mov_b32_e32 v0, 0x800000
	v_cndmask_b32_e64 v0, |v1|, v0, s[0:1]
	v_mov_b32_e32 v1, 0x3f7ffffe
	v_cndmask_b32_e64 v1, v0, v1, s[2:3]
	s_mov_b32 s0, 0x47800000
	v_cmp_gt_u32_e32 vcc, s0, v1
                                        ; implicit-def: $vgpr0
	s_and_saveexec_b64 s[0:1], vcc
	s_xor_b64 s[0:1], exec, s[0:1]
	s_cbranch_execz .LBB40_1532
; %bb.1527:
	s_mov_b32 s2, 0x387fffff
	v_cmp_lt_u32_e32 vcc, s2, v1
                                        ; implicit-def: $vgpr0
	s_and_saveexec_b64 s[2:3], vcc
	s_xor_b64 s[2:3], exec, s[2:3]
; %bb.1528:
	v_bfe_u32 v0, v4, 21, 1
	s_mov_b32 s14, 0x80fffff
	v_add3_u32 v0, v4, v0, s14
	v_lshrrev_b32_e32 v0, 21, v0
                                        ; implicit-def: $vgpr1
; %bb.1529:
	s_andn2_saveexec_b64 s[2:3], s[2:3]
; %bb.1530:
	v_add_f32_e32 v0, 0x43000000, v1
; %bb.1531:
	s_or_b64 exec, exec, s[2:3]
                                        ; implicit-def: $vgpr1
.LBB40_1532:
	s_andn2_saveexec_b64 s[0:1], s[0:1]
; %bb.1533:
	s_mov_b32 s2, 0x7f800000
	v_mov_b32_e32 v0, 0x7c
	v_mov_b32_e32 v5, 0x7f
	v_cmp_lt_u32_e32 vcc, s2, v1
	v_cndmask_b32_e32 v0, v0, v5, vcc
; %bb.1534:
	s_or_b64 exec, exec, s[0:1]
	v_lshrrev_b32_e32 v1, 24, v4
	s_movk_i32 s0, 0x80
	v_and_or_b32 v0, v1, s0, v0
	global_store_byte v[2:3], v0, off
.LBB40_1535:
	s_mov_b64 s[14:15], 0
.LBB40_1536:
	s_andn2_b64 vcc, exec, s[14:15]
	s_mov_b64 s[2:3], 0
	s_cbranch_vccnz .LBB40_1544
; %bb.1537:
	v_cmp_lt_i16_e32 vcc, 14, v7
	s_mov_b64 s[0:1], -1
	s_cbranch_vccz .LBB40_1541
; %bb.1538:
	v_cmp_eq_u16_e32 vcc, 15, v7
	s_mov_b64 s[6:7], -1
	s_cbranch_vccz .LBB40_1540
; %bb.1539:
	v_bfe_u32 v0, v4, 16, 1
	s_movk_i32 s0, 0x7fff
	v_add3_u32 v0, v4, v0, s0
	v_lshrrev_b32_e32 v0, 16, v0
	v_mov_b32_e32 v1, 0x7fc0
	v_cmp_o_f32_e32 vcc, v4, v4
	v_cndmask_b32_e32 v0, v1, v0, vcc
	global_store_short v[2:3], v0, off
	s_mov_b64 s[6:7], 0
.LBB40_1540:
	s_mov_b64 s[0:1], 0
.LBB40_1541:
	s_and_b64 vcc, exec, s[0:1]
	s_cbranch_vccz .LBB40_1544
; %bb.1542:
	v_cmp_ne_u16_e32 vcc, 11, v7
	s_andn2_b64 s[0:1], s[6:7], exec
	s_and_b64 s[6:7], vcc, exec
	s_mov_b64 s[2:3], -1
	s_or_b64 s[6:7], s[0:1], s[6:7]
	s_branch .LBB40_1544
.LBB40_1543:
	s_mov_b64 s[2:3], 0
.LBB40_1544:
	s_and_b64 s[0:1], s[8:9], exec
	s_andn2_b64 s[8:9], s[40:41], exec
	s_and_b64 s[6:7], s[6:7], exec
	s_and_b64 s[2:3], s[2:3], exec
	s_or_b64 s[40:41], s[8:9], s[6:7]
	s_or_b64 exec, exec, s[12:13]
	s_and_saveexec_b64 s[6:7], s[40:41]
	s_cbranch_execz .LBB40_1483
.LBB40_1545:
	s_or_b64 s[10:11], s[10:11], exec
	s_andn2_b64 s[2:3], s[2:3], exec
	s_trap 2
	s_or_b64 exec, exec, s[6:7]
	s_and_saveexec_b64 s[6:7], s[2:3]
	s_xor_b64 s[2:3], exec, s[6:7]
	s_cbranch_execnz .LBB40_1484
.LBB40_1546:
	s_or_b64 exec, exec, s[2:3]
	s_and_saveexec_b64 s[2:3], s[0:1]
	s_xor_b64 s[0:1], exec, s[2:3]
	s_cbranch_execz .LBB40_1584
.LBB40_1547:
	s_waitcnt vmcnt(0)
	v_cmp_gt_i16_e32 vcc, 5, v7
	s_mov_b64 s[2:3], -1
	s_cbranch_vccnz .LBB40_1568
; %bb.1548:
	v_cmp_gt_i16_e32 vcc, 8, v7
	s_cbranch_vccnz .LBB40_1558
; %bb.1549:
	v_cmp_gt_i16_e32 vcc, 9, v7
	s_cbranch_vccnz .LBB40_1555
; %bb.1550:
	v_cmp_lt_i16_e32 vcc, 9, v7
	s_cbranch_vccz .LBB40_1552
; %bb.1551:
	v_mov_b32_e32 v10, 0
	v_cvt_f64_f32_e32 v[8:9], v4
	v_mov_b32_e32 v11, v10
	s_mov_b64 s[2:3], 0
	global_store_dwordx4 v[2:3], v[8:11], off
.LBB40_1552:
	s_andn2_b64 vcc, exec, s[2:3]
	s_cbranch_vccnz .LBB40_1554
; %bb.1553:
	v_mov_b32_e32 v5, 0
	global_store_dwordx2 v[2:3], v[4:5], off
.LBB40_1554:
	s_mov_b64 s[2:3], 0
.LBB40_1555:
	s_andn2_b64 vcc, exec, s[2:3]
	s_cbranch_vccnz .LBB40_1557
; %bb.1556:
	v_cvt_f16_f32_e32 v0, v4
	global_store_dword v[2:3], v0, off
.LBB40_1557:
	s_mov_b64 s[2:3], 0
.LBB40_1558:
	s_andn2_b64 vcc, exec, s[2:3]
	s_cbranch_vccnz .LBB40_1567
; %bb.1559:
	v_cmp_gt_i16_e32 vcc, 6, v7
	s_mov_b64 s[2:3], -1
	s_cbranch_vccnz .LBB40_1565
; %bb.1560:
	v_cmp_lt_i16_e32 vcc, 6, v7
	s_cbranch_vccz .LBB40_1562
; %bb.1561:
	v_cvt_f64_f32_e32 v[0:1], v4
	s_mov_b64 s[2:3], 0
	global_store_dwordx2 v[2:3], v[0:1], off
.LBB40_1562:
	s_andn2_b64 vcc, exec, s[2:3]
	s_cbranch_vccnz .LBB40_1564
; %bb.1563:
	global_store_dword v[2:3], v4, off
.LBB40_1564:
	s_mov_b64 s[2:3], 0
.LBB40_1565:
	s_andn2_b64 vcc, exec, s[2:3]
	s_cbranch_vccnz .LBB40_1567
; %bb.1566:
	v_cvt_f16_f32_e32 v0, v4
	global_store_short v[2:3], v0, off
.LBB40_1567:
	s_mov_b64 s[2:3], 0
.LBB40_1568:
	s_andn2_b64 vcc, exec, s[2:3]
	s_cbranch_vccnz .LBB40_1584
; %bb.1569:
	v_cmp_gt_i16_e32 vcc, 2, v7
	s_mov_b64 s[2:3], -1
	s_cbranch_vccnz .LBB40_1579
; %bb.1570:
	v_cmp_gt_i16_e32 vcc, 3, v7
	s_cbranch_vccnz .LBB40_1576
; %bb.1571:
	v_cmp_lt_i16_e32 vcc, 3, v7
	s_cbranch_vccz .LBB40_1573
; %bb.1572:
	v_trunc_f32_e32 v0, v4
	s_mov_b32 s2, 0x2f800000
	v_mul_f32_e64 v1, |v0|, s2
	v_floor_f32_e32 v1, v1
	s_mov_b32 s2, 0xcf800000
	v_cvt_u32_f32_e32 v5, v1
	v_fma_f32 v1, v1, s2, |v0|
	v_cvt_u32_f32_e32 v1, v1
	v_ashrrev_i32_e32 v6, 31, v0
	v_xor_b32_e32 v5, v5, v6
	s_mov_b64 s[2:3], 0
	v_xor_b32_e32 v0, v1, v6
	v_sub_co_u32_e32 v0, vcc, v0, v6
	v_subb_co_u32_e32 v1, vcc, v5, v6, vcc
	global_store_dwordx2 v[2:3], v[0:1], off
.LBB40_1573:
	s_andn2_b64 vcc, exec, s[2:3]
	s_cbranch_vccnz .LBB40_1575
; %bb.1574:
	v_cvt_i32_f32_e32 v0, v4
	global_store_dword v[2:3], v0, off
.LBB40_1575:
	s_mov_b64 s[2:3], 0
.LBB40_1576:
	s_andn2_b64 vcc, exec, s[2:3]
	s_cbranch_vccnz .LBB40_1578
; %bb.1577:
	v_cvt_i32_f32_e32 v0, v4
	global_store_short v[2:3], v0, off
.LBB40_1578:
	s_mov_b64 s[2:3], 0
.LBB40_1579:
	s_andn2_b64 vcc, exec, s[2:3]
	s_cbranch_vccnz .LBB40_1584
; %bb.1580:
	v_cmp_lt_i16_e32 vcc, 0, v7
	s_mov_b64 s[2:3], -1
	s_cbranch_vccz .LBB40_1582
; %bb.1581:
	v_cvt_i32_f32_e32 v0, v4
	s_mov_b64 s[2:3], 0
	global_store_byte v[2:3], v0, off
.LBB40_1582:
	s_andn2_b64 vcc, exec, s[2:3]
	s_cbranch_vccnz .LBB40_1584
; %bb.1583:
	v_trunc_f32_e32 v0, v4
	s_mov_b32 s2, 0x2f800000
	v_mul_f32_e64 v1, |v0|, s2
	v_floor_f32_e32 v1, v1
	s_mov_b32 s2, 0xcf800000
	v_fma_f32 v1, v1, s2, |v0|
	v_cvt_u32_f32_e32 v1, v1
	v_ashrrev_i32_e32 v0, 31, v0
	v_xor_b32_e32 v1, v1, v0
	v_sub_u32_e32 v0, v1, v0
	global_store_byte v[2:3], v0, off
.LBB40_1584:
	s_or_b64 exec, exec, s[0:1]
	s_and_b64 s[6:7], s[10:11], exec
                                        ; implicit-def: $vgpr24
                                        ; implicit-def: $vgpr8
.LBB40_1585:
	s_or_saveexec_b64 s[12:13], s[26:27]
	s_mov_b64 s[0:1], 0
                                        ; implicit-def: $vgpr0_vgpr1
                                        ; implicit-def: $vgpr4
                                        ; implicit-def: $vgpr2
	s_xor_b64 exec, exec, s[12:13]
	s_cbranch_execz .LBB40_3115
; %bb.1586:
	v_cndmask_b32_e64 v0, 0, 1, s[24:25]
	v_cmp_ne_u32_e64 s[0:1], 1, v0
	s_andn2_b64 vcc, exec, s[24:25]
	s_cbranch_vccnz .LBB40_1592
; %bb.1587:
	s_cmp_lg_u32 s33, 0
	v_mov_b32_e32 v20, 0
	v_mov_b32_e32 v22, 0
	;; [unrolled: 1-line block ×3, first 2 shown]
	s_cbranch_scc0 .LBB40_1593
; %bb.1588:
	s_min_u32 s8, s68, 15
	s_add_i32 s2, s8, 1
	s_and_b32 s9, s2, 30
	s_add_u32 s2, s20, 0xffffffec
	s_addc_u32 s3, s21, -1
	v_mov_b32_e32 v6, 0
	s_waitcnt vmcnt(0)
	v_mov_b32_e32 v0, v8
	v_mov_b32_e32 v22, 0
	;; [unrolled: 1-line block ×3, first 2 shown]
.LBB40_1589:                            ; =>This Inner Loop Header: Depth=1
	s_mov_b64 s[10:11], s[2:3]
	s_load_dwordx4 s[16:19], s[10:11], 0x18
	s_load_dwordx2 s[14:15], s[10:11], 0x28
	s_load_dwordx2 s[22:23], s[10:11], 0xe8
	s_load_dwordx4 s[24:27], s[10:11], 0xd8
	s_add_u32 s2, s10, 24
	s_waitcnt lgkmcnt(0)
	v_mul_hi_u32 v1, s17, v0
	v_add_u32_e32 v1, v0, v1
	v_lshrrev_b32_e32 v1, s18, v1
	v_mul_lo_u32 v2, v1, s16
	v_mul_hi_u32 v3, s14, v1
	v_sub_u32_e32 v0, v0, v2
	v_add_u32_e32 v2, v1, v3
	v_mul_lo_u32 v3, v0, s24
	v_mul_lo_u32 v4, v0, s25
	;; [unrolled: 1-line block ×3, first 2 shown]
	v_lshrrev_b32_e32 v0, s15, v2
	v_mul_lo_u32 v2, v0, s19
	v_sub_u32_e32 v1, v1, v2
	s_addc_u32 s3, s11, 0
	s_add_i32 s9, s9, -2
	v_mul_lo_u32 v2, v1, s27
	v_mul_lo_u32 v7, v1, s22
	v_mul_lo_u32 v1, v1, s23
	s_cmp_lg_u32 s9, 0
	v_add3_u32 v6, v3, v6, v2
	v_add3_u32 v20, v5, v20, v1
	;; [unrolled: 1-line block ×3, first 2 shown]
	s_cbranch_scc1 .LBB40_1589
; %bb.1590:
	s_bitcmp1_b32 s8, 0
	s_cselect_b64 s[8:9], -1, 0
	s_and_b64 vcc, exec, s[8:9]
	s_cbranch_vccnz .LBB40_1593
; %bb.1591:
	s_load_dwordx2 s[8:9], s[2:3], 0x18
	s_load_dword s14, s[2:3], 0x20
	s_load_dword s15, s[2:3], 0xe0
	s_load_dwordx2 s[10:11], s[2:3], 0xd8
	s_waitcnt lgkmcnt(0)
	v_mul_hi_u32 v1, s9, v0
	v_add_u32_e32 v1, v0, v1
	v_lshrrev_b32_e32 v1, s14, v1
	v_mul_lo_u32 v1, v1, s8
	v_sub_u32_e32 v0, v0, v1
	v_mad_u64_u32 v[6:7], s[2:3], v0, s10, v[6:7]
	v_mad_u64_u32 v[22:23], s[2:3], v0, s11, v[22:23]
	;; [unrolled: 1-line block ×3, first 2 shown]
	s_cbranch_execz .LBB40_1594
	s_branch .LBB40_1596
.LBB40_1592:
                                        ; implicit-def: $vgpr20
                                        ; implicit-def: $vgpr22
                                        ; implicit-def: $vgpr6
	s_branch .LBB40_1594
.LBB40_1593:
	s_cbranch_execnz .LBB40_1596
.LBB40_1594:
	s_load_dwordx4 s[8:11], s[20:21], 0x4
	s_load_dwordx4 s[16:19], s[20:21], 0xc4
	s_cmp_lt_u32 s33, 2
	s_waitcnt vmcnt(0) lgkmcnt(0)
	v_mul_hi_u32 v0, s9, v8
	v_add_u32_e32 v0, v8, v0
	v_lshrrev_b32_e32 v0, s10, v0
	v_mul_lo_u32 v1, v0, s8
	v_sub_u32_e32 v1, v8, v1
	v_mul_lo_u32 v6, v1, s16
	v_mul_lo_u32 v20, v1, s18
	;; [unrolled: 1-line block ×3, first 2 shown]
	s_cbranch_scc1 .LBB40_1596
; %bb.1595:
	s_load_dwordx4 s[8:11], s[20:21], 0x10
	s_load_dwordx4 s[16:19], s[20:21], 0xd0
	s_waitcnt lgkmcnt(0)
	v_mul_hi_u32 v1, s9, v0
	v_add_u32_e32 v1, v0, v1
	v_lshrrev_b32_e32 v1, s10, v1
	v_mul_lo_u32 v1, v1, s8
	v_sub_u32_e32 v0, v0, v1
	v_mad_u64_u32 v[6:7], s[2:3], v0, s16, v[6:7]
	v_mad_u64_u32 v[22:23], s[2:3], v0, s17, v[22:23]
	;; [unrolled: 1-line block ×3, first 2 shown]
.LBB40_1596:
	s_and_b64 vcc, exec, s[0:1]
	s_waitcnt vmcnt(0)
	v_add_u32_e32 v0, 0x80, v8
	s_cbranch_vccnz .LBB40_1602
; %bb.1597:
	s_cmp_lg_u32 s33, 0
	v_mov_b32_e32 v16, 0
	v_mov_b32_e32 v18, 0
	v_mov_b32_e32 v4, 0
	s_cbranch_scc0 .LBB40_1603
; %bb.1598:
	s_min_u32 s8, s68, 15
	s_add_i32 s2, s8, 1
	s_and_b32 s9, s2, 30
	s_add_u32 s2, s20, 0xffffffec
	s_addc_u32 s3, s21, -1
	v_mov_b32_e32 v4, 0
	v_mov_b32_e32 v1, v0
	;; [unrolled: 1-line block ×4, first 2 shown]
.LBB40_1599:                            ; =>This Inner Loop Header: Depth=1
	s_mov_b64 s[10:11], s[2:3]
	s_load_dwordx4 s[16:19], s[10:11], 0x18
	s_load_dwordx2 s[14:15], s[10:11], 0x28
	s_load_dwordx2 s[22:23], s[10:11], 0xe8
	s_load_dwordx4 s[24:27], s[10:11], 0xd8
	s_add_u32 s2, s10, 24
	s_waitcnt lgkmcnt(0)
	v_mul_hi_u32 v2, s17, v1
	v_add_u32_e32 v2, v1, v2
	v_lshrrev_b32_e32 v2, s18, v2
	v_mul_lo_u32 v3, v2, s16
	v_mul_hi_u32 v5, s14, v2
	v_sub_u32_e32 v1, v1, v3
	v_add_u32_e32 v3, v2, v5
	v_mul_lo_u32 v5, v1, s24
	v_mul_lo_u32 v7, v1, s25
	;; [unrolled: 1-line block ×3, first 2 shown]
	v_lshrrev_b32_e32 v1, s15, v3
	v_mul_lo_u32 v3, v1, s19
	v_sub_u32_e32 v2, v2, v3
	s_addc_u32 s3, s11, 0
	s_add_i32 s9, s9, -2
	v_mul_lo_u32 v3, v2, s27
	v_mul_lo_u32 v10, v2, s22
	;; [unrolled: 1-line block ×3, first 2 shown]
	s_cmp_lg_u32 s9, 0
	v_add3_u32 v4, v5, v4, v3
	v_add3_u32 v16, v9, v16, v2
	;; [unrolled: 1-line block ×3, first 2 shown]
	s_cbranch_scc1 .LBB40_1599
; %bb.1600:
	s_bitcmp1_b32 s8, 0
	s_cselect_b64 s[8:9], -1, 0
	s_and_b64 vcc, exec, s[8:9]
	s_cbranch_vccnz .LBB40_1603
; %bb.1601:
	s_load_dwordx2 s[8:9], s[2:3], 0x18
	s_load_dword s14, s[2:3], 0x20
	s_load_dword s15, s[2:3], 0xe0
	s_load_dwordx2 s[10:11], s[2:3], 0xd8
	s_waitcnt lgkmcnt(0)
	v_mul_hi_u32 v2, s9, v1
	v_add_u32_e32 v2, v1, v2
	v_lshrrev_b32_e32 v2, s14, v2
	v_mul_lo_u32 v2, v2, s8
	v_sub_u32_e32 v1, v1, v2
	v_mad_u64_u32 v[4:5], s[2:3], v1, s10, v[4:5]
	v_mad_u64_u32 v[18:19], s[2:3], v1, s11, v[18:19]
	;; [unrolled: 1-line block ×3, first 2 shown]
	s_cbranch_execz .LBB40_1604
	s_branch .LBB40_1606
.LBB40_1602:
                                        ; implicit-def: $vgpr16
                                        ; implicit-def: $vgpr18
                                        ; implicit-def: $vgpr4
	s_branch .LBB40_1604
.LBB40_1603:
	s_cbranch_execnz .LBB40_1606
.LBB40_1604:
	s_load_dwordx4 s[8:11], s[20:21], 0x4
	s_load_dwordx4 s[16:19], s[20:21], 0xc4
	s_cmp_lt_u32 s33, 2
	s_waitcnt lgkmcnt(0)
	v_mul_hi_u32 v1, s9, v0
	v_add_u32_e32 v1, v0, v1
	v_lshrrev_b32_e32 v1, s10, v1
	v_mul_lo_u32 v2, v1, s8
	v_sub_u32_e32 v0, v0, v2
	v_mul_lo_u32 v4, v0, s16
	v_mul_lo_u32 v16, v0, s18
	;; [unrolled: 1-line block ×3, first 2 shown]
	s_cbranch_scc1 .LBB40_1606
; %bb.1605:
	s_load_dwordx4 s[8:11], s[20:21], 0x10
	s_load_dwordx4 s[16:19], s[20:21], 0xd0
	s_waitcnt lgkmcnt(0)
	v_mul_hi_u32 v0, s9, v1
	v_add_u32_e32 v0, v1, v0
	v_lshrrev_b32_e32 v0, s10, v0
	v_mul_lo_u32 v0, v0, s8
	v_sub_u32_e32 v0, v1, v0
	v_mad_u64_u32 v[4:5], s[2:3], v0, s16, v[4:5]
	v_mad_u64_u32 v[18:19], s[2:3], v0, s17, v[18:19]
	;; [unrolled: 1-line block ×3, first 2 shown]
.LBB40_1606:
	s_and_b64 vcc, exec, s[0:1]
	v_add_u32_e32 v0, 0x100, v8
	s_cbranch_vccnz .LBB40_1612
; %bb.1607:
	s_cmp_lg_u32 s33, 0
	v_mov_b32_e32 v12, 0
	v_mov_b32_e32 v14, 0
	;; [unrolled: 1-line block ×3, first 2 shown]
	s_cbranch_scc0 .LBB40_1613
; %bb.1608:
	s_min_u32 s8, s68, 15
	s_add_i32 s2, s8, 1
	s_and_b32 s9, s2, 30
	s_add_u32 s2, s20, 0xffffffec
	s_addc_u32 s3, s21, -1
	v_mov_b32_e32 v2, 0
	v_mov_b32_e32 v1, v0
	;; [unrolled: 1-line block ×4, first 2 shown]
.LBB40_1609:                            ; =>This Inner Loop Header: Depth=1
	s_mov_b64 s[10:11], s[2:3]
	s_load_dwordx4 s[16:19], s[10:11], 0x18
	s_load_dwordx2 s[14:15], s[10:11], 0x28
	s_load_dwordx2 s[22:23], s[10:11], 0xe8
	s_load_dwordx4 s[24:27], s[10:11], 0xd8
	s_add_u32 s2, s10, 24
	s_waitcnt lgkmcnt(0)
	v_mul_hi_u32 v3, s17, v1
	v_add_u32_e32 v3, v1, v3
	v_lshrrev_b32_e32 v3, s18, v3
	v_mul_lo_u32 v5, v3, s16
	v_mul_hi_u32 v7, s14, v3
	v_sub_u32_e32 v1, v1, v5
	v_add_u32_e32 v5, v3, v7
	v_mul_lo_u32 v7, v1, s24
	v_mul_lo_u32 v8, v1, s25
	;; [unrolled: 1-line block ×3, first 2 shown]
	v_lshrrev_b32_e32 v1, s15, v5
	v_mul_lo_u32 v5, v1, s19
	v_sub_u32_e32 v3, v3, v5
	s_addc_u32 s3, s11, 0
	s_add_i32 s9, s9, -2
	v_mul_lo_u32 v5, v3, s27
	v_mul_lo_u32 v10, v3, s22
	;; [unrolled: 1-line block ×3, first 2 shown]
	s_cmp_lg_u32 s9, 0
	v_add3_u32 v2, v7, v2, v5
	v_add3_u32 v12, v9, v12, v3
	;; [unrolled: 1-line block ×3, first 2 shown]
	s_cbranch_scc1 .LBB40_1609
; %bb.1610:
	s_bitcmp1_b32 s8, 0
	s_cselect_b64 s[8:9], -1, 0
	s_and_b64 vcc, exec, s[8:9]
	s_cbranch_vccnz .LBB40_1613
; %bb.1611:
	s_load_dwordx2 s[8:9], s[2:3], 0x18
	s_load_dword s14, s[2:3], 0x20
	s_load_dword s15, s[2:3], 0xe0
	s_load_dwordx2 s[10:11], s[2:3], 0xd8
	s_waitcnt lgkmcnt(0)
	v_mul_hi_u32 v3, s9, v1
	v_add_u32_e32 v3, v1, v3
	v_lshrrev_b32_e32 v3, s14, v3
	v_mul_lo_u32 v3, v3, s8
	v_sub_u32_e32 v1, v1, v3
	v_mad_u64_u32 v[2:3], s[2:3], v1, s10, v[2:3]
	v_mad_u64_u32 v[14:15], s[2:3], v1, s11, v[14:15]
	;; [unrolled: 1-line block ×3, first 2 shown]
	s_cbranch_execz .LBB40_1614
	s_branch .LBB40_1616
.LBB40_1612:
                                        ; implicit-def: $vgpr12
                                        ; implicit-def: $vgpr14
                                        ; implicit-def: $vgpr2
	s_branch .LBB40_1614
.LBB40_1613:
	s_cbranch_execnz .LBB40_1616
.LBB40_1614:
	s_load_dwordx4 s[8:11], s[20:21], 0x4
	s_load_dwordx4 s[16:19], s[20:21], 0xc4
	s_cmp_lt_u32 s33, 2
	s_waitcnt lgkmcnt(0)
	v_mul_hi_u32 v1, s9, v0
	v_add_u32_e32 v1, v0, v1
	v_lshrrev_b32_e32 v1, s10, v1
	v_mul_lo_u32 v2, v1, s8
	v_sub_u32_e32 v0, v0, v2
	v_mul_lo_u32 v2, v0, s16
	v_mul_lo_u32 v12, v0, s18
	;; [unrolled: 1-line block ×3, first 2 shown]
	s_cbranch_scc1 .LBB40_1616
; %bb.1615:
	s_load_dwordx4 s[8:11], s[20:21], 0x10
	s_load_dwordx4 s[16:19], s[20:21], 0xd0
	s_waitcnt lgkmcnt(0)
	v_mul_hi_u32 v0, s9, v1
	v_add_u32_e32 v0, v1, v0
	v_lshrrev_b32_e32 v0, s10, v0
	v_mul_lo_u32 v0, v0, s8
	v_sub_u32_e32 v0, v1, v0
	v_mad_u64_u32 v[2:3], s[2:3], v0, s16, v[2:3]
	v_mad_u64_u32 v[14:15], s[2:3], v0, s17, v[14:15]
	;; [unrolled: 1-line block ×3, first 2 shown]
.LBB40_1616:
	s_and_b64 vcc, exec, s[0:1]
	s_cbranch_vccnz .LBB40_1622
; %bb.1617:
	s_cmp_lg_u32 s33, 0
	v_mov_b32_e32 v8, 0
	v_mov_b32_e32 v10, 0
	;; [unrolled: 1-line block ×3, first 2 shown]
	s_cbranch_scc0 .LBB40_1623
; %bb.1618:
	s_min_u32 s2, s68, 15
	s_add_i32 s0, s2, 1
	s_and_b32 s3, s0, 30
	s_add_u32 s0, s20, 0xffffffec
	s_addc_u32 s1, s21, -1
	v_mov_b32_e32 v0, 0
	v_mov_b32_e32 v1, v24
	;; [unrolled: 1-line block ×4, first 2 shown]
.LBB40_1619:                            ; =>This Inner Loop Header: Depth=1
	s_mov_b64 s[14:15], s[0:1]
	s_load_dwordx4 s[8:11], s[14:15], 0x18
	s_load_dwordx2 s[22:23], s[14:15], 0x28
	s_load_dwordx2 s[24:25], s[14:15], 0xe8
	s_load_dwordx4 s[16:19], s[14:15], 0xd8
	s_add_u32 s0, s14, 24
	s_waitcnt lgkmcnt(0)
	v_mul_hi_u32 v3, s9, v1
	v_add_u32_e32 v3, v1, v3
	v_lshrrev_b32_e32 v3, s10, v3
	v_mul_lo_u32 v5, v3, s8
	v_mul_hi_u32 v7, s22, v3
	v_sub_u32_e32 v1, v1, v5
	v_add_u32_e32 v5, v3, v7
	v_mul_lo_u32 v7, v1, s16
	v_mul_lo_u32 v9, v1, s17
	;; [unrolled: 1-line block ×3, first 2 shown]
	v_lshrrev_b32_e32 v1, s23, v5
	v_mul_lo_u32 v5, v1, s11
	v_sub_u32_e32 v3, v3, v5
	s_addc_u32 s1, s15, 0
	s_add_i32 s3, s3, -2
	v_mul_lo_u32 v5, v3, s19
	v_mul_lo_u32 v13, v3, s24
	;; [unrolled: 1-line block ×3, first 2 shown]
	s_cmp_lg_u32 s3, 0
	v_add3_u32 v0, v7, v0, v5
	v_add3_u32 v8, v11, v8, v3
	;; [unrolled: 1-line block ×3, first 2 shown]
	s_cbranch_scc1 .LBB40_1619
; %bb.1620:
	s_bitcmp1_b32 s2, 0
	s_cselect_b64 s[2:3], -1, 0
	s_and_b64 vcc, exec, s[2:3]
	s_cbranch_vccnz .LBB40_1623
; %bb.1621:
	s_load_dwordx2 s[2:3], s[0:1], 0x18
	s_load_dword s10, s[0:1], 0x20
	s_load_dword s11, s[0:1], 0xe0
	s_load_dwordx2 s[8:9], s[0:1], 0xd8
	s_waitcnt lgkmcnt(0)
	v_mul_hi_u32 v3, s3, v1
	v_add_u32_e32 v3, v1, v3
	v_lshrrev_b32_e32 v3, s10, v3
	v_mul_lo_u32 v3, v3, s2
	v_sub_u32_e32 v3, v1, v3
	v_mad_u64_u32 v[0:1], s[0:1], v3, s8, v[0:1]
	v_mad_u64_u32 v[10:11], s[0:1], v3, s9, v[10:11]
	;; [unrolled: 1-line block ×3, first 2 shown]
	s_cbranch_execz .LBB40_1624
	s_branch .LBB40_1626
.LBB40_1622:
                                        ; implicit-def: $vgpr8
                                        ; implicit-def: $vgpr10
                                        ; implicit-def: $vgpr0
	s_branch .LBB40_1624
.LBB40_1623:
	s_cbranch_execnz .LBB40_1626
.LBB40_1624:
	s_load_dwordx4 s[0:3], s[20:21], 0x4
	s_load_dwordx4 s[8:11], s[20:21], 0xc4
	s_cmp_lt_u32 s33, 2
	s_waitcnt lgkmcnt(0)
	v_mul_hi_u32 v0, s1, v24
	v_add_u32_e32 v0, v24, v0
	v_lshrrev_b32_e32 v1, s2, v0
	v_mul_lo_u32 v0, v1, s0
	v_sub_u32_e32 v3, v24, v0
	v_mul_lo_u32 v0, v3, s8
	v_mul_lo_u32 v8, v3, s10
	;; [unrolled: 1-line block ×3, first 2 shown]
	s_cbranch_scc1 .LBB40_1626
; %bb.1625:
	s_load_dwordx4 s[0:3], s[20:21], 0x10
	s_load_dwordx4 s[8:11], s[20:21], 0xd0
	s_waitcnt lgkmcnt(0)
	v_mul_hi_u32 v3, s1, v1
	v_add_u32_e32 v3, v1, v3
	v_lshrrev_b32_e32 v3, s2, v3
	v_mul_lo_u32 v3, v3, s0
	v_sub_u32_e32 v3, v1, v3
	v_mad_u64_u32 v[0:1], s[0:1], v3, s8, v[0:1]
	v_mad_u64_u32 v[10:11], s[0:1], v3, s9, v[10:11]
	;; [unrolled: 1-line block ×3, first 2 shown]
.LBB40_1626:
	s_load_dword s24, s[4:5], 0x1a8
	s_load_dwordx4 s[8:11], s[20:21], 0x188
	s_waitcnt lgkmcnt(0)
	s_lshr_b32 s25, s24, 16
	v_mov_b32_e32 v1, s11
	v_add_co_u32_e32 v22, vcc, s10, v22
	v_addc_co_u32_e32 v23, vcc, 0, v1, vcc
	v_mov_b32_e32 v1, 11
	v_cmp_lt_i16_sdwa s[0:1], s25, v1 src0_sel:BYTE_0 src1_sel:DWORD
	s_and_b64 vcc, exec, s[0:1]
	s_cbranch_vccnz .LBB40_1633
; %bb.1627:
	v_mov_b32_e32 v1, 25
	v_cmp_gt_i16_sdwa s[0:1], s25, v1 src0_sel:BYTE_0 src1_sel:DWORD
	s_mov_b64 s[2:3], 0
	s_and_b64 vcc, exec, s[0:1]
	s_cbranch_vccz .LBB40_1635
; %bb.1628:
	v_mov_b32_e32 v1, 28
	v_cmp_gt_i16_sdwa s[0:1], s25, v1 src0_sel:BYTE_0 src1_sel:DWORD
	s_and_b64 vcc, exec, s[0:1]
	s_cbranch_vccz .LBB40_1636
; %bb.1629:
	v_mov_b32_e32 v1, 43
	v_cmp_gt_i16_sdwa s[0:1], s25, v1 src0_sel:BYTE_0 src1_sel:DWORD
	;; [unrolled: 5-line block ×3, first 2 shown]
	s_and_b64 vcc, exec, s[0:1]
	s_cbranch_vccz .LBB40_1638
; %bb.1631:
	v_mov_b32_e32 v1, 46
	v_cmp_eq_u16_sdwa s[0:1], s25, v1 src0_sel:BYTE_0 src1_sel:DWORD
	s_mov_b64 s[14:15], 0
	s_and_b64 vcc, exec, s[0:1]
	s_cbranch_vccz .LBB40_1641
; %bb.1632:
	global_load_dword v1, v[22:23], off
	s_mov_b64 s[0:1], 0
	s_mov_b64 s[4:5], -1
	s_waitcnt vmcnt(0)
	v_lshlrev_b32_e32 v1, 16, v1
	s_branch .LBB40_1642
.LBB40_1633:
	s_mov_b64 s[4:5], 0
                                        ; implicit-def: $vgpr1
	s_mov_b64 s[14:15], s[6:7]
	s_cbranch_execnz .LBB40_1705
.LBB40_1634:
	s_andn2_b64 vcc, exec, s[4:5]
	s_cbranch_vccz .LBB40_1750
	s_branch .LBB40_3113
.LBB40_1635:
	s_mov_b64 s[4:5], 0
	s_mov_b64 s[0:1], 0
                                        ; implicit-def: $vgpr1
	s_cbranch_execnz .LBB40_1670
	s_branch .LBB40_1701
.LBB40_1636:
	s_mov_b64 s[14:15], -1
	s_mov_b64 s[4:5], 0
	s_mov_b64 s[0:1], 0
                                        ; implicit-def: $vgpr1
	s_branch .LBB40_1651
.LBB40_1637:
	s_mov_b64 s[4:5], 0
	s_mov_b64 s[0:1], 0
                                        ; implicit-def: $vgpr1
	s_cbranch_execnz .LBB40_1647
	s_branch .LBB40_1650
.LBB40_1638:
	s_mov_b64 s[14:15], -1
	s_mov_b64 s[4:5], 0
	s_mov_b64 s[0:1], 0
                                        ; implicit-def: $vgpr1
	s_branch .LBB40_1642
.LBB40_1639:
	s_or_saveexec_b64 s[16:17], s[16:17]
                                        ; implicit-def: $sgpr18
	s_xor_b64 exec, exec, s[16:17]
	s_cbranch_execz .LBB40_1498
.LBB40_1640:
	v_add_f32_e32 v0, 0x46000000, v5
	v_and_b32_e32 v0, 0xff, v0
	v_cmp_ne_u32_e32 vcc, 0, v0
	s_andn2_b64 s[14:15], s[14:15], exec
	s_and_b64 s[28:29], vcc, exec
	s_mov_b32 s18, 0
	s_or_b64 s[14:15], s[14:15], s[28:29]
	s_or_b64 exec, exec, s[16:17]
	v_mov_b32_e32 v6, s18
	s_and_saveexec_b64 s[16:17], s[14:15]
	s_cbranch_execnz .LBB40_1499
	s_branch .LBB40_1500
.LBB40_1641:
	s_mov_b64 s[0:1], -1
                                        ; implicit-def: $vgpr1
	s_mov_b64 s[4:5], 0
.LBB40_1642:
	s_and_b64 vcc, exec, s[14:15]
	s_cbranch_vccz .LBB40_1645
; %bb.1643:
	v_mov_b32_e32 v1, 44
	v_cmp_eq_u16_sdwa s[0:1], s25, v1 src0_sel:BYTE_0 src1_sel:DWORD
	s_and_b64 vcc, exec, s[0:1]
	s_cbranch_vccz .LBB40_1646
; %bb.1644:
	global_load_ubyte v1, v[22:23], off
	s_movk_i32 s4, 0xff
	v_mov_b32_e32 v3, 0x7f800001
	v_mov_b32_e32 v5, 0x400000
	s_mov_b64 s[0:1], 0
	s_waitcnt vmcnt(0)
	v_lshlrev_b32_e32 v7, 23, v1
	v_cmp_ne_u32_e32 vcc, s4, v1
	v_cndmask_b32_e32 v3, v3, v7, vcc
	v_cmp_ne_u32_e32 vcc, 0, v1
	v_cndmask_b32_e32 v1, v5, v3, vcc
	s_mov_b64 s[4:5], -1
.LBB40_1645:
	s_branch .LBB40_1650
.LBB40_1646:
	s_mov_b64 s[0:1], -1
                                        ; implicit-def: $vgpr1
	s_branch .LBB40_1650
.LBB40_1647:
	v_mov_b32_e32 v1, 29
	v_cmp_eq_u16_sdwa s[0:1], s25, v1 src0_sel:BYTE_0 src1_sel:DWORD
	s_and_b64 vcc, exec, s[0:1]
	s_cbranch_vccz .LBB40_1649
; %bb.1648:
	global_load_dwordx2 v[24:25], v[22:23], off
	s_mov_b64 s[0:1], 0
	s_mov_b64 s[4:5], -1
	s_mov_b64 s[14:15], 0
	s_waitcnt vmcnt(0)
	v_ffbh_u32_e32 v1, v25
	v_min_u32_e32 v1, 32, v1
	v_lshlrev_b64 v[24:25], v1, v[24:25]
	v_min_u32_e32 v3, 1, v24
	v_or_b32_e32 v3, v25, v3
	v_cvt_f32_u32_e32 v3, v3
	v_sub_u32_e32 v1, 32, v1
	v_ldexp_f32 v1, v3, v1
	s_branch .LBB40_1651
.LBB40_1649:
	s_mov_b64 s[0:1], -1
                                        ; implicit-def: $vgpr1
.LBB40_1650:
	s_mov_b64 s[14:15], 0
.LBB40_1651:
	s_and_b64 vcc, exec, s[14:15]
	s_cbranch_vccz .LBB40_1669
; %bb.1652:
	v_mov_b32_e32 v1, 27
	v_cmp_lt_i16_sdwa s[4:5], s25, v1 src0_sel:BYTE_0 src1_sel:DWORD
	s_and_b64 vcc, exec, s[4:5]
	s_cbranch_vccnz .LBB40_1655
; %bb.1653:
	v_cmp_gt_i16_sdwa s[4:5], s25, v1 src0_sel:BYTE_0 src1_sel:DWORD
	s_and_b64 vcc, exec, s[4:5]
	s_cbranch_vccz .LBB40_1656
; %bb.1654:
	global_load_dword v1, v[22:23], off
	s_mov_b64 s[4:5], 0
	s_waitcnt vmcnt(0)
	v_cvt_f32_u32_e32 v1, v1
	s_branch .LBB40_1657
.LBB40_1655:
	s_mov_b64 s[4:5], -1
                                        ; implicit-def: $vgpr1
	s_branch .LBB40_1660
.LBB40_1656:
	s_mov_b64 s[4:5], -1
                                        ; implicit-def: $vgpr1
.LBB40_1657:
	s_andn2_b64 vcc, exec, s[4:5]
	s_cbranch_vccnz .LBB40_1659
; %bb.1658:
	global_load_ushort v1, v[22:23], off
	s_waitcnt vmcnt(0)
	v_cvt_f32_u32_e32 v1, v1
.LBB40_1659:
	s_mov_b64 s[4:5], 0
.LBB40_1660:
	s_andn2_b64 vcc, exec, s[4:5]
	s_cbranch_vccnz .LBB40_1668
; %bb.1661:
	global_load_ubyte v3, v[22:23], off
	s_movk_i32 s4, 0x7f
                                        ; implicit-def: $sgpr18
	s_waitcnt vmcnt(0)
	v_cmp_lt_i16_e32 vcc, s4, v3
	s_mov_b64 s[4:5], 0
	s_and_saveexec_b64 s[14:15], vcc
	s_xor_b64 s[14:15], exec, s[14:15]
	s_cbranch_execz .LBB40_1681
; %bb.1662:
	s_movk_i32 s4, 0x80
	v_cmp_eq_u16_e32 vcc, s4, v3
	s_mov_b64 s[4:5], -1
                                        ; implicit-def: $sgpr18
	s_and_saveexec_b64 s[16:17], vcc
; %bb.1663:
	s_mov_b32 s18, 0x7f800001
	s_xor_b64 s[4:5], exec, -1
; %bb.1664:
	s_or_b64 exec, exec, s[16:17]
	s_and_b64 s[4:5], s[4:5], exec
	s_or_saveexec_b64 s[14:15], s[14:15]
	v_mov_b32_e32 v1, s18
	s_xor_b64 exec, exec, s[14:15]
	s_cbranch_execnz .LBB40_1682
.LBB40_1665:
	s_or_b64 exec, exec, s[14:15]
	s_and_saveexec_b64 s[14:15], s[4:5]
	s_cbranch_execz .LBB40_1667
.LBB40_1666:
	v_lshlrev_b32_e32 v1, 24, v3
	v_and_b32_e32 v3, 0xffff, v3
	v_and_b32_e32 v5, 7, v3
	v_ffbh_u32_e32 v9, v5
	v_min_u32_e32 v9, 32, v9
	v_subrev_u32_e32 v11, 28, v9
	v_bfe_u32 v7, v3, 3, 4
	v_lshlrev_b32_e32 v3, v11, v3
	v_sub_u32_e32 v9, 29, v9
	v_and_b32_e32 v3, 7, v3
	v_cmp_eq_u32_e32 vcc, 0, v7
	v_cndmask_b32_e32 v7, v7, v9, vcc
	v_cndmask_b32_e32 v3, v5, v3, vcc
	v_mov_b32_e32 v5, 0x3b800000
	v_lshlrev_b32_e32 v3, 20, v3
	v_and_b32_e32 v1, 0x80000000, v1
	v_lshl_add_u32 v5, v7, 23, v5
	v_or3_b32 v1, v1, v5, v3
.LBB40_1667:
	s_or_b64 exec, exec, s[14:15]
.LBB40_1668:
	s_mov_b64 s[4:5], -1
.LBB40_1669:
	s_branch .LBB40_1701
.LBB40_1670:
	v_mov_b32_e32 v1, 22
	v_cmp_gt_i16_sdwa s[2:3], s25, v1 src0_sel:BYTE_0 src1_sel:DWORD
	s_and_b64 vcc, exec, s[2:3]
	s_cbranch_vccz .LBB40_1680
; %bb.1671:
	v_mov_b32_e32 v1, 24
	v_cmp_lt_i16_sdwa s[2:3], s25, v1 src0_sel:BYTE_0 src1_sel:DWORD
	s_and_b64 vcc, exec, s[2:3]
	s_cbranch_vccnz .LBB40_1683
; %bb.1672:
	v_cmp_gt_i16_sdwa s[2:3], s25, v1 src0_sel:BYTE_0 src1_sel:DWORD
	s_and_b64 vcc, exec, s[2:3]
	s_cbranch_vccz .LBB40_1684
; %bb.1673:
	global_load_ubyte v3, v[22:23], off
	s_movk_i32 s2, 0x7f
                                        ; implicit-def: $sgpr16
	s_waitcnt vmcnt(0)
	v_cmp_lt_i16_e32 vcc, s2, v3
	s_mov_b64 s[2:3], 0
	s_and_saveexec_b64 s[4:5], vcc
	s_xor_b64 s[4:5], exec, s[4:5]
	s_cbranch_execz .LBB40_1695
; %bb.1674:
	s_movk_i32 s2, 0x80
	v_cmp_eq_u16_e32 vcc, s2, v3
	s_mov_b64 s[2:3], -1
                                        ; implicit-def: $sgpr16
	s_and_saveexec_b64 s[14:15], vcc
; %bb.1675:
	s_mov_b32 s16, 0x7f800001
	s_xor_b64 s[2:3], exec, -1
; %bb.1676:
	s_or_b64 exec, exec, s[14:15]
	s_and_b64 s[2:3], s[2:3], exec
	s_or_saveexec_b64 s[4:5], s[4:5]
	v_mov_b32_e32 v1, s16
	s_xor_b64 exec, exec, s[4:5]
	s_cbranch_execnz .LBB40_1696
.LBB40_1677:
	s_or_b64 exec, exec, s[4:5]
	s_and_saveexec_b64 s[4:5], s[2:3]
	s_cbranch_execz .LBB40_1679
.LBB40_1678:
	v_lshlrev_b32_e32 v1, 24, v3
	v_and_b32_e32 v3, 0xffff, v3
	v_and_b32_e32 v5, 3, v3
	v_ffbh_u32_e32 v9, v5
	v_min_u32_e32 v9, 32, v9
	v_subrev_u32_e32 v11, 29, v9
	v_bfe_u32 v7, v3, 2, 5
	v_lshlrev_b32_e32 v3, v11, v3
	v_sub_u32_e32 v9, 30, v9
	v_and_b32_e32 v3, 3, v3
	v_cmp_eq_u32_e32 vcc, 0, v7
	v_cndmask_b32_e32 v7, v7, v9, vcc
	v_cndmask_b32_e32 v3, v5, v3, vcc
	v_mov_b32_e32 v5, 0x37800000
	v_lshlrev_b32_e32 v3, 21, v3
	v_and_b32_e32 v1, 0x80000000, v1
	v_lshl_add_u32 v5, v7, 23, v5
	v_or3_b32 v1, v1, v5, v3
.LBB40_1679:
	s_or_b64 exec, exec, s[4:5]
	s_mov_b64 s[2:3], 0
	s_branch .LBB40_1685
.LBB40_1680:
                                        ; implicit-def: $vgpr1
	s_mov_b64 s[2:3], 0
	s_branch .LBB40_1691
.LBB40_1681:
	s_or_saveexec_b64 s[14:15], s[14:15]
	v_mov_b32_e32 v1, s18
	s_xor_b64 exec, exec, s[14:15]
	s_cbranch_execz .LBB40_1665
.LBB40_1682:
	v_cmp_ne_u16_e32 vcc, 0, v3
	s_andn2_b64 s[4:5], s[4:5], exec
	s_and_b64 s[16:17], vcc, exec
	v_mov_b32_e32 v1, 0
	s_or_b64 s[4:5], s[4:5], s[16:17]
	s_or_b64 exec, exec, s[14:15]
	s_and_saveexec_b64 s[14:15], s[4:5]
	s_cbranch_execnz .LBB40_1666
	s_branch .LBB40_1667
.LBB40_1683:
	s_mov_b64 s[2:3], -1
                                        ; implicit-def: $vgpr1
	s_branch .LBB40_1688
.LBB40_1684:
	s_mov_b64 s[2:3], -1
                                        ; implicit-def: $vgpr1
.LBB40_1685:
	s_and_b64 vcc, exec, s[2:3]
	s_cbranch_vccz .LBB40_1687
; %bb.1686:
	global_load_ubyte v1, v[22:23], off
	s_mov_b32 s2, 0x7f800000
	s_waitcnt vmcnt(0)
	v_lshlrev_b32_e32 v1, 24, v1
	v_and_b32_e32 v3, 0x7f000000, v1
	v_ffbh_u32_e32 v5, v3
	v_min_u32_e32 v5, 32, v5
	v_sub_u32_e64 v5, v5, 4 clamp
	v_lshlrev_b32_e32 v9, v5, v3
	v_lshlrev_b32_e32 v5, 23, v5
	v_lshrrev_b32_e32 v9, 4, v9
	v_add_u32_e32 v7, 0x1000000, v3
	v_sub_u32_e32 v5, v9, v5
	v_ashrrev_i32_e32 v7, 8, v7
	v_add_u32_e32 v5, 0x3c000000, v5
	v_and_or_b32 v5, v7, s2, v5
	v_cmp_ne_u32_e32 vcc, 0, v3
	v_cndmask_b32_e32 v3, 0, v5, vcc
	s_brev_b32 s2, 1
	v_and_or_b32 v1, v1, s2, v3
.LBB40_1687:
	s_mov_b64 s[2:3], 0
.LBB40_1688:
	s_andn2_b64 vcc, exec, s[2:3]
	s_cbranch_vccnz .LBB40_1690
; %bb.1689:
	global_load_ubyte v1, v[22:23], off
	s_movk_i32 s2, 0x7f00
	s_brev_b32 s3, 16
	s_waitcnt vmcnt(0)
	v_lshlrev_b16_e32 v3, 8, v1
	v_lshlrev_b32_e32 v1, 25, v1
	v_lshrrev_b32_e32 v5, 4, v1
	v_and_or_b32 v7, v3, s2, 0.5
	v_or_b32_e32 v5, 0x70000000, v5
	v_add_f32_e32 v7, -0.5, v7
	v_mul_f32_e32 v5, 0x7800000, v5
	v_cmp_gt_u32_e32 vcc, s3, v1
	v_bfe_i32 v3, v3, 0, 16
	v_cndmask_b32_e32 v1, v5, v7, vcc
	s_brev_b32 s2, 1
	v_and_or_b32 v1, v3, s2, v1
.LBB40_1690:
	s_mov_b64 s[4:5], -1
	s_mov_b64 s[2:3], 0
	s_cbranch_execnz .LBB40_1701
.LBB40_1691:
	v_mov_b32_e32 v1, 14
	v_cmp_gt_i16_sdwa s[2:3], s25, v1 src0_sel:BYTE_0 src1_sel:DWORD
	s_and_b64 vcc, exec, s[2:3]
	s_cbranch_vccz .LBB40_1694
; %bb.1692:
	v_mov_b32_e32 v1, 15
	v_cmp_eq_u16_sdwa s[0:1], s25, v1 src0_sel:BYTE_0 src1_sel:DWORD
	s_and_b64 vcc, exec, s[0:1]
	s_cbranch_vccz .LBB40_1697
; %bb.1693:
	global_load_ushort v1, v[22:23], off
	s_mov_b64 s[0:1], 0
	s_mov_b64 s[4:5], -1
	s_waitcnt vmcnt(0)
	v_lshlrev_b32_e32 v1, 16, v1
	s_branch .LBB40_1698
.LBB40_1694:
	s_mov_b64 s[14:15], -1
                                        ; implicit-def: $vgpr1
	s_branch .LBB40_1699
.LBB40_1695:
	s_or_saveexec_b64 s[4:5], s[4:5]
	v_mov_b32_e32 v1, s16
	s_xor_b64 exec, exec, s[4:5]
	s_cbranch_execz .LBB40_1677
.LBB40_1696:
	v_cmp_ne_u16_e32 vcc, 0, v3
	s_andn2_b64 s[2:3], s[2:3], exec
	s_and_b64 s[14:15], vcc, exec
	v_mov_b32_e32 v1, 0
	s_or_b64 s[2:3], s[2:3], s[14:15]
	s_or_b64 exec, exec, s[4:5]
	s_and_saveexec_b64 s[4:5], s[2:3]
	s_cbranch_execnz .LBB40_1678
	s_branch .LBB40_1679
.LBB40_1697:
	s_mov_b64 s[0:1], -1
                                        ; implicit-def: $vgpr1
.LBB40_1698:
	s_mov_b64 s[14:15], 0
.LBB40_1699:
	s_mov_b64 s[2:3], 0
	s_and_b64 vcc, exec, s[14:15]
	s_cbranch_vccz .LBB40_1701
; %bb.1700:
	v_mov_b32_e32 v1, 11
	v_cmp_ne_u16_sdwa s[0:1], s25, v1 src0_sel:BYTE_0 src1_sel:DWORD
	s_mov_b64 s[2:3], -1
                                        ; implicit-def: $vgpr1
.LBB40_1701:
	s_and_b64 vcc, exec, s[0:1]
	s_mov_b64 s[14:15], s[6:7]
	s_cbranch_vccnz .LBB40_1762
; %bb.1702:
	s_andn2_b64 vcc, exec, s[2:3]
	s_cbranch_vccnz .LBB40_1704
.LBB40_1703:
	global_load_ubyte v1, v[22:23], off
	s_mov_b64 s[4:5], -1
	s_waitcnt vmcnt(0)
	v_cmp_ne_u16_e32 vcc, 0, v1
	v_cndmask_b32_e64 v1, 0, 1.0, vcc
.LBB40_1704:
	s_branch .LBB40_1634
.LBB40_1705:
	v_mov_b32_e32 v1, 5
	v_cmp_lt_i16_sdwa s[0:1], s25, v1 src0_sel:BYTE_0 src1_sel:DWORD
	s_and_b64 vcc, exec, s[0:1]
	s_cbranch_vccnz .LBB40_1710
; %bb.1706:
	v_mov_b32_e32 v1, 8
	v_cmp_lt_i16_sdwa s[0:1], s25, v1 src0_sel:BYTE_0 src1_sel:DWORD
	s_and_b64 vcc, exec, s[0:1]
	s_cbranch_vccnz .LBB40_1711
; %bb.1707:
	;; [unrolled: 5-line block ×3, first 2 shown]
	v_cmp_gt_i16_sdwa s[0:1], s25, v1 src0_sel:BYTE_0 src1_sel:DWORD
	s_and_b64 vcc, exec, s[0:1]
	s_cbranch_vccz .LBB40_1713
; %bb.1709:
	global_load_dwordx2 v[24:25], v[22:23], off
	s_mov_b64 s[0:1], 0
	s_waitcnt vmcnt(0)
	v_cvt_f32_f64_e32 v1, v[24:25]
	s_branch .LBB40_1714
.LBB40_1710:
                                        ; implicit-def: $vgpr1
	s_branch .LBB40_1731
.LBB40_1711:
                                        ; implicit-def: $vgpr1
	s_branch .LBB40_1720
.LBB40_1712:
	s_mov_b64 s[0:1], -1
                                        ; implicit-def: $vgpr1
	s_branch .LBB40_1717
.LBB40_1713:
	s_mov_b64 s[0:1], -1
                                        ; implicit-def: $vgpr1
.LBB40_1714:
	s_andn2_b64 vcc, exec, s[0:1]
	s_cbranch_vccnz .LBB40_1716
; %bb.1715:
	global_load_dword v1, v[22:23], off
.LBB40_1716:
	s_mov_b64 s[0:1], 0
.LBB40_1717:
	s_andn2_b64 vcc, exec, s[0:1]
	s_cbranch_vccnz .LBB40_1719
; %bb.1718:
	global_load_dword v1, v[22:23], off
	s_waitcnt vmcnt(0)
	v_cvt_f32_f16_e32 v1, v1
.LBB40_1719:
	s_cbranch_execnz .LBB40_1730
.LBB40_1720:
	s_waitcnt vmcnt(0)
	v_mov_b32_e32 v1, 6
	v_cmp_lt_i16_sdwa s[0:1], s25, v1 src0_sel:BYTE_0 src1_sel:DWORD
	s_and_b64 vcc, exec, s[0:1]
	s_cbranch_vccnz .LBB40_1723
; %bb.1721:
	v_cmp_gt_i16_sdwa s[0:1], s25, v1 src0_sel:BYTE_0 src1_sel:DWORD
	s_and_b64 vcc, exec, s[0:1]
	s_cbranch_vccz .LBB40_1724
; %bb.1722:
	global_load_dwordx2 v[24:25], v[22:23], off
	s_mov_b64 s[0:1], 0
	s_waitcnt vmcnt(0)
	v_cvt_f32_f64_e32 v1, v[24:25]
	s_branch .LBB40_1725
.LBB40_1723:
	s_mov_b64 s[0:1], -1
                                        ; implicit-def: $vgpr1
	s_branch .LBB40_1728
.LBB40_1724:
	s_mov_b64 s[0:1], -1
                                        ; implicit-def: $vgpr1
.LBB40_1725:
	s_andn2_b64 vcc, exec, s[0:1]
	s_cbranch_vccnz .LBB40_1727
; %bb.1726:
	global_load_dword v1, v[22:23], off
.LBB40_1727:
	s_mov_b64 s[0:1], 0
.LBB40_1728:
	s_andn2_b64 vcc, exec, s[0:1]
	s_cbranch_vccnz .LBB40_1730
; %bb.1729:
	global_load_ushort v1, v[22:23], off
	s_waitcnt vmcnt(0)
	v_cvt_f32_f16_e32 v1, v1
.LBB40_1730:
	s_cbranch_execnz .LBB40_1749
.LBB40_1731:
	s_waitcnt vmcnt(0)
	v_mov_b32_e32 v1, 2
	v_cmp_lt_i16_sdwa s[0:1], s25, v1 src0_sel:BYTE_0 src1_sel:DWORD
	s_and_b64 vcc, exec, s[0:1]
	s_cbranch_vccnz .LBB40_1735
; %bb.1732:
	v_mov_b32_e32 v1, 3
	v_cmp_lt_i16_sdwa s[0:1], s25, v1 src0_sel:BYTE_0 src1_sel:DWORD
	s_and_b64 vcc, exec, s[0:1]
	s_cbranch_vccnz .LBB40_1736
; %bb.1733:
	v_cmp_gt_i16_sdwa s[0:1], s25, v1 src0_sel:BYTE_0 src1_sel:DWORD
	s_and_b64 vcc, exec, s[0:1]
	s_cbranch_vccz .LBB40_1737
; %bb.1734:
	global_load_dwordx2 v[24:25], v[22:23], off
	s_mov_b64 s[0:1], 0
	s_waitcnt vmcnt(0)
	v_xor_b32_e32 v3, v24, v25
	v_ffbh_i32_e32 v1, v25
	v_ashrrev_i32_e32 v3, 31, v3
	v_add_u32_e32 v1, -1, v1
	v_add_u32_e32 v3, 32, v3
	v_min_u32_e32 v1, v1, v3
	v_lshlrev_b64 v[24:25], v1, v[24:25]
	v_min_u32_e32 v3, 1, v24
	v_or_b32_e32 v3, v25, v3
	v_cvt_f32_i32_e32 v3, v3
	v_sub_u32_e32 v1, 32, v1
	v_ldexp_f32 v1, v3, v1
	s_branch .LBB40_1738
.LBB40_1735:
                                        ; implicit-def: $vgpr1
	s_branch .LBB40_1744
.LBB40_1736:
	s_mov_b64 s[0:1], -1
                                        ; implicit-def: $vgpr1
	s_branch .LBB40_1741
.LBB40_1737:
	s_mov_b64 s[0:1], -1
                                        ; implicit-def: $vgpr1
.LBB40_1738:
	s_andn2_b64 vcc, exec, s[0:1]
	s_cbranch_vccnz .LBB40_1740
; %bb.1739:
	global_load_dword v1, v[22:23], off
	s_waitcnt vmcnt(0)
	v_cvt_f32_i32_e32 v1, v1
.LBB40_1740:
	s_mov_b64 s[0:1], 0
.LBB40_1741:
	s_andn2_b64 vcc, exec, s[0:1]
	s_cbranch_vccnz .LBB40_1743
; %bb.1742:
	global_load_sshort v1, v[22:23], off
	s_waitcnt vmcnt(0)
	v_cvt_f32_i32_e32 v1, v1
.LBB40_1743:
	s_cbranch_execnz .LBB40_1749
.LBB40_1744:
	v_mov_b32_e32 v1, 0
	v_cmp_gt_i16_sdwa s[0:1], s25, v1 src0_sel:BYTE_0 src1_sel:DWORD
	s_and_b64 vcc, exec, s[0:1]
	s_cbranch_vccz .LBB40_1746
; %bb.1745:
	global_load_sbyte v1, v[22:23], off
	s_mov_b64 s[0:1], 0
	s_waitcnt vmcnt(0)
	v_cvt_f32_i32_e32 v1, v1
	s_branch .LBB40_1747
.LBB40_1746:
	s_mov_b64 s[0:1], -1
                                        ; implicit-def: $vgpr1
.LBB40_1747:
	s_andn2_b64 vcc, exec, s[0:1]
	s_cbranch_vccnz .LBB40_1749
; %bb.1748:
	global_load_ubyte v1, v[22:23], off
	s_waitcnt vmcnt(0)
	v_cvt_f32_ubyte0_e32 v1, v1
.LBB40_1749:
.LBB40_1750:
	s_load_dwordx2 s[0:1], s[20:21], 0x198
	s_lshr_b32 s26, s24, 24
	v_cmp_lt_i16_e64 s[2:3], s26, 11
	s_waitcnt lgkmcnt(0)
	v_mov_b32_e32 v3, s1
	v_add_co_u32_e32 v20, vcc, s0, v20
	v_addc_co_u32_e32 v21, vcc, 0, v3, vcc
	s_and_b64 vcc, exec, s[2:3]
	s_cbranch_vccnz .LBB40_1757
; %bb.1751:
	v_cmp_gt_i16_e64 s[4:5], s26, 25
	s_mov_b64 s[16:17], 0
	s_and_b64 vcc, exec, s[4:5]
	s_cbranch_vccz .LBB40_1759
; %bb.1752:
	v_cmp_gt_i16_e64 s[4:5], s26, 28
	s_and_b64 vcc, exec, s[4:5]
	s_cbranch_vccz .LBB40_1760
; %bb.1753:
	v_cmp_gt_i16_e64 s[4:5], s26, 43
	;; [unrolled: 4-line block ×3, first 2 shown]
	s_and_b64 vcc, exec, s[4:5]
	s_cbranch_vccz .LBB40_1763
; %bb.1755:
	v_cmp_eq_u16_e64 s[4:5], s26, 46
	s_mov_b64 s[20:21], 0
	s_and_b64 vcc, exec, s[4:5]
	s_cbranch_vccz .LBB40_1766
; %bb.1756:
	global_load_dword v3, v[20:21], off
	s_mov_b64 s[4:5], 0
	s_mov_b64 s[18:19], -1
	s_waitcnt vmcnt(0)
	v_lshlrev_b32_e32 v5, 16, v3
	s_branch .LBB40_1767
.LBB40_1757:
	s_mov_b64 s[18:19], 0
                                        ; implicit-def: $vgpr5
	s_cbranch_execnz .LBB40_1832
.LBB40_1758:
	s_andn2_b64 vcc, exec, s[18:19]
	s_cbranch_vccnz .LBB40_3113
	s_branch .LBB40_1879
.LBB40_1759:
	s_mov_b64 s[18:19], 0
	s_mov_b64 s[4:5], 0
                                        ; implicit-def: $vgpr5
	s_cbranch_execnz .LBB40_1796
	s_branch .LBB40_1828
.LBB40_1760:
	s_mov_b64 s[20:21], -1
	s_mov_b64 s[18:19], 0
	s_mov_b64 s[4:5], 0
                                        ; implicit-def: $vgpr5
	s_branch .LBB40_1777
.LBB40_1761:
	s_mov_b64 s[20:21], -1
	s_mov_b64 s[18:19], 0
	s_mov_b64 s[4:5], 0
                                        ; implicit-def: $vgpr5
	s_branch .LBB40_1772
.LBB40_1762:
	s_or_b64 s[14:15], s[6:7], exec
	s_trap 2
                                        ; implicit-def: $vgpr1
	s_cbranch_execz .LBB40_1703
	s_branch .LBB40_1704
.LBB40_1763:
	s_mov_b64 s[20:21], -1
	s_mov_b64 s[18:19], 0
	s_mov_b64 s[4:5], 0
                                        ; implicit-def: $vgpr5
	s_branch .LBB40_1767
.LBB40_1764:
	s_or_saveexec_b64 s[18:19], s[18:19]
                                        ; implicit-def: $sgpr28
	s_xor_b64 exec, exec, s[18:19]
	s_cbranch_execz .LBB40_1510
.LBB40_1765:
	v_add_f32_e32 v0, 0x42800000, v5
	v_and_b32_e32 v0, 0xff, v0
	v_cmp_ne_u32_e32 vcc, 0, v0
	s_andn2_b64 s[16:17], s[16:17], exec
	s_and_b64 s[30:31], vcc, exec
	s_mov_b32 s28, 0
	s_or_b64 s[16:17], s[16:17], s[30:31]
	s_or_b64 exec, exec, s[18:19]
	v_mov_b32_e32 v6, s28
	s_and_saveexec_b64 s[18:19], s[16:17]
	s_cbranch_execnz .LBB40_1511
	s_branch .LBB40_1512
.LBB40_1766:
	s_mov_b64 s[4:5], -1
                                        ; implicit-def: $vgpr5
	s_mov_b64 s[18:19], 0
.LBB40_1767:
	s_and_b64 vcc, exec, s[20:21]
	s_cbranch_vccz .LBB40_1771
; %bb.1768:
	v_cmp_eq_u16_e64 s[4:5], s26, 44
	s_and_b64 vcc, exec, s[4:5]
	s_cbranch_vccz .LBB40_1770
; %bb.1769:
	global_load_ubyte v3, v[20:21], off
	s_movk_i32 s18, 0xff
	v_mov_b32_e32 v5, 0x7f800001
	v_mov_b32_e32 v7, 0x400000
	s_mov_b64 s[4:5], 0
	s_waitcnt vmcnt(0)
	v_lshlrev_b32_e32 v9, 23, v3
	v_cmp_ne_u32_e32 vcc, s18, v3
	v_cndmask_b32_e32 v5, v5, v9, vcc
	v_cmp_ne_u32_e32 vcc, 0, v3
	v_cndmask_b32_e32 v5, v7, v5, vcc
	s_mov_b64 s[18:19], -1
	s_branch .LBB40_1771
.LBB40_1770:
	s_mov_b64 s[4:5], -1
                                        ; implicit-def: $vgpr5
.LBB40_1771:
	s_mov_b64 s[20:21], 0
.LBB40_1772:
	s_and_b64 vcc, exec, s[20:21]
	s_cbranch_vccz .LBB40_1776
; %bb.1773:
	v_cmp_eq_u16_e64 s[4:5], s26, 29
	s_and_b64 vcc, exec, s[4:5]
	s_cbranch_vccz .LBB40_1775
; %bb.1774:
	global_load_dwordx2 v[22:23], v[20:21], off
	s_mov_b64 s[4:5], 0
	s_mov_b64 s[18:19], -1
	s_mov_b64 s[20:21], 0
	s_waitcnt vmcnt(0)
	v_ffbh_u32_e32 v3, v23
	v_min_u32_e32 v3, 32, v3
	v_lshlrev_b64 v[22:23], v3, v[22:23]
	v_min_u32_e32 v5, 1, v22
	v_or_b32_e32 v5, v23, v5
	v_cvt_f32_u32_e32 v5, v5
	v_sub_u32_e32 v3, 32, v3
	v_ldexp_f32 v5, v5, v3
	s_branch .LBB40_1777
.LBB40_1775:
	s_mov_b64 s[4:5], -1
                                        ; implicit-def: $vgpr5
.LBB40_1776:
	s_mov_b64 s[20:21], 0
.LBB40_1777:
	s_and_b64 vcc, exec, s[20:21]
	s_cbranch_vccz .LBB40_1795
; %bb.1778:
	v_cmp_lt_i16_e64 s[18:19], s26, 27
	s_and_b64 vcc, exec, s[18:19]
	s_cbranch_vccnz .LBB40_1781
; %bb.1779:
	v_cmp_gt_i16_e64 s[18:19], s26, 27
	s_and_b64 vcc, exec, s[18:19]
	s_cbranch_vccz .LBB40_1782
; %bb.1780:
	global_load_dword v3, v[20:21], off
	s_mov_b64 s[18:19], 0
	s_waitcnt vmcnt(0)
	v_cvt_f32_u32_e32 v5, v3
	s_branch .LBB40_1783
.LBB40_1781:
	s_mov_b64 s[18:19], -1
                                        ; implicit-def: $vgpr5
	s_branch .LBB40_1786
.LBB40_1782:
	s_mov_b64 s[18:19], -1
                                        ; implicit-def: $vgpr5
.LBB40_1783:
	s_andn2_b64 vcc, exec, s[18:19]
	s_cbranch_vccnz .LBB40_1785
; %bb.1784:
	global_load_ushort v3, v[20:21], off
	s_waitcnt vmcnt(0)
	v_cvt_f32_u32_e32 v5, v3
.LBB40_1785:
	s_mov_b64 s[18:19], 0
.LBB40_1786:
	s_andn2_b64 vcc, exec, s[18:19]
	s_cbranch_vccnz .LBB40_1794
; %bb.1787:
	global_load_ubyte v3, v[20:21], off
	s_movk_i32 s18, 0x7f
                                        ; implicit-def: $sgpr27
	s_waitcnt vmcnt(0)
	v_cmp_lt_i16_e32 vcc, s18, v3
	s_mov_b64 s[18:19], 0
	s_and_saveexec_b64 s[20:21], vcc
	s_xor_b64 s[20:21], exec, s[20:21]
	s_cbranch_execz .LBB40_1807
; %bb.1788:
	s_movk_i32 s18, 0x80
	v_cmp_eq_u16_e32 vcc, s18, v3
	s_mov_b64 s[18:19], -1
                                        ; implicit-def: $sgpr27
	s_and_saveexec_b64 s[22:23], vcc
; %bb.1789:
	s_mov_b32 s27, 0x7f800001
	s_xor_b64 s[18:19], exec, -1
; %bb.1790:
	s_or_b64 exec, exec, s[22:23]
	s_and_b64 s[18:19], s[18:19], exec
	s_or_saveexec_b64 s[20:21], s[20:21]
	v_mov_b32_e32 v5, s27
	s_xor_b64 exec, exec, s[20:21]
	s_cbranch_execnz .LBB40_1808
.LBB40_1791:
	s_or_b64 exec, exec, s[20:21]
	s_and_saveexec_b64 s[20:21], s[18:19]
	s_cbranch_execz .LBB40_1793
.LBB40_1792:
	v_lshlrev_b32_e32 v5, 24, v3
	v_and_b32_e32 v3, 0xffff, v3
	v_and_b32_e32 v7, 7, v3
	v_ffbh_u32_e32 v11, v7
	v_min_u32_e32 v11, 32, v11
	v_subrev_u32_e32 v13, 28, v11
	v_bfe_u32 v9, v3, 3, 4
	v_lshlrev_b32_e32 v3, v13, v3
	v_sub_u32_e32 v11, 29, v11
	v_and_b32_e32 v3, 7, v3
	v_cmp_eq_u32_e32 vcc, 0, v9
	v_cndmask_b32_e32 v9, v9, v11, vcc
	v_cndmask_b32_e32 v3, v7, v3, vcc
	v_mov_b32_e32 v7, 0x3b800000
	v_lshlrev_b32_e32 v3, 20, v3
	v_and_b32_e32 v5, 0x80000000, v5
	v_lshl_add_u32 v7, v9, 23, v7
	v_or3_b32 v5, v5, v7, v3
.LBB40_1793:
	s_or_b64 exec, exec, s[20:21]
.LBB40_1794:
	s_mov_b64 s[18:19], -1
.LBB40_1795:
	s_branch .LBB40_1828
.LBB40_1796:
	v_cmp_gt_i16_e64 s[16:17], s26, 22
	s_and_b64 vcc, exec, s[16:17]
	s_cbranch_vccz .LBB40_1806
; %bb.1797:
	v_cmp_lt_i16_e64 s[16:17], s26, 24
	s_and_b64 vcc, exec, s[16:17]
	s_cbranch_vccnz .LBB40_1809
; %bb.1798:
	v_cmp_gt_i16_e64 s[16:17], s26, 24
	s_and_b64 vcc, exec, s[16:17]
	s_cbranch_vccz .LBB40_1810
; %bb.1799:
	global_load_ubyte v3, v[20:21], off
	s_movk_i32 s16, 0x7f
                                        ; implicit-def: $sgpr22
	s_waitcnt vmcnt(0)
	v_cmp_lt_i16_e32 vcc, s16, v3
	s_mov_b64 s[16:17], 0
	s_and_saveexec_b64 s[18:19], vcc
	s_xor_b64 s[18:19], exec, s[18:19]
	s_cbranch_execz .LBB40_1822
; %bb.1800:
	s_movk_i32 s16, 0x80
	v_cmp_eq_u16_e32 vcc, s16, v3
	s_mov_b64 s[16:17], -1
                                        ; implicit-def: $sgpr22
	s_and_saveexec_b64 s[20:21], vcc
; %bb.1801:
	s_mov_b32 s22, 0x7f800001
	s_xor_b64 s[16:17], exec, -1
; %bb.1802:
	s_or_b64 exec, exec, s[20:21]
	s_and_b64 s[16:17], s[16:17], exec
	s_or_saveexec_b64 s[18:19], s[18:19]
	v_mov_b32_e32 v5, s22
	s_xor_b64 exec, exec, s[18:19]
	s_cbranch_execnz .LBB40_1823
.LBB40_1803:
	s_or_b64 exec, exec, s[18:19]
	s_and_saveexec_b64 s[18:19], s[16:17]
	s_cbranch_execz .LBB40_1805
.LBB40_1804:
	v_lshlrev_b32_e32 v5, 24, v3
	v_and_b32_e32 v3, 0xffff, v3
	v_and_b32_e32 v7, 3, v3
	v_ffbh_u32_e32 v11, v7
	v_min_u32_e32 v11, 32, v11
	v_subrev_u32_e32 v13, 29, v11
	v_bfe_u32 v9, v3, 2, 5
	v_lshlrev_b32_e32 v3, v13, v3
	v_sub_u32_e32 v11, 30, v11
	v_and_b32_e32 v3, 3, v3
	v_cmp_eq_u32_e32 vcc, 0, v9
	v_cndmask_b32_e32 v9, v9, v11, vcc
	v_cndmask_b32_e32 v3, v7, v3, vcc
	v_mov_b32_e32 v7, 0x37800000
	v_lshlrev_b32_e32 v3, 21, v3
	v_and_b32_e32 v5, 0x80000000, v5
	v_lshl_add_u32 v7, v9, 23, v7
	v_or3_b32 v5, v5, v7, v3
.LBB40_1805:
	s_or_b64 exec, exec, s[18:19]
	s_mov_b64 s[16:17], 0
	s_branch .LBB40_1811
.LBB40_1806:
	s_mov_b64 s[16:17], -1
                                        ; implicit-def: $vgpr5
	s_branch .LBB40_1817
.LBB40_1807:
	s_or_saveexec_b64 s[20:21], s[20:21]
	v_mov_b32_e32 v5, s27
	s_xor_b64 exec, exec, s[20:21]
	s_cbranch_execz .LBB40_1791
.LBB40_1808:
	v_cmp_ne_u16_e32 vcc, 0, v3
	s_andn2_b64 s[18:19], s[18:19], exec
	s_and_b64 s[22:23], vcc, exec
	v_mov_b32_e32 v5, 0
	s_or_b64 s[18:19], s[18:19], s[22:23]
	s_or_b64 exec, exec, s[20:21]
	s_and_saveexec_b64 s[20:21], s[18:19]
	s_cbranch_execnz .LBB40_1792
	s_branch .LBB40_1793
.LBB40_1809:
	s_mov_b64 s[16:17], -1
                                        ; implicit-def: $vgpr5
	s_branch .LBB40_1814
.LBB40_1810:
	s_mov_b64 s[16:17], -1
                                        ; implicit-def: $vgpr5
.LBB40_1811:
	s_and_b64 vcc, exec, s[16:17]
	s_cbranch_vccz .LBB40_1813
; %bb.1812:
	global_load_ubyte v3, v[20:21], off
	s_mov_b32 s16, 0x7f800000
	s_waitcnt vmcnt(0)
	v_lshlrev_b32_e32 v3, 24, v3
	v_and_b32_e32 v5, 0x7f000000, v3
	v_ffbh_u32_e32 v7, v5
	v_min_u32_e32 v7, 32, v7
	v_sub_u32_e64 v7, v7, 4 clamp
	v_lshlrev_b32_e32 v11, v7, v5
	v_lshlrev_b32_e32 v7, 23, v7
	v_lshrrev_b32_e32 v11, 4, v11
	v_add_u32_e32 v9, 0x1000000, v5
	v_sub_u32_e32 v7, v11, v7
	v_ashrrev_i32_e32 v9, 8, v9
	v_add_u32_e32 v7, 0x3c000000, v7
	v_and_or_b32 v7, v9, s16, v7
	v_cmp_ne_u32_e32 vcc, 0, v5
	v_cndmask_b32_e32 v5, 0, v7, vcc
	s_brev_b32 s16, 1
	v_and_or_b32 v5, v3, s16, v5
.LBB40_1813:
	s_mov_b64 s[16:17], 0
.LBB40_1814:
	s_andn2_b64 vcc, exec, s[16:17]
	s_cbranch_vccnz .LBB40_1816
; %bb.1815:
	global_load_ubyte v3, v[20:21], off
	s_movk_i32 s16, 0x7f00
	s_brev_b32 s17, 16
	s_waitcnt vmcnt(0)
	v_lshlrev_b16_e32 v5, 8, v3
	v_lshlrev_b32_e32 v3, 25, v3
	v_lshrrev_b32_e32 v7, 4, v3
	v_and_or_b32 v9, v5, s16, 0.5
	v_or_b32_e32 v7, 0x70000000, v7
	v_add_f32_e32 v9, -0.5, v9
	v_mul_f32_e32 v7, 0x7800000, v7
	v_cmp_gt_u32_e32 vcc, s17, v3
	v_bfe_i32 v5, v5, 0, 16
	v_cndmask_b32_e32 v3, v7, v9, vcc
	s_brev_b32 s16, 1
	v_and_or_b32 v5, v5, s16, v3
.LBB40_1816:
	s_mov_b64 s[16:17], 0
	s_mov_b64 s[18:19], -1
.LBB40_1817:
	s_andn2_b64 vcc, exec, s[16:17]
	s_mov_b64 s[16:17], 0
	s_cbranch_vccnz .LBB40_1828
; %bb.1818:
	v_cmp_gt_i16_e64 s[16:17], s26, 14
	s_and_b64 vcc, exec, s[16:17]
	s_cbranch_vccz .LBB40_1821
; %bb.1819:
	v_cmp_eq_u16_e64 s[4:5], s26, 15
	s_and_b64 vcc, exec, s[4:5]
	s_cbranch_vccz .LBB40_1824
; %bb.1820:
	global_load_ushort v3, v[20:21], off
	s_mov_b64 s[4:5], 0
	s_mov_b64 s[18:19], -1
	s_waitcnt vmcnt(0)
	v_lshlrev_b32_e32 v5, 16, v3
	s_branch .LBB40_1825
.LBB40_1821:
	s_mov_b64 s[20:21], -1
                                        ; implicit-def: $vgpr5
	s_branch .LBB40_1826
.LBB40_1822:
	s_or_saveexec_b64 s[18:19], s[18:19]
	v_mov_b32_e32 v5, s22
	s_xor_b64 exec, exec, s[18:19]
	s_cbranch_execz .LBB40_1803
.LBB40_1823:
	v_cmp_ne_u16_e32 vcc, 0, v3
	s_andn2_b64 s[16:17], s[16:17], exec
	s_and_b64 s[20:21], vcc, exec
	v_mov_b32_e32 v5, 0
	s_or_b64 s[16:17], s[16:17], s[20:21]
	s_or_b64 exec, exec, s[18:19]
	s_and_saveexec_b64 s[18:19], s[16:17]
	s_cbranch_execnz .LBB40_1804
	s_branch .LBB40_1805
.LBB40_1824:
	s_mov_b64 s[4:5], -1
                                        ; implicit-def: $vgpr5
.LBB40_1825:
	s_mov_b64 s[20:21], 0
.LBB40_1826:
	s_mov_b64 s[16:17], 0
	s_and_b64 vcc, exec, s[20:21]
	s_cbranch_vccz .LBB40_1828
; %bb.1827:
	v_cmp_ne_u16_e64 s[4:5], s26, 11
	s_mov_b64 s[16:17], -1
                                        ; implicit-def: $vgpr5
.LBB40_1828:
	s_and_b64 vcc, exec, s[4:5]
	s_cbranch_vccnz .LBB40_1891
; %bb.1829:
	s_andn2_b64 vcc, exec, s[16:17]
	s_cbranch_vccnz .LBB40_1831
.LBB40_1830:
	global_load_ubyte v3, v[20:21], off
	s_mov_b64 s[18:19], -1
	s_waitcnt vmcnt(0)
	v_cmp_ne_u16_e32 vcc, 0, v3
	v_cndmask_b32_e64 v5, 0, 1.0, vcc
.LBB40_1831:
	s_branch .LBB40_1758
.LBB40_1832:
	v_cmp_lt_i16_e64 s[4:5], s26, 5
	s_and_b64 vcc, exec, s[4:5]
	s_cbranch_vccnz .LBB40_1837
; %bb.1833:
	v_cmp_lt_i16_e64 s[4:5], s26, 8
	s_and_b64 vcc, exec, s[4:5]
	s_cbranch_vccnz .LBB40_1838
; %bb.1834:
	v_cmp_lt_i16_e64 s[4:5], s26, 9
	s_and_b64 vcc, exec, s[4:5]
	s_cbranch_vccnz .LBB40_1839
; %bb.1835:
	v_cmp_gt_i16_e64 s[4:5], s26, 9
	s_and_b64 vcc, exec, s[4:5]
	s_cbranch_vccz .LBB40_1840
; %bb.1836:
	global_load_dwordx2 v[22:23], v[20:21], off
	s_mov_b64 s[4:5], 0
	s_waitcnt vmcnt(0)
	v_cvt_f32_f64_e32 v5, v[22:23]
	s_branch .LBB40_1841
.LBB40_1837:
                                        ; implicit-def: $vgpr5
	s_branch .LBB40_1859
.LBB40_1838:
	s_mov_b64 s[4:5], -1
                                        ; implicit-def: $vgpr5
	s_branch .LBB40_1847
.LBB40_1839:
	s_mov_b64 s[4:5], -1
                                        ; implicit-def: $vgpr5
	s_branch .LBB40_1844
.LBB40_1840:
	s_mov_b64 s[4:5], -1
                                        ; implicit-def: $vgpr5
.LBB40_1841:
	s_andn2_b64 vcc, exec, s[4:5]
	s_cbranch_vccnz .LBB40_1843
; %bb.1842:
	global_load_dword v5, v[20:21], off
.LBB40_1843:
	s_mov_b64 s[4:5], 0
.LBB40_1844:
	s_andn2_b64 vcc, exec, s[4:5]
	s_cbranch_vccnz .LBB40_1846
; %bb.1845:
	global_load_dword v3, v[20:21], off
	s_waitcnt vmcnt(0)
	v_cvt_f32_f16_e32 v5, v3
.LBB40_1846:
	s_mov_b64 s[4:5], 0
.LBB40_1847:
	s_andn2_b64 vcc, exec, s[4:5]
	s_cbranch_vccnz .LBB40_1858
; %bb.1848:
	v_cmp_lt_i16_e64 s[4:5], s26, 6
	s_and_b64 vcc, exec, s[4:5]
	s_cbranch_vccnz .LBB40_1851
; %bb.1849:
	v_cmp_gt_i16_e64 s[4:5], s26, 6
	s_and_b64 vcc, exec, s[4:5]
	s_cbranch_vccz .LBB40_1852
; %bb.1850:
	global_load_dwordx2 v[22:23], v[20:21], off
	s_mov_b64 s[4:5], 0
	s_waitcnt vmcnt(0)
	v_cvt_f32_f64_e32 v5, v[22:23]
	s_branch .LBB40_1853
.LBB40_1851:
	s_mov_b64 s[4:5], -1
                                        ; implicit-def: $vgpr5
	s_branch .LBB40_1856
.LBB40_1852:
	s_mov_b64 s[4:5], -1
                                        ; implicit-def: $vgpr5
.LBB40_1853:
	s_andn2_b64 vcc, exec, s[4:5]
	s_cbranch_vccnz .LBB40_1855
; %bb.1854:
	global_load_dword v5, v[20:21], off
.LBB40_1855:
	s_mov_b64 s[4:5], 0
.LBB40_1856:
	s_andn2_b64 vcc, exec, s[4:5]
	s_cbranch_vccnz .LBB40_1858
; %bb.1857:
	global_load_ushort v3, v[20:21], off
	s_waitcnt vmcnt(0)
	v_cvt_f32_f16_e32 v5, v3
.LBB40_1858:
	s_cbranch_execnz .LBB40_1878
.LBB40_1859:
	v_cmp_lt_i16_e64 s[4:5], s26, 2
	s_and_b64 vcc, exec, s[4:5]
	s_cbranch_vccnz .LBB40_1863
; %bb.1860:
	v_cmp_lt_i16_e64 s[4:5], s26, 3
	s_and_b64 vcc, exec, s[4:5]
	s_cbranch_vccnz .LBB40_1864
; %bb.1861:
	v_cmp_gt_i16_e64 s[4:5], s26, 3
	s_and_b64 vcc, exec, s[4:5]
	s_cbranch_vccz .LBB40_1865
; %bb.1862:
	global_load_dwordx2 v[22:23], v[20:21], off
	s_mov_b64 s[4:5], 0
	s_waitcnt vmcnt(0)
	v_xor_b32_e32 v5, v22, v23
	v_ffbh_i32_e32 v3, v23
	v_ashrrev_i32_e32 v5, 31, v5
	v_add_u32_e32 v3, -1, v3
	v_add_u32_e32 v5, 32, v5
	v_min_u32_e32 v3, v3, v5
	v_lshlrev_b64 v[22:23], v3, v[22:23]
	v_min_u32_e32 v5, 1, v22
	v_or_b32_e32 v5, v23, v5
	v_cvt_f32_i32_e32 v5, v5
	v_sub_u32_e32 v3, 32, v3
	v_ldexp_f32 v5, v5, v3
	s_branch .LBB40_1866
.LBB40_1863:
	s_mov_b64 s[4:5], -1
                                        ; implicit-def: $vgpr5
	s_branch .LBB40_1872
.LBB40_1864:
	s_mov_b64 s[4:5], -1
                                        ; implicit-def: $vgpr5
	s_branch .LBB40_1869
.LBB40_1865:
	s_mov_b64 s[4:5], -1
                                        ; implicit-def: $vgpr5
.LBB40_1866:
	s_andn2_b64 vcc, exec, s[4:5]
	s_cbranch_vccnz .LBB40_1868
; %bb.1867:
	global_load_dword v3, v[20:21], off
	s_waitcnt vmcnt(0)
	v_cvt_f32_i32_e32 v5, v3
.LBB40_1868:
	s_mov_b64 s[4:5], 0
.LBB40_1869:
	s_andn2_b64 vcc, exec, s[4:5]
	s_cbranch_vccnz .LBB40_1871
; %bb.1870:
	global_load_sshort v3, v[20:21], off
	s_waitcnt vmcnt(0)
	v_cvt_f32_i32_e32 v5, v3
.LBB40_1871:
	s_mov_b64 s[4:5], 0
.LBB40_1872:
	s_andn2_b64 vcc, exec, s[4:5]
	s_cbranch_vccnz .LBB40_1878
; %bb.1873:
	v_cmp_gt_i16_e64 s[4:5], s26, 0
	s_and_b64 vcc, exec, s[4:5]
	s_cbranch_vccz .LBB40_1875
; %bb.1874:
	global_load_sbyte v3, v[20:21], off
	s_mov_b64 s[4:5], 0
	s_waitcnt vmcnt(0)
	v_cvt_f32_i32_e32 v5, v3
	s_branch .LBB40_1876
.LBB40_1875:
	s_mov_b64 s[4:5], -1
                                        ; implicit-def: $vgpr5
.LBB40_1876:
	s_andn2_b64 vcc, exec, s[4:5]
	s_cbranch_vccnz .LBB40_1878
; %bb.1877:
	global_load_ubyte v3, v[20:21], off
	s_waitcnt vmcnt(0)
	v_cvt_f32_ubyte0_e32 v5, v3
.LBB40_1878:
.LBB40_1879:
	v_mov_b32_e32 v3, s11
	v_add_co_u32_e32 v18, vcc, s10, v18
	v_addc_co_u32_e32 v19, vcc, 0, v3, vcc
	v_mov_b32_e32 v3, 11
	v_cmp_lt_i16_sdwa s[4:5], s25, v3 src0_sel:BYTE_0 src1_sel:DWORD
	s_and_b64 vcc, exec, s[4:5]
	s_cbranch_vccnz .LBB40_1886
; %bb.1880:
	v_mov_b32_e32 v3, 25
	v_cmp_gt_i16_sdwa s[4:5], s25, v3 src0_sel:BYTE_0 src1_sel:DWORD
	s_mov_b64 s[16:17], 0
	s_and_b64 vcc, exec, s[4:5]
	s_cbranch_vccz .LBB40_1888
; %bb.1881:
	v_mov_b32_e32 v3, 28
	v_cmp_gt_i16_sdwa s[4:5], s25, v3 src0_sel:BYTE_0 src1_sel:DWORD
	s_and_b64 vcc, exec, s[4:5]
	s_cbranch_vccz .LBB40_1889
; %bb.1882:
	v_mov_b32_e32 v3, 43
	v_cmp_gt_i16_sdwa s[4:5], s25, v3 src0_sel:BYTE_0 src1_sel:DWORD
	;; [unrolled: 5-line block ×3, first 2 shown]
	s_and_b64 vcc, exec, s[4:5]
	s_cbranch_vccz .LBB40_1892
; %bb.1884:
	v_mov_b32_e32 v3, 46
	v_cmp_eq_u16_sdwa s[4:5], s25, v3 src0_sel:BYTE_0 src1_sel:DWORD
	s_mov_b64 s[20:21], 0
	s_and_b64 vcc, exec, s[4:5]
	s_cbranch_vccz .LBB40_1893
; %bb.1885:
	global_load_dword v3, v[18:19], off
	s_mov_b64 s[4:5], 0
	s_mov_b64 s[18:19], -1
	s_waitcnt vmcnt(0)
	v_lshlrev_b32_e32 v3, 16, v3
	s_branch .LBB40_1894
.LBB40_1886:
	s_mov_b64 s[18:19], 0
                                        ; implicit-def: $vgpr3
	s_cbranch_execnz .LBB40_1960
.LBB40_1887:
	s_andn2_b64 vcc, exec, s[18:19]
	s_cbranch_vccnz .LBB40_3113
	s_branch .LBB40_2008
.LBB40_1888:
	s_mov_b64 s[20:21], -1
	s_mov_b64 s[18:19], 0
	s_mov_b64 s[4:5], 0
                                        ; implicit-def: $vgpr3
	s_branch .LBB40_1923
.LBB40_1889:
	s_mov_b64 s[20:21], -1
	s_mov_b64 s[18:19], 0
	s_mov_b64 s[4:5], 0
                                        ; implicit-def: $vgpr3
	s_branch .LBB40_1904
.LBB40_1890:
	s_mov_b64 s[20:21], -1
	s_mov_b64 s[18:19], 0
	s_mov_b64 s[4:5], 0
                                        ; implicit-def: $vgpr3
	s_branch .LBB40_1899
.LBB40_1891:
	s_trap 2
	s_or_b64 s[14:15], s[14:15], exec
                                        ; implicit-def: $vgpr5
	s_cbranch_execz .LBB40_1830
	s_branch .LBB40_1831
.LBB40_1892:
	s_mov_b64 s[20:21], -1
	s_mov_b64 s[18:19], 0
	s_mov_b64 s[4:5], 0
                                        ; implicit-def: $vgpr3
	s_branch .LBB40_1894
.LBB40_1893:
	s_mov_b64 s[4:5], -1
                                        ; implicit-def: $vgpr3
	s_mov_b64 s[18:19], 0
.LBB40_1894:
	s_and_b64 vcc, exec, s[20:21]
	s_cbranch_vccz .LBB40_1898
; %bb.1895:
	v_mov_b32_e32 v3, 44
	v_cmp_eq_u16_sdwa s[4:5], s25, v3 src0_sel:BYTE_0 src1_sel:DWORD
	s_and_b64 vcc, exec, s[4:5]
	s_cbranch_vccz .LBB40_1897
; %bb.1896:
	global_load_ubyte v3, v[18:19], off
	s_movk_i32 s18, 0xff
	v_mov_b32_e32 v7, 0x7f800001
	v_mov_b32_e32 v9, 0x400000
	s_mov_b64 s[4:5], 0
	s_waitcnt vmcnt(0)
	v_lshlrev_b32_e32 v11, 23, v3
	v_cmp_ne_u32_e32 vcc, s18, v3
	v_cndmask_b32_e32 v7, v7, v11, vcc
	v_cmp_ne_u32_e32 vcc, 0, v3
	v_cndmask_b32_e32 v3, v9, v7, vcc
	s_mov_b64 s[18:19], -1
	s_branch .LBB40_1898
.LBB40_1897:
	s_mov_b64 s[4:5], -1
                                        ; implicit-def: $vgpr3
.LBB40_1898:
	s_mov_b64 s[20:21], 0
.LBB40_1899:
	s_and_b64 vcc, exec, s[20:21]
	s_cbranch_vccz .LBB40_1903
; %bb.1900:
	v_mov_b32_e32 v3, 29
	v_cmp_eq_u16_sdwa s[4:5], s25, v3 src0_sel:BYTE_0 src1_sel:DWORD
	s_and_b64 vcc, exec, s[4:5]
	s_cbranch_vccz .LBB40_1902
; %bb.1901:
	global_load_dwordx2 v[20:21], v[18:19], off
	s_mov_b64 s[4:5], 0
	s_mov_b64 s[18:19], -1
	s_mov_b64 s[20:21], 0
	s_waitcnt vmcnt(0)
	v_ffbh_u32_e32 v3, v21
	v_min_u32_e32 v3, 32, v3
	v_lshlrev_b64 v[20:21], v3, v[20:21]
	v_min_u32_e32 v7, 1, v20
	v_or_b32_e32 v7, v21, v7
	v_cvt_f32_u32_e32 v7, v7
	v_sub_u32_e32 v3, 32, v3
	v_ldexp_f32 v3, v7, v3
	s_branch .LBB40_1904
.LBB40_1902:
	s_mov_b64 s[4:5], -1
                                        ; implicit-def: $vgpr3
.LBB40_1903:
	s_mov_b64 s[20:21], 0
.LBB40_1904:
	s_and_b64 vcc, exec, s[20:21]
	s_cbranch_vccz .LBB40_1922
; %bb.1905:
	v_mov_b32_e32 v3, 27
	v_cmp_lt_i16_sdwa s[18:19], s25, v3 src0_sel:BYTE_0 src1_sel:DWORD
	s_and_b64 vcc, exec, s[18:19]
	s_cbranch_vccnz .LBB40_1908
; %bb.1906:
	v_cmp_gt_i16_sdwa s[18:19], s25, v3 src0_sel:BYTE_0 src1_sel:DWORD
	s_and_b64 vcc, exec, s[18:19]
	s_cbranch_vccz .LBB40_1909
; %bb.1907:
	global_load_dword v3, v[18:19], off
	s_mov_b64 s[18:19], 0
	s_waitcnt vmcnt(0)
	v_cvt_f32_u32_e32 v3, v3
	s_branch .LBB40_1910
.LBB40_1908:
	s_mov_b64 s[18:19], -1
                                        ; implicit-def: $vgpr3
	s_branch .LBB40_1913
.LBB40_1909:
	s_mov_b64 s[18:19], -1
                                        ; implicit-def: $vgpr3
.LBB40_1910:
	s_andn2_b64 vcc, exec, s[18:19]
	s_cbranch_vccnz .LBB40_1912
; %bb.1911:
	global_load_ushort v3, v[18:19], off
	s_waitcnt vmcnt(0)
	v_cvt_f32_u32_e32 v3, v3
.LBB40_1912:
	s_mov_b64 s[18:19], 0
.LBB40_1913:
	s_andn2_b64 vcc, exec, s[18:19]
	s_cbranch_vccnz .LBB40_1921
; %bb.1914:
	global_load_ubyte v7, v[18:19], off
	s_movk_i32 s18, 0x7f
                                        ; implicit-def: $sgpr27
	s_waitcnt vmcnt(0)
	v_cmp_lt_i16_e32 vcc, s18, v7
	s_mov_b64 s[18:19], 0
	s_and_saveexec_b64 s[20:21], vcc
	s_xor_b64 s[20:21], exec, s[20:21]
	s_cbranch_execz .LBB40_1935
; %bb.1915:
	s_movk_i32 s18, 0x80
	v_cmp_eq_u16_e32 vcc, s18, v7
	s_mov_b64 s[18:19], -1
                                        ; implicit-def: $sgpr27
	s_and_saveexec_b64 s[22:23], vcc
; %bb.1916:
	s_mov_b32 s27, 0x7f800001
	s_xor_b64 s[18:19], exec, -1
; %bb.1917:
	s_or_b64 exec, exec, s[22:23]
	s_and_b64 s[18:19], s[18:19], exec
	s_or_saveexec_b64 s[20:21], s[20:21]
	v_mov_b32_e32 v3, s27
	s_xor_b64 exec, exec, s[20:21]
	s_cbranch_execnz .LBB40_1936
.LBB40_1918:
	s_or_b64 exec, exec, s[20:21]
	s_and_saveexec_b64 s[20:21], s[18:19]
	s_cbranch_execz .LBB40_1920
.LBB40_1919:
	v_lshlrev_b32_e32 v3, 24, v7
	v_and_b32_e32 v7, 0xffff, v7
	v_and_b32_e32 v9, 7, v7
	v_ffbh_u32_e32 v13, v9
	v_min_u32_e32 v13, 32, v13
	v_subrev_u32_e32 v15, 28, v13
	v_bfe_u32 v11, v7, 3, 4
	v_lshlrev_b32_e32 v7, v15, v7
	v_sub_u32_e32 v13, 29, v13
	v_and_b32_e32 v7, 7, v7
	v_cmp_eq_u32_e32 vcc, 0, v11
	v_cndmask_b32_e32 v11, v11, v13, vcc
	v_cndmask_b32_e32 v7, v9, v7, vcc
	v_mov_b32_e32 v9, 0x3b800000
	v_lshlrev_b32_e32 v7, 20, v7
	v_and_b32_e32 v3, 0x80000000, v3
	v_lshl_add_u32 v9, v11, 23, v9
	v_or3_b32 v3, v3, v9, v7
.LBB40_1920:
	s_or_b64 exec, exec, s[20:21]
.LBB40_1921:
	s_mov_b64 s[18:19], -1
.LBB40_1922:
	s_mov_b64 s[20:21], 0
.LBB40_1923:
	s_and_b64 vcc, exec, s[20:21]
	s_cbranch_vccz .LBB40_1956
; %bb.1924:
	v_mov_b32_e32 v3, 22
	v_cmp_gt_i16_sdwa s[16:17], s25, v3 src0_sel:BYTE_0 src1_sel:DWORD
	s_and_b64 vcc, exec, s[16:17]
	s_cbranch_vccz .LBB40_1934
; %bb.1925:
	v_mov_b32_e32 v3, 24
	v_cmp_lt_i16_sdwa s[16:17], s25, v3 src0_sel:BYTE_0 src1_sel:DWORD
	s_and_b64 vcc, exec, s[16:17]
	s_cbranch_vccnz .LBB40_1937
; %bb.1926:
	v_cmp_gt_i16_sdwa s[16:17], s25, v3 src0_sel:BYTE_0 src1_sel:DWORD
	s_and_b64 vcc, exec, s[16:17]
	s_cbranch_vccz .LBB40_1938
; %bb.1927:
	global_load_ubyte v7, v[18:19], off
	s_movk_i32 s16, 0x7f
                                        ; implicit-def: $sgpr22
	s_waitcnt vmcnt(0)
	v_cmp_lt_i16_e32 vcc, s16, v7
	s_mov_b64 s[16:17], 0
	s_and_saveexec_b64 s[18:19], vcc
	s_xor_b64 s[18:19], exec, s[18:19]
	s_cbranch_execz .LBB40_1950
; %bb.1928:
	s_movk_i32 s16, 0x80
	v_cmp_eq_u16_e32 vcc, s16, v7
	s_mov_b64 s[16:17], -1
                                        ; implicit-def: $sgpr22
	s_and_saveexec_b64 s[20:21], vcc
; %bb.1929:
	s_mov_b32 s22, 0x7f800001
	s_xor_b64 s[16:17], exec, -1
; %bb.1930:
	s_or_b64 exec, exec, s[20:21]
	s_and_b64 s[16:17], s[16:17], exec
	s_or_saveexec_b64 s[18:19], s[18:19]
	v_mov_b32_e32 v3, s22
	s_xor_b64 exec, exec, s[18:19]
	s_cbranch_execnz .LBB40_1951
.LBB40_1931:
	s_or_b64 exec, exec, s[18:19]
	s_and_saveexec_b64 s[18:19], s[16:17]
	s_cbranch_execz .LBB40_1933
.LBB40_1932:
	v_lshlrev_b32_e32 v3, 24, v7
	v_and_b32_e32 v7, 0xffff, v7
	v_and_b32_e32 v9, 3, v7
	v_ffbh_u32_e32 v13, v9
	v_min_u32_e32 v13, 32, v13
	v_subrev_u32_e32 v15, 29, v13
	v_bfe_u32 v11, v7, 2, 5
	v_lshlrev_b32_e32 v7, v15, v7
	v_sub_u32_e32 v13, 30, v13
	v_and_b32_e32 v7, 3, v7
	v_cmp_eq_u32_e32 vcc, 0, v11
	v_cndmask_b32_e32 v11, v11, v13, vcc
	v_cndmask_b32_e32 v7, v9, v7, vcc
	v_mov_b32_e32 v9, 0x37800000
	v_lshlrev_b32_e32 v7, 21, v7
	v_and_b32_e32 v3, 0x80000000, v3
	v_lshl_add_u32 v9, v11, 23, v9
	v_or3_b32 v3, v3, v9, v7
.LBB40_1933:
	s_or_b64 exec, exec, s[18:19]
	s_mov_b64 s[16:17], 0
	s_branch .LBB40_1939
.LBB40_1934:
	s_mov_b64 s[16:17], -1
                                        ; implicit-def: $vgpr3
	s_branch .LBB40_1945
.LBB40_1935:
	s_or_saveexec_b64 s[20:21], s[20:21]
	v_mov_b32_e32 v3, s27
	s_xor_b64 exec, exec, s[20:21]
	s_cbranch_execz .LBB40_1918
.LBB40_1936:
	v_cmp_ne_u16_e32 vcc, 0, v7
	s_andn2_b64 s[18:19], s[18:19], exec
	s_and_b64 s[22:23], vcc, exec
	v_mov_b32_e32 v3, 0
	s_or_b64 s[18:19], s[18:19], s[22:23]
	s_or_b64 exec, exec, s[20:21]
	s_and_saveexec_b64 s[20:21], s[18:19]
	s_cbranch_execnz .LBB40_1919
	s_branch .LBB40_1920
.LBB40_1937:
	s_mov_b64 s[16:17], -1
                                        ; implicit-def: $vgpr3
	s_branch .LBB40_1942
.LBB40_1938:
	s_mov_b64 s[16:17], -1
                                        ; implicit-def: $vgpr3
.LBB40_1939:
	s_and_b64 vcc, exec, s[16:17]
	s_cbranch_vccz .LBB40_1941
; %bb.1940:
	global_load_ubyte v3, v[18:19], off
	s_mov_b32 s16, 0x7f800000
	s_waitcnt vmcnt(0)
	v_lshlrev_b32_e32 v3, 24, v3
	v_and_b32_e32 v7, 0x7f000000, v3
	v_ffbh_u32_e32 v9, v7
	v_min_u32_e32 v9, 32, v9
	v_sub_u32_e64 v9, v9, 4 clamp
	v_lshlrev_b32_e32 v13, v9, v7
	v_lshlrev_b32_e32 v9, 23, v9
	v_lshrrev_b32_e32 v13, 4, v13
	v_add_u32_e32 v11, 0x1000000, v7
	v_sub_u32_e32 v9, v13, v9
	v_ashrrev_i32_e32 v11, 8, v11
	v_add_u32_e32 v9, 0x3c000000, v9
	v_and_or_b32 v9, v11, s16, v9
	v_cmp_ne_u32_e32 vcc, 0, v7
	v_cndmask_b32_e32 v7, 0, v9, vcc
	s_brev_b32 s16, 1
	v_and_or_b32 v3, v3, s16, v7
.LBB40_1941:
	s_mov_b64 s[16:17], 0
.LBB40_1942:
	s_andn2_b64 vcc, exec, s[16:17]
	s_cbranch_vccnz .LBB40_1944
; %bb.1943:
	global_load_ubyte v3, v[18:19], off
	s_movk_i32 s16, 0x7f00
	s_brev_b32 s17, 16
	s_waitcnt vmcnt(0)
	v_lshlrev_b16_e32 v7, 8, v3
	v_lshlrev_b32_e32 v3, 25, v3
	v_lshrrev_b32_e32 v9, 4, v3
	v_and_or_b32 v11, v7, s16, 0.5
	v_or_b32_e32 v9, 0x70000000, v9
	v_add_f32_e32 v11, -0.5, v11
	v_mul_f32_e32 v9, 0x7800000, v9
	v_cmp_gt_u32_e32 vcc, s17, v3
	v_bfe_i32 v7, v7, 0, 16
	v_cndmask_b32_e32 v3, v9, v11, vcc
	s_brev_b32 s16, 1
	v_and_or_b32 v3, v7, s16, v3
.LBB40_1944:
	s_mov_b64 s[16:17], 0
	s_mov_b64 s[18:19], -1
.LBB40_1945:
	s_andn2_b64 vcc, exec, s[16:17]
	s_mov_b64 s[16:17], 0
	s_cbranch_vccnz .LBB40_1956
; %bb.1946:
	v_mov_b32_e32 v3, 14
	v_cmp_gt_i16_sdwa s[16:17], s25, v3 src0_sel:BYTE_0 src1_sel:DWORD
	s_and_b64 vcc, exec, s[16:17]
	s_cbranch_vccz .LBB40_1949
; %bb.1947:
	v_mov_b32_e32 v3, 15
	v_cmp_eq_u16_sdwa s[4:5], s25, v3 src0_sel:BYTE_0 src1_sel:DWORD
	s_and_b64 vcc, exec, s[4:5]
	s_cbranch_vccz .LBB40_1952
; %bb.1948:
	global_load_ushort v3, v[18:19], off
	s_mov_b64 s[4:5], 0
	s_mov_b64 s[18:19], -1
	s_waitcnt vmcnt(0)
	v_lshlrev_b32_e32 v3, 16, v3
	s_branch .LBB40_1953
.LBB40_1949:
	s_mov_b64 s[20:21], -1
                                        ; implicit-def: $vgpr3
	s_branch .LBB40_1954
.LBB40_1950:
	s_or_saveexec_b64 s[18:19], s[18:19]
	v_mov_b32_e32 v3, s22
	s_xor_b64 exec, exec, s[18:19]
	s_cbranch_execz .LBB40_1931
.LBB40_1951:
	v_cmp_ne_u16_e32 vcc, 0, v7
	s_andn2_b64 s[16:17], s[16:17], exec
	s_and_b64 s[20:21], vcc, exec
	v_mov_b32_e32 v3, 0
	s_or_b64 s[16:17], s[16:17], s[20:21]
	s_or_b64 exec, exec, s[18:19]
	s_and_saveexec_b64 s[18:19], s[16:17]
	s_cbranch_execnz .LBB40_1932
	s_branch .LBB40_1933
.LBB40_1952:
	s_mov_b64 s[4:5], -1
                                        ; implicit-def: $vgpr3
.LBB40_1953:
	s_mov_b64 s[20:21], 0
.LBB40_1954:
	s_mov_b64 s[16:17], 0
	s_and_b64 vcc, exec, s[20:21]
	s_cbranch_vccz .LBB40_1956
; %bb.1955:
	v_mov_b32_e32 v3, 11
	v_cmp_ne_u16_sdwa s[4:5], s25, v3 src0_sel:BYTE_0 src1_sel:DWORD
	s_mov_b64 s[16:17], -1
                                        ; implicit-def: $vgpr3
.LBB40_1956:
	s_and_b64 vcc, exec, s[4:5]
	s_cbranch_vccnz .LBB40_2019
; %bb.1957:
	s_andn2_b64 vcc, exec, s[16:17]
	s_cbranch_vccnz .LBB40_1959
.LBB40_1958:
	global_load_ubyte v3, v[18:19], off
	s_mov_b64 s[18:19], -1
	s_waitcnt vmcnt(0)
	v_cmp_ne_u16_e32 vcc, 0, v3
	v_cndmask_b32_e64 v3, 0, 1.0, vcc
.LBB40_1959:
	s_branch .LBB40_1887
.LBB40_1960:
	v_mov_b32_e32 v3, 5
	v_cmp_lt_i16_sdwa s[4:5], s25, v3 src0_sel:BYTE_0 src1_sel:DWORD
	s_and_b64 vcc, exec, s[4:5]
	s_cbranch_vccnz .LBB40_1965
; %bb.1961:
	v_mov_b32_e32 v3, 8
	v_cmp_lt_i16_sdwa s[4:5], s25, v3 src0_sel:BYTE_0 src1_sel:DWORD
	s_and_b64 vcc, exec, s[4:5]
	s_cbranch_vccnz .LBB40_1966
; %bb.1962:
	;; [unrolled: 5-line block ×3, first 2 shown]
	v_cmp_gt_i16_sdwa s[4:5], s25, v3 src0_sel:BYTE_0 src1_sel:DWORD
	s_and_b64 vcc, exec, s[4:5]
	s_cbranch_vccz .LBB40_1968
; %bb.1964:
	global_load_dwordx2 v[20:21], v[18:19], off
	s_mov_b64 s[4:5], 0
	s_waitcnt vmcnt(0)
	v_cvt_f32_f64_e32 v3, v[20:21]
	s_branch .LBB40_1969
.LBB40_1965:
	s_mov_b64 s[4:5], -1
                                        ; implicit-def: $vgpr3
	s_branch .LBB40_1987
.LBB40_1966:
	s_mov_b64 s[4:5], -1
                                        ; implicit-def: $vgpr3
	s_branch .LBB40_1975
.LBB40_1967:
	s_mov_b64 s[4:5], -1
                                        ; implicit-def: $vgpr3
	s_branch .LBB40_1972
.LBB40_1968:
	s_mov_b64 s[4:5], -1
                                        ; implicit-def: $vgpr3
.LBB40_1969:
	s_andn2_b64 vcc, exec, s[4:5]
	s_cbranch_vccnz .LBB40_1971
; %bb.1970:
	global_load_dword v3, v[18:19], off
.LBB40_1971:
	s_mov_b64 s[4:5], 0
.LBB40_1972:
	s_andn2_b64 vcc, exec, s[4:5]
	s_cbranch_vccnz .LBB40_1974
; %bb.1973:
	global_load_dword v3, v[18:19], off
	s_waitcnt vmcnt(0)
	v_cvt_f32_f16_e32 v3, v3
.LBB40_1974:
	s_mov_b64 s[4:5], 0
.LBB40_1975:
	s_andn2_b64 vcc, exec, s[4:5]
	s_cbranch_vccnz .LBB40_1986
; %bb.1976:
	s_waitcnt vmcnt(0)
	v_mov_b32_e32 v3, 6
	v_cmp_lt_i16_sdwa s[4:5], s25, v3 src0_sel:BYTE_0 src1_sel:DWORD
	s_and_b64 vcc, exec, s[4:5]
	s_cbranch_vccnz .LBB40_1979
; %bb.1977:
	v_cmp_gt_i16_sdwa s[4:5], s25, v3 src0_sel:BYTE_0 src1_sel:DWORD
	s_and_b64 vcc, exec, s[4:5]
	s_cbranch_vccz .LBB40_1980
; %bb.1978:
	global_load_dwordx2 v[20:21], v[18:19], off
	s_mov_b64 s[4:5], 0
	s_waitcnt vmcnt(0)
	v_cvt_f32_f64_e32 v3, v[20:21]
	s_branch .LBB40_1981
.LBB40_1979:
	s_mov_b64 s[4:5], -1
                                        ; implicit-def: $vgpr3
	s_branch .LBB40_1984
.LBB40_1980:
	s_mov_b64 s[4:5], -1
                                        ; implicit-def: $vgpr3
.LBB40_1981:
	s_andn2_b64 vcc, exec, s[4:5]
	s_cbranch_vccnz .LBB40_1983
; %bb.1982:
	global_load_dword v3, v[18:19], off
.LBB40_1983:
	s_mov_b64 s[4:5], 0
.LBB40_1984:
	s_andn2_b64 vcc, exec, s[4:5]
	s_cbranch_vccnz .LBB40_1986
; %bb.1985:
	global_load_ushort v3, v[18:19], off
	s_waitcnt vmcnt(0)
	v_cvt_f32_f16_e32 v3, v3
.LBB40_1986:
	s_mov_b64 s[4:5], 0
.LBB40_1987:
	s_andn2_b64 vcc, exec, s[4:5]
	s_cbranch_vccnz .LBB40_2007
; %bb.1988:
	s_waitcnt vmcnt(0)
	v_mov_b32_e32 v3, 2
	v_cmp_lt_i16_sdwa s[4:5], s25, v3 src0_sel:BYTE_0 src1_sel:DWORD
	s_and_b64 vcc, exec, s[4:5]
	s_cbranch_vccnz .LBB40_1992
; %bb.1989:
	v_mov_b32_e32 v3, 3
	v_cmp_lt_i16_sdwa s[4:5], s25, v3 src0_sel:BYTE_0 src1_sel:DWORD
	s_and_b64 vcc, exec, s[4:5]
	s_cbranch_vccnz .LBB40_1993
; %bb.1990:
	v_cmp_gt_i16_sdwa s[4:5], s25, v3 src0_sel:BYTE_0 src1_sel:DWORD
	s_and_b64 vcc, exec, s[4:5]
	s_cbranch_vccz .LBB40_1994
; %bb.1991:
	global_load_dwordx2 v[20:21], v[18:19], off
	s_mov_b64 s[4:5], 0
	s_waitcnt vmcnt(0)
	v_xor_b32_e32 v7, v20, v21
	v_ffbh_i32_e32 v3, v21
	v_ashrrev_i32_e32 v7, 31, v7
	v_add_u32_e32 v3, -1, v3
	v_add_u32_e32 v7, 32, v7
	v_min_u32_e32 v3, v3, v7
	v_lshlrev_b64 v[20:21], v3, v[20:21]
	v_min_u32_e32 v7, 1, v20
	v_or_b32_e32 v7, v21, v7
	v_cvt_f32_i32_e32 v7, v7
	v_sub_u32_e32 v3, 32, v3
	v_ldexp_f32 v3, v7, v3
	s_branch .LBB40_1995
.LBB40_1992:
	s_mov_b64 s[4:5], -1
                                        ; implicit-def: $vgpr3
	s_branch .LBB40_2001
.LBB40_1993:
	s_mov_b64 s[4:5], -1
                                        ; implicit-def: $vgpr3
	s_branch .LBB40_1998
.LBB40_1994:
	s_mov_b64 s[4:5], -1
                                        ; implicit-def: $vgpr3
.LBB40_1995:
	s_andn2_b64 vcc, exec, s[4:5]
	s_cbranch_vccnz .LBB40_1997
; %bb.1996:
	global_load_dword v3, v[18:19], off
	s_waitcnt vmcnt(0)
	v_cvt_f32_i32_e32 v3, v3
.LBB40_1997:
	s_mov_b64 s[4:5], 0
.LBB40_1998:
	s_andn2_b64 vcc, exec, s[4:5]
	s_cbranch_vccnz .LBB40_2000
; %bb.1999:
	global_load_sshort v3, v[18:19], off
	s_waitcnt vmcnt(0)
	v_cvt_f32_i32_e32 v3, v3
.LBB40_2000:
	s_mov_b64 s[4:5], 0
.LBB40_2001:
	s_andn2_b64 vcc, exec, s[4:5]
	s_cbranch_vccnz .LBB40_2007
; %bb.2002:
	v_mov_b32_e32 v3, 0
	v_cmp_gt_i16_sdwa s[4:5], s25, v3 src0_sel:BYTE_0 src1_sel:DWORD
	s_and_b64 vcc, exec, s[4:5]
	s_cbranch_vccz .LBB40_2004
; %bb.2003:
	global_load_sbyte v3, v[18:19], off
	s_mov_b64 s[4:5], 0
	s_waitcnt vmcnt(0)
	v_cvt_f32_i32_e32 v3, v3
	s_branch .LBB40_2005
.LBB40_2004:
	s_mov_b64 s[4:5], -1
                                        ; implicit-def: $vgpr3
.LBB40_2005:
	s_andn2_b64 vcc, exec, s[4:5]
	s_cbranch_vccnz .LBB40_2007
; %bb.2006:
	global_load_ubyte v3, v[18:19], off
	s_waitcnt vmcnt(0)
	v_cvt_f32_ubyte0_e32 v3, v3
.LBB40_2007:
.LBB40_2008:
	v_mov_b32_e32 v7, s1
	v_add_co_u32_e32 v16, vcc, s0, v16
	v_addc_co_u32_e32 v17, vcc, 0, v7, vcc
	s_and_b64 vcc, exec, s[2:3]
	s_cbranch_vccnz .LBB40_2015
; %bb.2009:
	v_cmp_gt_i16_e64 s[4:5], s26, 25
	s_mov_b64 s[16:17], 0
	s_and_b64 vcc, exec, s[4:5]
	s_cbranch_vccz .LBB40_2016
; %bb.2010:
	v_cmp_gt_i16_e64 s[4:5], s26, 28
	s_and_b64 vcc, exec, s[4:5]
	s_cbranch_vccz .LBB40_2017
; %bb.2011:
	v_cmp_gt_i16_e64 s[4:5], s26, 43
	;; [unrolled: 4-line block ×3, first 2 shown]
	s_and_b64 vcc, exec, s[4:5]
	s_cbranch_vccz .LBB40_2020
; %bb.2013:
	v_cmp_eq_u16_e64 s[4:5], s26, 46
	s_mov_b64 s[20:21], 0
	s_and_b64 vcc, exec, s[4:5]
	s_cbranch_vccz .LBB40_2021
; %bb.2014:
	global_load_dword v7, v[16:17], off
	s_mov_b64 s[4:5], 0
	s_mov_b64 s[18:19], -1
	s_waitcnt vmcnt(0)
	v_lshlrev_b32_e32 v18, 16, v7
	s_branch .LBB40_2022
.LBB40_2015:
	s_mov_b64 s[4:5], -1
	s_mov_b64 s[18:19], 0
                                        ; implicit-def: $vgpr18
	s_branch .LBB40_2088
.LBB40_2016:
	s_mov_b64 s[20:21], -1
	s_mov_b64 s[18:19], 0
	s_mov_b64 s[4:5], 0
                                        ; implicit-def: $vgpr18
	s_branch .LBB40_2051
.LBB40_2017:
	s_mov_b64 s[20:21], -1
	s_mov_b64 s[18:19], 0
	s_mov_b64 s[4:5], 0
                                        ; implicit-def: $vgpr18
	s_branch .LBB40_2032
.LBB40_2018:
	s_mov_b64 s[20:21], -1
	s_mov_b64 s[18:19], 0
	s_mov_b64 s[4:5], 0
                                        ; implicit-def: $vgpr18
	s_branch .LBB40_2027
.LBB40_2019:
	s_trap 2
	s_or_b64 s[14:15], s[14:15], exec
                                        ; implicit-def: $vgpr3
	s_cbranch_execz .LBB40_1958
	s_branch .LBB40_1959
.LBB40_2020:
	s_mov_b64 s[20:21], -1
	s_mov_b64 s[18:19], 0
	s_mov_b64 s[4:5], 0
                                        ; implicit-def: $vgpr18
	s_branch .LBB40_2022
.LBB40_2021:
	s_mov_b64 s[4:5], -1
                                        ; implicit-def: $vgpr18
	s_mov_b64 s[18:19], 0
.LBB40_2022:
	s_and_b64 vcc, exec, s[20:21]
	s_cbranch_vccz .LBB40_2026
; %bb.2023:
	v_cmp_eq_u16_e64 s[4:5], s26, 44
	s_and_b64 vcc, exec, s[4:5]
	s_cbranch_vccz .LBB40_2025
; %bb.2024:
	global_load_ubyte v7, v[16:17], off
	s_movk_i32 s18, 0xff
	v_mov_b32_e32 v9, 0x7f800001
	v_mov_b32_e32 v11, 0x400000
	s_mov_b64 s[4:5], 0
	s_waitcnt vmcnt(0)
	v_lshlrev_b32_e32 v13, 23, v7
	v_cmp_ne_u32_e32 vcc, s18, v7
	v_cndmask_b32_e32 v9, v9, v13, vcc
	v_cmp_ne_u32_e32 vcc, 0, v7
	v_cndmask_b32_e32 v18, v11, v9, vcc
	s_mov_b64 s[18:19], -1
	s_branch .LBB40_2026
.LBB40_2025:
	s_mov_b64 s[4:5], -1
                                        ; implicit-def: $vgpr18
.LBB40_2026:
	s_mov_b64 s[20:21], 0
.LBB40_2027:
	s_and_b64 vcc, exec, s[20:21]
	s_cbranch_vccz .LBB40_2031
; %bb.2028:
	v_cmp_eq_u16_e64 s[4:5], s26, 29
	s_and_b64 vcc, exec, s[4:5]
	s_cbranch_vccz .LBB40_2030
; %bb.2029:
	global_load_dwordx2 v[18:19], v[16:17], off
	s_mov_b64 s[4:5], 0
	s_mov_b64 s[18:19], -1
	s_mov_b64 s[20:21], 0
	s_waitcnt vmcnt(0)
	v_ffbh_u32_e32 v7, v19
	v_min_u32_e32 v7, 32, v7
	v_lshlrev_b64 v[18:19], v7, v[18:19]
	v_min_u32_e32 v9, 1, v18
	v_or_b32_e32 v9, v19, v9
	v_cvt_f32_u32_e32 v9, v9
	v_sub_u32_e32 v7, 32, v7
	v_ldexp_f32 v18, v9, v7
	s_branch .LBB40_2032
.LBB40_2030:
	s_mov_b64 s[4:5], -1
                                        ; implicit-def: $vgpr18
.LBB40_2031:
	s_mov_b64 s[20:21], 0
.LBB40_2032:
	s_and_b64 vcc, exec, s[20:21]
	s_cbranch_vccz .LBB40_2050
; %bb.2033:
	v_cmp_lt_i16_e64 s[18:19], s26, 27
	s_and_b64 vcc, exec, s[18:19]
	s_cbranch_vccnz .LBB40_2036
; %bb.2034:
	v_cmp_gt_i16_e64 s[18:19], s26, 27
	s_and_b64 vcc, exec, s[18:19]
	s_cbranch_vccz .LBB40_2037
; %bb.2035:
	global_load_dword v7, v[16:17], off
	s_mov_b64 s[18:19], 0
	s_waitcnt vmcnt(0)
	v_cvt_f32_u32_e32 v18, v7
	s_branch .LBB40_2038
.LBB40_2036:
	s_mov_b64 s[18:19], -1
                                        ; implicit-def: $vgpr18
	s_branch .LBB40_2041
.LBB40_2037:
	s_mov_b64 s[18:19], -1
                                        ; implicit-def: $vgpr18
.LBB40_2038:
	s_andn2_b64 vcc, exec, s[18:19]
	s_cbranch_vccnz .LBB40_2040
; %bb.2039:
	global_load_ushort v7, v[16:17], off
	s_waitcnt vmcnt(0)
	v_cvt_f32_u32_e32 v18, v7
.LBB40_2040:
	s_mov_b64 s[18:19], 0
.LBB40_2041:
	s_andn2_b64 vcc, exec, s[18:19]
	s_cbranch_vccnz .LBB40_2049
; %bb.2042:
	global_load_ubyte v7, v[16:17], off
	s_movk_i32 s18, 0x7f
                                        ; implicit-def: $sgpr27
	s_waitcnt vmcnt(0)
	v_cmp_lt_i16_e32 vcc, s18, v7
	s_mov_b64 s[18:19], 0
	s_and_saveexec_b64 s[20:21], vcc
	s_xor_b64 s[20:21], exec, s[20:21]
	s_cbranch_execz .LBB40_2063
; %bb.2043:
	s_movk_i32 s18, 0x80
	v_cmp_eq_u16_e32 vcc, s18, v7
	s_mov_b64 s[18:19], -1
                                        ; implicit-def: $sgpr27
	s_and_saveexec_b64 s[22:23], vcc
; %bb.2044:
	s_mov_b32 s27, 0x7f800001
	s_xor_b64 s[18:19], exec, -1
; %bb.2045:
	s_or_b64 exec, exec, s[22:23]
	s_and_b64 s[18:19], s[18:19], exec
	s_or_saveexec_b64 s[20:21], s[20:21]
	v_mov_b32_e32 v18, s27
	s_xor_b64 exec, exec, s[20:21]
	s_cbranch_execnz .LBB40_2064
.LBB40_2046:
	s_or_b64 exec, exec, s[20:21]
	s_and_saveexec_b64 s[20:21], s[18:19]
	s_cbranch_execz .LBB40_2048
.LBB40_2047:
	v_lshlrev_b32_e32 v9, 24, v7
	v_and_b32_e32 v7, 0xffff, v7
	v_and_b32_e32 v11, 7, v7
	v_ffbh_u32_e32 v15, v11
	v_min_u32_e32 v15, 32, v15
	v_subrev_u32_e32 v18, 28, v15
	v_bfe_u32 v13, v7, 3, 4
	v_lshlrev_b32_e32 v7, v18, v7
	v_sub_u32_e32 v15, 29, v15
	v_and_b32_e32 v7, 7, v7
	v_cmp_eq_u32_e32 vcc, 0, v13
	v_cndmask_b32_e32 v13, v13, v15, vcc
	v_cndmask_b32_e32 v7, v11, v7, vcc
	v_mov_b32_e32 v11, 0x3b800000
	v_lshlrev_b32_e32 v7, 20, v7
	v_and_b32_e32 v9, 0x80000000, v9
	v_lshl_add_u32 v11, v13, 23, v11
	v_or3_b32 v18, v9, v11, v7
.LBB40_2048:
	s_or_b64 exec, exec, s[20:21]
.LBB40_2049:
	s_mov_b64 s[18:19], -1
.LBB40_2050:
	s_mov_b64 s[20:21], 0
.LBB40_2051:
	s_and_b64 vcc, exec, s[20:21]
	s_cbranch_vccz .LBB40_2084
; %bb.2052:
	v_cmp_gt_i16_e64 s[16:17], s26, 22
	s_and_b64 vcc, exec, s[16:17]
	s_cbranch_vccz .LBB40_2062
; %bb.2053:
	v_cmp_lt_i16_e64 s[16:17], s26, 24
	s_and_b64 vcc, exec, s[16:17]
	s_cbranch_vccnz .LBB40_2065
; %bb.2054:
	v_cmp_gt_i16_e64 s[16:17], s26, 24
	s_and_b64 vcc, exec, s[16:17]
	s_cbranch_vccz .LBB40_2066
; %bb.2055:
	global_load_ubyte v7, v[16:17], off
	s_movk_i32 s16, 0x7f
                                        ; implicit-def: $sgpr22
	s_waitcnt vmcnt(0)
	v_cmp_lt_i16_e32 vcc, s16, v7
	s_mov_b64 s[16:17], 0
	s_and_saveexec_b64 s[18:19], vcc
	s_xor_b64 s[18:19], exec, s[18:19]
	s_cbranch_execz .LBB40_2078
; %bb.2056:
	s_movk_i32 s16, 0x80
	v_cmp_eq_u16_e32 vcc, s16, v7
	s_mov_b64 s[16:17], -1
                                        ; implicit-def: $sgpr22
	s_and_saveexec_b64 s[20:21], vcc
; %bb.2057:
	s_mov_b32 s22, 0x7f800001
	s_xor_b64 s[16:17], exec, -1
; %bb.2058:
	s_or_b64 exec, exec, s[20:21]
	s_and_b64 s[16:17], s[16:17], exec
	s_or_saveexec_b64 s[18:19], s[18:19]
	v_mov_b32_e32 v18, s22
	s_xor_b64 exec, exec, s[18:19]
	s_cbranch_execnz .LBB40_2079
.LBB40_2059:
	s_or_b64 exec, exec, s[18:19]
	s_and_saveexec_b64 s[18:19], s[16:17]
	s_cbranch_execz .LBB40_2061
.LBB40_2060:
	v_lshlrev_b32_e32 v9, 24, v7
	v_and_b32_e32 v7, 0xffff, v7
	v_and_b32_e32 v11, 3, v7
	v_ffbh_u32_e32 v15, v11
	v_min_u32_e32 v15, 32, v15
	v_subrev_u32_e32 v18, 29, v15
	v_bfe_u32 v13, v7, 2, 5
	v_lshlrev_b32_e32 v7, v18, v7
	v_sub_u32_e32 v15, 30, v15
	v_and_b32_e32 v7, 3, v7
	v_cmp_eq_u32_e32 vcc, 0, v13
	v_cndmask_b32_e32 v13, v13, v15, vcc
	v_cndmask_b32_e32 v7, v11, v7, vcc
	v_mov_b32_e32 v11, 0x37800000
	v_lshlrev_b32_e32 v7, 21, v7
	v_and_b32_e32 v9, 0x80000000, v9
	v_lshl_add_u32 v11, v13, 23, v11
	v_or3_b32 v18, v9, v11, v7
.LBB40_2061:
	s_or_b64 exec, exec, s[18:19]
	s_mov_b64 s[16:17], 0
	s_branch .LBB40_2067
.LBB40_2062:
	s_mov_b64 s[16:17], -1
                                        ; implicit-def: $vgpr18
	s_branch .LBB40_2073
.LBB40_2063:
	s_or_saveexec_b64 s[20:21], s[20:21]
	v_mov_b32_e32 v18, s27
	s_xor_b64 exec, exec, s[20:21]
	s_cbranch_execz .LBB40_2046
.LBB40_2064:
	v_cmp_ne_u16_e32 vcc, 0, v7
	s_andn2_b64 s[18:19], s[18:19], exec
	s_and_b64 s[22:23], vcc, exec
	v_mov_b32_e32 v18, 0
	s_or_b64 s[18:19], s[18:19], s[22:23]
	s_or_b64 exec, exec, s[20:21]
	s_and_saveexec_b64 s[20:21], s[18:19]
	s_cbranch_execnz .LBB40_2047
	s_branch .LBB40_2048
.LBB40_2065:
	s_mov_b64 s[16:17], -1
                                        ; implicit-def: $vgpr18
	s_branch .LBB40_2070
.LBB40_2066:
	s_mov_b64 s[16:17], -1
                                        ; implicit-def: $vgpr18
.LBB40_2067:
	s_and_b64 vcc, exec, s[16:17]
	s_cbranch_vccz .LBB40_2069
; %bb.2068:
	global_load_ubyte v7, v[16:17], off
	s_mov_b32 s16, 0x7f800000
	s_waitcnt vmcnt(0)
	v_lshlrev_b32_e32 v7, 24, v7
	v_and_b32_e32 v9, 0x7f000000, v7
	v_ffbh_u32_e32 v11, v9
	v_min_u32_e32 v11, 32, v11
	v_sub_u32_e64 v11, v11, 4 clamp
	v_lshlrev_b32_e32 v15, v11, v9
	v_lshlrev_b32_e32 v11, 23, v11
	v_lshrrev_b32_e32 v15, 4, v15
	v_add_u32_e32 v13, 0x1000000, v9
	v_sub_u32_e32 v11, v15, v11
	v_ashrrev_i32_e32 v13, 8, v13
	v_add_u32_e32 v11, 0x3c000000, v11
	v_and_or_b32 v11, v13, s16, v11
	v_cmp_ne_u32_e32 vcc, 0, v9
	v_cndmask_b32_e32 v9, 0, v11, vcc
	s_brev_b32 s16, 1
	v_and_or_b32 v18, v7, s16, v9
.LBB40_2069:
	s_mov_b64 s[16:17], 0
.LBB40_2070:
	s_andn2_b64 vcc, exec, s[16:17]
	s_cbranch_vccnz .LBB40_2072
; %bb.2071:
	global_load_ubyte v7, v[16:17], off
	s_movk_i32 s16, 0x7f00
	s_brev_b32 s17, 16
	s_waitcnt vmcnt(0)
	v_lshlrev_b16_e32 v9, 8, v7
	v_lshlrev_b32_e32 v7, 25, v7
	v_lshrrev_b32_e32 v11, 4, v7
	v_and_or_b32 v13, v9, s16, 0.5
	v_or_b32_e32 v11, 0x70000000, v11
	v_add_f32_e32 v13, -0.5, v13
	v_mul_f32_e32 v11, 0x7800000, v11
	v_cmp_gt_u32_e32 vcc, s17, v7
	v_bfe_i32 v9, v9, 0, 16
	v_cndmask_b32_e32 v7, v11, v13, vcc
	s_brev_b32 s16, 1
	v_and_or_b32 v18, v9, s16, v7
.LBB40_2072:
	s_mov_b64 s[16:17], 0
	s_mov_b64 s[18:19], -1
.LBB40_2073:
	s_andn2_b64 vcc, exec, s[16:17]
	s_mov_b64 s[16:17], 0
	s_cbranch_vccnz .LBB40_2084
; %bb.2074:
	v_cmp_gt_i16_e64 s[16:17], s26, 14
	s_and_b64 vcc, exec, s[16:17]
	s_cbranch_vccz .LBB40_2077
; %bb.2075:
	v_cmp_eq_u16_e64 s[4:5], s26, 15
	s_and_b64 vcc, exec, s[4:5]
	s_cbranch_vccz .LBB40_2080
; %bb.2076:
	global_load_ushort v7, v[16:17], off
	s_mov_b64 s[4:5], 0
	s_mov_b64 s[18:19], -1
	s_waitcnt vmcnt(0)
	v_lshlrev_b32_e32 v18, 16, v7
	s_branch .LBB40_2081
.LBB40_2077:
	s_mov_b64 s[20:21], -1
                                        ; implicit-def: $vgpr18
	s_branch .LBB40_2082
.LBB40_2078:
	s_or_saveexec_b64 s[18:19], s[18:19]
	v_mov_b32_e32 v18, s22
	s_xor_b64 exec, exec, s[18:19]
	s_cbranch_execz .LBB40_2059
.LBB40_2079:
	v_cmp_ne_u16_e32 vcc, 0, v7
	s_andn2_b64 s[16:17], s[16:17], exec
	s_and_b64 s[20:21], vcc, exec
	v_mov_b32_e32 v18, 0
	s_or_b64 s[16:17], s[16:17], s[20:21]
	s_or_b64 exec, exec, s[18:19]
	s_and_saveexec_b64 s[18:19], s[16:17]
	s_cbranch_execnz .LBB40_2060
	s_branch .LBB40_2061
.LBB40_2080:
	s_mov_b64 s[4:5], -1
                                        ; implicit-def: $vgpr18
.LBB40_2081:
	s_mov_b64 s[20:21], 0
.LBB40_2082:
	s_mov_b64 s[16:17], 0
	s_and_b64 vcc, exec, s[20:21]
	s_cbranch_vccz .LBB40_2084
; %bb.2083:
	v_cmp_ne_u16_e64 s[4:5], s26, 11
	s_mov_b64 s[16:17], -1
                                        ; implicit-def: $vgpr18
.LBB40_2084:
	s_and_b64 vcc, exec, s[4:5]
	s_cbranch_vccnz .LBB40_2149
; %bb.2085:
	s_andn2_b64 vcc, exec, s[16:17]
	s_cbranch_vccnz .LBB40_2087
.LBB40_2086:
	global_load_ubyte v7, v[16:17], off
	s_mov_b64 s[18:19], -1
	s_waitcnt vmcnt(0)
	v_cmp_ne_u16_e32 vcc, 0, v7
	v_cndmask_b32_e64 v18, 0, 1.0, vcc
.LBB40_2087:
	s_mov_b64 s[4:5], 0
.LBB40_2088:
	s_and_b64 vcc, exec, s[4:5]
	s_cbranch_vccz .LBB40_2137
; %bb.2089:
	v_cmp_lt_i16_e64 s[4:5], s26, 5
	s_and_b64 vcc, exec, s[4:5]
	s_cbranch_vccnz .LBB40_2094
; %bb.2090:
	v_cmp_lt_i16_e64 s[4:5], s26, 8
	s_and_b64 vcc, exec, s[4:5]
	s_cbranch_vccnz .LBB40_2095
	;; [unrolled: 4-line block ×3, first 2 shown]
; %bb.2092:
	v_cmp_gt_i16_e64 s[4:5], s26, 9
	s_and_b64 vcc, exec, s[4:5]
	s_cbranch_vccz .LBB40_2097
; %bb.2093:
	global_load_dwordx2 v[18:19], v[16:17], off
	s_mov_b64 s[4:5], 0
	s_waitcnt vmcnt(0)
	v_cvt_f32_f64_e32 v18, v[18:19]
	s_branch .LBB40_2098
.LBB40_2094:
	s_mov_b64 s[4:5], -1
                                        ; implicit-def: $vgpr18
	s_branch .LBB40_2116
.LBB40_2095:
	s_mov_b64 s[4:5], -1
                                        ; implicit-def: $vgpr18
	s_branch .LBB40_2104
.LBB40_2096:
	s_mov_b64 s[4:5], -1
                                        ; implicit-def: $vgpr18
	s_branch .LBB40_2101
.LBB40_2097:
	s_mov_b64 s[4:5], -1
                                        ; implicit-def: $vgpr18
.LBB40_2098:
	s_andn2_b64 vcc, exec, s[4:5]
	s_cbranch_vccnz .LBB40_2100
; %bb.2099:
	global_load_dword v18, v[16:17], off
.LBB40_2100:
	s_mov_b64 s[4:5], 0
.LBB40_2101:
	s_andn2_b64 vcc, exec, s[4:5]
	s_cbranch_vccnz .LBB40_2103
; %bb.2102:
	global_load_dword v7, v[16:17], off
	s_waitcnt vmcnt(0)
	v_cvt_f32_f16_e32 v18, v7
.LBB40_2103:
	s_mov_b64 s[4:5], 0
.LBB40_2104:
	s_andn2_b64 vcc, exec, s[4:5]
	s_cbranch_vccnz .LBB40_2115
; %bb.2105:
	v_cmp_lt_i16_e64 s[4:5], s26, 6
	s_and_b64 vcc, exec, s[4:5]
	s_cbranch_vccnz .LBB40_2108
; %bb.2106:
	v_cmp_gt_i16_e64 s[4:5], s26, 6
	s_and_b64 vcc, exec, s[4:5]
	s_cbranch_vccz .LBB40_2109
; %bb.2107:
	global_load_dwordx2 v[18:19], v[16:17], off
	s_mov_b64 s[4:5], 0
	s_waitcnt vmcnt(0)
	v_cvt_f32_f64_e32 v18, v[18:19]
	s_branch .LBB40_2110
.LBB40_2108:
	s_mov_b64 s[4:5], -1
                                        ; implicit-def: $vgpr18
	s_branch .LBB40_2113
.LBB40_2109:
	s_mov_b64 s[4:5], -1
                                        ; implicit-def: $vgpr18
.LBB40_2110:
	s_andn2_b64 vcc, exec, s[4:5]
	s_cbranch_vccnz .LBB40_2112
; %bb.2111:
	global_load_dword v18, v[16:17], off
.LBB40_2112:
	s_mov_b64 s[4:5], 0
.LBB40_2113:
	s_andn2_b64 vcc, exec, s[4:5]
	s_cbranch_vccnz .LBB40_2115
; %bb.2114:
	global_load_ushort v7, v[16:17], off
	s_waitcnt vmcnt(0)
	v_cvt_f32_f16_e32 v18, v7
.LBB40_2115:
	s_mov_b64 s[4:5], 0
.LBB40_2116:
	s_andn2_b64 vcc, exec, s[4:5]
	s_cbranch_vccnz .LBB40_2136
; %bb.2117:
	v_cmp_lt_i16_e64 s[4:5], s26, 2
	s_and_b64 vcc, exec, s[4:5]
	s_cbranch_vccnz .LBB40_2121
; %bb.2118:
	v_cmp_lt_i16_e64 s[4:5], s26, 3
	s_and_b64 vcc, exec, s[4:5]
	s_cbranch_vccnz .LBB40_2122
; %bb.2119:
	v_cmp_gt_i16_e64 s[4:5], s26, 3
	s_and_b64 vcc, exec, s[4:5]
	s_cbranch_vccz .LBB40_2123
; %bb.2120:
	global_load_dwordx2 v[18:19], v[16:17], off
	s_mov_b64 s[4:5], 0
	s_waitcnt vmcnt(0)
	v_xor_b32_e32 v9, v18, v19
	v_ffbh_i32_e32 v7, v19
	v_ashrrev_i32_e32 v9, 31, v9
	v_add_u32_e32 v7, -1, v7
	v_add_u32_e32 v9, 32, v9
	v_min_u32_e32 v7, v7, v9
	v_lshlrev_b64 v[18:19], v7, v[18:19]
	v_min_u32_e32 v9, 1, v18
	v_or_b32_e32 v9, v19, v9
	v_cvt_f32_i32_e32 v9, v9
	v_sub_u32_e32 v7, 32, v7
	v_ldexp_f32 v18, v9, v7
	s_branch .LBB40_2124
.LBB40_2121:
	s_mov_b64 s[4:5], -1
                                        ; implicit-def: $vgpr18
	s_branch .LBB40_2130
.LBB40_2122:
	s_mov_b64 s[4:5], -1
                                        ; implicit-def: $vgpr18
	s_branch .LBB40_2127
.LBB40_2123:
	s_mov_b64 s[4:5], -1
                                        ; implicit-def: $vgpr18
.LBB40_2124:
	s_andn2_b64 vcc, exec, s[4:5]
	s_cbranch_vccnz .LBB40_2126
; %bb.2125:
	global_load_dword v7, v[16:17], off
	s_waitcnt vmcnt(0)
	v_cvt_f32_i32_e32 v18, v7
.LBB40_2126:
	s_mov_b64 s[4:5], 0
.LBB40_2127:
	s_andn2_b64 vcc, exec, s[4:5]
	s_cbranch_vccnz .LBB40_2129
; %bb.2128:
	global_load_sshort v7, v[16:17], off
	s_waitcnt vmcnt(0)
	v_cvt_f32_i32_e32 v18, v7
.LBB40_2129:
	s_mov_b64 s[4:5], 0
.LBB40_2130:
	s_andn2_b64 vcc, exec, s[4:5]
	s_cbranch_vccnz .LBB40_2136
; %bb.2131:
	v_cmp_gt_i16_e64 s[4:5], s26, 0
	s_and_b64 vcc, exec, s[4:5]
	s_cbranch_vccz .LBB40_2133
; %bb.2132:
	global_load_sbyte v7, v[16:17], off
	s_mov_b64 s[4:5], 0
	s_waitcnt vmcnt(0)
	v_cvt_f32_i32_e32 v18, v7
	s_branch .LBB40_2134
.LBB40_2133:
	s_mov_b64 s[4:5], -1
                                        ; implicit-def: $vgpr18
.LBB40_2134:
	s_andn2_b64 vcc, exec, s[4:5]
	s_cbranch_vccnz .LBB40_2136
; %bb.2135:
	global_load_ubyte v7, v[16:17], off
	s_waitcnt vmcnt(0)
	v_cvt_f32_ubyte0_e32 v18, v7
.LBB40_2136:
	s_mov_b64 s[18:19], -1
.LBB40_2137:
	s_andn2_b64 vcc, exec, s[18:19]
	s_cbranch_vccnz .LBB40_3113
; %bb.2138:
	v_mov_b32_e32 v7, s11
	v_add_co_u32_e32 v14, vcc, s10, v14
	v_addc_co_u32_e32 v15, vcc, 0, v7, vcc
	v_mov_b32_e32 v7, 11
	v_cmp_lt_i16_sdwa s[4:5], s25, v7 src0_sel:BYTE_0 src1_sel:DWORD
	s_and_b64 vcc, exec, s[4:5]
	s_cbranch_vccnz .LBB40_2145
; %bb.2139:
	v_mov_b32_e32 v7, 25
	v_cmp_gt_i16_sdwa s[4:5], s25, v7 src0_sel:BYTE_0 src1_sel:DWORD
	s_mov_b64 s[16:17], 0
	s_and_b64 vcc, exec, s[4:5]
	s_cbranch_vccz .LBB40_2146
; %bb.2140:
	v_mov_b32_e32 v7, 28
	v_cmp_gt_i16_sdwa s[4:5], s25, v7 src0_sel:BYTE_0 src1_sel:DWORD
	s_and_b64 vcc, exec, s[4:5]
	s_cbranch_vccz .LBB40_2147
; %bb.2141:
	v_mov_b32_e32 v7, 43
	v_cmp_gt_i16_sdwa s[4:5], s25, v7 src0_sel:BYTE_0 src1_sel:DWORD
	;; [unrolled: 5-line block ×3, first 2 shown]
	s_and_b64 vcc, exec, s[4:5]
	s_cbranch_vccz .LBB40_2150
; %bb.2143:
	v_mov_b32_e32 v7, 46
	v_cmp_eq_u16_sdwa s[4:5], s25, v7 src0_sel:BYTE_0 src1_sel:DWORD
	s_mov_b64 s[20:21], 0
	s_and_b64 vcc, exec, s[4:5]
	s_cbranch_vccz .LBB40_2151
; %bb.2144:
	global_load_dword v7, v[14:15], off
	s_mov_b64 s[4:5], 0
	s_mov_b64 s[18:19], -1
	s_waitcnt vmcnt(0)
	v_lshlrev_b32_e32 v16, 16, v7
	s_branch .LBB40_2152
.LBB40_2145:
	s_mov_b64 s[4:5], -1
	s_mov_b64 s[18:19], 0
                                        ; implicit-def: $vgpr16
	s_branch .LBB40_2218
.LBB40_2146:
	s_mov_b64 s[20:21], -1
	s_mov_b64 s[18:19], 0
	s_mov_b64 s[4:5], 0
                                        ; implicit-def: $vgpr16
	s_branch .LBB40_2181
.LBB40_2147:
	s_mov_b64 s[20:21], -1
	s_mov_b64 s[18:19], 0
	s_mov_b64 s[4:5], 0
                                        ; implicit-def: $vgpr16
	s_branch .LBB40_2162
.LBB40_2148:
	s_mov_b64 s[20:21], -1
	s_mov_b64 s[18:19], 0
	s_mov_b64 s[4:5], 0
                                        ; implicit-def: $vgpr16
	s_branch .LBB40_2157
.LBB40_2149:
	s_trap 2
	s_or_b64 s[14:15], s[14:15], exec
                                        ; implicit-def: $vgpr18
	s_cbranch_execz .LBB40_2086
	s_branch .LBB40_2087
.LBB40_2150:
	s_mov_b64 s[20:21], -1
	s_mov_b64 s[18:19], 0
	s_mov_b64 s[4:5], 0
                                        ; implicit-def: $vgpr16
	s_branch .LBB40_2152
.LBB40_2151:
	s_mov_b64 s[4:5], -1
                                        ; implicit-def: $vgpr16
	s_mov_b64 s[18:19], 0
.LBB40_2152:
	s_and_b64 vcc, exec, s[20:21]
	s_cbranch_vccz .LBB40_2156
; %bb.2153:
	v_mov_b32_e32 v7, 44
	v_cmp_eq_u16_sdwa s[4:5], s25, v7 src0_sel:BYTE_0 src1_sel:DWORD
	s_and_b64 vcc, exec, s[4:5]
	s_cbranch_vccz .LBB40_2155
; %bb.2154:
	global_load_ubyte v7, v[14:15], off
	s_movk_i32 s18, 0xff
	v_mov_b32_e32 v9, 0x7f800001
	v_mov_b32_e32 v11, 0x400000
	s_mov_b64 s[4:5], 0
	s_waitcnt vmcnt(0)
	v_lshlrev_b32_e32 v13, 23, v7
	v_cmp_ne_u32_e32 vcc, s18, v7
	v_cndmask_b32_e32 v9, v9, v13, vcc
	v_cmp_ne_u32_e32 vcc, 0, v7
	v_cndmask_b32_e32 v16, v11, v9, vcc
	s_mov_b64 s[18:19], -1
	s_branch .LBB40_2156
.LBB40_2155:
	s_mov_b64 s[4:5], -1
                                        ; implicit-def: $vgpr16
.LBB40_2156:
	s_mov_b64 s[20:21], 0
.LBB40_2157:
	s_and_b64 vcc, exec, s[20:21]
	s_cbranch_vccz .LBB40_2161
; %bb.2158:
	v_mov_b32_e32 v7, 29
	v_cmp_eq_u16_sdwa s[4:5], s25, v7 src0_sel:BYTE_0 src1_sel:DWORD
	s_and_b64 vcc, exec, s[4:5]
	s_cbranch_vccz .LBB40_2160
; %bb.2159:
	global_load_dwordx2 v[16:17], v[14:15], off
	s_mov_b64 s[4:5], 0
	s_mov_b64 s[18:19], -1
	s_mov_b64 s[20:21], 0
	s_waitcnt vmcnt(0)
	v_ffbh_u32_e32 v7, v17
	v_min_u32_e32 v7, 32, v7
	v_lshlrev_b64 v[16:17], v7, v[16:17]
	v_min_u32_e32 v9, 1, v16
	v_or_b32_e32 v9, v17, v9
	v_cvt_f32_u32_e32 v9, v9
	v_sub_u32_e32 v7, 32, v7
	v_ldexp_f32 v16, v9, v7
	s_branch .LBB40_2162
.LBB40_2160:
	s_mov_b64 s[4:5], -1
                                        ; implicit-def: $vgpr16
.LBB40_2161:
	s_mov_b64 s[20:21], 0
.LBB40_2162:
	s_and_b64 vcc, exec, s[20:21]
	s_cbranch_vccz .LBB40_2180
; %bb.2163:
	v_mov_b32_e32 v7, 27
	v_cmp_lt_i16_sdwa s[18:19], s25, v7 src0_sel:BYTE_0 src1_sel:DWORD
	s_and_b64 vcc, exec, s[18:19]
	s_cbranch_vccnz .LBB40_2166
; %bb.2164:
	v_cmp_gt_i16_sdwa s[18:19], s25, v7 src0_sel:BYTE_0 src1_sel:DWORD
	s_and_b64 vcc, exec, s[18:19]
	s_cbranch_vccz .LBB40_2167
; %bb.2165:
	global_load_dword v7, v[14:15], off
	s_mov_b64 s[18:19], 0
	s_waitcnt vmcnt(0)
	v_cvt_f32_u32_e32 v16, v7
	s_branch .LBB40_2168
.LBB40_2166:
	s_mov_b64 s[18:19], -1
                                        ; implicit-def: $vgpr16
	s_branch .LBB40_2171
.LBB40_2167:
	s_mov_b64 s[18:19], -1
                                        ; implicit-def: $vgpr16
.LBB40_2168:
	s_andn2_b64 vcc, exec, s[18:19]
	s_cbranch_vccnz .LBB40_2170
; %bb.2169:
	global_load_ushort v7, v[14:15], off
	s_waitcnt vmcnt(0)
	v_cvt_f32_u32_e32 v16, v7
.LBB40_2170:
	s_mov_b64 s[18:19], 0
.LBB40_2171:
	s_andn2_b64 vcc, exec, s[18:19]
	s_cbranch_vccnz .LBB40_2179
; %bb.2172:
	global_load_ubyte v7, v[14:15], off
	s_movk_i32 s18, 0x7f
                                        ; implicit-def: $sgpr27
	s_waitcnt vmcnt(0)
	v_cmp_lt_i16_e32 vcc, s18, v7
	s_mov_b64 s[18:19], 0
	s_and_saveexec_b64 s[20:21], vcc
	s_xor_b64 s[20:21], exec, s[20:21]
	s_cbranch_execz .LBB40_2193
; %bb.2173:
	s_movk_i32 s18, 0x80
	v_cmp_eq_u16_e32 vcc, s18, v7
	s_mov_b64 s[18:19], -1
                                        ; implicit-def: $sgpr27
	s_and_saveexec_b64 s[22:23], vcc
; %bb.2174:
	s_mov_b32 s27, 0x7f800001
	s_xor_b64 s[18:19], exec, -1
; %bb.2175:
	s_or_b64 exec, exec, s[22:23]
	s_and_b64 s[18:19], s[18:19], exec
	s_or_saveexec_b64 s[20:21], s[20:21]
	v_mov_b32_e32 v16, s27
	s_xor_b64 exec, exec, s[20:21]
	s_cbranch_execnz .LBB40_2194
.LBB40_2176:
	s_or_b64 exec, exec, s[20:21]
	s_and_saveexec_b64 s[20:21], s[18:19]
	s_cbranch_execz .LBB40_2178
.LBB40_2177:
	v_lshlrev_b32_e32 v9, 24, v7
	v_and_b32_e32 v7, 0xffff, v7
	v_and_b32_e32 v11, 7, v7
	v_ffbh_u32_e32 v16, v11
	v_min_u32_e32 v16, 32, v16
	v_subrev_u32_e32 v17, 28, v16
	v_bfe_u32 v13, v7, 3, 4
	v_lshlrev_b32_e32 v7, v17, v7
	v_sub_u32_e32 v16, 29, v16
	v_and_b32_e32 v7, 7, v7
	v_cmp_eq_u32_e32 vcc, 0, v13
	v_cndmask_b32_e32 v13, v13, v16, vcc
	v_cndmask_b32_e32 v7, v11, v7, vcc
	v_mov_b32_e32 v11, 0x3b800000
	v_lshlrev_b32_e32 v7, 20, v7
	v_and_b32_e32 v9, 0x80000000, v9
	v_lshl_add_u32 v11, v13, 23, v11
	v_or3_b32 v16, v9, v11, v7
.LBB40_2178:
	s_or_b64 exec, exec, s[20:21]
.LBB40_2179:
	s_mov_b64 s[18:19], -1
.LBB40_2180:
	s_mov_b64 s[20:21], 0
.LBB40_2181:
	s_and_b64 vcc, exec, s[20:21]
	s_cbranch_vccz .LBB40_2214
; %bb.2182:
	v_mov_b32_e32 v7, 22
	v_cmp_gt_i16_sdwa s[16:17], s25, v7 src0_sel:BYTE_0 src1_sel:DWORD
	s_and_b64 vcc, exec, s[16:17]
	s_cbranch_vccz .LBB40_2192
; %bb.2183:
	v_mov_b32_e32 v7, 24
	v_cmp_lt_i16_sdwa s[16:17], s25, v7 src0_sel:BYTE_0 src1_sel:DWORD
	s_and_b64 vcc, exec, s[16:17]
	s_cbranch_vccnz .LBB40_2195
; %bb.2184:
	v_cmp_gt_i16_sdwa s[16:17], s25, v7 src0_sel:BYTE_0 src1_sel:DWORD
	s_and_b64 vcc, exec, s[16:17]
	s_cbranch_vccz .LBB40_2196
; %bb.2185:
	global_load_ubyte v7, v[14:15], off
	s_movk_i32 s16, 0x7f
                                        ; implicit-def: $sgpr22
	s_waitcnt vmcnt(0)
	v_cmp_lt_i16_e32 vcc, s16, v7
	s_mov_b64 s[16:17], 0
	s_and_saveexec_b64 s[18:19], vcc
	s_xor_b64 s[18:19], exec, s[18:19]
	s_cbranch_execz .LBB40_2208
; %bb.2186:
	s_movk_i32 s16, 0x80
	v_cmp_eq_u16_e32 vcc, s16, v7
	s_mov_b64 s[16:17], -1
                                        ; implicit-def: $sgpr22
	s_and_saveexec_b64 s[20:21], vcc
; %bb.2187:
	s_mov_b32 s22, 0x7f800001
	s_xor_b64 s[16:17], exec, -1
; %bb.2188:
	s_or_b64 exec, exec, s[20:21]
	s_and_b64 s[16:17], s[16:17], exec
	s_or_saveexec_b64 s[18:19], s[18:19]
	v_mov_b32_e32 v16, s22
	s_xor_b64 exec, exec, s[18:19]
	s_cbranch_execnz .LBB40_2209
.LBB40_2189:
	s_or_b64 exec, exec, s[18:19]
	s_and_saveexec_b64 s[18:19], s[16:17]
	s_cbranch_execz .LBB40_2191
.LBB40_2190:
	v_lshlrev_b32_e32 v9, 24, v7
	v_and_b32_e32 v7, 0xffff, v7
	v_and_b32_e32 v11, 3, v7
	v_ffbh_u32_e32 v16, v11
	v_min_u32_e32 v16, 32, v16
	v_subrev_u32_e32 v17, 29, v16
	v_bfe_u32 v13, v7, 2, 5
	v_lshlrev_b32_e32 v7, v17, v7
	v_sub_u32_e32 v16, 30, v16
	v_and_b32_e32 v7, 3, v7
	v_cmp_eq_u32_e32 vcc, 0, v13
	v_cndmask_b32_e32 v13, v13, v16, vcc
	v_cndmask_b32_e32 v7, v11, v7, vcc
	v_mov_b32_e32 v11, 0x37800000
	v_lshlrev_b32_e32 v7, 21, v7
	v_and_b32_e32 v9, 0x80000000, v9
	v_lshl_add_u32 v11, v13, 23, v11
	v_or3_b32 v16, v9, v11, v7
.LBB40_2191:
	s_or_b64 exec, exec, s[18:19]
	s_mov_b64 s[16:17], 0
	s_branch .LBB40_2197
.LBB40_2192:
	s_mov_b64 s[16:17], -1
                                        ; implicit-def: $vgpr16
	s_branch .LBB40_2203
.LBB40_2193:
	s_or_saveexec_b64 s[20:21], s[20:21]
	v_mov_b32_e32 v16, s27
	s_xor_b64 exec, exec, s[20:21]
	s_cbranch_execz .LBB40_2176
.LBB40_2194:
	v_cmp_ne_u16_e32 vcc, 0, v7
	s_andn2_b64 s[18:19], s[18:19], exec
	s_and_b64 s[22:23], vcc, exec
	v_mov_b32_e32 v16, 0
	s_or_b64 s[18:19], s[18:19], s[22:23]
	s_or_b64 exec, exec, s[20:21]
	s_and_saveexec_b64 s[20:21], s[18:19]
	s_cbranch_execnz .LBB40_2177
	s_branch .LBB40_2178
.LBB40_2195:
	s_mov_b64 s[16:17], -1
                                        ; implicit-def: $vgpr16
	s_branch .LBB40_2200
.LBB40_2196:
	s_mov_b64 s[16:17], -1
                                        ; implicit-def: $vgpr16
.LBB40_2197:
	s_and_b64 vcc, exec, s[16:17]
	s_cbranch_vccz .LBB40_2199
; %bb.2198:
	global_load_ubyte v7, v[14:15], off
	s_mov_b32 s16, 0x7f800000
	s_waitcnt vmcnt(0)
	v_lshlrev_b32_e32 v7, 24, v7
	v_and_b32_e32 v9, 0x7f000000, v7
	v_ffbh_u32_e32 v11, v9
	v_min_u32_e32 v11, 32, v11
	v_sub_u32_e64 v11, v11, 4 clamp
	v_lshlrev_b32_e32 v16, v11, v9
	v_lshlrev_b32_e32 v11, 23, v11
	v_lshrrev_b32_e32 v16, 4, v16
	v_add_u32_e32 v13, 0x1000000, v9
	v_sub_u32_e32 v11, v16, v11
	v_ashrrev_i32_e32 v13, 8, v13
	v_add_u32_e32 v11, 0x3c000000, v11
	v_and_or_b32 v11, v13, s16, v11
	v_cmp_ne_u32_e32 vcc, 0, v9
	v_cndmask_b32_e32 v9, 0, v11, vcc
	s_brev_b32 s16, 1
	v_and_or_b32 v16, v7, s16, v9
.LBB40_2199:
	s_mov_b64 s[16:17], 0
.LBB40_2200:
	s_andn2_b64 vcc, exec, s[16:17]
	s_cbranch_vccnz .LBB40_2202
; %bb.2201:
	global_load_ubyte v7, v[14:15], off
	s_movk_i32 s16, 0x7f00
	s_brev_b32 s17, 16
	s_waitcnt vmcnt(0)
	v_lshlrev_b16_e32 v9, 8, v7
	v_lshlrev_b32_e32 v7, 25, v7
	v_lshrrev_b32_e32 v11, 4, v7
	v_and_or_b32 v13, v9, s16, 0.5
	v_or_b32_e32 v11, 0x70000000, v11
	v_add_f32_e32 v13, -0.5, v13
	v_mul_f32_e32 v11, 0x7800000, v11
	v_cmp_gt_u32_e32 vcc, s17, v7
	v_bfe_i32 v9, v9, 0, 16
	v_cndmask_b32_e32 v7, v11, v13, vcc
	s_brev_b32 s16, 1
	v_and_or_b32 v16, v9, s16, v7
.LBB40_2202:
	s_mov_b64 s[16:17], 0
	s_mov_b64 s[18:19], -1
.LBB40_2203:
	s_andn2_b64 vcc, exec, s[16:17]
	s_mov_b64 s[16:17], 0
	s_cbranch_vccnz .LBB40_2214
; %bb.2204:
	v_mov_b32_e32 v7, 14
	v_cmp_gt_i16_sdwa s[16:17], s25, v7 src0_sel:BYTE_0 src1_sel:DWORD
	s_and_b64 vcc, exec, s[16:17]
	s_cbranch_vccz .LBB40_2207
; %bb.2205:
	v_mov_b32_e32 v7, 15
	v_cmp_eq_u16_sdwa s[4:5], s25, v7 src0_sel:BYTE_0 src1_sel:DWORD
	s_and_b64 vcc, exec, s[4:5]
	s_cbranch_vccz .LBB40_2210
; %bb.2206:
	global_load_ushort v7, v[14:15], off
	s_mov_b64 s[4:5], 0
	s_mov_b64 s[18:19], -1
	s_waitcnt vmcnt(0)
	v_lshlrev_b32_e32 v16, 16, v7
	s_branch .LBB40_2211
.LBB40_2207:
	s_mov_b64 s[20:21], -1
                                        ; implicit-def: $vgpr16
	s_branch .LBB40_2212
.LBB40_2208:
	s_or_saveexec_b64 s[18:19], s[18:19]
	v_mov_b32_e32 v16, s22
	s_xor_b64 exec, exec, s[18:19]
	s_cbranch_execz .LBB40_2189
.LBB40_2209:
	v_cmp_ne_u16_e32 vcc, 0, v7
	s_andn2_b64 s[16:17], s[16:17], exec
	s_and_b64 s[20:21], vcc, exec
	v_mov_b32_e32 v16, 0
	s_or_b64 s[16:17], s[16:17], s[20:21]
	s_or_b64 exec, exec, s[18:19]
	s_and_saveexec_b64 s[18:19], s[16:17]
	s_cbranch_execnz .LBB40_2190
	s_branch .LBB40_2191
.LBB40_2210:
	s_mov_b64 s[4:5], -1
                                        ; implicit-def: $vgpr16
.LBB40_2211:
	s_mov_b64 s[20:21], 0
.LBB40_2212:
	s_mov_b64 s[16:17], 0
	s_and_b64 vcc, exec, s[20:21]
	s_cbranch_vccz .LBB40_2214
; %bb.2213:
	v_mov_b32_e32 v7, 11
	v_cmp_ne_u16_sdwa s[4:5], s25, v7 src0_sel:BYTE_0 src1_sel:DWORD
	s_mov_b64 s[16:17], -1
                                        ; implicit-def: $vgpr16
.LBB40_2214:
	s_and_b64 vcc, exec, s[4:5]
	s_cbranch_vccnz .LBB40_2279
; %bb.2215:
	s_andn2_b64 vcc, exec, s[16:17]
	s_cbranch_vccnz .LBB40_2217
.LBB40_2216:
	global_load_ubyte v7, v[14:15], off
	s_mov_b64 s[18:19], -1
	s_waitcnt vmcnt(0)
	v_cmp_ne_u16_e32 vcc, 0, v7
	v_cndmask_b32_e64 v16, 0, 1.0, vcc
.LBB40_2217:
	s_mov_b64 s[4:5], 0
.LBB40_2218:
	s_and_b64 vcc, exec, s[4:5]
	s_cbranch_vccz .LBB40_2267
; %bb.2219:
	v_mov_b32_e32 v7, 5
	v_cmp_lt_i16_sdwa s[4:5], s25, v7 src0_sel:BYTE_0 src1_sel:DWORD
	s_and_b64 vcc, exec, s[4:5]
	s_cbranch_vccnz .LBB40_2224
; %bb.2220:
	v_mov_b32_e32 v7, 8
	v_cmp_lt_i16_sdwa s[4:5], s25, v7 src0_sel:BYTE_0 src1_sel:DWORD
	s_and_b64 vcc, exec, s[4:5]
	s_cbranch_vccnz .LBB40_2225
	;; [unrolled: 5-line block ×3, first 2 shown]
; %bb.2222:
	v_cmp_gt_i16_sdwa s[4:5], s25, v7 src0_sel:BYTE_0 src1_sel:DWORD
	s_and_b64 vcc, exec, s[4:5]
	s_cbranch_vccz .LBB40_2227
; %bb.2223:
	global_load_dwordx2 v[16:17], v[14:15], off
	s_mov_b64 s[4:5], 0
	s_waitcnt vmcnt(0)
	v_cvt_f32_f64_e32 v16, v[16:17]
	s_branch .LBB40_2228
.LBB40_2224:
	s_mov_b64 s[4:5], -1
                                        ; implicit-def: $vgpr16
	s_branch .LBB40_2246
.LBB40_2225:
	s_mov_b64 s[4:5], -1
                                        ; implicit-def: $vgpr16
	s_branch .LBB40_2234
.LBB40_2226:
	s_mov_b64 s[4:5], -1
                                        ; implicit-def: $vgpr16
	s_branch .LBB40_2231
.LBB40_2227:
	s_mov_b64 s[4:5], -1
                                        ; implicit-def: $vgpr16
.LBB40_2228:
	s_andn2_b64 vcc, exec, s[4:5]
	s_cbranch_vccnz .LBB40_2230
; %bb.2229:
	global_load_dword v16, v[14:15], off
.LBB40_2230:
	s_mov_b64 s[4:5], 0
.LBB40_2231:
	s_andn2_b64 vcc, exec, s[4:5]
	s_cbranch_vccnz .LBB40_2233
; %bb.2232:
	global_load_dword v7, v[14:15], off
	s_waitcnt vmcnt(0)
	v_cvt_f32_f16_e32 v16, v7
.LBB40_2233:
	s_mov_b64 s[4:5], 0
.LBB40_2234:
	s_andn2_b64 vcc, exec, s[4:5]
	s_cbranch_vccnz .LBB40_2245
; %bb.2235:
	v_mov_b32_e32 v7, 6
	v_cmp_lt_i16_sdwa s[4:5], s25, v7 src0_sel:BYTE_0 src1_sel:DWORD
	s_and_b64 vcc, exec, s[4:5]
	s_cbranch_vccnz .LBB40_2238
; %bb.2236:
	v_cmp_gt_i16_sdwa s[4:5], s25, v7 src0_sel:BYTE_0 src1_sel:DWORD
	s_and_b64 vcc, exec, s[4:5]
	s_cbranch_vccz .LBB40_2239
; %bb.2237:
	global_load_dwordx2 v[16:17], v[14:15], off
	s_mov_b64 s[4:5], 0
	s_waitcnt vmcnt(0)
	v_cvt_f32_f64_e32 v16, v[16:17]
	s_branch .LBB40_2240
.LBB40_2238:
	s_mov_b64 s[4:5], -1
                                        ; implicit-def: $vgpr16
	s_branch .LBB40_2243
.LBB40_2239:
	s_mov_b64 s[4:5], -1
                                        ; implicit-def: $vgpr16
.LBB40_2240:
	s_andn2_b64 vcc, exec, s[4:5]
	s_cbranch_vccnz .LBB40_2242
; %bb.2241:
	global_load_dword v16, v[14:15], off
.LBB40_2242:
	s_mov_b64 s[4:5], 0
.LBB40_2243:
	s_andn2_b64 vcc, exec, s[4:5]
	s_cbranch_vccnz .LBB40_2245
; %bb.2244:
	global_load_ushort v7, v[14:15], off
	s_waitcnt vmcnt(0)
	v_cvt_f32_f16_e32 v16, v7
.LBB40_2245:
	s_mov_b64 s[4:5], 0
.LBB40_2246:
	s_andn2_b64 vcc, exec, s[4:5]
	s_cbranch_vccnz .LBB40_2266
; %bb.2247:
	v_mov_b32_e32 v7, 2
	v_cmp_lt_i16_sdwa s[4:5], s25, v7 src0_sel:BYTE_0 src1_sel:DWORD
	s_and_b64 vcc, exec, s[4:5]
	s_cbranch_vccnz .LBB40_2251
; %bb.2248:
	v_mov_b32_e32 v7, 3
	v_cmp_lt_i16_sdwa s[4:5], s25, v7 src0_sel:BYTE_0 src1_sel:DWORD
	s_and_b64 vcc, exec, s[4:5]
	s_cbranch_vccnz .LBB40_2252
; %bb.2249:
	v_cmp_gt_i16_sdwa s[4:5], s25, v7 src0_sel:BYTE_0 src1_sel:DWORD
	s_and_b64 vcc, exec, s[4:5]
	s_cbranch_vccz .LBB40_2253
; %bb.2250:
	global_load_dwordx2 v[16:17], v[14:15], off
	s_mov_b64 s[4:5], 0
	s_waitcnt vmcnt(0)
	v_xor_b32_e32 v9, v16, v17
	v_ffbh_i32_e32 v7, v17
	v_ashrrev_i32_e32 v9, 31, v9
	v_add_u32_e32 v7, -1, v7
	v_add_u32_e32 v9, 32, v9
	v_min_u32_e32 v7, v7, v9
	v_lshlrev_b64 v[16:17], v7, v[16:17]
	v_min_u32_e32 v9, 1, v16
	v_or_b32_e32 v9, v17, v9
	v_cvt_f32_i32_e32 v9, v9
	v_sub_u32_e32 v7, 32, v7
	v_ldexp_f32 v16, v9, v7
	s_branch .LBB40_2254
.LBB40_2251:
	s_mov_b64 s[4:5], -1
                                        ; implicit-def: $vgpr16
	s_branch .LBB40_2260
.LBB40_2252:
	s_mov_b64 s[4:5], -1
                                        ; implicit-def: $vgpr16
	s_branch .LBB40_2257
.LBB40_2253:
	s_mov_b64 s[4:5], -1
                                        ; implicit-def: $vgpr16
.LBB40_2254:
	s_andn2_b64 vcc, exec, s[4:5]
	s_cbranch_vccnz .LBB40_2256
; %bb.2255:
	global_load_dword v7, v[14:15], off
	s_waitcnt vmcnt(0)
	v_cvt_f32_i32_e32 v16, v7
.LBB40_2256:
	s_mov_b64 s[4:5], 0
.LBB40_2257:
	s_andn2_b64 vcc, exec, s[4:5]
	s_cbranch_vccnz .LBB40_2259
; %bb.2258:
	global_load_sshort v7, v[14:15], off
	s_waitcnt vmcnt(0)
	v_cvt_f32_i32_e32 v16, v7
.LBB40_2259:
	s_mov_b64 s[4:5], 0
.LBB40_2260:
	s_andn2_b64 vcc, exec, s[4:5]
	s_cbranch_vccnz .LBB40_2266
; %bb.2261:
	v_mov_b32_e32 v7, 0
	v_cmp_gt_i16_sdwa s[4:5], s25, v7 src0_sel:BYTE_0 src1_sel:DWORD
	s_and_b64 vcc, exec, s[4:5]
	s_cbranch_vccz .LBB40_2263
; %bb.2262:
	global_load_sbyte v7, v[14:15], off
	s_mov_b64 s[4:5], 0
	s_waitcnt vmcnt(0)
	v_cvt_f32_i32_e32 v16, v7
	s_branch .LBB40_2264
.LBB40_2263:
	s_mov_b64 s[4:5], -1
                                        ; implicit-def: $vgpr16
.LBB40_2264:
	s_andn2_b64 vcc, exec, s[4:5]
	s_cbranch_vccnz .LBB40_2266
; %bb.2265:
	global_load_ubyte v7, v[14:15], off
	s_waitcnt vmcnt(0)
	v_cvt_f32_ubyte0_e32 v16, v7
.LBB40_2266:
	s_mov_b64 s[18:19], -1
.LBB40_2267:
	s_andn2_b64 vcc, exec, s[18:19]
	s_cbranch_vccnz .LBB40_3113
; %bb.2268:
	v_mov_b32_e32 v7, s1
	v_add_co_u32_e32 v12, vcc, s0, v12
	v_addc_co_u32_e32 v13, vcc, 0, v7, vcc
	s_and_b64 vcc, exec, s[2:3]
	s_cbranch_vccnz .LBB40_2275
; %bb.2269:
	v_cmp_gt_i16_e64 s[4:5], s26, 25
	s_mov_b64 s[16:17], 0
	s_and_b64 vcc, exec, s[4:5]
	s_cbranch_vccz .LBB40_2276
; %bb.2270:
	v_cmp_gt_i16_e64 s[4:5], s26, 28
	s_and_b64 vcc, exec, s[4:5]
	s_cbranch_vccz .LBB40_2277
; %bb.2271:
	v_cmp_gt_i16_e64 s[4:5], s26, 43
	;; [unrolled: 4-line block ×3, first 2 shown]
	s_and_b64 vcc, exec, s[4:5]
	s_cbranch_vccz .LBB40_2280
; %bb.2273:
	v_cmp_eq_u16_e64 s[4:5], s26, 46
	s_mov_b64 s[20:21], 0
	s_and_b64 vcc, exec, s[4:5]
	s_cbranch_vccz .LBB40_2283
; %bb.2274:
	global_load_dword v7, v[12:13], off
	s_mov_b64 s[4:5], 0
	s_mov_b64 s[18:19], -1
	s_waitcnt vmcnt(0)
	v_lshlrev_b32_e32 v14, 16, v7
	s_branch .LBB40_2284
.LBB40_2275:
	s_mov_b64 s[4:5], -1
	s_mov_b64 s[18:19], 0
                                        ; implicit-def: $vgpr14
	s_branch .LBB40_2350
.LBB40_2276:
	s_mov_b64 s[20:21], -1
	s_mov_b64 s[18:19], 0
	s_mov_b64 s[4:5], 0
                                        ; implicit-def: $vgpr14
	s_branch .LBB40_2313
.LBB40_2277:
	s_mov_b64 s[20:21], -1
	s_mov_b64 s[18:19], 0
	s_mov_b64 s[4:5], 0
                                        ; implicit-def: $vgpr14
	s_branch .LBB40_2294
.LBB40_2278:
	s_mov_b64 s[20:21], -1
	s_mov_b64 s[18:19], 0
	s_mov_b64 s[4:5], 0
                                        ; implicit-def: $vgpr14
	s_branch .LBB40_2289
.LBB40_2279:
	s_trap 2
	s_or_b64 s[14:15], s[14:15], exec
                                        ; implicit-def: $vgpr16
	s_cbranch_execz .LBB40_2216
	s_branch .LBB40_2217
.LBB40_2280:
	s_mov_b64 s[20:21], -1
	s_mov_b64 s[18:19], 0
	s_mov_b64 s[4:5], 0
                                        ; implicit-def: $vgpr14
	s_branch .LBB40_2284
.LBB40_2281:
	s_or_saveexec_b64 s[66:67], s[66:67]
                                        ; implicit-def: $sgpr71
	s_xor_b64 exec, exec, s[66:67]
	s_cbranch_execz .LBB40_1116
.LBB40_2282:
	v_add_f32_e32 v4, 0x42800000, v5
	v_and_b32_e32 v4, 0xff, v4
	v_cmp_ne_u32_e32 vcc, 0, v4
	s_andn2_b64 s[64:65], s[64:65], exec
	s_and_b64 s[72:73], vcc, exec
	s_mov_b32 s71, 0
	s_or_b64 s[64:65], s[64:65], s[72:73]
	s_or_b64 exec, exec, s[66:67]
	v_mov_b32_e32 v10, s71
	s_and_saveexec_b64 s[66:67], s[64:65]
	s_cbranch_execnz .LBB40_1117
	s_branch .LBB40_1118
.LBB40_2283:
	s_mov_b64 s[4:5], -1
                                        ; implicit-def: $vgpr14
	s_mov_b64 s[18:19], 0
.LBB40_2284:
	s_and_b64 vcc, exec, s[20:21]
	s_cbranch_vccz .LBB40_2288
; %bb.2285:
	v_cmp_eq_u16_e64 s[4:5], s26, 44
	s_and_b64 vcc, exec, s[4:5]
	s_cbranch_vccz .LBB40_2287
; %bb.2286:
	global_load_ubyte v7, v[12:13], off
	s_movk_i32 s18, 0xff
	v_mov_b32_e32 v9, 0x7f800001
	v_mov_b32_e32 v11, 0x400000
	s_mov_b64 s[4:5], 0
	s_waitcnt vmcnt(0)
	v_lshlrev_b32_e32 v14, 23, v7
	v_cmp_ne_u32_e32 vcc, s18, v7
	v_cndmask_b32_e32 v9, v9, v14, vcc
	v_cmp_ne_u32_e32 vcc, 0, v7
	v_cndmask_b32_e32 v14, v11, v9, vcc
	s_mov_b64 s[18:19], -1
	s_branch .LBB40_2288
.LBB40_2287:
	s_mov_b64 s[4:5], -1
                                        ; implicit-def: $vgpr14
.LBB40_2288:
	s_mov_b64 s[20:21], 0
.LBB40_2289:
	s_and_b64 vcc, exec, s[20:21]
	s_cbranch_vccz .LBB40_2293
; %bb.2290:
	v_cmp_eq_u16_e64 s[4:5], s26, 29
	s_and_b64 vcc, exec, s[4:5]
	s_cbranch_vccz .LBB40_2292
; %bb.2291:
	global_load_dwordx2 v[14:15], v[12:13], off
	s_mov_b64 s[4:5], 0
	s_mov_b64 s[18:19], -1
	s_mov_b64 s[20:21], 0
	s_waitcnt vmcnt(0)
	v_ffbh_u32_e32 v7, v15
	v_min_u32_e32 v7, 32, v7
	v_lshlrev_b64 v[14:15], v7, v[14:15]
	v_min_u32_e32 v9, 1, v14
	v_or_b32_e32 v9, v15, v9
	v_cvt_f32_u32_e32 v9, v9
	v_sub_u32_e32 v7, 32, v7
	v_ldexp_f32 v14, v9, v7
	s_branch .LBB40_2294
.LBB40_2292:
	s_mov_b64 s[4:5], -1
                                        ; implicit-def: $vgpr14
.LBB40_2293:
	s_mov_b64 s[20:21], 0
.LBB40_2294:
	s_and_b64 vcc, exec, s[20:21]
	s_cbranch_vccz .LBB40_2312
; %bb.2295:
	v_cmp_lt_i16_e64 s[18:19], s26, 27
	s_and_b64 vcc, exec, s[18:19]
	s_cbranch_vccnz .LBB40_2298
; %bb.2296:
	v_cmp_gt_i16_e64 s[18:19], s26, 27
	s_and_b64 vcc, exec, s[18:19]
	s_cbranch_vccz .LBB40_2299
; %bb.2297:
	global_load_dword v7, v[12:13], off
	s_mov_b64 s[18:19], 0
	s_waitcnt vmcnt(0)
	v_cvt_f32_u32_e32 v14, v7
	s_branch .LBB40_2300
.LBB40_2298:
	s_mov_b64 s[18:19], -1
                                        ; implicit-def: $vgpr14
	s_branch .LBB40_2303
.LBB40_2299:
	s_mov_b64 s[18:19], -1
                                        ; implicit-def: $vgpr14
.LBB40_2300:
	s_andn2_b64 vcc, exec, s[18:19]
	s_cbranch_vccnz .LBB40_2302
; %bb.2301:
	global_load_ushort v7, v[12:13], off
	s_waitcnt vmcnt(0)
	v_cvt_f32_u32_e32 v14, v7
.LBB40_2302:
	s_mov_b64 s[18:19], 0
.LBB40_2303:
	s_andn2_b64 vcc, exec, s[18:19]
	s_cbranch_vccnz .LBB40_2311
; %bb.2304:
	global_load_ubyte v7, v[12:13], off
	s_movk_i32 s18, 0x7f
                                        ; implicit-def: $sgpr27
	s_waitcnt vmcnt(0)
	v_cmp_lt_i16_e32 vcc, s18, v7
	s_mov_b64 s[18:19], 0
	s_and_saveexec_b64 s[20:21], vcc
	s_xor_b64 s[20:21], exec, s[20:21]
	s_cbranch_execz .LBB40_2325
; %bb.2305:
	s_movk_i32 s18, 0x80
	v_cmp_eq_u16_e32 vcc, s18, v7
	s_mov_b64 s[18:19], -1
                                        ; implicit-def: $sgpr27
	s_and_saveexec_b64 s[22:23], vcc
; %bb.2306:
	s_mov_b32 s27, 0x7f800001
	s_xor_b64 s[18:19], exec, -1
; %bb.2307:
	s_or_b64 exec, exec, s[22:23]
	s_and_b64 s[18:19], s[18:19], exec
	s_or_saveexec_b64 s[20:21], s[20:21]
	v_mov_b32_e32 v14, s27
	s_xor_b64 exec, exec, s[20:21]
	s_cbranch_execnz .LBB40_2326
.LBB40_2308:
	s_or_b64 exec, exec, s[20:21]
	s_and_saveexec_b64 s[20:21], s[18:19]
	s_cbranch_execz .LBB40_2310
.LBB40_2309:
	v_lshlrev_b32_e32 v9, 24, v7
	v_and_b32_e32 v7, 0xffff, v7
	v_and_b32_e32 v11, 7, v7
	v_ffbh_u32_e32 v15, v11
	v_min_u32_e32 v15, 32, v15
	v_subrev_u32_e32 v17, 28, v15
	v_bfe_u32 v14, v7, 3, 4
	v_lshlrev_b32_e32 v7, v17, v7
	v_sub_u32_e32 v15, 29, v15
	v_and_b32_e32 v7, 7, v7
	v_cmp_eq_u32_e32 vcc, 0, v14
	v_cndmask_b32_e32 v14, v14, v15, vcc
	v_cndmask_b32_e32 v7, v11, v7, vcc
	v_mov_b32_e32 v11, 0x3b800000
	v_lshlrev_b32_e32 v7, 20, v7
	v_and_b32_e32 v9, 0x80000000, v9
	v_lshl_add_u32 v11, v14, 23, v11
	v_or3_b32 v14, v9, v11, v7
.LBB40_2310:
	s_or_b64 exec, exec, s[20:21]
.LBB40_2311:
	s_mov_b64 s[18:19], -1
.LBB40_2312:
	s_mov_b64 s[20:21], 0
.LBB40_2313:
	s_and_b64 vcc, exec, s[20:21]
	s_cbranch_vccz .LBB40_2346
; %bb.2314:
	v_cmp_gt_i16_e64 s[16:17], s26, 22
	s_and_b64 vcc, exec, s[16:17]
	s_cbranch_vccz .LBB40_2324
; %bb.2315:
	v_cmp_lt_i16_e64 s[16:17], s26, 24
	s_and_b64 vcc, exec, s[16:17]
	s_cbranch_vccnz .LBB40_2327
; %bb.2316:
	v_cmp_gt_i16_e64 s[16:17], s26, 24
	s_and_b64 vcc, exec, s[16:17]
	s_cbranch_vccz .LBB40_2328
; %bb.2317:
	global_load_ubyte v7, v[12:13], off
	s_movk_i32 s16, 0x7f
                                        ; implicit-def: $sgpr22
	s_waitcnt vmcnt(0)
	v_cmp_lt_i16_e32 vcc, s16, v7
	s_mov_b64 s[16:17], 0
	s_and_saveexec_b64 s[18:19], vcc
	s_xor_b64 s[18:19], exec, s[18:19]
	s_cbranch_execz .LBB40_2340
; %bb.2318:
	s_movk_i32 s16, 0x80
	v_cmp_eq_u16_e32 vcc, s16, v7
	s_mov_b64 s[16:17], -1
                                        ; implicit-def: $sgpr22
	s_and_saveexec_b64 s[20:21], vcc
; %bb.2319:
	s_mov_b32 s22, 0x7f800001
	s_xor_b64 s[16:17], exec, -1
; %bb.2320:
	s_or_b64 exec, exec, s[20:21]
	s_and_b64 s[16:17], s[16:17], exec
	s_or_saveexec_b64 s[18:19], s[18:19]
	v_mov_b32_e32 v14, s22
	s_xor_b64 exec, exec, s[18:19]
	s_cbranch_execnz .LBB40_2341
.LBB40_2321:
	s_or_b64 exec, exec, s[18:19]
	s_and_saveexec_b64 s[18:19], s[16:17]
	s_cbranch_execz .LBB40_2323
.LBB40_2322:
	v_lshlrev_b32_e32 v9, 24, v7
	v_and_b32_e32 v7, 0xffff, v7
	v_and_b32_e32 v11, 3, v7
	v_ffbh_u32_e32 v15, v11
	v_min_u32_e32 v15, 32, v15
	v_subrev_u32_e32 v17, 29, v15
	v_bfe_u32 v14, v7, 2, 5
	v_lshlrev_b32_e32 v7, v17, v7
	v_sub_u32_e32 v15, 30, v15
	v_and_b32_e32 v7, 3, v7
	v_cmp_eq_u32_e32 vcc, 0, v14
	v_cndmask_b32_e32 v14, v14, v15, vcc
	v_cndmask_b32_e32 v7, v11, v7, vcc
	v_mov_b32_e32 v11, 0x37800000
	v_lshlrev_b32_e32 v7, 21, v7
	v_and_b32_e32 v9, 0x80000000, v9
	v_lshl_add_u32 v11, v14, 23, v11
	v_or3_b32 v14, v9, v11, v7
.LBB40_2323:
	s_or_b64 exec, exec, s[18:19]
	s_mov_b64 s[16:17], 0
	s_branch .LBB40_2329
.LBB40_2324:
	s_mov_b64 s[16:17], -1
                                        ; implicit-def: $vgpr14
	s_branch .LBB40_2335
.LBB40_2325:
	s_or_saveexec_b64 s[20:21], s[20:21]
	v_mov_b32_e32 v14, s27
	s_xor_b64 exec, exec, s[20:21]
	s_cbranch_execz .LBB40_2308
.LBB40_2326:
	v_cmp_ne_u16_e32 vcc, 0, v7
	s_andn2_b64 s[18:19], s[18:19], exec
	s_and_b64 s[22:23], vcc, exec
	v_mov_b32_e32 v14, 0
	s_or_b64 s[18:19], s[18:19], s[22:23]
	s_or_b64 exec, exec, s[20:21]
	s_and_saveexec_b64 s[20:21], s[18:19]
	s_cbranch_execnz .LBB40_2309
	s_branch .LBB40_2310
.LBB40_2327:
	s_mov_b64 s[16:17], -1
                                        ; implicit-def: $vgpr14
	s_branch .LBB40_2332
.LBB40_2328:
	s_mov_b64 s[16:17], -1
                                        ; implicit-def: $vgpr14
.LBB40_2329:
	s_and_b64 vcc, exec, s[16:17]
	s_cbranch_vccz .LBB40_2331
; %bb.2330:
	global_load_ubyte v7, v[12:13], off
	s_mov_b32 s16, 0x7f800000
	s_waitcnt vmcnt(0)
	v_lshlrev_b32_e32 v7, 24, v7
	v_and_b32_e32 v9, 0x7f000000, v7
	v_ffbh_u32_e32 v11, v9
	v_min_u32_e32 v11, 32, v11
	v_sub_u32_e64 v11, v11, 4 clamp
	v_lshlrev_b32_e32 v15, v11, v9
	v_lshlrev_b32_e32 v11, 23, v11
	v_lshrrev_b32_e32 v15, 4, v15
	v_add_u32_e32 v14, 0x1000000, v9
	v_sub_u32_e32 v11, v15, v11
	v_ashrrev_i32_e32 v14, 8, v14
	v_add_u32_e32 v11, 0x3c000000, v11
	v_and_or_b32 v11, v14, s16, v11
	v_cmp_ne_u32_e32 vcc, 0, v9
	v_cndmask_b32_e32 v9, 0, v11, vcc
	s_brev_b32 s16, 1
	v_and_or_b32 v14, v7, s16, v9
.LBB40_2331:
	s_mov_b64 s[16:17], 0
.LBB40_2332:
	s_andn2_b64 vcc, exec, s[16:17]
	s_cbranch_vccnz .LBB40_2334
; %bb.2333:
	global_load_ubyte v7, v[12:13], off
	s_movk_i32 s16, 0x7f00
	s_brev_b32 s17, 16
	s_waitcnt vmcnt(0)
	v_lshlrev_b16_e32 v9, 8, v7
	v_lshlrev_b32_e32 v7, 25, v7
	v_lshrrev_b32_e32 v11, 4, v7
	v_and_or_b32 v14, v9, s16, 0.5
	v_or_b32_e32 v11, 0x70000000, v11
	v_add_f32_e32 v14, -0.5, v14
	v_mul_f32_e32 v11, 0x7800000, v11
	v_cmp_gt_u32_e32 vcc, s17, v7
	v_bfe_i32 v9, v9, 0, 16
	v_cndmask_b32_e32 v7, v11, v14, vcc
	s_brev_b32 s16, 1
	v_and_or_b32 v14, v9, s16, v7
.LBB40_2334:
	s_mov_b64 s[16:17], 0
	s_mov_b64 s[18:19], -1
.LBB40_2335:
	s_andn2_b64 vcc, exec, s[16:17]
	s_mov_b64 s[16:17], 0
	s_cbranch_vccnz .LBB40_2346
; %bb.2336:
	v_cmp_gt_i16_e64 s[16:17], s26, 14
	s_and_b64 vcc, exec, s[16:17]
	s_cbranch_vccz .LBB40_2339
; %bb.2337:
	v_cmp_eq_u16_e64 s[4:5], s26, 15
	s_and_b64 vcc, exec, s[4:5]
	s_cbranch_vccz .LBB40_2342
; %bb.2338:
	global_load_ushort v7, v[12:13], off
	s_mov_b64 s[4:5], 0
	s_mov_b64 s[18:19], -1
	s_waitcnt vmcnt(0)
	v_lshlrev_b32_e32 v14, 16, v7
	s_branch .LBB40_2343
.LBB40_2339:
	s_mov_b64 s[20:21], -1
                                        ; implicit-def: $vgpr14
	s_branch .LBB40_2344
.LBB40_2340:
	s_or_saveexec_b64 s[18:19], s[18:19]
	v_mov_b32_e32 v14, s22
	s_xor_b64 exec, exec, s[18:19]
	s_cbranch_execz .LBB40_2321
.LBB40_2341:
	v_cmp_ne_u16_e32 vcc, 0, v7
	s_andn2_b64 s[16:17], s[16:17], exec
	s_and_b64 s[20:21], vcc, exec
	v_mov_b32_e32 v14, 0
	s_or_b64 s[16:17], s[16:17], s[20:21]
	s_or_b64 exec, exec, s[18:19]
	s_and_saveexec_b64 s[18:19], s[16:17]
	s_cbranch_execnz .LBB40_2322
	s_branch .LBB40_2323
.LBB40_2342:
	s_mov_b64 s[4:5], -1
                                        ; implicit-def: $vgpr14
.LBB40_2343:
	s_mov_b64 s[20:21], 0
.LBB40_2344:
	s_mov_b64 s[16:17], 0
	s_and_b64 vcc, exec, s[20:21]
	s_cbranch_vccz .LBB40_2346
; %bb.2345:
	v_cmp_ne_u16_e64 s[4:5], s26, 11
	s_mov_b64 s[16:17], -1
                                        ; implicit-def: $vgpr14
.LBB40_2346:
	s_and_b64 vcc, exec, s[4:5]
	s_cbranch_vccnz .LBB40_2411
; %bb.2347:
	s_andn2_b64 vcc, exec, s[16:17]
	s_cbranch_vccnz .LBB40_2349
.LBB40_2348:
	global_load_ubyte v7, v[12:13], off
	s_mov_b64 s[18:19], -1
	s_waitcnt vmcnt(0)
	v_cmp_ne_u16_e32 vcc, 0, v7
	v_cndmask_b32_e64 v14, 0, 1.0, vcc
.LBB40_2349:
	s_mov_b64 s[4:5], 0
.LBB40_2350:
	s_and_b64 vcc, exec, s[4:5]
	s_cbranch_vccz .LBB40_2399
; %bb.2351:
	v_cmp_lt_i16_e64 s[4:5], s26, 5
	s_and_b64 vcc, exec, s[4:5]
	s_cbranch_vccnz .LBB40_2356
; %bb.2352:
	v_cmp_lt_i16_e64 s[4:5], s26, 8
	s_and_b64 vcc, exec, s[4:5]
	s_cbranch_vccnz .LBB40_2357
	;; [unrolled: 4-line block ×3, first 2 shown]
; %bb.2354:
	v_cmp_gt_i16_e64 s[4:5], s26, 9
	s_and_b64 vcc, exec, s[4:5]
	s_cbranch_vccz .LBB40_2359
; %bb.2355:
	global_load_dwordx2 v[14:15], v[12:13], off
	s_mov_b64 s[4:5], 0
	s_waitcnt vmcnt(0)
	v_cvt_f32_f64_e32 v14, v[14:15]
	s_branch .LBB40_2360
.LBB40_2356:
	s_mov_b64 s[4:5], -1
                                        ; implicit-def: $vgpr14
	s_branch .LBB40_2378
.LBB40_2357:
	s_mov_b64 s[4:5], -1
                                        ; implicit-def: $vgpr14
	s_branch .LBB40_2366
.LBB40_2358:
	s_mov_b64 s[4:5], -1
                                        ; implicit-def: $vgpr14
	s_branch .LBB40_2363
.LBB40_2359:
	s_mov_b64 s[4:5], -1
                                        ; implicit-def: $vgpr14
.LBB40_2360:
	s_andn2_b64 vcc, exec, s[4:5]
	s_cbranch_vccnz .LBB40_2362
; %bb.2361:
	global_load_dword v14, v[12:13], off
.LBB40_2362:
	s_mov_b64 s[4:5], 0
.LBB40_2363:
	s_andn2_b64 vcc, exec, s[4:5]
	s_cbranch_vccnz .LBB40_2365
; %bb.2364:
	global_load_dword v7, v[12:13], off
	s_waitcnt vmcnt(0)
	v_cvt_f32_f16_e32 v14, v7
.LBB40_2365:
	s_mov_b64 s[4:5], 0
.LBB40_2366:
	s_andn2_b64 vcc, exec, s[4:5]
	s_cbranch_vccnz .LBB40_2377
; %bb.2367:
	v_cmp_lt_i16_e64 s[4:5], s26, 6
	s_and_b64 vcc, exec, s[4:5]
	s_cbranch_vccnz .LBB40_2370
; %bb.2368:
	v_cmp_gt_i16_e64 s[4:5], s26, 6
	s_and_b64 vcc, exec, s[4:5]
	s_cbranch_vccz .LBB40_2371
; %bb.2369:
	global_load_dwordx2 v[14:15], v[12:13], off
	s_mov_b64 s[4:5], 0
	s_waitcnt vmcnt(0)
	v_cvt_f32_f64_e32 v14, v[14:15]
	s_branch .LBB40_2372
.LBB40_2370:
	s_mov_b64 s[4:5], -1
                                        ; implicit-def: $vgpr14
	s_branch .LBB40_2375
.LBB40_2371:
	s_mov_b64 s[4:5], -1
                                        ; implicit-def: $vgpr14
.LBB40_2372:
	s_andn2_b64 vcc, exec, s[4:5]
	s_cbranch_vccnz .LBB40_2374
; %bb.2373:
	global_load_dword v14, v[12:13], off
.LBB40_2374:
	s_mov_b64 s[4:5], 0
.LBB40_2375:
	s_andn2_b64 vcc, exec, s[4:5]
	s_cbranch_vccnz .LBB40_2377
; %bb.2376:
	global_load_ushort v7, v[12:13], off
	s_waitcnt vmcnt(0)
	v_cvt_f32_f16_e32 v14, v7
.LBB40_2377:
	s_mov_b64 s[4:5], 0
.LBB40_2378:
	s_andn2_b64 vcc, exec, s[4:5]
	s_cbranch_vccnz .LBB40_2398
; %bb.2379:
	v_cmp_lt_i16_e64 s[4:5], s26, 2
	s_and_b64 vcc, exec, s[4:5]
	s_cbranch_vccnz .LBB40_2383
; %bb.2380:
	v_cmp_lt_i16_e64 s[4:5], s26, 3
	s_and_b64 vcc, exec, s[4:5]
	s_cbranch_vccnz .LBB40_2384
; %bb.2381:
	v_cmp_gt_i16_e64 s[4:5], s26, 3
	s_and_b64 vcc, exec, s[4:5]
	s_cbranch_vccz .LBB40_2385
; %bb.2382:
	global_load_dwordx2 v[14:15], v[12:13], off
	s_mov_b64 s[4:5], 0
	s_waitcnt vmcnt(0)
	v_xor_b32_e32 v9, v14, v15
	v_ffbh_i32_e32 v7, v15
	v_ashrrev_i32_e32 v9, 31, v9
	v_add_u32_e32 v7, -1, v7
	v_add_u32_e32 v9, 32, v9
	v_min_u32_e32 v7, v7, v9
	v_lshlrev_b64 v[14:15], v7, v[14:15]
	v_min_u32_e32 v9, 1, v14
	v_or_b32_e32 v9, v15, v9
	v_cvt_f32_i32_e32 v9, v9
	v_sub_u32_e32 v7, 32, v7
	v_ldexp_f32 v14, v9, v7
	s_branch .LBB40_2386
.LBB40_2383:
	s_mov_b64 s[4:5], -1
                                        ; implicit-def: $vgpr14
	s_branch .LBB40_2392
.LBB40_2384:
	s_mov_b64 s[4:5], -1
                                        ; implicit-def: $vgpr14
	s_branch .LBB40_2389
.LBB40_2385:
	s_mov_b64 s[4:5], -1
                                        ; implicit-def: $vgpr14
.LBB40_2386:
	s_andn2_b64 vcc, exec, s[4:5]
	s_cbranch_vccnz .LBB40_2388
; %bb.2387:
	global_load_dword v7, v[12:13], off
	s_waitcnt vmcnt(0)
	v_cvt_f32_i32_e32 v14, v7
.LBB40_2388:
	s_mov_b64 s[4:5], 0
.LBB40_2389:
	s_andn2_b64 vcc, exec, s[4:5]
	s_cbranch_vccnz .LBB40_2391
; %bb.2390:
	global_load_sshort v7, v[12:13], off
	s_waitcnt vmcnt(0)
	v_cvt_f32_i32_e32 v14, v7
.LBB40_2391:
	s_mov_b64 s[4:5], 0
.LBB40_2392:
	s_andn2_b64 vcc, exec, s[4:5]
	s_cbranch_vccnz .LBB40_2398
; %bb.2393:
	v_cmp_gt_i16_e64 s[4:5], s26, 0
	s_and_b64 vcc, exec, s[4:5]
	s_cbranch_vccz .LBB40_2395
; %bb.2394:
	global_load_sbyte v7, v[12:13], off
	s_mov_b64 s[4:5], 0
	s_waitcnt vmcnt(0)
	v_cvt_f32_i32_e32 v14, v7
	s_branch .LBB40_2396
.LBB40_2395:
	s_mov_b64 s[4:5], -1
                                        ; implicit-def: $vgpr14
.LBB40_2396:
	s_andn2_b64 vcc, exec, s[4:5]
	s_cbranch_vccnz .LBB40_2398
; %bb.2397:
	global_load_ubyte v7, v[12:13], off
	s_waitcnt vmcnt(0)
	v_cvt_f32_ubyte0_e32 v14, v7
.LBB40_2398:
	s_mov_b64 s[18:19], -1
.LBB40_2399:
	s_andn2_b64 vcc, exec, s[18:19]
	s_cbranch_vccnz .LBB40_3113
; %bb.2400:
	v_mov_b32_e32 v7, s11
	v_add_co_u32_e32 v10, vcc, s10, v10
	v_addc_co_u32_e32 v11, vcc, 0, v7, vcc
	v_mov_b32_e32 v7, 11
	v_cmp_lt_i16_sdwa s[4:5], s25, v7 src0_sel:BYTE_0 src1_sel:DWORD
	s_and_b64 vcc, exec, s[4:5]
	s_cbranch_vccnz .LBB40_2407
; %bb.2401:
	v_mov_b32_e32 v7, 25
	v_cmp_gt_i16_sdwa s[4:5], s25, v7 src0_sel:BYTE_0 src1_sel:DWORD
	s_mov_b64 s[10:11], 0
	s_and_b64 vcc, exec, s[4:5]
	s_cbranch_vccz .LBB40_2408
; %bb.2402:
	v_mov_b32_e32 v7, 28
	v_cmp_gt_i16_sdwa s[4:5], s25, v7 src0_sel:BYTE_0 src1_sel:DWORD
	s_and_b64 vcc, exec, s[4:5]
	s_cbranch_vccz .LBB40_2409
; %bb.2403:
	v_mov_b32_e32 v7, 43
	v_cmp_gt_i16_sdwa s[4:5], s25, v7 src0_sel:BYTE_0 src1_sel:DWORD
	;; [unrolled: 5-line block ×3, first 2 shown]
	s_and_b64 vcc, exec, s[4:5]
	s_cbranch_vccz .LBB40_2412
; %bb.2405:
	v_mov_b32_e32 v7, 46
	v_cmp_eq_u16_sdwa s[4:5], s25, v7 src0_sel:BYTE_0 src1_sel:DWORD
	s_mov_b64 s[18:19], 0
	s_and_b64 vcc, exec, s[4:5]
	s_cbranch_vccz .LBB40_2413
; %bb.2406:
	global_load_dword v7, v[10:11], off
	s_mov_b64 s[4:5], 0
	s_mov_b64 s[16:17], -1
	s_waitcnt vmcnt(0)
	v_lshlrev_b32_e32 v12, 16, v7
	s_branch .LBB40_2414
.LBB40_2407:
	s_mov_b64 s[4:5], -1
	s_mov_b64 s[16:17], 0
                                        ; implicit-def: $vgpr12
	s_branch .LBB40_2480
.LBB40_2408:
	s_mov_b64 s[18:19], -1
	s_mov_b64 s[16:17], 0
	s_mov_b64 s[4:5], 0
                                        ; implicit-def: $vgpr12
	s_branch .LBB40_2443
.LBB40_2409:
	s_mov_b64 s[18:19], -1
	s_mov_b64 s[16:17], 0
	s_mov_b64 s[4:5], 0
                                        ; implicit-def: $vgpr12
	s_branch .LBB40_2424
.LBB40_2410:
	s_mov_b64 s[18:19], -1
	s_mov_b64 s[16:17], 0
	s_mov_b64 s[4:5], 0
                                        ; implicit-def: $vgpr12
	s_branch .LBB40_2419
.LBB40_2411:
	s_trap 2
	s_or_b64 s[14:15], s[14:15], exec
                                        ; implicit-def: $vgpr14
	s_cbranch_execz .LBB40_2348
	s_branch .LBB40_2349
.LBB40_2412:
	s_mov_b64 s[18:19], -1
	s_mov_b64 s[16:17], 0
	s_mov_b64 s[4:5], 0
                                        ; implicit-def: $vgpr12
	s_branch .LBB40_2414
.LBB40_2413:
	s_mov_b64 s[4:5], -1
                                        ; implicit-def: $vgpr12
	s_mov_b64 s[16:17], 0
.LBB40_2414:
	s_and_b64 vcc, exec, s[18:19]
	s_cbranch_vccz .LBB40_2418
; %bb.2415:
	v_mov_b32_e32 v7, 44
	v_cmp_eq_u16_sdwa s[4:5], s25, v7 src0_sel:BYTE_0 src1_sel:DWORD
	s_and_b64 vcc, exec, s[4:5]
	s_cbranch_vccz .LBB40_2417
; %bb.2416:
	global_load_ubyte v7, v[10:11], off
	s_movk_i32 s16, 0xff
	v_mov_b32_e32 v9, 0x7f800001
	v_mov_b32_e32 v12, 0x400000
	s_mov_b64 s[4:5], 0
	s_waitcnt vmcnt(0)
	v_lshlrev_b32_e32 v13, 23, v7
	v_cmp_ne_u32_e32 vcc, s16, v7
	v_cndmask_b32_e32 v9, v9, v13, vcc
	v_cmp_ne_u32_e32 vcc, 0, v7
	v_cndmask_b32_e32 v12, v12, v9, vcc
	s_mov_b64 s[16:17], -1
	s_branch .LBB40_2418
.LBB40_2417:
	s_mov_b64 s[4:5], -1
                                        ; implicit-def: $vgpr12
.LBB40_2418:
	s_mov_b64 s[18:19], 0
.LBB40_2419:
	s_and_b64 vcc, exec, s[18:19]
	s_cbranch_vccz .LBB40_2423
; %bb.2420:
	v_mov_b32_e32 v7, 29
	v_cmp_eq_u16_sdwa s[4:5], s25, v7 src0_sel:BYTE_0 src1_sel:DWORD
	s_and_b64 vcc, exec, s[4:5]
	s_cbranch_vccz .LBB40_2422
; %bb.2421:
	global_load_dwordx2 v[12:13], v[10:11], off
	s_mov_b64 s[4:5], 0
	s_mov_b64 s[16:17], -1
	s_mov_b64 s[18:19], 0
	s_waitcnt vmcnt(0)
	v_ffbh_u32_e32 v7, v13
	v_min_u32_e32 v7, 32, v7
	v_lshlrev_b64 v[12:13], v7, v[12:13]
	v_min_u32_e32 v9, 1, v12
	v_or_b32_e32 v9, v13, v9
	v_cvt_f32_u32_e32 v9, v9
	v_sub_u32_e32 v7, 32, v7
	v_ldexp_f32 v12, v9, v7
	s_branch .LBB40_2424
.LBB40_2422:
	s_mov_b64 s[4:5], -1
                                        ; implicit-def: $vgpr12
.LBB40_2423:
	s_mov_b64 s[18:19], 0
.LBB40_2424:
	s_and_b64 vcc, exec, s[18:19]
	s_cbranch_vccz .LBB40_2442
; %bb.2425:
	v_mov_b32_e32 v7, 27
	v_cmp_lt_i16_sdwa s[16:17], s25, v7 src0_sel:BYTE_0 src1_sel:DWORD
	s_and_b64 vcc, exec, s[16:17]
	s_cbranch_vccnz .LBB40_2428
; %bb.2426:
	v_cmp_gt_i16_sdwa s[16:17], s25, v7 src0_sel:BYTE_0 src1_sel:DWORD
	s_and_b64 vcc, exec, s[16:17]
	s_cbranch_vccz .LBB40_2429
; %bb.2427:
	global_load_dword v7, v[10:11], off
	s_mov_b64 s[16:17], 0
	s_waitcnt vmcnt(0)
	v_cvt_f32_u32_e32 v12, v7
	s_branch .LBB40_2430
.LBB40_2428:
	s_mov_b64 s[16:17], -1
                                        ; implicit-def: $vgpr12
	s_branch .LBB40_2433
.LBB40_2429:
	s_mov_b64 s[16:17], -1
                                        ; implicit-def: $vgpr12
.LBB40_2430:
	s_andn2_b64 vcc, exec, s[16:17]
	s_cbranch_vccnz .LBB40_2432
; %bb.2431:
	global_load_ushort v7, v[10:11], off
	s_waitcnt vmcnt(0)
	v_cvt_f32_u32_e32 v12, v7
.LBB40_2432:
	s_mov_b64 s[16:17], 0
.LBB40_2433:
	s_andn2_b64 vcc, exec, s[16:17]
	s_cbranch_vccnz .LBB40_2441
; %bb.2434:
	global_load_ubyte v7, v[10:11], off
	s_movk_i32 s16, 0x7f
                                        ; implicit-def: $sgpr22
	s_waitcnt vmcnt(0)
	v_cmp_lt_i16_e32 vcc, s16, v7
	s_mov_b64 s[16:17], 0
	s_and_saveexec_b64 s[18:19], vcc
	s_xor_b64 s[18:19], exec, s[18:19]
	s_cbranch_execz .LBB40_2455
; %bb.2435:
	s_movk_i32 s16, 0x80
	v_cmp_eq_u16_e32 vcc, s16, v7
	s_mov_b64 s[16:17], -1
                                        ; implicit-def: $sgpr22
	s_and_saveexec_b64 s[20:21], vcc
; %bb.2436:
	s_mov_b32 s22, 0x7f800001
	s_xor_b64 s[16:17], exec, -1
; %bb.2437:
	s_or_b64 exec, exec, s[20:21]
	s_and_b64 s[16:17], s[16:17], exec
	s_or_saveexec_b64 s[18:19], s[18:19]
	v_mov_b32_e32 v12, s22
	s_xor_b64 exec, exec, s[18:19]
	s_cbranch_execnz .LBB40_2456
.LBB40_2438:
	s_or_b64 exec, exec, s[18:19]
	s_and_saveexec_b64 s[18:19], s[16:17]
	s_cbranch_execz .LBB40_2440
.LBB40_2439:
	v_lshlrev_b32_e32 v9, 24, v7
	v_and_b32_e32 v7, 0xffff, v7
	v_and_b32_e32 v12, 7, v7
	v_ffbh_u32_e32 v15, v12
	v_min_u32_e32 v15, 32, v15
	v_subrev_u32_e32 v17, 28, v15
	v_bfe_u32 v13, v7, 3, 4
	v_lshlrev_b32_e32 v7, v17, v7
	v_sub_u32_e32 v15, 29, v15
	v_and_b32_e32 v7, 7, v7
	v_cmp_eq_u32_e32 vcc, 0, v13
	v_cndmask_b32_e32 v13, v13, v15, vcc
	v_cndmask_b32_e32 v7, v12, v7, vcc
	v_mov_b32_e32 v12, 0x3b800000
	v_lshlrev_b32_e32 v7, 20, v7
	v_and_b32_e32 v9, 0x80000000, v9
	v_lshl_add_u32 v12, v13, 23, v12
	v_or3_b32 v12, v9, v12, v7
.LBB40_2440:
	s_or_b64 exec, exec, s[18:19]
.LBB40_2441:
	s_mov_b64 s[16:17], -1
.LBB40_2442:
	s_mov_b64 s[18:19], 0
.LBB40_2443:
	s_and_b64 vcc, exec, s[18:19]
	s_cbranch_vccz .LBB40_2476
; %bb.2444:
	v_mov_b32_e32 v7, 22
	v_cmp_gt_i16_sdwa s[10:11], s25, v7 src0_sel:BYTE_0 src1_sel:DWORD
	s_and_b64 vcc, exec, s[10:11]
	s_cbranch_vccz .LBB40_2454
; %bb.2445:
	v_mov_b32_e32 v7, 24
	v_cmp_lt_i16_sdwa s[10:11], s25, v7 src0_sel:BYTE_0 src1_sel:DWORD
	s_and_b64 vcc, exec, s[10:11]
	s_cbranch_vccnz .LBB40_2457
; %bb.2446:
	v_cmp_gt_i16_sdwa s[10:11], s25, v7 src0_sel:BYTE_0 src1_sel:DWORD
	s_and_b64 vcc, exec, s[10:11]
	s_cbranch_vccz .LBB40_2458
; %bb.2447:
	global_load_ubyte v7, v[10:11], off
	s_movk_i32 s10, 0x7f
                                        ; implicit-def: $sgpr20
	s_waitcnt vmcnt(0)
	v_cmp_lt_i16_e32 vcc, s10, v7
	s_mov_b64 s[10:11], 0
	s_and_saveexec_b64 s[16:17], vcc
	s_xor_b64 s[16:17], exec, s[16:17]
	s_cbranch_execz .LBB40_2470
; %bb.2448:
	s_movk_i32 s10, 0x80
	v_cmp_eq_u16_e32 vcc, s10, v7
	s_mov_b64 s[10:11], -1
                                        ; implicit-def: $sgpr20
	s_and_saveexec_b64 s[18:19], vcc
; %bb.2449:
	s_mov_b32 s20, 0x7f800001
	s_xor_b64 s[10:11], exec, -1
; %bb.2450:
	s_or_b64 exec, exec, s[18:19]
	s_and_b64 s[10:11], s[10:11], exec
	s_or_saveexec_b64 s[16:17], s[16:17]
	v_mov_b32_e32 v12, s20
	s_xor_b64 exec, exec, s[16:17]
	s_cbranch_execnz .LBB40_2471
.LBB40_2451:
	s_or_b64 exec, exec, s[16:17]
	s_and_saveexec_b64 s[16:17], s[10:11]
	s_cbranch_execz .LBB40_2453
.LBB40_2452:
	v_lshlrev_b32_e32 v9, 24, v7
	v_and_b32_e32 v7, 0xffff, v7
	v_and_b32_e32 v12, 3, v7
	v_ffbh_u32_e32 v15, v12
	v_min_u32_e32 v15, 32, v15
	v_subrev_u32_e32 v17, 29, v15
	v_bfe_u32 v13, v7, 2, 5
	v_lshlrev_b32_e32 v7, v17, v7
	v_sub_u32_e32 v15, 30, v15
	v_and_b32_e32 v7, 3, v7
	v_cmp_eq_u32_e32 vcc, 0, v13
	v_cndmask_b32_e32 v13, v13, v15, vcc
	v_cndmask_b32_e32 v7, v12, v7, vcc
	v_mov_b32_e32 v12, 0x37800000
	v_lshlrev_b32_e32 v7, 21, v7
	v_and_b32_e32 v9, 0x80000000, v9
	v_lshl_add_u32 v12, v13, 23, v12
	v_or3_b32 v12, v9, v12, v7
.LBB40_2453:
	s_or_b64 exec, exec, s[16:17]
	s_mov_b64 s[10:11], 0
	s_branch .LBB40_2459
.LBB40_2454:
	s_mov_b64 s[10:11], -1
                                        ; implicit-def: $vgpr12
	s_branch .LBB40_2465
.LBB40_2455:
	s_or_saveexec_b64 s[18:19], s[18:19]
	v_mov_b32_e32 v12, s22
	s_xor_b64 exec, exec, s[18:19]
	s_cbranch_execz .LBB40_2438
.LBB40_2456:
	v_cmp_ne_u16_e32 vcc, 0, v7
	s_andn2_b64 s[16:17], s[16:17], exec
	s_and_b64 s[20:21], vcc, exec
	v_mov_b32_e32 v12, 0
	s_or_b64 s[16:17], s[16:17], s[20:21]
	s_or_b64 exec, exec, s[18:19]
	s_and_saveexec_b64 s[18:19], s[16:17]
	s_cbranch_execnz .LBB40_2439
	s_branch .LBB40_2440
.LBB40_2457:
	s_mov_b64 s[10:11], -1
                                        ; implicit-def: $vgpr12
	s_branch .LBB40_2462
.LBB40_2458:
	s_mov_b64 s[10:11], -1
                                        ; implicit-def: $vgpr12
.LBB40_2459:
	s_and_b64 vcc, exec, s[10:11]
	s_cbranch_vccz .LBB40_2461
; %bb.2460:
	global_load_ubyte v7, v[10:11], off
	s_mov_b32 s10, 0x7f800000
	s_waitcnt vmcnt(0)
	v_lshlrev_b32_e32 v7, 24, v7
	v_and_b32_e32 v9, 0x7f000000, v7
	v_ffbh_u32_e32 v12, v9
	v_min_u32_e32 v12, 32, v12
	v_sub_u32_e64 v12, v12, 4 clamp
	v_lshlrev_b32_e32 v15, v12, v9
	v_lshlrev_b32_e32 v12, 23, v12
	v_lshrrev_b32_e32 v15, 4, v15
	v_add_u32_e32 v13, 0x1000000, v9
	v_sub_u32_e32 v12, v15, v12
	v_ashrrev_i32_e32 v13, 8, v13
	v_add_u32_e32 v12, 0x3c000000, v12
	v_and_or_b32 v12, v13, s10, v12
	v_cmp_ne_u32_e32 vcc, 0, v9
	v_cndmask_b32_e32 v9, 0, v12, vcc
	s_brev_b32 s10, 1
	v_and_or_b32 v12, v7, s10, v9
.LBB40_2461:
	s_mov_b64 s[10:11], 0
.LBB40_2462:
	s_andn2_b64 vcc, exec, s[10:11]
	s_cbranch_vccnz .LBB40_2464
; %bb.2463:
	global_load_ubyte v7, v[10:11], off
	s_movk_i32 s10, 0x7f00
	s_brev_b32 s11, 16
	s_waitcnt vmcnt(0)
	v_lshlrev_b16_e32 v9, 8, v7
	v_lshlrev_b32_e32 v7, 25, v7
	v_lshrrev_b32_e32 v12, 4, v7
	v_and_or_b32 v13, v9, s10, 0.5
	v_or_b32_e32 v12, 0x70000000, v12
	v_add_f32_e32 v13, -0.5, v13
	v_mul_f32_e32 v12, 0x7800000, v12
	v_cmp_gt_u32_e32 vcc, s11, v7
	v_bfe_i32 v9, v9, 0, 16
	v_cndmask_b32_e32 v7, v12, v13, vcc
	s_brev_b32 s10, 1
	v_and_or_b32 v12, v9, s10, v7
.LBB40_2464:
	s_mov_b64 s[10:11], 0
	s_mov_b64 s[16:17], -1
.LBB40_2465:
	s_andn2_b64 vcc, exec, s[10:11]
	s_mov_b64 s[10:11], 0
	s_cbranch_vccnz .LBB40_2476
; %bb.2466:
	v_mov_b32_e32 v7, 14
	v_cmp_gt_i16_sdwa s[10:11], s25, v7 src0_sel:BYTE_0 src1_sel:DWORD
	s_and_b64 vcc, exec, s[10:11]
	s_cbranch_vccz .LBB40_2469
; %bb.2467:
	v_mov_b32_e32 v7, 15
	v_cmp_eq_u16_sdwa s[4:5], s25, v7 src0_sel:BYTE_0 src1_sel:DWORD
	s_and_b64 vcc, exec, s[4:5]
	s_cbranch_vccz .LBB40_2472
; %bb.2468:
	global_load_ushort v7, v[10:11], off
	s_mov_b64 s[4:5], 0
	s_mov_b64 s[16:17], -1
	s_waitcnt vmcnt(0)
	v_lshlrev_b32_e32 v12, 16, v7
	s_branch .LBB40_2473
.LBB40_2469:
	s_mov_b64 s[18:19], -1
                                        ; implicit-def: $vgpr12
	s_branch .LBB40_2474
.LBB40_2470:
	s_or_saveexec_b64 s[16:17], s[16:17]
	v_mov_b32_e32 v12, s20
	s_xor_b64 exec, exec, s[16:17]
	s_cbranch_execz .LBB40_2451
.LBB40_2471:
	v_cmp_ne_u16_e32 vcc, 0, v7
	s_andn2_b64 s[10:11], s[10:11], exec
	s_and_b64 s[18:19], vcc, exec
	v_mov_b32_e32 v12, 0
	s_or_b64 s[10:11], s[10:11], s[18:19]
	s_or_b64 exec, exec, s[16:17]
	s_and_saveexec_b64 s[16:17], s[10:11]
	s_cbranch_execnz .LBB40_2452
	s_branch .LBB40_2453
.LBB40_2472:
	s_mov_b64 s[4:5], -1
                                        ; implicit-def: $vgpr12
.LBB40_2473:
	s_mov_b64 s[18:19], 0
.LBB40_2474:
	s_mov_b64 s[10:11], 0
	s_and_b64 vcc, exec, s[18:19]
	s_cbranch_vccz .LBB40_2476
; %bb.2475:
	v_mov_b32_e32 v7, 11
	v_cmp_ne_u16_sdwa s[4:5], s25, v7 src0_sel:BYTE_0 src1_sel:DWORD
	s_mov_b64 s[10:11], -1
                                        ; implicit-def: $vgpr12
.LBB40_2476:
	s_and_b64 vcc, exec, s[4:5]
	s_cbranch_vccnz .LBB40_2541
; %bb.2477:
	s_andn2_b64 vcc, exec, s[10:11]
	s_cbranch_vccnz .LBB40_2479
.LBB40_2478:
	global_load_ubyte v7, v[10:11], off
	s_mov_b64 s[16:17], -1
	s_waitcnt vmcnt(0)
	v_cmp_ne_u16_e32 vcc, 0, v7
	v_cndmask_b32_e64 v12, 0, 1.0, vcc
.LBB40_2479:
	s_mov_b64 s[4:5], 0
.LBB40_2480:
	s_and_b64 vcc, exec, s[4:5]
	s_cbranch_vccz .LBB40_2529
; %bb.2481:
	v_mov_b32_e32 v7, 5
	v_cmp_lt_i16_sdwa s[4:5], s25, v7 src0_sel:BYTE_0 src1_sel:DWORD
	s_and_b64 vcc, exec, s[4:5]
	s_cbranch_vccnz .LBB40_2486
; %bb.2482:
	v_mov_b32_e32 v7, 8
	v_cmp_lt_i16_sdwa s[4:5], s25, v7 src0_sel:BYTE_0 src1_sel:DWORD
	s_and_b64 vcc, exec, s[4:5]
	s_cbranch_vccnz .LBB40_2487
	;; [unrolled: 5-line block ×3, first 2 shown]
; %bb.2484:
	v_cmp_gt_i16_sdwa s[4:5], s25, v7 src0_sel:BYTE_0 src1_sel:DWORD
	s_and_b64 vcc, exec, s[4:5]
	s_cbranch_vccz .LBB40_2489
; %bb.2485:
	global_load_dwordx2 v[12:13], v[10:11], off
	s_mov_b64 s[4:5], 0
	s_waitcnt vmcnt(0)
	v_cvt_f32_f64_e32 v12, v[12:13]
	s_branch .LBB40_2490
.LBB40_2486:
	s_mov_b64 s[4:5], -1
                                        ; implicit-def: $vgpr12
	s_branch .LBB40_2508
.LBB40_2487:
	s_mov_b64 s[4:5], -1
                                        ; implicit-def: $vgpr12
	s_branch .LBB40_2496
.LBB40_2488:
	s_mov_b64 s[4:5], -1
                                        ; implicit-def: $vgpr12
	s_branch .LBB40_2493
.LBB40_2489:
	s_mov_b64 s[4:5], -1
                                        ; implicit-def: $vgpr12
.LBB40_2490:
	s_andn2_b64 vcc, exec, s[4:5]
	s_cbranch_vccnz .LBB40_2492
; %bb.2491:
	global_load_dword v12, v[10:11], off
.LBB40_2492:
	s_mov_b64 s[4:5], 0
.LBB40_2493:
	s_andn2_b64 vcc, exec, s[4:5]
	s_cbranch_vccnz .LBB40_2495
; %bb.2494:
	global_load_dword v7, v[10:11], off
	s_waitcnt vmcnt(0)
	v_cvt_f32_f16_e32 v12, v7
.LBB40_2495:
	s_mov_b64 s[4:5], 0
.LBB40_2496:
	s_andn2_b64 vcc, exec, s[4:5]
	s_cbranch_vccnz .LBB40_2507
; %bb.2497:
	v_mov_b32_e32 v7, 6
	v_cmp_lt_i16_sdwa s[4:5], s25, v7 src0_sel:BYTE_0 src1_sel:DWORD
	s_and_b64 vcc, exec, s[4:5]
	s_cbranch_vccnz .LBB40_2500
; %bb.2498:
	v_cmp_gt_i16_sdwa s[4:5], s25, v7 src0_sel:BYTE_0 src1_sel:DWORD
	s_and_b64 vcc, exec, s[4:5]
	s_cbranch_vccz .LBB40_2501
; %bb.2499:
	global_load_dwordx2 v[12:13], v[10:11], off
	s_mov_b64 s[4:5], 0
	s_waitcnt vmcnt(0)
	v_cvt_f32_f64_e32 v12, v[12:13]
	s_branch .LBB40_2502
.LBB40_2500:
	s_mov_b64 s[4:5], -1
                                        ; implicit-def: $vgpr12
	s_branch .LBB40_2505
.LBB40_2501:
	s_mov_b64 s[4:5], -1
                                        ; implicit-def: $vgpr12
.LBB40_2502:
	s_andn2_b64 vcc, exec, s[4:5]
	s_cbranch_vccnz .LBB40_2504
; %bb.2503:
	global_load_dword v12, v[10:11], off
.LBB40_2504:
	s_mov_b64 s[4:5], 0
.LBB40_2505:
	s_andn2_b64 vcc, exec, s[4:5]
	s_cbranch_vccnz .LBB40_2507
; %bb.2506:
	global_load_ushort v7, v[10:11], off
	s_waitcnt vmcnt(0)
	v_cvt_f32_f16_e32 v12, v7
.LBB40_2507:
	s_mov_b64 s[4:5], 0
.LBB40_2508:
	s_andn2_b64 vcc, exec, s[4:5]
	s_cbranch_vccnz .LBB40_2528
; %bb.2509:
	v_mov_b32_e32 v7, 2
	v_cmp_lt_i16_sdwa s[4:5], s25, v7 src0_sel:BYTE_0 src1_sel:DWORD
	s_and_b64 vcc, exec, s[4:5]
	s_cbranch_vccnz .LBB40_2513
; %bb.2510:
	v_mov_b32_e32 v7, 3
	v_cmp_lt_i16_sdwa s[4:5], s25, v7 src0_sel:BYTE_0 src1_sel:DWORD
	s_and_b64 vcc, exec, s[4:5]
	s_cbranch_vccnz .LBB40_2514
; %bb.2511:
	v_cmp_gt_i16_sdwa s[4:5], s25, v7 src0_sel:BYTE_0 src1_sel:DWORD
	s_and_b64 vcc, exec, s[4:5]
	s_cbranch_vccz .LBB40_2515
; %bb.2512:
	global_load_dwordx2 v[12:13], v[10:11], off
	s_mov_b64 s[4:5], 0
	s_waitcnt vmcnt(0)
	v_xor_b32_e32 v9, v12, v13
	v_ffbh_i32_e32 v7, v13
	v_ashrrev_i32_e32 v9, 31, v9
	v_add_u32_e32 v7, -1, v7
	v_add_u32_e32 v9, 32, v9
	v_min_u32_e32 v7, v7, v9
	v_lshlrev_b64 v[12:13], v7, v[12:13]
	v_min_u32_e32 v9, 1, v12
	v_or_b32_e32 v9, v13, v9
	v_cvt_f32_i32_e32 v9, v9
	v_sub_u32_e32 v7, 32, v7
	v_ldexp_f32 v12, v9, v7
	s_branch .LBB40_2516
.LBB40_2513:
	s_mov_b64 s[4:5], -1
                                        ; implicit-def: $vgpr12
	s_branch .LBB40_2522
.LBB40_2514:
	s_mov_b64 s[4:5], -1
                                        ; implicit-def: $vgpr12
	s_branch .LBB40_2519
.LBB40_2515:
	s_mov_b64 s[4:5], -1
                                        ; implicit-def: $vgpr12
.LBB40_2516:
	s_andn2_b64 vcc, exec, s[4:5]
	s_cbranch_vccnz .LBB40_2518
; %bb.2517:
	global_load_dword v7, v[10:11], off
	s_waitcnt vmcnt(0)
	v_cvt_f32_i32_e32 v12, v7
.LBB40_2518:
	s_mov_b64 s[4:5], 0
.LBB40_2519:
	s_andn2_b64 vcc, exec, s[4:5]
	s_cbranch_vccnz .LBB40_2521
; %bb.2520:
	global_load_sshort v7, v[10:11], off
	s_waitcnt vmcnt(0)
	v_cvt_f32_i32_e32 v12, v7
.LBB40_2521:
	s_mov_b64 s[4:5], 0
.LBB40_2522:
	s_andn2_b64 vcc, exec, s[4:5]
	s_cbranch_vccnz .LBB40_2528
; %bb.2523:
	v_mov_b32_e32 v7, 0
	v_cmp_gt_i16_sdwa s[4:5], s25, v7 src0_sel:BYTE_0 src1_sel:DWORD
	s_and_b64 vcc, exec, s[4:5]
	s_cbranch_vccz .LBB40_2525
; %bb.2524:
	global_load_sbyte v7, v[10:11], off
	s_mov_b64 s[4:5], 0
	s_waitcnt vmcnt(0)
	v_cvt_f32_i32_e32 v12, v7
	s_branch .LBB40_2526
.LBB40_2525:
	s_mov_b64 s[4:5], -1
                                        ; implicit-def: $vgpr12
.LBB40_2526:
	s_andn2_b64 vcc, exec, s[4:5]
	s_cbranch_vccnz .LBB40_2528
; %bb.2527:
	global_load_ubyte v7, v[10:11], off
	s_waitcnt vmcnt(0)
	v_cvt_f32_ubyte0_e32 v12, v7
.LBB40_2528:
	s_mov_b64 s[16:17], -1
.LBB40_2529:
	s_andn2_b64 vcc, exec, s[16:17]
	s_cbranch_vccnz .LBB40_3113
; %bb.2530:
	v_mov_b32_e32 v7, s1
	v_add_co_u32_e32 v8, vcc, s0, v8
	v_addc_co_u32_e32 v9, vcc, 0, v7, vcc
	s_and_b64 vcc, exec, s[2:3]
	s_cbranch_vccnz .LBB40_2537
; %bb.2531:
	v_cmp_gt_i16_e64 s[0:1], s26, 25
	s_mov_b64 s[2:3], 0
	s_and_b64 vcc, exec, s[0:1]
	s_cbranch_vccz .LBB40_2538
; %bb.2532:
	v_cmp_gt_i16_e64 s[0:1], s26, 28
	s_and_b64 vcc, exec, s[0:1]
	s_cbranch_vccz .LBB40_2539
; %bb.2533:
	v_cmp_gt_i16_e64 s[0:1], s26, 43
	;; [unrolled: 4-line block ×3, first 2 shown]
	s_and_b64 vcc, exec, s[0:1]
	s_cbranch_vccz .LBB40_2542
; %bb.2535:
	v_cmp_eq_u16_e64 s[0:1], s26, 46
	s_mov_b64 s[10:11], 0
	s_and_b64 vcc, exec, s[0:1]
	s_cbranch_vccz .LBB40_2543
; %bb.2536:
	global_load_dword v7, v[8:9], off
	s_mov_b64 s[0:1], 0
	s_mov_b64 s[4:5], -1
	s_waitcnt vmcnt(0)
	v_lshlrev_b32_e32 v10, 16, v7
	s_branch .LBB40_2544
.LBB40_2537:
	s_mov_b64 s[0:1], -1
	s_mov_b64 s[4:5], 0
                                        ; implicit-def: $vgpr10
	s_branch .LBB40_2610
.LBB40_2538:
	s_mov_b64 s[10:11], -1
	s_mov_b64 s[4:5], 0
	s_mov_b64 s[0:1], 0
                                        ; implicit-def: $vgpr10
	s_branch .LBB40_2573
.LBB40_2539:
	s_mov_b64 s[10:11], -1
	s_mov_b64 s[4:5], 0
	s_mov_b64 s[0:1], 0
                                        ; implicit-def: $vgpr10
	s_branch .LBB40_2554
.LBB40_2540:
	s_mov_b64 s[10:11], -1
	s_mov_b64 s[4:5], 0
	s_mov_b64 s[0:1], 0
                                        ; implicit-def: $vgpr10
	s_branch .LBB40_2549
.LBB40_2541:
	s_trap 2
	s_or_b64 s[14:15], s[14:15], exec
                                        ; implicit-def: $vgpr12
	s_cbranch_execz .LBB40_2478
	s_branch .LBB40_2479
.LBB40_2542:
	s_mov_b64 s[10:11], -1
	s_mov_b64 s[4:5], 0
	s_mov_b64 s[0:1], 0
                                        ; implicit-def: $vgpr10
	s_branch .LBB40_2544
.LBB40_2543:
	s_mov_b64 s[0:1], -1
                                        ; implicit-def: $vgpr10
	s_mov_b64 s[4:5], 0
.LBB40_2544:
	s_and_b64 vcc, exec, s[10:11]
	s_cbranch_vccz .LBB40_2548
; %bb.2545:
	v_cmp_eq_u16_e64 s[0:1], s26, 44
	s_and_b64 vcc, exec, s[0:1]
	s_cbranch_vccz .LBB40_2547
; %bb.2546:
	global_load_ubyte v7, v[8:9], off
	s_movk_i32 s4, 0xff
	v_mov_b32_e32 v10, 0x7f800001
	v_mov_b32_e32 v11, 0x400000
	s_mov_b64 s[0:1], 0
	s_waitcnt vmcnt(0)
	v_lshlrev_b32_e32 v13, 23, v7
	v_cmp_ne_u32_e32 vcc, s4, v7
	v_cndmask_b32_e32 v10, v10, v13, vcc
	v_cmp_ne_u32_e32 vcc, 0, v7
	v_cndmask_b32_e32 v10, v11, v10, vcc
	s_mov_b64 s[4:5], -1
	s_branch .LBB40_2548
.LBB40_2547:
	s_mov_b64 s[0:1], -1
                                        ; implicit-def: $vgpr10
.LBB40_2548:
	s_mov_b64 s[10:11], 0
.LBB40_2549:
	s_and_b64 vcc, exec, s[10:11]
	s_cbranch_vccz .LBB40_2553
; %bb.2550:
	v_cmp_eq_u16_e64 s[0:1], s26, 29
	s_and_b64 vcc, exec, s[0:1]
	s_cbranch_vccz .LBB40_2552
; %bb.2551:
	global_load_dwordx2 v[10:11], v[8:9], off
	s_mov_b64 s[0:1], 0
	s_mov_b64 s[4:5], -1
	s_mov_b64 s[10:11], 0
	s_waitcnt vmcnt(0)
	v_ffbh_u32_e32 v7, v11
	v_min_u32_e32 v7, 32, v7
	v_lshlrev_b64 v[10:11], v7, v[10:11]
	v_min_u32_e32 v10, 1, v10
	v_or_b32_e32 v10, v11, v10
	v_cvt_f32_u32_e32 v10, v10
	v_sub_u32_e32 v7, 32, v7
	v_ldexp_f32 v10, v10, v7
	s_branch .LBB40_2554
.LBB40_2552:
	s_mov_b64 s[0:1], -1
                                        ; implicit-def: $vgpr10
.LBB40_2553:
	s_mov_b64 s[10:11], 0
.LBB40_2554:
	s_and_b64 vcc, exec, s[10:11]
	s_cbranch_vccz .LBB40_2572
; %bb.2555:
	v_cmp_lt_i16_e64 s[4:5], s26, 27
	s_and_b64 vcc, exec, s[4:5]
	s_cbranch_vccnz .LBB40_2558
; %bb.2556:
	v_cmp_gt_i16_e64 s[4:5], s26, 27
	s_and_b64 vcc, exec, s[4:5]
	s_cbranch_vccz .LBB40_2559
; %bb.2557:
	global_load_dword v7, v[8:9], off
	s_mov_b64 s[4:5], 0
	s_waitcnt vmcnt(0)
	v_cvt_f32_u32_e32 v10, v7
	s_branch .LBB40_2560
.LBB40_2558:
	s_mov_b64 s[4:5], -1
                                        ; implicit-def: $vgpr10
	s_branch .LBB40_2563
.LBB40_2559:
	s_mov_b64 s[4:5], -1
                                        ; implicit-def: $vgpr10
.LBB40_2560:
	s_andn2_b64 vcc, exec, s[4:5]
	s_cbranch_vccnz .LBB40_2562
; %bb.2561:
	global_load_ushort v7, v[8:9], off
	s_waitcnt vmcnt(0)
	v_cvt_f32_u32_e32 v10, v7
.LBB40_2562:
	s_mov_b64 s[4:5], 0
.LBB40_2563:
	s_andn2_b64 vcc, exec, s[4:5]
	s_cbranch_vccnz .LBB40_2571
; %bb.2564:
	global_load_ubyte v7, v[8:9], off
	s_movk_i32 s4, 0x7f
                                        ; implicit-def: $sgpr18
	s_waitcnt vmcnt(0)
	v_cmp_lt_i16_e32 vcc, s4, v7
	s_mov_b64 s[4:5], 0
	s_and_saveexec_b64 s[10:11], vcc
	s_xor_b64 s[10:11], exec, s[10:11]
	s_cbranch_execz .LBB40_2585
; %bb.2565:
	s_movk_i32 s4, 0x80
	v_cmp_eq_u16_e32 vcc, s4, v7
	s_mov_b64 s[4:5], -1
                                        ; implicit-def: $sgpr18
	s_and_saveexec_b64 s[16:17], vcc
; %bb.2566:
	s_mov_b32 s18, 0x7f800001
	s_xor_b64 s[4:5], exec, -1
; %bb.2567:
	s_or_b64 exec, exec, s[16:17]
	s_and_b64 s[4:5], s[4:5], exec
	s_or_saveexec_b64 s[10:11], s[10:11]
	v_mov_b32_e32 v10, s18
	s_xor_b64 exec, exec, s[10:11]
	s_cbranch_execnz .LBB40_2586
.LBB40_2568:
	s_or_b64 exec, exec, s[10:11]
	s_and_saveexec_b64 s[10:11], s[4:5]
	s_cbranch_execz .LBB40_2570
.LBB40_2569:
	v_lshlrev_b32_e32 v10, 24, v7
	v_and_b32_e32 v7, 0xffff, v7
	v_and_b32_e32 v11, 7, v7
	v_ffbh_u32_e32 v15, v11
	v_min_u32_e32 v15, 32, v15
	v_subrev_u32_e32 v17, 28, v15
	v_bfe_u32 v13, v7, 3, 4
	v_lshlrev_b32_e32 v7, v17, v7
	v_sub_u32_e32 v15, 29, v15
	v_and_b32_e32 v7, 7, v7
	v_cmp_eq_u32_e32 vcc, 0, v13
	v_cndmask_b32_e32 v13, v13, v15, vcc
	v_cndmask_b32_e32 v7, v11, v7, vcc
	v_mov_b32_e32 v11, 0x3b800000
	v_lshlrev_b32_e32 v7, 20, v7
	v_and_b32_e32 v10, 0x80000000, v10
	v_lshl_add_u32 v11, v13, 23, v11
	v_or3_b32 v10, v10, v11, v7
.LBB40_2570:
	s_or_b64 exec, exec, s[10:11]
.LBB40_2571:
	s_mov_b64 s[4:5], -1
.LBB40_2572:
	s_mov_b64 s[10:11], 0
.LBB40_2573:
	s_and_b64 vcc, exec, s[10:11]
	s_cbranch_vccz .LBB40_2606
; %bb.2574:
	v_cmp_gt_i16_e64 s[2:3], s26, 22
	s_and_b64 vcc, exec, s[2:3]
	s_cbranch_vccz .LBB40_2584
; %bb.2575:
	v_cmp_lt_i16_e64 s[2:3], s26, 24
	s_and_b64 vcc, exec, s[2:3]
	s_cbranch_vccnz .LBB40_2587
; %bb.2576:
	v_cmp_gt_i16_e64 s[2:3], s26, 24
	s_and_b64 vcc, exec, s[2:3]
	s_cbranch_vccz .LBB40_2588
; %bb.2577:
	global_load_ubyte v7, v[8:9], off
	s_movk_i32 s2, 0x7f
                                        ; implicit-def: $sgpr16
	s_waitcnt vmcnt(0)
	v_cmp_lt_i16_e32 vcc, s2, v7
	s_mov_b64 s[2:3], 0
	s_and_saveexec_b64 s[4:5], vcc
	s_xor_b64 s[4:5], exec, s[4:5]
	s_cbranch_execz .LBB40_2600
; %bb.2578:
	s_movk_i32 s2, 0x80
	v_cmp_eq_u16_e32 vcc, s2, v7
	s_mov_b64 s[2:3], -1
                                        ; implicit-def: $sgpr16
	s_and_saveexec_b64 s[10:11], vcc
; %bb.2579:
	s_mov_b32 s16, 0x7f800001
	s_xor_b64 s[2:3], exec, -1
; %bb.2580:
	s_or_b64 exec, exec, s[10:11]
	s_and_b64 s[2:3], s[2:3], exec
	s_or_saveexec_b64 s[4:5], s[4:5]
	v_mov_b32_e32 v10, s16
	s_xor_b64 exec, exec, s[4:5]
	s_cbranch_execnz .LBB40_2601
.LBB40_2581:
	s_or_b64 exec, exec, s[4:5]
	s_and_saveexec_b64 s[4:5], s[2:3]
	s_cbranch_execz .LBB40_2583
.LBB40_2582:
	v_lshlrev_b32_e32 v10, 24, v7
	v_and_b32_e32 v7, 0xffff, v7
	v_and_b32_e32 v11, 3, v7
	v_ffbh_u32_e32 v15, v11
	v_min_u32_e32 v15, 32, v15
	v_subrev_u32_e32 v17, 29, v15
	v_bfe_u32 v13, v7, 2, 5
	v_lshlrev_b32_e32 v7, v17, v7
	v_sub_u32_e32 v15, 30, v15
	v_and_b32_e32 v7, 3, v7
	v_cmp_eq_u32_e32 vcc, 0, v13
	v_cndmask_b32_e32 v13, v13, v15, vcc
	v_cndmask_b32_e32 v7, v11, v7, vcc
	v_mov_b32_e32 v11, 0x37800000
	v_lshlrev_b32_e32 v7, 21, v7
	v_and_b32_e32 v10, 0x80000000, v10
	v_lshl_add_u32 v11, v13, 23, v11
	v_or3_b32 v10, v10, v11, v7
.LBB40_2583:
	s_or_b64 exec, exec, s[4:5]
	s_mov_b64 s[2:3], 0
	s_branch .LBB40_2589
.LBB40_2584:
	s_mov_b64 s[2:3], -1
                                        ; implicit-def: $vgpr10
	s_branch .LBB40_2595
.LBB40_2585:
	s_or_saveexec_b64 s[10:11], s[10:11]
	v_mov_b32_e32 v10, s18
	s_xor_b64 exec, exec, s[10:11]
	s_cbranch_execz .LBB40_2568
.LBB40_2586:
	v_cmp_ne_u16_e32 vcc, 0, v7
	s_andn2_b64 s[4:5], s[4:5], exec
	s_and_b64 s[16:17], vcc, exec
	v_mov_b32_e32 v10, 0
	s_or_b64 s[4:5], s[4:5], s[16:17]
	s_or_b64 exec, exec, s[10:11]
	s_and_saveexec_b64 s[10:11], s[4:5]
	s_cbranch_execnz .LBB40_2569
	s_branch .LBB40_2570
.LBB40_2587:
	s_mov_b64 s[2:3], -1
                                        ; implicit-def: $vgpr10
	s_branch .LBB40_2592
.LBB40_2588:
	s_mov_b64 s[2:3], -1
                                        ; implicit-def: $vgpr10
.LBB40_2589:
	s_and_b64 vcc, exec, s[2:3]
	s_cbranch_vccz .LBB40_2591
; %bb.2590:
	global_load_ubyte v7, v[8:9], off
	s_mov_b32 s2, 0x7f800000
	s_waitcnt vmcnt(0)
	v_lshlrev_b32_e32 v7, 24, v7
	v_and_b32_e32 v10, 0x7f000000, v7
	v_ffbh_u32_e32 v11, v10
	v_min_u32_e32 v11, 32, v11
	v_sub_u32_e64 v11, v11, 4 clamp
	v_lshlrev_b32_e32 v15, v11, v10
	v_lshlrev_b32_e32 v11, 23, v11
	v_lshrrev_b32_e32 v15, 4, v15
	v_add_u32_e32 v13, 0x1000000, v10
	v_sub_u32_e32 v11, v15, v11
	v_ashrrev_i32_e32 v13, 8, v13
	v_add_u32_e32 v11, 0x3c000000, v11
	v_and_or_b32 v11, v13, s2, v11
	v_cmp_ne_u32_e32 vcc, 0, v10
	v_cndmask_b32_e32 v10, 0, v11, vcc
	s_brev_b32 s2, 1
	v_and_or_b32 v10, v7, s2, v10
.LBB40_2591:
	s_mov_b64 s[2:3], 0
.LBB40_2592:
	s_andn2_b64 vcc, exec, s[2:3]
	s_cbranch_vccnz .LBB40_2594
; %bb.2593:
	global_load_ubyte v7, v[8:9], off
	s_movk_i32 s2, 0x7f00
	s_brev_b32 s3, 16
	s_waitcnt vmcnt(0)
	v_lshlrev_b16_e32 v10, 8, v7
	v_lshlrev_b32_e32 v7, 25, v7
	v_lshrrev_b32_e32 v11, 4, v7
	v_and_or_b32 v13, v10, s2, 0.5
	v_or_b32_e32 v11, 0x70000000, v11
	v_add_f32_e32 v13, -0.5, v13
	v_mul_f32_e32 v11, 0x7800000, v11
	v_cmp_gt_u32_e32 vcc, s3, v7
	v_bfe_i32 v10, v10, 0, 16
	v_cndmask_b32_e32 v7, v11, v13, vcc
	s_brev_b32 s2, 1
	v_and_or_b32 v10, v10, s2, v7
.LBB40_2594:
	s_mov_b64 s[2:3], 0
	s_mov_b64 s[4:5], -1
.LBB40_2595:
	s_andn2_b64 vcc, exec, s[2:3]
	s_mov_b64 s[2:3], 0
	s_cbranch_vccnz .LBB40_2606
; %bb.2596:
	v_cmp_gt_i16_e64 s[2:3], s26, 14
	s_and_b64 vcc, exec, s[2:3]
	s_cbranch_vccz .LBB40_2599
; %bb.2597:
	v_cmp_eq_u16_e64 s[0:1], s26, 15
	s_and_b64 vcc, exec, s[0:1]
	s_cbranch_vccz .LBB40_2602
; %bb.2598:
	global_load_ushort v7, v[8:9], off
	s_mov_b64 s[0:1], 0
	s_mov_b64 s[4:5], -1
	s_waitcnt vmcnt(0)
	v_lshlrev_b32_e32 v10, 16, v7
	s_branch .LBB40_2603
.LBB40_2599:
	s_mov_b64 s[10:11], -1
                                        ; implicit-def: $vgpr10
	s_branch .LBB40_2604
.LBB40_2600:
	s_or_saveexec_b64 s[4:5], s[4:5]
	v_mov_b32_e32 v10, s16
	s_xor_b64 exec, exec, s[4:5]
	s_cbranch_execz .LBB40_2581
.LBB40_2601:
	v_cmp_ne_u16_e32 vcc, 0, v7
	s_andn2_b64 s[2:3], s[2:3], exec
	s_and_b64 s[10:11], vcc, exec
	v_mov_b32_e32 v10, 0
	s_or_b64 s[2:3], s[2:3], s[10:11]
	s_or_b64 exec, exec, s[4:5]
	s_and_saveexec_b64 s[4:5], s[2:3]
	s_cbranch_execnz .LBB40_2582
	s_branch .LBB40_2583
.LBB40_2602:
	s_mov_b64 s[0:1], -1
                                        ; implicit-def: $vgpr10
.LBB40_2603:
	s_mov_b64 s[10:11], 0
.LBB40_2604:
	s_mov_b64 s[2:3], 0
	s_and_b64 vcc, exec, s[10:11]
	s_cbranch_vccz .LBB40_2606
; %bb.2605:
	v_cmp_ne_u16_e64 s[0:1], s26, 11
	s_mov_b64 s[2:3], -1
                                        ; implicit-def: $vgpr10
.LBB40_2606:
	s_and_b64 vcc, exec, s[0:1]
	s_cbranch_vccnz .LBB40_2670
; %bb.2607:
	s_andn2_b64 vcc, exec, s[2:3]
	s_cbranch_vccnz .LBB40_2609
.LBB40_2608:
	global_load_ubyte v7, v[8:9], off
	s_mov_b64 s[4:5], -1
	s_waitcnt vmcnt(0)
	v_cmp_ne_u16_e32 vcc, 0, v7
	v_cndmask_b32_e64 v10, 0, 1.0, vcc
.LBB40_2609:
	s_mov_b64 s[0:1], 0
.LBB40_2610:
	s_and_b64 vcc, exec, s[0:1]
	s_cbranch_vccz .LBB40_2659
; %bb.2611:
	v_cmp_lt_i16_e64 s[0:1], s26, 5
	s_and_b64 vcc, exec, s[0:1]
	s_cbranch_vccnz .LBB40_2616
; %bb.2612:
	v_cmp_lt_i16_e64 s[0:1], s26, 8
	s_and_b64 vcc, exec, s[0:1]
	s_cbranch_vccnz .LBB40_2617
	;; [unrolled: 4-line block ×3, first 2 shown]
; %bb.2614:
	v_cmp_gt_i16_e64 s[0:1], s26, 9
	s_and_b64 vcc, exec, s[0:1]
	s_cbranch_vccz .LBB40_2619
; %bb.2615:
	global_load_dwordx2 v[10:11], v[8:9], off
	s_mov_b64 s[0:1], 0
	s_waitcnt vmcnt(0)
	v_cvt_f32_f64_e32 v10, v[10:11]
	s_branch .LBB40_2620
.LBB40_2616:
	s_mov_b64 s[0:1], -1
                                        ; implicit-def: $vgpr10
	s_branch .LBB40_2638
.LBB40_2617:
	s_mov_b64 s[0:1], -1
                                        ; implicit-def: $vgpr10
	s_branch .LBB40_2626
.LBB40_2618:
	s_mov_b64 s[0:1], -1
                                        ; implicit-def: $vgpr10
	s_branch .LBB40_2623
.LBB40_2619:
	s_mov_b64 s[0:1], -1
                                        ; implicit-def: $vgpr10
.LBB40_2620:
	s_andn2_b64 vcc, exec, s[0:1]
	s_cbranch_vccnz .LBB40_2622
; %bb.2621:
	global_load_dword v10, v[8:9], off
.LBB40_2622:
	s_mov_b64 s[0:1], 0
.LBB40_2623:
	s_andn2_b64 vcc, exec, s[0:1]
	s_cbranch_vccnz .LBB40_2625
; %bb.2624:
	global_load_dword v7, v[8:9], off
	s_waitcnt vmcnt(0)
	v_cvt_f32_f16_e32 v10, v7
.LBB40_2625:
	s_mov_b64 s[0:1], 0
.LBB40_2626:
	s_andn2_b64 vcc, exec, s[0:1]
	s_cbranch_vccnz .LBB40_2637
; %bb.2627:
	v_cmp_lt_i16_e64 s[0:1], s26, 6
	s_and_b64 vcc, exec, s[0:1]
	s_cbranch_vccnz .LBB40_2630
; %bb.2628:
	v_cmp_gt_i16_e64 s[0:1], s26, 6
	s_and_b64 vcc, exec, s[0:1]
	s_cbranch_vccz .LBB40_2631
; %bb.2629:
	global_load_dwordx2 v[10:11], v[8:9], off
	s_mov_b64 s[0:1], 0
	s_waitcnt vmcnt(0)
	v_cvt_f32_f64_e32 v10, v[10:11]
	s_branch .LBB40_2632
.LBB40_2630:
	s_mov_b64 s[0:1], -1
                                        ; implicit-def: $vgpr10
	s_branch .LBB40_2635
.LBB40_2631:
	s_mov_b64 s[0:1], -1
                                        ; implicit-def: $vgpr10
.LBB40_2632:
	s_andn2_b64 vcc, exec, s[0:1]
	s_cbranch_vccnz .LBB40_2634
; %bb.2633:
	global_load_dword v10, v[8:9], off
.LBB40_2634:
	s_mov_b64 s[0:1], 0
.LBB40_2635:
	s_andn2_b64 vcc, exec, s[0:1]
	s_cbranch_vccnz .LBB40_2637
; %bb.2636:
	global_load_ushort v7, v[8:9], off
	s_waitcnt vmcnt(0)
	v_cvt_f32_f16_e32 v10, v7
.LBB40_2637:
	s_mov_b64 s[0:1], 0
.LBB40_2638:
	s_andn2_b64 vcc, exec, s[0:1]
	s_cbranch_vccnz .LBB40_2658
; %bb.2639:
	v_cmp_lt_i16_e64 s[0:1], s26, 2
	s_and_b64 vcc, exec, s[0:1]
	s_cbranch_vccnz .LBB40_2643
; %bb.2640:
	v_cmp_lt_i16_e64 s[0:1], s26, 3
	s_and_b64 vcc, exec, s[0:1]
	s_cbranch_vccnz .LBB40_2644
; %bb.2641:
	v_cmp_gt_i16_e64 s[0:1], s26, 3
	s_and_b64 vcc, exec, s[0:1]
	s_cbranch_vccz .LBB40_2645
; %bb.2642:
	global_load_dwordx2 v[10:11], v[8:9], off
	s_mov_b64 s[0:1], 0
	s_waitcnt vmcnt(0)
	v_xor_b32_e32 v13, v10, v11
	v_ffbh_i32_e32 v7, v11
	v_ashrrev_i32_e32 v13, 31, v13
	v_add_u32_e32 v7, -1, v7
	v_add_u32_e32 v13, 32, v13
	v_min_u32_e32 v7, v7, v13
	v_lshlrev_b64 v[10:11], v7, v[10:11]
	v_min_u32_e32 v10, 1, v10
	v_or_b32_e32 v10, v11, v10
	v_cvt_f32_i32_e32 v10, v10
	v_sub_u32_e32 v7, 32, v7
	v_ldexp_f32 v10, v10, v7
	s_branch .LBB40_2646
.LBB40_2643:
	s_mov_b64 s[0:1], -1
                                        ; implicit-def: $vgpr10
	s_branch .LBB40_2652
.LBB40_2644:
	s_mov_b64 s[0:1], -1
                                        ; implicit-def: $vgpr10
	s_branch .LBB40_2649
.LBB40_2645:
	s_mov_b64 s[0:1], -1
                                        ; implicit-def: $vgpr10
.LBB40_2646:
	s_andn2_b64 vcc, exec, s[0:1]
	s_cbranch_vccnz .LBB40_2648
; %bb.2647:
	global_load_dword v7, v[8:9], off
	s_waitcnt vmcnt(0)
	v_cvt_f32_i32_e32 v10, v7
.LBB40_2648:
	s_mov_b64 s[0:1], 0
.LBB40_2649:
	s_andn2_b64 vcc, exec, s[0:1]
	s_cbranch_vccnz .LBB40_2651
; %bb.2650:
	global_load_sshort v7, v[8:9], off
	s_waitcnt vmcnt(0)
	v_cvt_f32_i32_e32 v10, v7
.LBB40_2651:
	s_mov_b64 s[0:1], 0
.LBB40_2652:
	s_andn2_b64 vcc, exec, s[0:1]
	s_cbranch_vccnz .LBB40_2658
; %bb.2653:
	v_cmp_gt_i16_e64 s[0:1], s26, 0
	s_and_b64 vcc, exec, s[0:1]
	s_cbranch_vccz .LBB40_2655
; %bb.2654:
	global_load_sbyte v7, v[8:9], off
	s_mov_b64 s[0:1], 0
	s_waitcnt vmcnt(0)
	v_cvt_f32_i32_e32 v10, v7
	s_branch .LBB40_2656
.LBB40_2655:
	s_mov_b64 s[0:1], -1
                                        ; implicit-def: $vgpr10
.LBB40_2656:
	s_andn2_b64 vcc, exec, s[0:1]
	s_cbranch_vccnz .LBB40_2658
; %bb.2657:
	global_load_ubyte v7, v[8:9], off
	s_waitcnt vmcnt(0)
	v_cvt_f32_ubyte0_e32 v10, v7
.LBB40_2658:
	s_mov_b64 s[4:5], -1
.LBB40_2659:
	s_andn2_b64 vcc, exec, s[4:5]
	s_cbranch_vccnz .LBB40_3113
; %bb.2660:
	s_waitcnt vmcnt(0)
	v_div_scale_f32 v7, s[0:1], v5, v5, v1
	v_rcp_f32_e32 v8, v7
	s_mov_b32 s0, 0x800000
	s_mov_b32 s2, 0x3f7ffffe
	s_lshr_b32 s22, s24, 8
	v_fma_f32 v9, -v7, v8, 1.0
	v_fmac_f32_e32 v8, v9, v8
	v_div_scale_f32 v9, vcc, v1, v5, v1
	v_mul_f32_e32 v11, v9, v8
	v_fma_f32 v13, -v7, v11, v9
	v_fmac_f32_e32 v11, v13, v8
	v_fma_f32 v7, -v7, v11, v9
	v_div_fmas_f32 v7, v7, v8, v11
	v_div_fixup_f32 v1, v7, v5, v1
	v_mov_b32_e32 v5, 0x800000
	v_cmp_gt_f32_e64 s[0:1], s0, v1
	v_cndmask_b32_e64 v5, v1, v5, s[0:1]
	v_mov_b32_e32 v7, 0x3f7ffffe
	v_cmp_lt_f32_e64 s[2:3], s2, v5
	v_cndmask_b32_e64 v8, v5, v7, s[2:3]
	v_mov_b32_e32 v5, s9
	v_add_co_u32_e32 v6, vcc, s8, v6
	v_addc_co_u32_e32 v7, vcc, 0, v5, vcc
	v_mov_b32_e32 v5, 11
	v_cmp_lt_i16_sdwa s[4:5], s22, v5 src0_sel:BYTE_0 src1_sel:DWORD
	s_and_b64 vcc, exec, s[4:5]
	s_cbranch_vccnz .LBB40_2667
; %bb.2661:
	v_mov_b32_e32 v5, 25
	v_cmp_gt_i16_sdwa s[4:5], s22, v5 src0_sel:BYTE_0 src1_sel:DWORD
	s_mov_b64 s[18:19], -1
	s_mov_b64 s[10:11], 0
	s_and_b64 vcc, exec, s[4:5]
	s_mov_b64 s[16:17], 0
	s_mov_b64 s[4:5], 0
	s_cbranch_vccz .LBB40_2699
; %bb.2662:
	v_mov_b32_e32 v5, 28
	v_cmp_gt_i16_sdwa s[4:5], s22, v5 src0_sel:BYTE_0 src1_sel:DWORD
	s_and_b64 vcc, exec, s[4:5]
	s_cbranch_vccz .LBB40_2668
; %bb.2663:
	v_mov_b32_e32 v5, 43
	v_cmp_gt_i16_sdwa s[4:5], s22, v5 src0_sel:BYTE_0 src1_sel:DWORD
	s_and_b64 vcc, exec, s[4:5]
	;; [unrolled: 5-line block ×3, first 2 shown]
	s_cbranch_vccz .LBB40_2671
; %bb.2665:
	v_mov_b32_e32 v5, 46
	v_cmp_eq_u16_sdwa s[16:17], s22, v5 src0_sel:BYTE_0 src1_sel:DWORD
	s_mov_b64 s[4:5], -1
	s_mov_b64 s[18:19], 0
	s_and_b64 vcc, exec, s[16:17]
	s_mov_b64 s[16:17], 0
	s_cbranch_vccz .LBB40_2672
; %bb.2666:
	v_bfe_u32 v5, v8, 16, 1
	s_movk_i32 s4, 0x7fff
	v_add3_u32 v5, v8, v5, s4
	v_lshrrev_b32_e32 v5, 16, v5
	v_mov_b32_e32 v9, 0x7fc0
	v_cmp_o_f32_e32 vcc, v8, v8
	v_cndmask_b32_e32 v5, v9, v5, vcc
	global_store_dword v[6:7], v5, off
	s_mov_b64 s[4:5], 0
	s_mov_b64 s[16:17], -1
	s_branch .LBB40_2672
.LBB40_2667:
	s_mov_b64 s[0:1], -1
	s_mov_b64 s[16:17], 0
	s_branch .LBB40_2743
.LBB40_2668:
	s_mov_b64 s[4:5], 0
	s_branch .LBB40_2682
.LBB40_2669:
	s_mov_b64 s[4:5], 0
	s_branch .LBB40_2678
.LBB40_2670:
	s_trap 2
	s_or_b64 s[14:15], s[14:15], exec
                                        ; implicit-def: $vgpr10
	s_cbranch_execz .LBB40_2608
	s_branch .LBB40_2609
.LBB40_2671:
	s_mov_b64 s[4:5], 0
.LBB40_2672:
	s_and_b64 vcc, exec, s[18:19]
	s_cbranch_vccz .LBB40_2677
; %bb.2673:
	v_mov_b32_e32 v5, 44
	v_cmp_eq_u16_sdwa s[18:19], s22, v5 src0_sel:BYTE_0 src1_sel:DWORD
	s_mov_b64 s[4:5], -1
	s_and_b64 vcc, exec, s[18:19]
	s_cbranch_vccz .LBB40_2677
; %bb.2674:
	v_bfe_u32 v5, v8, 23, 8
	s_movk_i32 s4, 0xff
	v_cmp_ne_u32_e32 vcc, s4, v5
	v_mov_b32_e32 v9, 0xff
	s_and_saveexec_b64 s[16:17], vcc
; %bb.2675:
	s_mov_b32 s4, 0x3fffff
	v_and_b32_e32 v11, 0x400000, v8
	v_and_or_b32 v5, v8, s4, v5
	v_cmp_ne_u32_e32 vcc, 0, v11
	v_cmp_ne_u32_e64 s[4:5], 0, v5
	s_and_b64 s[4:5], vcc, s[4:5]
	v_lshrrev_b32_e32 v9, 23, v8
	v_cndmask_b32_e64 v5, 0, 1, s[4:5]
	v_add_u32_e32 v9, v9, v5
; %bb.2676:
	s_or_b64 exec, exec, s[16:17]
	s_mov_b64 s[4:5], 0
	s_mov_b64 s[16:17], -1
	global_store_byte v[6:7], v9, off
.LBB40_2677:
	s_mov_b64 s[18:19], 0
.LBB40_2678:
	s_and_b64 vcc, exec, s[18:19]
	s_cbranch_vccz .LBB40_2681
; %bb.2679:
	v_mov_b32_e32 v5, 29
	v_cmp_eq_u16_sdwa s[18:19], s22, v5 src0_sel:BYTE_0 src1_sel:DWORD
	s_mov_b64 s[4:5], -1
	s_and_b64 vcc, exec, s[18:19]
	s_cbranch_vccz .LBB40_2681
; %bb.2680:
	v_trunc_f32_e32 v5, v8
	v_mul_f32_e32 v9, 0x2f800000, v5
	v_floor_f32_e32 v9, v9
	v_fmac_f32_e32 v5, 0xcf800000, v9
	v_cvt_u32_f32_e32 v21, v9
	v_cvt_u32_f32_e32 v20, v5
	s_mov_b64 s[4:5], 0
	s_mov_b64 s[16:17], -1
	s_mov_b64 s[18:19], 0
	global_store_dwordx2 v[6:7], v[20:21], off
	s_branch .LBB40_2682
.LBB40_2681:
	s_mov_b64 s[18:19], 0
.LBB40_2682:
	s_and_b64 vcc, exec, s[18:19]
	s_cbranch_vccz .LBB40_2698
; %bb.2683:
	v_mov_b32_e32 v5, 27
	v_cmp_lt_i16_sdwa s[18:19], s22, v5 src0_sel:BYTE_0 src1_sel:DWORD
	s_mov_b64 s[16:17], -1
	s_and_b64 vcc, exec, s[18:19]
	s_cbranch_vccnz .LBB40_2689
; %bb.2684:
	v_cmp_gt_i16_sdwa s[18:19], s22, v5 src0_sel:BYTE_0 src1_sel:DWORD
	v_cvt_u32_f32_e32 v5, v8
	s_and_b64 vcc, exec, s[18:19]
	s_cbranch_vccz .LBB40_2686
; %bb.2685:
	s_mov_b64 s[16:17], 0
	global_store_dword v[6:7], v5, off
.LBB40_2686:
	s_andn2_b64 vcc, exec, s[16:17]
	s_cbranch_vccnz .LBB40_2688
; %bb.2687:
	global_store_short v[6:7], v5, off
.LBB40_2688:
	s_mov_b64 s[16:17], 0
.LBB40_2689:
	s_andn2_b64 vcc, exec, s[16:17]
	s_cbranch_vccnz .LBB40_2697
; %bb.2690:
	v_mov_b32_e32 v5, 0x800000
	v_cndmask_b32_e64 v5, |v1|, v5, s[0:1]
	v_mov_b32_e32 v9, 0x3f7ffffe
	v_cndmask_b32_e64 v9, v5, v9, s[2:3]
	s_mov_b32 s16, 0x43800000
	v_cmp_gt_u32_e32 vcc, s16, v9
	v_mov_b32_e32 v11, 0x80
	s_and_saveexec_b64 s[16:17], vcc
	s_cbranch_execz .LBB40_2696
; %bb.2691:
	s_mov_b32 s18, 0x3bffffff
	v_cmp_lt_u32_e32 vcc, s18, v9
	s_mov_b64 s[18:19], 0
                                        ; implicit-def: $vgpr5
	s_and_saveexec_b64 s[20:21], vcc
	s_xor_b64 s[20:21], exec, s[20:21]
	s_cbranch_execz .LBB40_2792
; %bb.2692:
	v_bfe_u32 v5, v8, 20, 1
	s_mov_b32 s23, 0x487ffff
	v_add3_u32 v5, v8, v5, s23
	s_mov_b64 s[18:19], exec
	v_lshrrev_b32_e32 v5, 20, v5
                                        ; implicit-def: $vgpr9
	s_or_saveexec_b64 s[20:21], s[20:21]
                                        ; implicit-def: $sgpr23
	s_xor_b64 exec, exec, s[20:21]
	s_cbranch_execnz .LBB40_2793
.LBB40_2693:
	s_or_b64 exec, exec, s[20:21]
	v_mov_b32_e32 v11, s23
	s_and_saveexec_b64 s[20:21], s[18:19]
.LBB40_2694:
	v_lshrrev_b32_e32 v9, 24, v8
	s_movk_i32 s18, 0x80
	v_and_or_b32 v11, v9, s18, v5
.LBB40_2695:
	s_or_b64 exec, exec, s[20:21]
.LBB40_2696:
	s_or_b64 exec, exec, s[16:17]
	global_store_byte v[6:7], v11, off
.LBB40_2697:
	s_mov_b64 s[16:17], -1
.LBB40_2698:
	s_mov_b64 s[18:19], 0
.LBB40_2699:
	s_and_b64 vcc, exec, s[18:19]
	s_cbranch_vccz .LBB40_2739
; %bb.2700:
	v_mov_b32_e32 v5, 22
	v_cmp_gt_i16_sdwa s[18:19], s22, v5 src0_sel:BYTE_0 src1_sel:DWORD
	s_mov_b64 s[10:11], -1
	s_and_b64 vcc, exec, s[18:19]
	s_cbranch_vccz .LBB40_2732
; %bb.2701:
	v_mov_b32_e32 v5, 24
	v_cmp_lt_i16_sdwa s[16:17], s22, v5 src0_sel:BYTE_0 src1_sel:DWORD
	s_and_b64 vcc, exec, s[16:17]
	s_cbranch_vccnz .LBB40_2721
; %bb.2702:
	v_cmp_gt_i16_sdwa s[16:17], s22, v5 src0_sel:BYTE_0 src1_sel:DWORD
	s_and_b64 vcc, exec, s[16:17]
	s_cbranch_vccz .LBB40_2710
; %bb.2703:
	v_mov_b32_e32 v5, 0x800000
	v_cndmask_b32_e64 v5, |v1|, v5, s[0:1]
	v_mov_b32_e32 v9, 0x3f7ffffe
	v_cndmask_b32_e64 v9, v5, v9, s[2:3]
	s_mov_b32 s10, 0x47800000
	v_cmp_gt_u32_e32 vcc, s10, v9
	v_mov_b32_e32 v11, 0x80
	s_and_saveexec_b64 s[10:11], vcc
	s_cbranch_execz .LBB40_2709
; %bb.2704:
	s_mov_b32 s16, 0x37ffffff
	v_cmp_lt_u32_e32 vcc, s16, v9
	s_mov_b64 s[16:17], 0
                                        ; implicit-def: $vgpr5
	s_and_saveexec_b64 s[18:19], vcc
	s_xor_b64 s[18:19], exec, s[18:19]
	s_cbranch_execz .LBB40_2796
; %bb.2705:
	v_bfe_u32 v5, v8, 21, 1
	s_mov_b32 s20, 0x88fffff
	v_add3_u32 v5, v8, v5, s20
	s_mov_b64 s[16:17], exec
	v_lshrrev_b32_e32 v5, 21, v5
                                        ; implicit-def: $vgpr9
	s_or_saveexec_b64 s[18:19], s[18:19]
                                        ; implicit-def: $sgpr20
	s_xor_b64 exec, exec, s[18:19]
	s_cbranch_execnz .LBB40_2797
.LBB40_2706:
	s_or_b64 exec, exec, s[18:19]
	v_mov_b32_e32 v11, s20
	s_and_saveexec_b64 s[18:19], s[16:17]
.LBB40_2707:
	v_lshrrev_b32_e32 v9, 24, v8
	s_movk_i32 s16, 0x80
	v_and_or_b32 v11, v9, s16, v5
.LBB40_2708:
	s_or_b64 exec, exec, s[18:19]
.LBB40_2709:
	s_or_b64 exec, exec, s[10:11]
	s_mov_b64 s[10:11], 0
	global_store_byte v[6:7], v11, off
.LBB40_2710:
	s_and_b64 vcc, exec, s[10:11]
	s_cbranch_vccz .LBB40_2720
; %bb.2711:
	v_mov_b32_e32 v5, 0x800000
	v_cndmask_b32_e64 v5, |v1|, v5, s[0:1]
	v_mov_b32_e32 v9, 0x3f7ffffe
	v_cndmask_b32_e64 v9, v5, v9, s[2:3]
	s_mov_b32 s10, 0x43f00000
	v_cmp_gt_u32_e32 vcc, s10, v9
                                        ; implicit-def: $vgpr5
	s_and_saveexec_b64 s[10:11], vcc
	s_xor_b64 s[10:11], exec, s[10:11]
	s_cbranch_execz .LBB40_2717
; %bb.2712:
	s_mov_b32 s16, 0x3c7fffff
	v_cmp_lt_u32_e32 vcc, s16, v9
                                        ; implicit-def: $vgpr5
	s_and_saveexec_b64 s[16:17], vcc
	s_xor_b64 s[16:17], exec, s[16:17]
; %bb.2713:
	v_bfe_u32 v5, v8, 20, 1
	s_mov_b32 s18, 0x407ffff
	v_add3_u32 v5, v8, v5, s18
	v_lshrrev_b32_e32 v9, 20, v5
	v_and_b32_e32 v5, 0xff00000, v5
	s_mov_b32 s18, 0x7f00000
	v_mov_b32_e32 v11, 0x7e
	v_cmp_ne_u32_e32 vcc, s18, v5
	v_cndmask_b32_e32 v5, v11, v9, vcc
                                        ; implicit-def: $vgpr9
; %bb.2714:
	s_andn2_saveexec_b64 s[16:17], s[16:17]
; %bb.2715:
	v_add_f32_e32 v5, 0x46800000, v9
; %bb.2716:
	s_or_b64 exec, exec, s[16:17]
                                        ; implicit-def: $vgpr9
.LBB40_2717:
	s_andn2_saveexec_b64 s[10:11], s[10:11]
; %bb.2718:
	s_mov_b32 s16, 0x7f800000
	v_mov_b32_e32 v5, 0x7e
	v_mov_b32_e32 v11, 0x7f
	v_cmp_lt_u32_e32 vcc, s16, v9
	v_cndmask_b32_e32 v5, v5, v11, vcc
; %bb.2719:
	s_or_b64 exec, exec, s[10:11]
	v_lshrrev_b32_e32 v9, 24, v8
	s_movk_i32 s10, 0x80
	v_and_or_b32 v5, v9, s10, v5
	global_store_byte v[6:7], v5, off
.LBB40_2720:
	s_mov_b64 s[10:11], 0
.LBB40_2721:
	s_andn2_b64 vcc, exec, s[10:11]
	s_cbranch_vccnz .LBB40_2731
; %bb.2722:
	v_mov_b32_e32 v5, 0x800000
	v_cndmask_b32_e64 v1, |v1|, v5, s[0:1]
	v_mov_b32_e32 v5, 0x3f7ffffe
	v_cndmask_b32_e64 v5, v1, v5, s[2:3]
	s_mov_b32 s0, 0x47800000
	v_cmp_gt_u32_e32 vcc, s0, v5
                                        ; implicit-def: $vgpr1
	s_and_saveexec_b64 s[0:1], vcc
	s_xor_b64 s[0:1], exec, s[0:1]
	s_cbranch_execz .LBB40_2728
; %bb.2723:
	s_mov_b32 s2, 0x387fffff
	v_cmp_lt_u32_e32 vcc, s2, v5
                                        ; implicit-def: $vgpr1
	s_and_saveexec_b64 s[2:3], vcc
	s_xor_b64 s[2:3], exec, s[2:3]
; %bb.2724:
	v_bfe_u32 v1, v8, 21, 1
	s_mov_b32 s10, 0x80fffff
	v_add3_u32 v1, v8, v1, s10
	v_lshrrev_b32_e32 v1, 21, v1
                                        ; implicit-def: $vgpr5
; %bb.2725:
	s_andn2_saveexec_b64 s[2:3], s[2:3]
; %bb.2726:
	v_add_f32_e32 v1, 0x43000000, v5
; %bb.2727:
	s_or_b64 exec, exec, s[2:3]
                                        ; implicit-def: $vgpr5
.LBB40_2728:
	s_andn2_saveexec_b64 s[0:1], s[0:1]
; %bb.2729:
	s_mov_b32 s2, 0x7f800000
	v_mov_b32_e32 v1, 0x7c
	v_mov_b32_e32 v9, 0x7f
	v_cmp_lt_u32_e32 vcc, s2, v5
	v_cndmask_b32_e32 v1, v1, v9, vcc
; %bb.2730:
	s_or_b64 exec, exec, s[0:1]
	v_lshrrev_b32_e32 v5, 24, v8
	s_movk_i32 s0, 0x80
	v_and_or_b32 v1, v5, s0, v1
	global_store_byte v[6:7], v1, off
.LBB40_2731:
	s_mov_b64 s[10:11], 0
	s_mov_b64 s[16:17], -1
.LBB40_2732:
	s_andn2_b64 vcc, exec, s[10:11]
	s_mov_b64 s[10:11], 0
	s_cbranch_vccnz .LBB40_2739
; %bb.2733:
	v_mov_b32_e32 v1, 14
	v_cmp_gt_i16_sdwa s[2:3], s22, v1 src0_sel:BYTE_0 src1_sel:DWORD
	s_mov_b64 s[0:1], -1
	s_and_b64 vcc, exec, s[2:3]
	s_cbranch_vccz .LBB40_2737
; %bb.2734:
	v_mov_b32_e32 v1, 15
	v_cmp_eq_u16_sdwa s[0:1], s22, v1 src0_sel:BYTE_0 src1_sel:DWORD
	s_mov_b64 s[4:5], -1
	s_and_b64 vcc, exec, s[0:1]
	s_cbranch_vccz .LBB40_2736
; %bb.2735:
	v_bfe_u32 v1, v8, 16, 1
	s_movk_i32 s0, 0x7fff
	v_add3_u32 v1, v8, v1, s0
	v_lshrrev_b32_e32 v1, 16, v1
	v_mov_b32_e32 v5, 0x7fc0
	v_cmp_o_f32_e32 vcc, v8, v8
	v_cndmask_b32_e32 v1, v5, v1, vcc
	global_store_short v[6:7], v1, off
	s_mov_b64 s[4:5], 0
	s_mov_b64 s[16:17], -1
.LBB40_2736:
	s_mov_b64 s[0:1], 0
.LBB40_2737:
	s_and_b64 vcc, exec, s[0:1]
	s_cbranch_vccz .LBB40_2739
; %bb.2738:
	v_mov_b32_e32 v1, 11
	v_cmp_ne_u16_sdwa s[4:5], s22, v1 src0_sel:BYTE_0 src1_sel:DWORD
	s_mov_b64 s[10:11], -1
.LBB40_2739:
	s_and_b64 vcc, exec, s[4:5]
	s_cbranch_vccnz .LBB40_2795
; %bb.2740:
	s_andn2_b64 vcc, exec, s[10:11]
	s_cbranch_vccnz .LBB40_2742
.LBB40_2741:
	v_mov_b32_e32 v1, 1
	s_mov_b64 s[16:17], -1
	global_store_byte v[6:7], v1, off
.LBB40_2742:
	s_mov_b64 s[0:1], 0
.LBB40_2743:
	s_and_b64 vcc, exec, s[0:1]
	s_cbranch_vccz .LBB40_2782
; %bb.2744:
	v_mov_b32_e32 v1, 5
	v_cmp_lt_i16_sdwa s[2:3], s22, v1 src0_sel:BYTE_0 src1_sel:DWORD
	s_mov_b64 s[0:1], -1
	s_and_b64 vcc, exec, s[2:3]
	s_cbranch_vccnz .LBB40_2765
; %bb.2745:
	v_mov_b32_e32 v1, 8
	v_cmp_lt_i16_sdwa s[2:3], s22, v1 src0_sel:BYTE_0 src1_sel:DWORD
	s_and_b64 vcc, exec, s[2:3]
	s_cbranch_vccnz .LBB40_2755
; %bb.2746:
	v_mov_b32_e32 v1, 9
	v_cmp_lt_i16_sdwa s[2:3], s22, v1 src0_sel:BYTE_0 src1_sel:DWORD
	s_and_b64 vcc, exec, s[2:3]
	s_cbranch_vccnz .LBB40_2752
; %bb.2747:
	v_cmp_gt_i16_sdwa s[2:3], s22, v1 src0_sel:BYTE_0 src1_sel:DWORD
	s_and_b64 vcc, exec, s[2:3]
	s_cbranch_vccz .LBB40_2749
; %bb.2748:
	v_mov_b32_e32 v22, 0
	v_cvt_f64_f32_e32 v[20:21], v8
	v_mov_b32_e32 v23, v22
	global_store_dwordx4 v[6:7], v[20:23], off
	s_mov_b64 s[0:1], 0
.LBB40_2749:
	s_andn2_b64 vcc, exec, s[0:1]
	s_cbranch_vccnz .LBB40_2751
; %bb.2750:
	v_mov_b32_e32 v9, 0
	global_store_dwordx2 v[6:7], v[8:9], off
.LBB40_2751:
	s_mov_b64 s[0:1], 0
.LBB40_2752:
	s_andn2_b64 vcc, exec, s[0:1]
	s_cbranch_vccnz .LBB40_2754
; %bb.2753:
	v_cvt_f16_f32_e32 v1, v8
	global_store_dword v[6:7], v1, off
.LBB40_2754:
	s_mov_b64 s[0:1], 0
.LBB40_2755:
	s_andn2_b64 vcc, exec, s[0:1]
	s_cbranch_vccnz .LBB40_2764
; %bb.2756:
	v_mov_b32_e32 v1, 6
	v_cmp_lt_i16_sdwa s[2:3], s22, v1 src0_sel:BYTE_0 src1_sel:DWORD
	s_mov_b64 s[0:1], -1
	s_and_b64 vcc, exec, s[2:3]
	s_cbranch_vccnz .LBB40_2762
; %bb.2757:
	v_cmp_gt_i16_sdwa s[2:3], s22, v1 src0_sel:BYTE_0 src1_sel:DWORD
	s_and_b64 vcc, exec, s[2:3]
	s_cbranch_vccz .LBB40_2759
; %bb.2758:
	v_cvt_f64_f32_e32 v[20:21], v8
	global_store_dwordx2 v[6:7], v[20:21], off
	s_mov_b64 s[0:1], 0
.LBB40_2759:
	s_andn2_b64 vcc, exec, s[0:1]
	s_cbranch_vccnz .LBB40_2761
; %bb.2760:
	global_store_dword v[6:7], v8, off
.LBB40_2761:
	s_mov_b64 s[0:1], 0
.LBB40_2762:
	s_andn2_b64 vcc, exec, s[0:1]
	s_cbranch_vccnz .LBB40_2764
; %bb.2763:
	v_cvt_f16_f32_e32 v1, v8
	global_store_short v[6:7], v1, off
.LBB40_2764:
	s_mov_b64 s[0:1], 0
.LBB40_2765:
	s_andn2_b64 vcc, exec, s[0:1]
	s_cbranch_vccnz .LBB40_2781
; %bb.2766:
	v_mov_b32_e32 v1, 2
	v_cmp_lt_i16_sdwa s[2:3], s22, v1 src0_sel:BYTE_0 src1_sel:DWORD
	s_mov_b64 s[0:1], -1
	s_and_b64 vcc, exec, s[2:3]
	s_cbranch_vccnz .LBB40_2776
; %bb.2767:
	v_mov_b32_e32 v1, 3
	v_cmp_lt_i16_sdwa s[2:3], s22, v1 src0_sel:BYTE_0 src1_sel:DWORD
	s_and_b64 vcc, exec, s[2:3]
	s_cbranch_vccnz .LBB40_2773
; %bb.2768:
	v_cmp_gt_i16_sdwa s[2:3], s22, v1 src0_sel:BYTE_0 src1_sel:DWORD
	s_and_b64 vcc, exec, s[2:3]
	s_cbranch_vccz .LBB40_2770
; %bb.2769:
	v_trunc_f32_e32 v1, v8
	s_mov_b32 s0, 0x2f800000
	v_mul_f32_e64 v5, |v1|, s0
	v_floor_f32_e32 v5, v5
	s_mov_b32 s0, 0xcf800000
	v_cvt_u32_f32_e32 v9, v5
	v_fma_f32 v5, v5, s0, |v1|
	v_cvt_u32_f32_e32 v5, v5
	v_ashrrev_i32_e32 v1, 31, v1
	v_xor_b32_e32 v9, v9, v1
	s_mov_b64 s[0:1], 0
	v_xor_b32_e32 v5, v5, v1
	v_sub_co_u32_e32 v20, vcc, v5, v1
	v_subb_co_u32_e32 v21, vcc, v9, v1, vcc
	global_store_dwordx2 v[6:7], v[20:21], off
.LBB40_2770:
	s_andn2_b64 vcc, exec, s[0:1]
	s_cbranch_vccnz .LBB40_2772
; %bb.2771:
	v_cvt_i32_f32_e32 v1, v8
	global_store_dword v[6:7], v1, off
.LBB40_2772:
	s_mov_b64 s[0:1], 0
.LBB40_2773:
	s_andn2_b64 vcc, exec, s[0:1]
	s_cbranch_vccnz .LBB40_2775
; %bb.2774:
	v_cvt_i32_f32_e32 v1, v8
	global_store_short v[6:7], v1, off
.LBB40_2775:
	s_mov_b64 s[0:1], 0
.LBB40_2776:
	s_andn2_b64 vcc, exec, s[0:1]
	s_cbranch_vccnz .LBB40_2781
; %bb.2777:
	v_mov_b32_e32 v1, 0
	v_cmp_gt_i16_sdwa s[2:3], s22, v1 src0_sel:BYTE_0 src1_sel:DWORD
	s_mov_b64 s[0:1], -1
	s_and_b64 vcc, exec, s[2:3]
	s_cbranch_vccz .LBB40_2779
; %bb.2778:
	v_cvt_i32_f32_e32 v1, v8
	s_mov_b64 s[0:1], 0
	global_store_byte v[6:7], v1, off
.LBB40_2779:
	s_andn2_b64 vcc, exec, s[0:1]
	s_cbranch_vccnz .LBB40_2781
; %bb.2780:
	v_trunc_f32_e32 v1, v8
	s_mov_b32 s0, 0x2f800000
	v_mul_f32_e64 v5, |v1|, s0
	v_floor_f32_e32 v5, v5
	s_mov_b32 s0, 0xcf800000
	v_fma_f32 v5, v5, s0, |v1|
	v_cvt_u32_f32_e32 v5, v5
	v_ashrrev_i32_e32 v1, 31, v1
	v_xor_b32_e32 v5, v5, v1
	v_sub_u32_e32 v1, v5, v1
	global_store_byte v[6:7], v1, off
.LBB40_2781:
	s_mov_b64 s[16:17], -1
.LBB40_2782:
	s_andn2_b64 vcc, exec, s[16:17]
	s_cbranch_vccnz .LBB40_3113
; %bb.2783:
	v_div_scale_f32 v1, s[0:1], v18, v18, v3
	v_rcp_f32_e32 v5, v1
	v_div_scale_f32 v6, vcc, v3, v18, v3
	s_mov_b32 s0, 0x800000
	v_fma_f32 v7, -v1, v5, 1.0
	v_fmac_f32_e32 v5, v7, v5
	v_mul_f32_e32 v7, v6, v5
	v_fma_f32 v8, -v1, v7, v6
	v_fmac_f32_e32 v7, v8, v5
	v_fma_f32 v1, -v1, v7, v6
	v_div_fmas_f32 v1, v1, v5, v7
	v_div_fixup_f32 v1, v1, v18, v3
	v_mov_b32_e32 v3, 0x800000
	v_cmp_gt_f32_e64 s[0:1], s0, v1
	v_cndmask_b32_e64 v3, v1, v3, s[0:1]
	s_mov_b32 s2, 0x3f7ffffe
	v_mov_b32_e32 v5, 0x3f7ffffe
	v_cmp_lt_f32_e64 s[2:3], s2, v3
	v_cndmask_b32_e64 v6, v3, v5, s[2:3]
	v_mov_b32_e32 v3, s9
	v_add_co_u32_e32 v4, vcc, s8, v4
	v_addc_co_u32_e32 v5, vcc, 0, v3, vcc
	v_mov_b32_e32 v3, 11
	v_cmp_lt_i16_sdwa s[4:5], s22, v3 src0_sel:BYTE_0 src1_sel:DWORD
	s_and_b64 vcc, exec, s[4:5]
	s_cbranch_vccnz .LBB40_2790
; %bb.2784:
	v_mov_b32_e32 v3, 25
	v_cmp_gt_i16_sdwa s[4:5], s22, v3 src0_sel:BYTE_0 src1_sel:DWORD
	s_mov_b64 s[18:19], -1
	s_mov_b64 s[10:11], 0
	s_and_b64 vcc, exec, s[4:5]
	s_mov_b64 s[16:17], 0
	s_mov_b64 s[4:5], 0
	s_cbranch_vccz .LBB40_2826
; %bb.2785:
	v_mov_b32_e32 v3, 28
	v_cmp_gt_i16_sdwa s[4:5], s22, v3 src0_sel:BYTE_0 src1_sel:DWORD
	s_and_b64 vcc, exec, s[4:5]
	s_cbranch_vccz .LBB40_2791
; %bb.2786:
	v_mov_b32_e32 v3, 43
	v_cmp_gt_i16_sdwa s[4:5], s22, v3 src0_sel:BYTE_0 src1_sel:DWORD
	s_and_b64 vcc, exec, s[4:5]
	;; [unrolled: 5-line block ×3, first 2 shown]
	s_cbranch_vccz .LBB40_2798
; %bb.2788:
	v_mov_b32_e32 v3, 46
	v_cmp_eq_u16_sdwa s[16:17], s22, v3 src0_sel:BYTE_0 src1_sel:DWORD
	s_mov_b64 s[4:5], -1
	s_mov_b64 s[18:19], 0
	s_and_b64 vcc, exec, s[16:17]
	s_mov_b64 s[16:17], 0
	s_cbranch_vccz .LBB40_2799
; %bb.2789:
	v_bfe_u32 v3, v6, 16, 1
	s_movk_i32 s4, 0x7fff
	v_add3_u32 v3, v6, v3, s4
	v_lshrrev_b32_e32 v3, 16, v3
	v_mov_b32_e32 v7, 0x7fc0
	v_cmp_o_f32_e32 vcc, v6, v6
	v_cndmask_b32_e32 v3, v7, v3, vcc
	global_store_dword v[4:5], v3, off
	s_mov_b64 s[4:5], 0
	s_mov_b64 s[16:17], -1
	s_branch .LBB40_2799
.LBB40_2790:
	s_mov_b64 s[0:1], -1
	s_mov_b64 s[16:17], 0
	s_branch .LBB40_2870
.LBB40_2791:
	s_mov_b64 s[4:5], 0
	s_branch .LBB40_2809
.LBB40_2792:
	s_or_saveexec_b64 s[20:21], s[20:21]
                                        ; implicit-def: $sgpr23
	s_xor_b64 exec, exec, s[20:21]
	s_cbranch_execz .LBB40_2693
.LBB40_2793:
	v_add_f32_e32 v5, 0x46000000, v9
	v_and_b32_e32 v5, 0xff, v5
	v_cmp_ne_u32_e32 vcc, 0, v5
	s_andn2_b64 s[18:19], s[18:19], exec
	s_and_b64 s[24:25], vcc, exec
	s_mov_b32 s23, 0
	s_or_b64 s[18:19], s[18:19], s[24:25]
	s_or_b64 exec, exec, s[20:21]
	v_mov_b32_e32 v11, s23
	s_and_saveexec_b64 s[20:21], s[18:19]
	s_cbranch_execnz .LBB40_2694
	s_branch .LBB40_2695
.LBB40_2794:
	s_mov_b64 s[4:5], 0
	s_branch .LBB40_2805
.LBB40_2795:
	s_trap 2
	s_or_b64 s[14:15], s[14:15], exec
	s_cbranch_execz .LBB40_2741
	s_branch .LBB40_2742
.LBB40_2796:
	s_or_saveexec_b64 s[18:19], s[18:19]
                                        ; implicit-def: $sgpr20
	s_xor_b64 exec, exec, s[18:19]
	s_cbranch_execz .LBB40_2706
.LBB40_2797:
	v_add_f32_e32 v5, 0x42800000, v9
	v_and_b32_e32 v5, 0xff, v5
	v_cmp_ne_u32_e32 vcc, 0, v5
	s_andn2_b64 s[16:17], s[16:17], exec
	s_and_b64 s[24:25], vcc, exec
	s_mov_b32 s20, 0
	s_or_b64 s[16:17], s[16:17], s[24:25]
	s_or_b64 exec, exec, s[18:19]
	v_mov_b32_e32 v11, s20
	s_and_saveexec_b64 s[18:19], s[16:17]
	s_cbranch_execnz .LBB40_2707
	s_branch .LBB40_2708
.LBB40_2798:
	s_mov_b64 s[4:5], 0
.LBB40_2799:
	s_and_b64 vcc, exec, s[18:19]
	s_cbranch_vccz .LBB40_2804
; %bb.2800:
	v_mov_b32_e32 v3, 44
	v_cmp_eq_u16_sdwa s[18:19], s22, v3 src0_sel:BYTE_0 src1_sel:DWORD
	s_mov_b64 s[4:5], -1
	s_and_b64 vcc, exec, s[18:19]
	s_cbranch_vccz .LBB40_2804
; %bb.2801:
	v_bfe_u32 v3, v6, 23, 8
	s_movk_i32 s4, 0xff
	v_cmp_ne_u32_e32 vcc, s4, v3
	v_mov_b32_e32 v7, 0xff
	s_and_saveexec_b64 s[16:17], vcc
; %bb.2802:
	s_mov_b32 s4, 0x3fffff
	v_and_b32_e32 v8, 0x400000, v6
	v_and_or_b32 v3, v6, s4, v3
	v_cmp_ne_u32_e32 vcc, 0, v8
	v_cmp_ne_u32_e64 s[4:5], 0, v3
	s_and_b64 s[4:5], vcc, s[4:5]
	v_lshrrev_b32_e32 v7, 23, v6
	v_cndmask_b32_e64 v3, 0, 1, s[4:5]
	v_add_u32_e32 v7, v7, v3
; %bb.2803:
	s_or_b64 exec, exec, s[16:17]
	s_mov_b64 s[4:5], 0
	s_mov_b64 s[16:17], -1
	global_store_byte v[4:5], v7, off
.LBB40_2804:
	s_mov_b64 s[18:19], 0
.LBB40_2805:
	s_and_b64 vcc, exec, s[18:19]
	s_cbranch_vccz .LBB40_2808
; %bb.2806:
	v_mov_b32_e32 v3, 29
	v_cmp_eq_u16_sdwa s[18:19], s22, v3 src0_sel:BYTE_0 src1_sel:DWORD
	s_mov_b64 s[4:5], -1
	s_and_b64 vcc, exec, s[18:19]
	s_cbranch_vccz .LBB40_2808
; %bb.2807:
	v_trunc_f32_e32 v3, v6
	v_mul_f32_e32 v7, 0x2f800000, v3
	v_floor_f32_e32 v7, v7
	v_fmac_f32_e32 v3, 0xcf800000, v7
	v_cvt_u32_f32_e32 v9, v7
	v_cvt_u32_f32_e32 v8, v3
	s_mov_b64 s[4:5], 0
	s_mov_b64 s[16:17], -1
	s_mov_b64 s[18:19], 0
	global_store_dwordx2 v[4:5], v[8:9], off
	s_branch .LBB40_2809
.LBB40_2808:
	s_mov_b64 s[18:19], 0
.LBB40_2809:
	s_and_b64 vcc, exec, s[18:19]
	s_cbranch_vccz .LBB40_2825
; %bb.2810:
	v_mov_b32_e32 v3, 27
	v_cmp_lt_i16_sdwa s[18:19], s22, v3 src0_sel:BYTE_0 src1_sel:DWORD
	s_mov_b64 s[16:17], -1
	s_and_b64 vcc, exec, s[18:19]
	s_cbranch_vccnz .LBB40_2816
; %bb.2811:
	v_cmp_gt_i16_sdwa s[18:19], s22, v3 src0_sel:BYTE_0 src1_sel:DWORD
	s_and_b64 vcc, exec, s[18:19]
	s_cbranch_vccz .LBB40_2813
; %bb.2812:
	v_cvt_u32_f32_e32 v3, v6
	s_mov_b64 s[16:17], 0
	global_store_dword v[4:5], v3, off
.LBB40_2813:
	s_andn2_b64 vcc, exec, s[16:17]
	s_cbranch_vccnz .LBB40_2815
; %bb.2814:
	v_cvt_u32_f32_e32 v3, v6
	global_store_short v[4:5], v3, off
.LBB40_2815:
	s_mov_b64 s[16:17], 0
.LBB40_2816:
	s_andn2_b64 vcc, exec, s[16:17]
	s_cbranch_vccnz .LBB40_2824
; %bb.2817:
	v_mov_b32_e32 v3, 0x800000
	v_cndmask_b32_e64 v3, |v1|, v3, s[0:1]
	v_mov_b32_e32 v7, 0x3f7ffffe
	v_cndmask_b32_e64 v7, v3, v7, s[2:3]
	s_mov_b32 s16, 0x43800000
	v_cmp_gt_u32_e32 vcc, s16, v7
	v_mov_b32_e32 v8, 0x80
	s_and_saveexec_b64 s[16:17], vcc
	s_cbranch_execz .LBB40_2823
; %bb.2818:
	s_mov_b32 s18, 0x3bffffff
	v_cmp_lt_u32_e32 vcc, s18, v7
	s_mov_b64 s[18:19], 0
                                        ; implicit-def: $vgpr3
	s_and_saveexec_b64 s[20:21], vcc
	s_xor_b64 s[20:21], exec, s[20:21]
	s_cbranch_execz .LBB40_2919
; %bb.2819:
	v_bfe_u32 v3, v6, 20, 1
	s_mov_b32 s23, 0x487ffff
	v_add3_u32 v3, v6, v3, s23
	s_mov_b64 s[18:19], exec
	v_lshrrev_b32_e32 v3, 20, v3
                                        ; implicit-def: $vgpr7
	s_or_saveexec_b64 s[20:21], s[20:21]
                                        ; implicit-def: $sgpr23
	s_xor_b64 exec, exec, s[20:21]
	s_cbranch_execnz .LBB40_2920
.LBB40_2820:
	s_or_b64 exec, exec, s[20:21]
	v_mov_b32_e32 v8, s23
	s_and_saveexec_b64 s[20:21], s[18:19]
.LBB40_2821:
	v_lshrrev_b32_e32 v7, 24, v6
	s_movk_i32 s18, 0x80
	v_and_or_b32 v8, v7, s18, v3
.LBB40_2822:
	s_or_b64 exec, exec, s[20:21]
.LBB40_2823:
	s_or_b64 exec, exec, s[16:17]
	global_store_byte v[4:5], v8, off
.LBB40_2824:
	s_mov_b64 s[16:17], -1
.LBB40_2825:
	s_mov_b64 s[18:19], 0
.LBB40_2826:
	s_and_b64 vcc, exec, s[18:19]
	s_cbranch_vccz .LBB40_2866
; %bb.2827:
	v_mov_b32_e32 v3, 22
	v_cmp_gt_i16_sdwa s[18:19], s22, v3 src0_sel:BYTE_0 src1_sel:DWORD
	s_mov_b64 s[10:11], -1
	s_and_b64 vcc, exec, s[18:19]
	s_cbranch_vccz .LBB40_2859
; %bb.2828:
	v_mov_b32_e32 v3, 24
	v_cmp_lt_i16_sdwa s[16:17], s22, v3 src0_sel:BYTE_0 src1_sel:DWORD
	s_and_b64 vcc, exec, s[16:17]
	s_cbranch_vccnz .LBB40_2848
; %bb.2829:
	v_cmp_gt_i16_sdwa s[16:17], s22, v3 src0_sel:BYTE_0 src1_sel:DWORD
	s_and_b64 vcc, exec, s[16:17]
	s_cbranch_vccz .LBB40_2837
; %bb.2830:
	v_mov_b32_e32 v3, 0x800000
	v_cndmask_b32_e64 v3, |v1|, v3, s[0:1]
	v_mov_b32_e32 v7, 0x3f7ffffe
	v_cndmask_b32_e64 v7, v3, v7, s[2:3]
	s_mov_b32 s10, 0x47800000
	v_cmp_gt_u32_e32 vcc, s10, v7
	v_mov_b32_e32 v8, 0x80
	s_and_saveexec_b64 s[10:11], vcc
	s_cbranch_execz .LBB40_2836
; %bb.2831:
	s_mov_b32 s16, 0x37ffffff
	v_cmp_lt_u32_e32 vcc, s16, v7
	s_mov_b64 s[16:17], 0
                                        ; implicit-def: $vgpr3
	s_and_saveexec_b64 s[18:19], vcc
	s_xor_b64 s[18:19], exec, s[18:19]
	s_cbranch_execz .LBB40_2923
; %bb.2832:
	v_bfe_u32 v3, v6, 21, 1
	s_mov_b32 s20, 0x88fffff
	v_add3_u32 v3, v6, v3, s20
	s_mov_b64 s[16:17], exec
	v_lshrrev_b32_e32 v3, 21, v3
                                        ; implicit-def: $vgpr7
	s_or_saveexec_b64 s[18:19], s[18:19]
                                        ; implicit-def: $sgpr20
	s_xor_b64 exec, exec, s[18:19]
	s_cbranch_execnz .LBB40_2924
.LBB40_2833:
	s_or_b64 exec, exec, s[18:19]
	v_mov_b32_e32 v8, s20
	s_and_saveexec_b64 s[18:19], s[16:17]
.LBB40_2834:
	v_lshrrev_b32_e32 v7, 24, v6
	s_movk_i32 s16, 0x80
	v_and_or_b32 v8, v7, s16, v3
.LBB40_2835:
	s_or_b64 exec, exec, s[18:19]
.LBB40_2836:
	s_or_b64 exec, exec, s[10:11]
	s_mov_b64 s[10:11], 0
	global_store_byte v[4:5], v8, off
.LBB40_2837:
	s_and_b64 vcc, exec, s[10:11]
	s_cbranch_vccz .LBB40_2847
; %bb.2838:
	v_mov_b32_e32 v3, 0x800000
	v_cndmask_b32_e64 v3, |v1|, v3, s[0:1]
	v_mov_b32_e32 v7, 0x3f7ffffe
	v_cndmask_b32_e64 v7, v3, v7, s[2:3]
	s_mov_b32 s10, 0x43f00000
	v_cmp_gt_u32_e32 vcc, s10, v7
                                        ; implicit-def: $vgpr3
	s_and_saveexec_b64 s[10:11], vcc
	s_xor_b64 s[10:11], exec, s[10:11]
	s_cbranch_execz .LBB40_2844
; %bb.2839:
	s_mov_b32 s16, 0x3c7fffff
	v_cmp_lt_u32_e32 vcc, s16, v7
                                        ; implicit-def: $vgpr3
	s_and_saveexec_b64 s[16:17], vcc
	s_xor_b64 s[16:17], exec, s[16:17]
; %bb.2840:
	v_bfe_u32 v3, v6, 20, 1
	s_mov_b32 s18, 0x407ffff
	v_add3_u32 v3, v6, v3, s18
	v_lshrrev_b32_e32 v7, 20, v3
	v_and_b32_e32 v3, 0xff00000, v3
	s_mov_b32 s18, 0x7f00000
	v_mov_b32_e32 v8, 0x7e
	v_cmp_ne_u32_e32 vcc, s18, v3
	v_cndmask_b32_e32 v3, v8, v7, vcc
                                        ; implicit-def: $vgpr7
; %bb.2841:
	s_andn2_saveexec_b64 s[16:17], s[16:17]
; %bb.2842:
	v_add_f32_e32 v3, 0x46800000, v7
; %bb.2843:
	s_or_b64 exec, exec, s[16:17]
                                        ; implicit-def: $vgpr7
.LBB40_2844:
	s_andn2_saveexec_b64 s[10:11], s[10:11]
; %bb.2845:
	s_mov_b32 s16, 0x7f800000
	v_mov_b32_e32 v3, 0x7e
	v_mov_b32_e32 v8, 0x7f
	v_cmp_lt_u32_e32 vcc, s16, v7
	v_cndmask_b32_e32 v3, v3, v8, vcc
; %bb.2846:
	s_or_b64 exec, exec, s[10:11]
	v_lshrrev_b32_e32 v7, 24, v6
	s_movk_i32 s10, 0x80
	v_and_or_b32 v3, v7, s10, v3
	global_store_byte v[4:5], v3, off
.LBB40_2847:
	s_mov_b64 s[10:11], 0
.LBB40_2848:
	s_andn2_b64 vcc, exec, s[10:11]
	s_cbranch_vccnz .LBB40_2858
; %bb.2849:
	v_mov_b32_e32 v3, 0x800000
	v_cndmask_b32_e64 v1, |v1|, v3, s[0:1]
	v_mov_b32_e32 v3, 0x3f7ffffe
	v_cndmask_b32_e64 v3, v1, v3, s[2:3]
	s_mov_b32 s0, 0x47800000
	v_cmp_gt_u32_e32 vcc, s0, v3
                                        ; implicit-def: $vgpr1
	s_and_saveexec_b64 s[0:1], vcc
	s_xor_b64 s[0:1], exec, s[0:1]
	s_cbranch_execz .LBB40_2855
; %bb.2850:
	s_mov_b32 s2, 0x387fffff
	v_cmp_lt_u32_e32 vcc, s2, v3
                                        ; implicit-def: $vgpr1
	s_and_saveexec_b64 s[2:3], vcc
	s_xor_b64 s[2:3], exec, s[2:3]
; %bb.2851:
	v_bfe_u32 v1, v6, 21, 1
	s_mov_b32 s10, 0x80fffff
	v_add3_u32 v1, v6, v1, s10
	v_lshrrev_b32_e32 v1, 21, v1
                                        ; implicit-def: $vgpr3
; %bb.2852:
	s_andn2_saveexec_b64 s[2:3], s[2:3]
; %bb.2853:
	v_add_f32_e32 v1, 0x43000000, v3
; %bb.2854:
	s_or_b64 exec, exec, s[2:3]
                                        ; implicit-def: $vgpr3
.LBB40_2855:
	s_andn2_saveexec_b64 s[0:1], s[0:1]
; %bb.2856:
	s_mov_b32 s2, 0x7f800000
	v_mov_b32_e32 v1, 0x7c
	v_mov_b32_e32 v7, 0x7f
	v_cmp_lt_u32_e32 vcc, s2, v3
	v_cndmask_b32_e32 v1, v1, v7, vcc
; %bb.2857:
	s_or_b64 exec, exec, s[0:1]
	v_lshrrev_b32_e32 v3, 24, v6
	s_movk_i32 s0, 0x80
	v_and_or_b32 v1, v3, s0, v1
	global_store_byte v[4:5], v1, off
.LBB40_2858:
	s_mov_b64 s[10:11], 0
	s_mov_b64 s[16:17], -1
.LBB40_2859:
	s_andn2_b64 vcc, exec, s[10:11]
	s_mov_b64 s[10:11], 0
	s_cbranch_vccnz .LBB40_2866
; %bb.2860:
	v_mov_b32_e32 v1, 14
	v_cmp_gt_i16_sdwa s[2:3], s22, v1 src0_sel:BYTE_0 src1_sel:DWORD
	s_mov_b64 s[0:1], -1
	s_and_b64 vcc, exec, s[2:3]
	s_cbranch_vccz .LBB40_2864
; %bb.2861:
	v_mov_b32_e32 v1, 15
	v_cmp_eq_u16_sdwa s[0:1], s22, v1 src0_sel:BYTE_0 src1_sel:DWORD
	s_mov_b64 s[4:5], -1
	s_and_b64 vcc, exec, s[0:1]
	s_cbranch_vccz .LBB40_2863
; %bb.2862:
	v_bfe_u32 v1, v6, 16, 1
	s_movk_i32 s0, 0x7fff
	v_add3_u32 v1, v6, v1, s0
	v_lshrrev_b32_e32 v1, 16, v1
	v_mov_b32_e32 v3, 0x7fc0
	v_cmp_o_f32_e32 vcc, v6, v6
	v_cndmask_b32_e32 v1, v3, v1, vcc
	global_store_short v[4:5], v1, off
	s_mov_b64 s[4:5], 0
	s_mov_b64 s[16:17], -1
.LBB40_2863:
	s_mov_b64 s[0:1], 0
.LBB40_2864:
	s_and_b64 vcc, exec, s[0:1]
	s_cbranch_vccz .LBB40_2866
; %bb.2865:
	v_mov_b32_e32 v1, 11
	v_cmp_ne_u16_sdwa s[4:5], s22, v1 src0_sel:BYTE_0 src1_sel:DWORD
	s_mov_b64 s[10:11], -1
.LBB40_2866:
	s_and_b64 vcc, exec, s[4:5]
	s_cbranch_vccnz .LBB40_2922
; %bb.2867:
	s_andn2_b64 vcc, exec, s[10:11]
	s_cbranch_vccnz .LBB40_2869
.LBB40_2868:
	v_mov_b32_e32 v1, 1
	s_mov_b64 s[16:17], -1
	global_store_byte v[4:5], v1, off
.LBB40_2869:
	s_mov_b64 s[0:1], 0
.LBB40_2870:
	s_and_b64 vcc, exec, s[0:1]
	s_cbranch_vccz .LBB40_2909
; %bb.2871:
	v_mov_b32_e32 v1, 5
	v_cmp_lt_i16_sdwa s[2:3], s22, v1 src0_sel:BYTE_0 src1_sel:DWORD
	s_mov_b64 s[0:1], -1
	s_and_b64 vcc, exec, s[2:3]
	s_cbranch_vccnz .LBB40_2892
; %bb.2872:
	v_mov_b32_e32 v1, 8
	v_cmp_lt_i16_sdwa s[2:3], s22, v1 src0_sel:BYTE_0 src1_sel:DWORD
	s_and_b64 vcc, exec, s[2:3]
	s_cbranch_vccnz .LBB40_2882
; %bb.2873:
	v_mov_b32_e32 v1, 9
	v_cmp_lt_i16_sdwa s[2:3], s22, v1 src0_sel:BYTE_0 src1_sel:DWORD
	s_and_b64 vcc, exec, s[2:3]
	s_cbranch_vccnz .LBB40_2879
; %bb.2874:
	v_cmp_gt_i16_sdwa s[2:3], s22, v1 src0_sel:BYTE_0 src1_sel:DWORD
	s_and_b64 vcc, exec, s[2:3]
	s_cbranch_vccz .LBB40_2876
; %bb.2875:
	v_mov_b32_e32 v20, 0
	v_cvt_f64_f32_e32 v[18:19], v6
	v_mov_b32_e32 v21, v20
	global_store_dwordx4 v[4:5], v[18:21], off
	s_mov_b64 s[0:1], 0
.LBB40_2876:
	s_andn2_b64 vcc, exec, s[0:1]
	s_cbranch_vccnz .LBB40_2878
; %bb.2877:
	v_mov_b32_e32 v7, 0
	global_store_dwordx2 v[4:5], v[6:7], off
.LBB40_2878:
	s_mov_b64 s[0:1], 0
.LBB40_2879:
	s_andn2_b64 vcc, exec, s[0:1]
	s_cbranch_vccnz .LBB40_2881
; %bb.2880:
	v_cvt_f16_f32_e32 v1, v6
	global_store_dword v[4:5], v1, off
.LBB40_2881:
	s_mov_b64 s[0:1], 0
.LBB40_2882:
	s_andn2_b64 vcc, exec, s[0:1]
	s_cbranch_vccnz .LBB40_2891
; %bb.2883:
	v_mov_b32_e32 v1, 6
	v_cmp_lt_i16_sdwa s[2:3], s22, v1 src0_sel:BYTE_0 src1_sel:DWORD
	s_mov_b64 s[0:1], -1
	s_and_b64 vcc, exec, s[2:3]
	s_cbranch_vccnz .LBB40_2889
; %bb.2884:
	v_cmp_gt_i16_sdwa s[2:3], s22, v1 src0_sel:BYTE_0 src1_sel:DWORD
	s_and_b64 vcc, exec, s[2:3]
	s_cbranch_vccz .LBB40_2886
; %bb.2885:
	v_cvt_f64_f32_e32 v[8:9], v6
	global_store_dwordx2 v[4:5], v[8:9], off
	s_mov_b64 s[0:1], 0
.LBB40_2886:
	s_andn2_b64 vcc, exec, s[0:1]
	s_cbranch_vccnz .LBB40_2888
; %bb.2887:
	global_store_dword v[4:5], v6, off
.LBB40_2888:
	s_mov_b64 s[0:1], 0
.LBB40_2889:
	s_andn2_b64 vcc, exec, s[0:1]
	s_cbranch_vccnz .LBB40_2891
; %bb.2890:
	v_cvt_f16_f32_e32 v1, v6
	global_store_short v[4:5], v1, off
.LBB40_2891:
	s_mov_b64 s[0:1], 0
.LBB40_2892:
	s_andn2_b64 vcc, exec, s[0:1]
	s_cbranch_vccnz .LBB40_2908
; %bb.2893:
	v_mov_b32_e32 v1, 2
	v_cmp_lt_i16_sdwa s[2:3], s22, v1 src0_sel:BYTE_0 src1_sel:DWORD
	s_mov_b64 s[0:1], -1
	s_and_b64 vcc, exec, s[2:3]
	s_cbranch_vccnz .LBB40_2903
; %bb.2894:
	v_mov_b32_e32 v1, 3
	v_cmp_lt_i16_sdwa s[2:3], s22, v1 src0_sel:BYTE_0 src1_sel:DWORD
	s_and_b64 vcc, exec, s[2:3]
	s_cbranch_vccnz .LBB40_2900
; %bb.2895:
	v_cmp_gt_i16_sdwa s[2:3], s22, v1 src0_sel:BYTE_0 src1_sel:DWORD
	s_and_b64 vcc, exec, s[2:3]
	s_cbranch_vccz .LBB40_2897
; %bb.2896:
	v_trunc_f32_e32 v1, v6
	s_mov_b32 s0, 0x2f800000
	v_mul_f32_e64 v3, |v1|, s0
	v_floor_f32_e32 v3, v3
	s_mov_b32 s0, 0xcf800000
	v_cvt_u32_f32_e32 v7, v3
	v_fma_f32 v3, v3, s0, |v1|
	v_cvt_u32_f32_e32 v3, v3
	v_ashrrev_i32_e32 v1, 31, v1
	v_xor_b32_e32 v7, v7, v1
	s_mov_b64 s[0:1], 0
	v_xor_b32_e32 v3, v3, v1
	v_sub_co_u32_e32 v8, vcc, v3, v1
	v_subb_co_u32_e32 v9, vcc, v7, v1, vcc
	global_store_dwordx2 v[4:5], v[8:9], off
.LBB40_2897:
	s_andn2_b64 vcc, exec, s[0:1]
	s_cbranch_vccnz .LBB40_2899
; %bb.2898:
	v_cvt_i32_f32_e32 v1, v6
	global_store_dword v[4:5], v1, off
.LBB40_2899:
	s_mov_b64 s[0:1], 0
.LBB40_2900:
	s_andn2_b64 vcc, exec, s[0:1]
	s_cbranch_vccnz .LBB40_2902
; %bb.2901:
	v_cvt_i32_f32_e32 v1, v6
	global_store_short v[4:5], v1, off
.LBB40_2902:
	s_mov_b64 s[0:1], 0
.LBB40_2903:
	s_andn2_b64 vcc, exec, s[0:1]
	s_cbranch_vccnz .LBB40_2908
; %bb.2904:
	v_mov_b32_e32 v1, 0
	v_cmp_gt_i16_sdwa s[2:3], s22, v1 src0_sel:BYTE_0 src1_sel:DWORD
	s_mov_b64 s[0:1], -1
	s_and_b64 vcc, exec, s[2:3]
	s_cbranch_vccz .LBB40_2906
; %bb.2905:
	v_cvt_i32_f32_e32 v1, v6
	s_mov_b64 s[0:1], 0
	global_store_byte v[4:5], v1, off
.LBB40_2906:
	s_andn2_b64 vcc, exec, s[0:1]
	s_cbranch_vccnz .LBB40_2908
; %bb.2907:
	v_trunc_f32_e32 v1, v6
	s_mov_b32 s0, 0x2f800000
	v_mul_f32_e64 v3, |v1|, s0
	v_floor_f32_e32 v3, v3
	s_mov_b32 s0, 0xcf800000
	v_fma_f32 v3, v3, s0, |v1|
	v_cvt_u32_f32_e32 v3, v3
	v_ashrrev_i32_e32 v1, 31, v1
	v_xor_b32_e32 v3, v3, v1
	v_sub_u32_e32 v1, v3, v1
	global_store_byte v[4:5], v1, off
.LBB40_2908:
	s_mov_b64 s[16:17], -1
.LBB40_2909:
	s_andn2_b64 vcc, exec, s[16:17]
	s_cbranch_vccnz .LBB40_3113
; %bb.2910:
	v_div_scale_f32 v1, s[0:1], v14, v14, v16
	v_rcp_f32_e32 v3, v1
	v_div_scale_f32 v4, vcc, v16, v14, v16
	s_mov_b32 s0, 0x800000
	v_fma_f32 v5, -v1, v3, 1.0
	v_fmac_f32_e32 v3, v5, v3
	v_mul_f32_e32 v5, v4, v3
	v_fma_f32 v6, -v1, v5, v4
	v_fmac_f32_e32 v5, v6, v3
	v_fma_f32 v1, -v1, v5, v4
	v_div_fmas_f32 v1, v1, v3, v5
	v_div_fixup_f32 v1, v1, v14, v16
	v_mov_b32_e32 v3, 0x800000
	v_cmp_gt_f32_e64 s[0:1], s0, v1
	v_cndmask_b32_e64 v3, v1, v3, s[0:1]
	s_mov_b32 s2, 0x3f7ffffe
	v_mov_b32_e32 v4, 0x3f7ffffe
	v_cmp_lt_f32_e64 s[2:3], s2, v3
	v_cndmask_b32_e64 v4, v3, v4, s[2:3]
	v_mov_b32_e32 v3, s9
	v_add_co_u32_e32 v2, vcc, s8, v2
	v_mov_b32_e32 v5, 11
	v_addc_co_u32_e32 v3, vcc, 0, v3, vcc
	v_cmp_lt_i16_sdwa s[4:5], s22, v5 src0_sel:BYTE_0 src1_sel:DWORD
	s_and_b64 vcc, exec, s[4:5]
	s_cbranch_vccnz .LBB40_2917
; %bb.2911:
	v_mov_b32_e32 v5, 25
	v_cmp_gt_i16_sdwa s[4:5], s22, v5 src0_sel:BYTE_0 src1_sel:DWORD
	s_mov_b64 s[18:19], -1
	s_mov_b64 s[10:11], 0
	s_and_b64 vcc, exec, s[4:5]
	s_mov_b64 s[16:17], 0
	s_mov_b64 s[4:5], 0
	s_cbranch_vccz .LBB40_2953
; %bb.2912:
	v_mov_b32_e32 v5, 28
	v_cmp_gt_i16_sdwa s[4:5], s22, v5 src0_sel:BYTE_0 src1_sel:DWORD
	s_and_b64 vcc, exec, s[4:5]
	s_cbranch_vccz .LBB40_2918
; %bb.2913:
	v_mov_b32_e32 v5, 43
	v_cmp_gt_i16_sdwa s[4:5], s22, v5 src0_sel:BYTE_0 src1_sel:DWORD
	s_and_b64 vcc, exec, s[4:5]
	;; [unrolled: 5-line block ×3, first 2 shown]
	s_cbranch_vccz .LBB40_2925
; %bb.2915:
	v_mov_b32_e32 v5, 46
	v_cmp_eq_u16_sdwa s[16:17], s22, v5 src0_sel:BYTE_0 src1_sel:DWORD
	s_mov_b64 s[4:5], -1
	s_mov_b64 s[18:19], 0
	s_and_b64 vcc, exec, s[16:17]
	s_mov_b64 s[16:17], 0
	s_cbranch_vccz .LBB40_2926
; %bb.2916:
	v_bfe_u32 v5, v4, 16, 1
	s_movk_i32 s4, 0x7fff
	v_add3_u32 v5, v4, v5, s4
	v_lshrrev_b32_e32 v5, 16, v5
	v_mov_b32_e32 v6, 0x7fc0
	v_cmp_o_f32_e32 vcc, v4, v4
	v_cndmask_b32_e32 v5, v6, v5, vcc
	global_store_dword v[2:3], v5, off
	s_mov_b64 s[4:5], 0
	s_mov_b64 s[16:17], -1
	s_branch .LBB40_2926
.LBB40_2917:
	s_mov_b64 s[0:1], -1
	s_mov_b64 s[16:17], 0
	s_branch .LBB40_2997
.LBB40_2918:
	s_mov_b64 s[4:5], 0
	s_branch .LBB40_2936
.LBB40_2919:
	s_or_saveexec_b64 s[20:21], s[20:21]
                                        ; implicit-def: $sgpr23
	s_xor_b64 exec, exec, s[20:21]
	s_cbranch_execz .LBB40_2820
.LBB40_2920:
	v_add_f32_e32 v3, 0x46000000, v7
	v_and_b32_e32 v3, 0xff, v3
	v_cmp_ne_u32_e32 vcc, 0, v3
	s_andn2_b64 s[18:19], s[18:19], exec
	s_and_b64 s[24:25], vcc, exec
	s_mov_b32 s23, 0
	s_or_b64 s[18:19], s[18:19], s[24:25]
	s_or_b64 exec, exec, s[20:21]
	v_mov_b32_e32 v8, s23
	s_and_saveexec_b64 s[20:21], s[18:19]
	s_cbranch_execnz .LBB40_2821
	s_branch .LBB40_2822
.LBB40_2921:
	s_mov_b64 s[4:5], 0
	s_branch .LBB40_2932
.LBB40_2922:
	s_trap 2
	s_or_b64 s[14:15], s[14:15], exec
	s_cbranch_execz .LBB40_2868
	s_branch .LBB40_2869
.LBB40_2923:
	s_or_saveexec_b64 s[18:19], s[18:19]
                                        ; implicit-def: $sgpr20
	s_xor_b64 exec, exec, s[18:19]
	s_cbranch_execz .LBB40_2833
.LBB40_2924:
	v_add_f32_e32 v3, 0x42800000, v7
	v_and_b32_e32 v3, 0xff, v3
	v_cmp_ne_u32_e32 vcc, 0, v3
	s_andn2_b64 s[16:17], s[16:17], exec
	s_and_b64 s[24:25], vcc, exec
	s_mov_b32 s20, 0
	s_or_b64 s[16:17], s[16:17], s[24:25]
	s_or_b64 exec, exec, s[18:19]
	v_mov_b32_e32 v8, s20
	s_and_saveexec_b64 s[18:19], s[16:17]
	s_cbranch_execnz .LBB40_2834
	s_branch .LBB40_2835
.LBB40_2925:
	s_mov_b64 s[4:5], 0
.LBB40_2926:
	s_and_b64 vcc, exec, s[18:19]
	s_cbranch_vccz .LBB40_2931
; %bb.2927:
	v_mov_b32_e32 v5, 44
	v_cmp_eq_u16_sdwa s[18:19], s22, v5 src0_sel:BYTE_0 src1_sel:DWORD
	s_mov_b64 s[4:5], -1
	s_and_b64 vcc, exec, s[18:19]
	s_cbranch_vccz .LBB40_2931
; %bb.2928:
	v_bfe_u32 v5, v4, 23, 8
	s_movk_i32 s4, 0xff
	v_cmp_ne_u32_e32 vcc, s4, v5
	v_mov_b32_e32 v6, 0xff
	s_and_saveexec_b64 s[16:17], vcc
; %bb.2929:
	s_mov_b32 s4, 0x3fffff
	v_and_b32_e32 v7, 0x400000, v4
	v_and_or_b32 v5, v4, s4, v5
	v_cmp_ne_u32_e32 vcc, 0, v7
	v_cmp_ne_u32_e64 s[4:5], 0, v5
	s_and_b64 s[4:5], vcc, s[4:5]
	v_lshrrev_b32_e32 v6, 23, v4
	v_cndmask_b32_e64 v5, 0, 1, s[4:5]
	v_add_u32_e32 v6, v6, v5
; %bb.2930:
	s_or_b64 exec, exec, s[16:17]
	s_mov_b64 s[4:5], 0
	s_mov_b64 s[16:17], -1
	global_store_byte v[2:3], v6, off
.LBB40_2931:
	s_mov_b64 s[18:19], 0
.LBB40_2932:
	s_and_b64 vcc, exec, s[18:19]
	s_cbranch_vccz .LBB40_2935
; %bb.2933:
	v_mov_b32_e32 v5, 29
	v_cmp_eq_u16_sdwa s[18:19], s22, v5 src0_sel:BYTE_0 src1_sel:DWORD
	s_mov_b64 s[4:5], -1
	s_and_b64 vcc, exec, s[18:19]
	s_cbranch_vccz .LBB40_2935
; %bb.2934:
	v_trunc_f32_e32 v5, v4
	v_mul_f32_e32 v6, 0x2f800000, v5
	v_floor_f32_e32 v6, v6
	v_fmac_f32_e32 v5, 0xcf800000, v6
	v_cvt_u32_f32_e32 v7, v6
	v_cvt_u32_f32_e32 v6, v5
	s_mov_b64 s[4:5], 0
	s_mov_b64 s[16:17], -1
	s_mov_b64 s[18:19], 0
	global_store_dwordx2 v[2:3], v[6:7], off
	s_branch .LBB40_2936
.LBB40_2935:
	s_mov_b64 s[18:19], 0
.LBB40_2936:
	s_and_b64 vcc, exec, s[18:19]
	s_cbranch_vccz .LBB40_2952
; %bb.2937:
	v_mov_b32_e32 v5, 27
	v_cmp_lt_i16_sdwa s[18:19], s22, v5 src0_sel:BYTE_0 src1_sel:DWORD
	s_mov_b64 s[16:17], -1
	s_and_b64 vcc, exec, s[18:19]
	s_cbranch_vccnz .LBB40_2943
; %bb.2938:
	v_cmp_gt_i16_sdwa s[18:19], s22, v5 src0_sel:BYTE_0 src1_sel:DWORD
	s_and_b64 vcc, exec, s[18:19]
	s_cbranch_vccz .LBB40_2940
; %bb.2939:
	v_cvt_u32_f32_e32 v5, v4
	s_mov_b64 s[16:17], 0
	global_store_dword v[2:3], v5, off
.LBB40_2940:
	s_andn2_b64 vcc, exec, s[16:17]
	s_cbranch_vccnz .LBB40_2942
; %bb.2941:
	v_cvt_u32_f32_e32 v5, v4
	global_store_short v[2:3], v5, off
.LBB40_2942:
	s_mov_b64 s[16:17], 0
.LBB40_2943:
	s_andn2_b64 vcc, exec, s[16:17]
	s_cbranch_vccnz .LBB40_2951
; %bb.2944:
	v_mov_b32_e32 v5, 0x800000
	v_cndmask_b32_e64 v5, |v1|, v5, s[0:1]
	v_mov_b32_e32 v6, 0x3f7ffffe
	v_cndmask_b32_e64 v6, v5, v6, s[2:3]
	s_mov_b32 s16, 0x43800000
	v_cmp_gt_u32_e32 vcc, s16, v6
	v_mov_b32_e32 v7, 0x80
	s_and_saveexec_b64 s[16:17], vcc
	s_cbranch_execz .LBB40_2950
; %bb.2945:
	s_mov_b32 s18, 0x3bffffff
	v_cmp_lt_u32_e32 vcc, s18, v6
	s_mov_b64 s[18:19], 0
                                        ; implicit-def: $vgpr5
	s_and_saveexec_b64 s[20:21], vcc
	s_xor_b64 s[20:21], exec, s[20:21]
	s_cbranch_execz .LBB40_3159
; %bb.2946:
	v_bfe_u32 v5, v4, 20, 1
	s_mov_b32 s23, 0x487ffff
	v_add3_u32 v5, v4, v5, s23
	s_mov_b64 s[18:19], exec
	v_lshrrev_b32_e32 v5, 20, v5
                                        ; implicit-def: $vgpr6
	s_or_saveexec_b64 s[20:21], s[20:21]
                                        ; implicit-def: $sgpr23
	s_xor_b64 exec, exec, s[20:21]
	s_cbranch_execnz .LBB40_3160
.LBB40_2947:
	s_or_b64 exec, exec, s[20:21]
	v_mov_b32_e32 v7, s23
	s_and_saveexec_b64 s[20:21], s[18:19]
.LBB40_2948:
	v_lshrrev_b32_e32 v6, 24, v4
	s_movk_i32 s18, 0x80
	v_and_or_b32 v7, v6, s18, v5
.LBB40_2949:
	s_or_b64 exec, exec, s[20:21]
.LBB40_2950:
	s_or_b64 exec, exec, s[16:17]
	global_store_byte v[2:3], v7, off
.LBB40_2951:
	s_mov_b64 s[16:17], -1
.LBB40_2952:
	s_mov_b64 s[18:19], 0
.LBB40_2953:
	s_and_b64 vcc, exec, s[18:19]
	s_cbranch_vccz .LBB40_2993
; %bb.2954:
	v_mov_b32_e32 v5, 22
	v_cmp_gt_i16_sdwa s[18:19], s22, v5 src0_sel:BYTE_0 src1_sel:DWORD
	s_mov_b64 s[10:11], -1
	s_and_b64 vcc, exec, s[18:19]
	s_cbranch_vccz .LBB40_2986
; %bb.2955:
	v_mov_b32_e32 v5, 24
	v_cmp_lt_i16_sdwa s[16:17], s22, v5 src0_sel:BYTE_0 src1_sel:DWORD
	s_and_b64 vcc, exec, s[16:17]
	s_cbranch_vccnz .LBB40_2975
; %bb.2956:
	v_cmp_gt_i16_sdwa s[16:17], s22, v5 src0_sel:BYTE_0 src1_sel:DWORD
	s_and_b64 vcc, exec, s[16:17]
	s_cbranch_vccz .LBB40_2964
; %bb.2957:
	v_mov_b32_e32 v5, 0x800000
	v_cndmask_b32_e64 v5, |v1|, v5, s[0:1]
	v_mov_b32_e32 v6, 0x3f7ffffe
	v_cndmask_b32_e64 v6, v5, v6, s[2:3]
	s_mov_b32 s10, 0x47800000
	v_cmp_gt_u32_e32 vcc, s10, v6
	v_mov_b32_e32 v7, 0x80
	s_and_saveexec_b64 s[10:11], vcc
	s_cbranch_execz .LBB40_2963
; %bb.2958:
	s_mov_b32 s16, 0x37ffffff
	v_cmp_lt_u32_e32 vcc, s16, v6
	s_mov_b64 s[16:17], 0
                                        ; implicit-def: $vgpr5
	s_and_saveexec_b64 s[18:19], vcc
	s_xor_b64 s[18:19], exec, s[18:19]
	s_cbranch_execz .LBB40_3162
; %bb.2959:
	v_bfe_u32 v5, v4, 21, 1
	s_mov_b32 s20, 0x88fffff
	v_add3_u32 v5, v4, v5, s20
	s_mov_b64 s[16:17], exec
	v_lshrrev_b32_e32 v5, 21, v5
                                        ; implicit-def: $vgpr6
	s_or_saveexec_b64 s[18:19], s[18:19]
                                        ; implicit-def: $sgpr20
	s_xor_b64 exec, exec, s[18:19]
	s_cbranch_execnz .LBB40_3163
.LBB40_2960:
	s_or_b64 exec, exec, s[18:19]
	v_mov_b32_e32 v7, s20
	s_and_saveexec_b64 s[18:19], s[16:17]
.LBB40_2961:
	v_lshrrev_b32_e32 v6, 24, v4
	s_movk_i32 s16, 0x80
	v_and_or_b32 v7, v6, s16, v5
.LBB40_2962:
	s_or_b64 exec, exec, s[18:19]
.LBB40_2963:
	s_or_b64 exec, exec, s[10:11]
	s_mov_b64 s[10:11], 0
	global_store_byte v[2:3], v7, off
.LBB40_2964:
	s_and_b64 vcc, exec, s[10:11]
	s_cbranch_vccz .LBB40_2974
; %bb.2965:
	v_mov_b32_e32 v5, 0x800000
	v_cndmask_b32_e64 v5, |v1|, v5, s[0:1]
	v_mov_b32_e32 v6, 0x3f7ffffe
	v_cndmask_b32_e64 v6, v5, v6, s[2:3]
	s_mov_b32 s10, 0x43f00000
	v_cmp_gt_u32_e32 vcc, s10, v6
                                        ; implicit-def: $vgpr5
	s_and_saveexec_b64 s[10:11], vcc
	s_xor_b64 s[10:11], exec, s[10:11]
	s_cbranch_execz .LBB40_2971
; %bb.2966:
	s_mov_b32 s16, 0x3c7fffff
	v_cmp_lt_u32_e32 vcc, s16, v6
                                        ; implicit-def: $vgpr5
	s_and_saveexec_b64 s[16:17], vcc
	s_xor_b64 s[16:17], exec, s[16:17]
; %bb.2967:
	v_bfe_u32 v5, v4, 20, 1
	s_mov_b32 s18, 0x407ffff
	v_add3_u32 v5, v4, v5, s18
	v_lshrrev_b32_e32 v6, 20, v5
	v_and_b32_e32 v5, 0xff00000, v5
	s_mov_b32 s18, 0x7f00000
	v_mov_b32_e32 v7, 0x7e
	v_cmp_ne_u32_e32 vcc, s18, v5
	v_cndmask_b32_e32 v5, v7, v6, vcc
                                        ; implicit-def: $vgpr6
; %bb.2968:
	s_andn2_saveexec_b64 s[16:17], s[16:17]
; %bb.2969:
	v_add_f32_e32 v5, 0x46800000, v6
; %bb.2970:
	s_or_b64 exec, exec, s[16:17]
                                        ; implicit-def: $vgpr6
.LBB40_2971:
	s_andn2_saveexec_b64 s[10:11], s[10:11]
; %bb.2972:
	s_mov_b32 s16, 0x7f800000
	v_mov_b32_e32 v5, 0x7e
	v_mov_b32_e32 v7, 0x7f
	v_cmp_lt_u32_e32 vcc, s16, v6
	v_cndmask_b32_e32 v5, v5, v7, vcc
; %bb.2973:
	s_or_b64 exec, exec, s[10:11]
	v_lshrrev_b32_e32 v6, 24, v4
	s_movk_i32 s10, 0x80
	v_and_or_b32 v5, v6, s10, v5
	global_store_byte v[2:3], v5, off
.LBB40_2974:
	s_mov_b64 s[10:11], 0
.LBB40_2975:
	s_andn2_b64 vcc, exec, s[10:11]
	s_cbranch_vccnz .LBB40_2985
; %bb.2976:
	v_mov_b32_e32 v5, 0x800000
	v_cndmask_b32_e64 v1, |v1|, v5, s[0:1]
	v_mov_b32_e32 v5, 0x3f7ffffe
	v_cndmask_b32_e64 v5, v1, v5, s[2:3]
	s_mov_b32 s0, 0x47800000
	v_cmp_gt_u32_e32 vcc, s0, v5
                                        ; implicit-def: $vgpr1
	s_and_saveexec_b64 s[0:1], vcc
	s_xor_b64 s[0:1], exec, s[0:1]
	s_cbranch_execz .LBB40_2982
; %bb.2977:
	s_mov_b32 s2, 0x387fffff
	v_cmp_lt_u32_e32 vcc, s2, v5
                                        ; implicit-def: $vgpr1
	s_and_saveexec_b64 s[2:3], vcc
	s_xor_b64 s[2:3], exec, s[2:3]
; %bb.2978:
	v_bfe_u32 v1, v4, 21, 1
	s_mov_b32 s10, 0x80fffff
	v_add3_u32 v1, v4, v1, s10
	v_lshrrev_b32_e32 v1, 21, v1
                                        ; implicit-def: $vgpr5
; %bb.2979:
	s_andn2_saveexec_b64 s[2:3], s[2:3]
; %bb.2980:
	v_add_f32_e32 v1, 0x43000000, v5
; %bb.2981:
	s_or_b64 exec, exec, s[2:3]
                                        ; implicit-def: $vgpr5
.LBB40_2982:
	s_andn2_saveexec_b64 s[0:1], s[0:1]
; %bb.2983:
	s_mov_b32 s2, 0x7f800000
	v_mov_b32_e32 v1, 0x7c
	v_mov_b32_e32 v6, 0x7f
	v_cmp_lt_u32_e32 vcc, s2, v5
	v_cndmask_b32_e32 v1, v1, v6, vcc
; %bb.2984:
	s_or_b64 exec, exec, s[0:1]
	v_lshrrev_b32_e32 v5, 24, v4
	s_movk_i32 s0, 0x80
	v_and_or_b32 v1, v5, s0, v1
	global_store_byte v[2:3], v1, off
.LBB40_2985:
	s_mov_b64 s[10:11], 0
	s_mov_b64 s[16:17], -1
.LBB40_2986:
	s_andn2_b64 vcc, exec, s[10:11]
	s_mov_b64 s[10:11], 0
	s_cbranch_vccnz .LBB40_2993
; %bb.2987:
	v_mov_b32_e32 v1, 14
	v_cmp_gt_i16_sdwa s[2:3], s22, v1 src0_sel:BYTE_0 src1_sel:DWORD
	s_mov_b64 s[0:1], -1
	s_and_b64 vcc, exec, s[2:3]
	s_cbranch_vccz .LBB40_2991
; %bb.2988:
	v_mov_b32_e32 v1, 15
	v_cmp_eq_u16_sdwa s[0:1], s22, v1 src0_sel:BYTE_0 src1_sel:DWORD
	s_mov_b64 s[4:5], -1
	s_and_b64 vcc, exec, s[0:1]
	s_cbranch_vccz .LBB40_2990
; %bb.2989:
	v_bfe_u32 v1, v4, 16, 1
	s_movk_i32 s0, 0x7fff
	v_add3_u32 v1, v4, v1, s0
	v_lshrrev_b32_e32 v1, 16, v1
	v_mov_b32_e32 v5, 0x7fc0
	v_cmp_o_f32_e32 vcc, v4, v4
	v_cndmask_b32_e32 v1, v5, v1, vcc
	global_store_short v[2:3], v1, off
	s_mov_b64 s[4:5], 0
	s_mov_b64 s[16:17], -1
.LBB40_2990:
	s_mov_b64 s[0:1], 0
.LBB40_2991:
	s_and_b64 vcc, exec, s[0:1]
	s_cbranch_vccz .LBB40_2993
; %bb.2992:
	v_mov_b32_e32 v1, 11
	v_cmp_ne_u16_sdwa s[4:5], s22, v1 src0_sel:BYTE_0 src1_sel:DWORD
	s_mov_b64 s[10:11], -1
.LBB40_2993:
	s_and_b64 vcc, exec, s[4:5]
	s_cbranch_vccnz .LBB40_3161
; %bb.2994:
	s_andn2_b64 vcc, exec, s[10:11]
	s_cbranch_vccnz .LBB40_2996
.LBB40_2995:
	v_mov_b32_e32 v1, 1
	s_mov_b64 s[16:17], -1
	global_store_byte v[2:3], v1, off
.LBB40_2996:
	s_mov_b64 s[0:1], 0
.LBB40_2997:
	s_and_b64 vcc, exec, s[0:1]
	s_cbranch_vccz .LBB40_3036
; %bb.2998:
	v_mov_b32_e32 v1, 5
	v_cmp_lt_i16_sdwa s[2:3], s22, v1 src0_sel:BYTE_0 src1_sel:DWORD
	s_mov_b64 s[0:1], -1
	s_and_b64 vcc, exec, s[2:3]
	s_cbranch_vccnz .LBB40_3019
; %bb.2999:
	v_mov_b32_e32 v1, 8
	v_cmp_lt_i16_sdwa s[2:3], s22, v1 src0_sel:BYTE_0 src1_sel:DWORD
	s_and_b64 vcc, exec, s[2:3]
	s_cbranch_vccnz .LBB40_3009
; %bb.3000:
	v_mov_b32_e32 v1, 9
	v_cmp_lt_i16_sdwa s[2:3], s22, v1 src0_sel:BYTE_0 src1_sel:DWORD
	s_and_b64 vcc, exec, s[2:3]
	s_cbranch_vccnz .LBB40_3006
; %bb.3001:
	v_cmp_gt_i16_sdwa s[2:3], s22, v1 src0_sel:BYTE_0 src1_sel:DWORD
	s_and_b64 vcc, exec, s[2:3]
	s_cbranch_vccz .LBB40_3003
; %bb.3002:
	v_mov_b32_e32 v8, 0
	v_cvt_f64_f32_e32 v[6:7], v4
	v_mov_b32_e32 v9, v8
	global_store_dwordx4 v[2:3], v[6:9], off
	s_mov_b64 s[0:1], 0
.LBB40_3003:
	s_andn2_b64 vcc, exec, s[0:1]
	s_cbranch_vccnz .LBB40_3005
; %bb.3004:
	v_mov_b32_e32 v5, 0
	global_store_dwordx2 v[2:3], v[4:5], off
.LBB40_3005:
	s_mov_b64 s[0:1], 0
.LBB40_3006:
	s_andn2_b64 vcc, exec, s[0:1]
	s_cbranch_vccnz .LBB40_3008
; %bb.3007:
	v_cvt_f16_f32_e32 v1, v4
	global_store_dword v[2:3], v1, off
.LBB40_3008:
	s_mov_b64 s[0:1], 0
.LBB40_3009:
	s_andn2_b64 vcc, exec, s[0:1]
	s_cbranch_vccnz .LBB40_3018
; %bb.3010:
	v_mov_b32_e32 v1, 6
	v_cmp_lt_i16_sdwa s[2:3], s22, v1 src0_sel:BYTE_0 src1_sel:DWORD
	s_mov_b64 s[0:1], -1
	s_and_b64 vcc, exec, s[2:3]
	s_cbranch_vccnz .LBB40_3016
; %bb.3011:
	v_cmp_gt_i16_sdwa s[2:3], s22, v1 src0_sel:BYTE_0 src1_sel:DWORD
	s_and_b64 vcc, exec, s[2:3]
	s_cbranch_vccz .LBB40_3013
; %bb.3012:
	v_cvt_f64_f32_e32 v[6:7], v4
	global_store_dwordx2 v[2:3], v[6:7], off
	s_mov_b64 s[0:1], 0
.LBB40_3013:
	s_andn2_b64 vcc, exec, s[0:1]
	s_cbranch_vccnz .LBB40_3015
; %bb.3014:
	global_store_dword v[2:3], v4, off
.LBB40_3015:
	s_mov_b64 s[0:1], 0
.LBB40_3016:
	s_andn2_b64 vcc, exec, s[0:1]
	s_cbranch_vccnz .LBB40_3018
; %bb.3017:
	v_cvt_f16_f32_e32 v1, v4
	global_store_short v[2:3], v1, off
.LBB40_3018:
	s_mov_b64 s[0:1], 0
.LBB40_3019:
	s_andn2_b64 vcc, exec, s[0:1]
	s_cbranch_vccnz .LBB40_3035
; %bb.3020:
	v_mov_b32_e32 v1, 2
	v_cmp_lt_i16_sdwa s[2:3], s22, v1 src0_sel:BYTE_0 src1_sel:DWORD
	s_mov_b64 s[0:1], -1
	s_and_b64 vcc, exec, s[2:3]
	s_cbranch_vccnz .LBB40_3030
; %bb.3021:
	v_mov_b32_e32 v1, 3
	v_cmp_lt_i16_sdwa s[2:3], s22, v1 src0_sel:BYTE_0 src1_sel:DWORD
	s_and_b64 vcc, exec, s[2:3]
	s_cbranch_vccnz .LBB40_3027
; %bb.3022:
	v_cmp_gt_i16_sdwa s[2:3], s22, v1 src0_sel:BYTE_0 src1_sel:DWORD
	s_and_b64 vcc, exec, s[2:3]
	s_cbranch_vccz .LBB40_3024
; %bb.3023:
	v_trunc_f32_e32 v1, v4
	s_mov_b32 s0, 0x2f800000
	v_mul_f32_e64 v5, |v1|, s0
	v_floor_f32_e32 v5, v5
	s_mov_b32 s0, 0xcf800000
	v_cvt_u32_f32_e32 v6, v5
	v_fma_f32 v5, v5, s0, |v1|
	v_cvt_u32_f32_e32 v5, v5
	v_ashrrev_i32_e32 v1, 31, v1
	v_xor_b32_e32 v7, v6, v1
	s_mov_b64 s[0:1], 0
	v_xor_b32_e32 v5, v5, v1
	v_sub_co_u32_e32 v6, vcc, v5, v1
	v_subb_co_u32_e32 v7, vcc, v7, v1, vcc
	global_store_dwordx2 v[2:3], v[6:7], off
.LBB40_3024:
	s_andn2_b64 vcc, exec, s[0:1]
	s_cbranch_vccnz .LBB40_3026
; %bb.3025:
	v_cvt_i32_f32_e32 v1, v4
	global_store_dword v[2:3], v1, off
.LBB40_3026:
	s_mov_b64 s[0:1], 0
.LBB40_3027:
	s_andn2_b64 vcc, exec, s[0:1]
	s_cbranch_vccnz .LBB40_3029
; %bb.3028:
	v_cvt_i32_f32_e32 v1, v4
	global_store_short v[2:3], v1, off
.LBB40_3029:
	s_mov_b64 s[0:1], 0
.LBB40_3030:
	s_andn2_b64 vcc, exec, s[0:1]
	s_cbranch_vccnz .LBB40_3035
; %bb.3031:
	v_mov_b32_e32 v1, 0
	v_cmp_gt_i16_sdwa s[2:3], s22, v1 src0_sel:BYTE_0 src1_sel:DWORD
	s_mov_b64 s[0:1], -1
	s_and_b64 vcc, exec, s[2:3]
	s_cbranch_vccz .LBB40_3033
; %bb.3032:
	v_cvt_i32_f32_e32 v1, v4
	s_mov_b64 s[0:1], 0
	global_store_byte v[2:3], v1, off
.LBB40_3033:
	s_andn2_b64 vcc, exec, s[0:1]
	s_cbranch_vccnz .LBB40_3035
; %bb.3034:
	v_trunc_f32_e32 v1, v4
	s_mov_b32 s0, 0x2f800000
	v_mul_f32_e64 v4, |v1|, s0
	v_floor_f32_e32 v4, v4
	s_mov_b32 s0, 0xcf800000
	v_fma_f32 v4, v4, s0, |v1|
	v_cvt_u32_f32_e32 v4, v4
	v_ashrrev_i32_e32 v1, 31, v1
	v_xor_b32_e32 v4, v4, v1
	v_sub_u32_e32 v1, v4, v1
	global_store_byte v[2:3], v1, off
.LBB40_3035:
	s_mov_b64 s[16:17], -1
.LBB40_3036:
	s_andn2_b64 vcc, exec, s[16:17]
	s_cbranch_vccnz .LBB40_3113
; %bb.3037:
	v_div_scale_f32 v1, s[0:1], v10, v10, v12
	v_rcp_f32_e32 v2, v1
	v_div_scale_f32 v3, vcc, v12, v10, v12
	s_mov_b32 s0, 0x800000
	v_fma_f32 v4, -v1, v2, 1.0
	v_fmac_f32_e32 v2, v4, v2
	v_mul_f32_e32 v4, v3, v2
	v_fma_f32 v5, -v1, v4, v3
	v_fmac_f32_e32 v4, v5, v2
	v_fma_f32 v1, -v1, v4, v3
	v_div_fmas_f32 v1, v1, v2, v4
	v_div_fixup_f32 v3, v1, v10, v12
	v_mov_b32_e32 v1, 0x800000
	v_cmp_gt_f32_e64 s[0:1], s0, v3
	v_cndmask_b32_e64 v1, v3, v1, s[0:1]
	s_mov_b32 s2, 0x3f7ffffe
	v_mov_b32_e32 v2, 0x3f7ffffe
	v_cmp_lt_f32_e64 s[2:3], s2, v1
	v_cndmask_b32_e64 v2, v1, v2, s[2:3]
	v_mov_b32_e32 v1, 0xff
	v_and_b32_e32 v4, s22, v1
	v_mov_b32_e32 v1, s9
	v_add_co_u32_e32 v0, vcc, s8, v0
	v_addc_co_u32_e32 v1, vcc, 0, v1, vcc
	v_cmp_gt_i16_e32 vcc, 11, v4
	s_cbranch_vccnz .LBB40_3158
; %bb.3038:
	v_cmp_lt_i16_e32 vcc, 25, v4
	s_mov_b64 s[10:11], -1
	s_mov_b64 s[8:9], 0
	s_mov_b64 s[4:5], 0
	s_cbranch_vccz .LBB40_3071
; %bb.3039:
	v_cmp_lt_i16_e32 vcc, 28, v4
	s_cbranch_vccz .LBB40_3055
; %bb.3040:
	v_cmp_lt_i16_e32 vcc, 43, v4
	s_cbranch_vccz .LBB40_3051
; %bb.3041:
	v_cmp_lt_i16_e32 vcc, 45, v4
	s_cbranch_vccz .LBB40_3045
; %bb.3042:
	v_cmp_eq_u16_e32 vcc, 46, v4
	s_mov_b64 s[4:5], -1
	s_cbranch_vccz .LBB40_3044
; %bb.3043:
	v_bfe_u32 v5, v2, 16, 1
	s_movk_i32 s4, 0x7fff
	v_add3_u32 v5, v2, v5, s4
	v_lshrrev_b32_e32 v5, 16, v5
	v_mov_b32_e32 v6, 0x7fc0
	v_cmp_o_f32_e32 vcc, v2, v2
	v_cndmask_b32_e32 v5, v6, v5, vcc
	global_store_dword v[0:1], v5, off
	s_mov_b64 s[4:5], 0
.LBB40_3044:
	s_mov_b64 s[10:11], 0
.LBB40_3045:
	s_and_b64 vcc, exec, s[10:11]
	s_cbranch_vccz .LBB40_3050
; %bb.3046:
	v_cmp_eq_u16_e32 vcc, 44, v4
	s_mov_b64 s[4:5], -1
	s_cbranch_vccz .LBB40_3050
; %bb.3047:
	v_bfe_u32 v5, v2, 23, 8
	s_movk_i32 s4, 0xff
	v_cmp_ne_u32_e32 vcc, s4, v5
	v_mov_b32_e32 v6, 0xff
	s_and_saveexec_b64 s[10:11], vcc
; %bb.3048:
	s_mov_b32 s4, 0x3fffff
	v_and_b32_e32 v7, 0x400000, v2
	v_and_or_b32 v5, v2, s4, v5
	v_cmp_ne_u32_e32 vcc, 0, v7
	v_cmp_ne_u32_e64 s[4:5], 0, v5
	s_and_b64 s[4:5], vcc, s[4:5]
	v_lshrrev_b32_e32 v6, 23, v2
	v_cndmask_b32_e64 v5, 0, 1, s[4:5]
	v_add_u32_e32 v6, v6, v5
; %bb.3049:
	s_or_b64 exec, exec, s[10:11]
	s_mov_b64 s[4:5], 0
	global_store_byte v[0:1], v6, off
.LBB40_3050:
	s_mov_b64 s[10:11], 0
.LBB40_3051:
	s_and_b64 vcc, exec, s[10:11]
	s_cbranch_vccz .LBB40_3054
; %bb.3052:
	v_cmp_eq_u16_e32 vcc, 29, v4
	s_mov_b64 s[4:5], -1
	s_cbranch_vccz .LBB40_3054
; %bb.3053:
	v_trunc_f32_e32 v5, v2
	v_mul_f32_e32 v6, 0x2f800000, v5
	v_floor_f32_e32 v6, v6
	v_fmac_f32_e32 v5, 0xcf800000, v6
	v_cvt_u32_f32_e32 v7, v6
	v_cvt_u32_f32_e32 v6, v5
	s_mov_b64 s[4:5], 0
	global_store_dwordx2 v[0:1], v[6:7], off
.LBB40_3054:
	s_mov_b64 s[10:11], 0
.LBB40_3055:
	s_and_b64 vcc, exec, s[10:11]
	s_cbranch_vccz .LBB40_3070
; %bb.3056:
	v_cmp_gt_i16_e32 vcc, 27, v4
	s_mov_b64 s[10:11], -1
	s_cbranch_vccnz .LBB40_3062
; %bb.3057:
	v_cvt_u32_f32_e32 v5, v2
	v_cmp_lt_i16_e32 vcc, 27, v4
	s_cbranch_vccz .LBB40_3059
; %bb.3058:
	global_store_dword v[0:1], v5, off
	s_mov_b64 s[10:11], 0
.LBB40_3059:
	s_andn2_b64 vcc, exec, s[10:11]
	s_cbranch_vccnz .LBB40_3061
; %bb.3060:
	global_store_short v[0:1], v5, off
.LBB40_3061:
	s_mov_b64 s[10:11], 0
.LBB40_3062:
	s_andn2_b64 vcc, exec, s[10:11]
	s_cbranch_vccnz .LBB40_3070
; %bb.3063:
	v_mov_b32_e32 v5, 0x800000
	v_cndmask_b32_e64 v5, |v3|, v5, s[0:1]
	v_mov_b32_e32 v6, 0x3f7ffffe
	v_cndmask_b32_e64 v6, v5, v6, s[2:3]
	s_mov_b32 s10, 0x43800000
	v_cmp_gt_u32_e32 vcc, s10, v6
	v_mov_b32_e32 v7, 0x80
	s_and_saveexec_b64 s[10:11], vcc
	s_cbranch_execz .LBB40_3069
; %bb.3064:
	s_mov_b32 s16, 0x3bffffff
	v_cmp_lt_u32_e32 vcc, s16, v6
	s_mov_b64 s[16:17], 0
                                        ; implicit-def: $vgpr5
	s_and_saveexec_b64 s[18:19], vcc
	s_xor_b64 s[18:19], exec, s[18:19]
	s_cbranch_execz .LBB40_3164
; %bb.3065:
	v_bfe_u32 v5, v2, 20, 1
	s_mov_b32 s20, 0x487ffff
	v_add3_u32 v5, v2, v5, s20
	s_mov_b64 s[16:17], exec
	v_lshrrev_b32_e32 v5, 20, v5
                                        ; implicit-def: $vgpr6
	s_or_saveexec_b64 s[18:19], s[18:19]
                                        ; implicit-def: $sgpr20
	s_xor_b64 exec, exec, s[18:19]
	s_cbranch_execnz .LBB40_3165
.LBB40_3066:
	s_or_b64 exec, exec, s[18:19]
	v_mov_b32_e32 v7, s20
	s_and_saveexec_b64 s[18:19], s[16:17]
.LBB40_3067:
	v_lshrrev_b32_e32 v6, 24, v2
	s_movk_i32 s16, 0x80
	v_and_or_b32 v7, v6, s16, v5
.LBB40_3068:
	s_or_b64 exec, exec, s[18:19]
.LBB40_3069:
	s_or_b64 exec, exec, s[10:11]
	global_store_byte v[0:1], v7, off
.LBB40_3070:
	s_mov_b64 s[10:11], 0
.LBB40_3071:
	s_and_b64 vcc, exec, s[10:11]
	s_cbranch_vccz .LBB40_3111
; %bb.3072:
	v_cmp_lt_i16_e32 vcc, 22, v4
	s_mov_b64 s[8:9], -1
	s_cbranch_vccz .LBB40_3104
; %bb.3073:
	v_cmp_gt_i16_e32 vcc, 24, v4
	s_cbranch_vccnz .LBB40_3093
; %bb.3074:
	v_cmp_lt_i16_e32 vcc, 24, v4
	s_cbranch_vccz .LBB40_3082
; %bb.3075:
	v_mov_b32_e32 v5, 0x800000
	v_cndmask_b32_e64 v5, |v3|, v5, s[0:1]
	v_mov_b32_e32 v6, 0x3f7ffffe
	v_cndmask_b32_e64 v6, v5, v6, s[2:3]
	s_mov_b32 s8, 0x47800000
	v_cmp_gt_u32_e32 vcc, s8, v6
	v_mov_b32_e32 v7, 0x80
	s_and_saveexec_b64 s[8:9], vcc
	s_cbranch_execz .LBB40_3081
; %bb.3076:
	s_mov_b32 s10, 0x37ffffff
	v_cmp_lt_u32_e32 vcc, s10, v6
	s_mov_b64 s[10:11], 0
                                        ; implicit-def: $vgpr5
	s_and_saveexec_b64 s[16:17], vcc
	s_xor_b64 s[16:17], exec, s[16:17]
	s_cbranch_execz .LBB40_3167
; %bb.3077:
	v_bfe_u32 v5, v2, 21, 1
	s_mov_b32 s18, 0x88fffff
	v_add3_u32 v5, v2, v5, s18
	s_mov_b64 s[10:11], exec
	v_lshrrev_b32_e32 v5, 21, v5
                                        ; implicit-def: $vgpr6
	s_or_saveexec_b64 s[16:17], s[16:17]
                                        ; implicit-def: $sgpr18
	s_xor_b64 exec, exec, s[16:17]
	s_cbranch_execnz .LBB40_3168
.LBB40_3078:
	s_or_b64 exec, exec, s[16:17]
	v_mov_b32_e32 v7, s18
	s_and_saveexec_b64 s[16:17], s[10:11]
.LBB40_3079:
	v_lshrrev_b32_e32 v6, 24, v2
	s_movk_i32 s10, 0x80
	v_and_or_b32 v7, v6, s10, v5
.LBB40_3080:
	s_or_b64 exec, exec, s[16:17]
.LBB40_3081:
	s_or_b64 exec, exec, s[8:9]
	s_mov_b64 s[8:9], 0
	global_store_byte v[0:1], v7, off
.LBB40_3082:
	s_and_b64 vcc, exec, s[8:9]
	s_cbranch_vccz .LBB40_3092
; %bb.3083:
	v_mov_b32_e32 v5, 0x800000
	v_cndmask_b32_e64 v5, |v3|, v5, s[0:1]
	v_mov_b32_e32 v6, 0x3f7ffffe
	v_cndmask_b32_e64 v6, v5, v6, s[2:3]
	s_mov_b32 s8, 0x43f00000
	v_cmp_gt_u32_e32 vcc, s8, v6
                                        ; implicit-def: $vgpr5
	s_and_saveexec_b64 s[8:9], vcc
	s_xor_b64 s[8:9], exec, s[8:9]
	s_cbranch_execz .LBB40_3089
; %bb.3084:
	s_mov_b32 s10, 0x3c7fffff
	v_cmp_lt_u32_e32 vcc, s10, v6
                                        ; implicit-def: $vgpr5
	s_and_saveexec_b64 s[10:11], vcc
	s_xor_b64 s[10:11], exec, s[10:11]
; %bb.3085:
	v_bfe_u32 v5, v2, 20, 1
	s_mov_b32 s16, 0x407ffff
	v_add3_u32 v5, v2, v5, s16
	v_lshrrev_b32_e32 v6, 20, v5
	v_and_b32_e32 v5, 0xff00000, v5
	s_mov_b32 s16, 0x7f00000
	v_mov_b32_e32 v7, 0x7e
	v_cmp_ne_u32_e32 vcc, s16, v5
	v_cndmask_b32_e32 v5, v7, v6, vcc
                                        ; implicit-def: $vgpr6
; %bb.3086:
	s_andn2_saveexec_b64 s[10:11], s[10:11]
; %bb.3087:
	v_add_f32_e32 v5, 0x46800000, v6
; %bb.3088:
	s_or_b64 exec, exec, s[10:11]
                                        ; implicit-def: $vgpr6
.LBB40_3089:
	s_andn2_saveexec_b64 s[8:9], s[8:9]
; %bb.3090:
	s_mov_b32 s10, 0x7f800000
	v_mov_b32_e32 v5, 0x7e
	v_mov_b32_e32 v7, 0x7f
	v_cmp_lt_u32_e32 vcc, s10, v6
	v_cndmask_b32_e32 v5, v5, v7, vcc
; %bb.3091:
	s_or_b64 exec, exec, s[8:9]
	v_lshrrev_b32_e32 v6, 24, v2
	s_movk_i32 s8, 0x80
	v_and_or_b32 v5, v6, s8, v5
	global_store_byte v[0:1], v5, off
.LBB40_3092:
	s_mov_b64 s[8:9], 0
.LBB40_3093:
	s_andn2_b64 vcc, exec, s[8:9]
	s_cbranch_vccnz .LBB40_3103
; %bb.3094:
	v_mov_b32_e32 v5, 0x800000
	v_cndmask_b32_e64 v3, |v3|, v5, s[0:1]
	v_mov_b32_e32 v5, 0x3f7ffffe
	v_cndmask_b32_e64 v5, v3, v5, s[2:3]
	s_mov_b32 s0, 0x47800000
	v_cmp_gt_u32_e32 vcc, s0, v5
                                        ; implicit-def: $vgpr3
	s_and_saveexec_b64 s[0:1], vcc
	s_xor_b64 s[0:1], exec, s[0:1]
	s_cbranch_execz .LBB40_3100
; %bb.3095:
	s_mov_b32 s2, 0x387fffff
	v_cmp_lt_u32_e32 vcc, s2, v5
                                        ; implicit-def: $vgpr3
	s_and_saveexec_b64 s[2:3], vcc
	s_xor_b64 s[2:3], exec, s[2:3]
; %bb.3096:
	v_bfe_u32 v3, v2, 21, 1
	s_mov_b32 s8, 0x80fffff
	v_add3_u32 v3, v2, v3, s8
	v_lshrrev_b32_e32 v3, 21, v3
                                        ; implicit-def: $vgpr5
; %bb.3097:
	s_andn2_saveexec_b64 s[2:3], s[2:3]
; %bb.3098:
	v_add_f32_e32 v3, 0x43000000, v5
; %bb.3099:
	s_or_b64 exec, exec, s[2:3]
                                        ; implicit-def: $vgpr5
.LBB40_3100:
	s_andn2_saveexec_b64 s[0:1], s[0:1]
; %bb.3101:
	s_mov_b32 s2, 0x7f800000
	v_mov_b32_e32 v3, 0x7c
	v_mov_b32_e32 v6, 0x7f
	v_cmp_lt_u32_e32 vcc, s2, v5
	v_cndmask_b32_e32 v3, v3, v6, vcc
; %bb.3102:
	s_or_b64 exec, exec, s[0:1]
	v_lshrrev_b32_e32 v5, 24, v2
	s_movk_i32 s0, 0x80
	v_and_or_b32 v3, v5, s0, v3
	global_store_byte v[0:1], v3, off
.LBB40_3103:
	s_mov_b64 s[8:9], 0
.LBB40_3104:
	s_andn2_b64 vcc, exec, s[8:9]
	s_mov_b64 s[8:9], 0
	s_cbranch_vccnz .LBB40_3111
; %bb.3105:
	v_cmp_lt_i16_e32 vcc, 14, v4
	s_mov_b64 s[0:1], -1
	s_cbranch_vccz .LBB40_3109
; %bb.3106:
	v_cmp_eq_u16_e32 vcc, 15, v4
	s_mov_b64 s[4:5], -1
	s_cbranch_vccz .LBB40_3108
; %bb.3107:
	v_bfe_u32 v3, v2, 16, 1
	s_movk_i32 s0, 0x7fff
	v_add3_u32 v3, v2, v3, s0
	v_lshrrev_b32_e32 v3, 16, v3
	v_mov_b32_e32 v5, 0x7fc0
	v_cmp_o_f32_e32 vcc, v2, v2
	v_cndmask_b32_e32 v3, v5, v3, vcc
	global_store_short v[0:1], v3, off
	s_mov_b64 s[4:5], 0
.LBB40_3108:
	s_mov_b64 s[0:1], 0
.LBB40_3109:
	s_and_b64 vcc, exec, s[0:1]
	s_cbranch_vccz .LBB40_3111
; %bb.3110:
	v_cmp_ne_u16_e64 s[4:5], 11, v4
	s_mov_b64 s[8:9], -1
.LBB40_3111:
	s_and_b64 vcc, exec, s[4:5]
	s_cbranch_vccnz .LBB40_3166
.LBB40_3112:
	s_mov_b64 s[0:1], 0
	s_branch .LBB40_3114
.LBB40_3113:
	s_mov_b64 s[0:1], 0
	s_mov_b64 s[8:9], 0
                                        ; implicit-def: $vgpr0_vgpr1
                                        ; implicit-def: $vgpr4
                                        ; implicit-def: $vgpr2
.LBB40_3114:
	s_andn2_b64 s[2:3], s[6:7], exec
	s_and_b64 s[4:5], s[14:15], exec
	s_and_b64 s[0:1], s[0:1], exec
	;; [unrolled: 1-line block ×3, first 2 shown]
	s_or_b64 s[6:7], s[2:3], s[4:5]
.LBB40_3115:
	s_or_b64 exec, exec, s[12:13]
	s_and_saveexec_b64 s[2:3], s[6:7]
	s_cbranch_execz .LBB40_3118
; %bb.3116:
	; divergent unreachable
	s_or_b64 exec, exec, s[2:3]
	s_and_saveexec_b64 s[2:3], s[22:23]
	s_xor_b64 s[2:3], exec, s[2:3]
	s_cbranch_execnz .LBB40_3119
.LBB40_3117:
	s_or_b64 exec, exec, s[2:3]
	s_and_saveexec_b64 s[2:3], s[0:1]
	s_cbranch_execnz .LBB40_3120
	s_branch .LBB40_3157
.LBB40_3118:
	s_or_b64 exec, exec, s[2:3]
	s_and_saveexec_b64 s[2:3], s[22:23]
	s_xor_b64 s[2:3], exec, s[2:3]
	s_cbranch_execz .LBB40_3117
.LBB40_3119:
	s_waitcnt vmcnt(0)
	v_mov_b32_e32 v3, 1
	global_store_byte v[0:1], v3, off
	s_or_b64 exec, exec, s[2:3]
	s_and_saveexec_b64 s[2:3], s[0:1]
	s_cbranch_execz .LBB40_3157
.LBB40_3120:
	s_waitcnt vmcnt(0)
	v_cmp_gt_i16_e32 vcc, 5, v4
	s_mov_b64 s[0:1], -1
	s_cbranch_vccnz .LBB40_3141
; %bb.3121:
	v_cmp_gt_i16_e32 vcc, 8, v4
	s_cbranch_vccnz .LBB40_3131
; %bb.3122:
	v_cmp_gt_i16_e32 vcc, 9, v4
	s_cbranch_vccnz .LBB40_3128
; %bb.3123:
	v_cmp_lt_i16_e32 vcc, 9, v4
	s_cbranch_vccz .LBB40_3125
; %bb.3124:
	v_mov_b32_e32 v8, 0
	v_cvt_f64_f32_e32 v[6:7], v2
	v_mov_b32_e32 v9, v8
	global_store_dwordx4 v[0:1], v[6:9], off
	s_mov_b64 s[0:1], 0
.LBB40_3125:
	s_andn2_b64 vcc, exec, s[0:1]
	s_cbranch_vccnz .LBB40_3127
; %bb.3126:
	v_mov_b32_e32 v3, 0
	global_store_dwordx2 v[0:1], v[2:3], off
.LBB40_3127:
	s_mov_b64 s[0:1], 0
.LBB40_3128:
	s_andn2_b64 vcc, exec, s[0:1]
	s_cbranch_vccnz .LBB40_3130
; %bb.3129:
	v_cvt_f16_f32_e32 v3, v2
	global_store_dword v[0:1], v3, off
.LBB40_3130:
	s_mov_b64 s[0:1], 0
.LBB40_3131:
	s_andn2_b64 vcc, exec, s[0:1]
	s_cbranch_vccnz .LBB40_3140
; %bb.3132:
	v_cmp_gt_i16_e32 vcc, 6, v4
	s_mov_b64 s[0:1], -1
	s_cbranch_vccnz .LBB40_3138
; %bb.3133:
	v_cmp_lt_i16_e32 vcc, 6, v4
	s_cbranch_vccz .LBB40_3135
; %bb.3134:
	v_cvt_f64_f32_e32 v[6:7], v2
	global_store_dwordx2 v[0:1], v[6:7], off
	s_mov_b64 s[0:1], 0
.LBB40_3135:
	s_andn2_b64 vcc, exec, s[0:1]
	s_cbranch_vccnz .LBB40_3137
; %bb.3136:
	global_store_dword v[0:1], v2, off
.LBB40_3137:
	s_mov_b64 s[0:1], 0
.LBB40_3138:
	s_andn2_b64 vcc, exec, s[0:1]
	s_cbranch_vccnz .LBB40_3140
; %bb.3139:
	v_cvt_f16_f32_e32 v3, v2
	global_store_short v[0:1], v3, off
.LBB40_3140:
	s_mov_b64 s[0:1], 0
.LBB40_3141:
	s_andn2_b64 vcc, exec, s[0:1]
	s_cbranch_vccnz .LBB40_3157
; %bb.3142:
	v_cmp_gt_i16_e32 vcc, 2, v4
	s_mov_b64 s[0:1], -1
	s_cbranch_vccnz .LBB40_3152
; %bb.3143:
	v_cmp_gt_i16_e32 vcc, 3, v4
	s_cbranch_vccnz .LBB40_3149
; %bb.3144:
	v_cmp_lt_i16_e32 vcc, 3, v4
	s_cbranch_vccz .LBB40_3146
; %bb.3145:
	v_trunc_f32_e32 v3, v2
	s_mov_b32 s0, 0x2f800000
	v_mul_f32_e64 v5, |v3|, s0
	v_floor_f32_e32 v5, v5
	s_mov_b32 s0, 0xcf800000
	v_cvt_u32_f32_e32 v6, v5
	v_fma_f32 v5, v5, s0, |v3|
	v_cvt_u32_f32_e32 v5, v5
	v_ashrrev_i32_e32 v3, 31, v3
	v_xor_b32_e32 v7, v6, v3
	s_mov_b64 s[0:1], 0
	v_xor_b32_e32 v5, v5, v3
	v_sub_co_u32_e32 v6, vcc, v5, v3
	v_subb_co_u32_e32 v7, vcc, v7, v3, vcc
	global_store_dwordx2 v[0:1], v[6:7], off
.LBB40_3146:
	s_andn2_b64 vcc, exec, s[0:1]
	s_cbranch_vccnz .LBB40_3148
; %bb.3147:
	v_cvt_i32_f32_e32 v3, v2
	global_store_dword v[0:1], v3, off
.LBB40_3148:
	s_mov_b64 s[0:1], 0
.LBB40_3149:
	s_andn2_b64 vcc, exec, s[0:1]
	s_cbranch_vccnz .LBB40_3151
; %bb.3150:
	v_cvt_i32_f32_e32 v3, v2
	global_store_short v[0:1], v3, off
.LBB40_3151:
	s_mov_b64 s[0:1], 0
.LBB40_3152:
	s_andn2_b64 vcc, exec, s[0:1]
	s_cbranch_vccnz .LBB40_3157
; %bb.3153:
	v_cmp_lt_i16_e32 vcc, 0, v4
	s_mov_b64 s[0:1], -1
	s_cbranch_vccz .LBB40_3155
; %bb.3154:
	v_cvt_i32_f32_e32 v3, v2
	s_mov_b64 s[0:1], 0
	global_store_byte v[0:1], v3, off
.LBB40_3155:
	s_andn2_b64 vcc, exec, s[0:1]
	s_cbranch_vccnz .LBB40_3157
; %bb.3156:
	v_trunc_f32_e32 v2, v2
	s_mov_b32 s0, 0x2f800000
	v_mul_f32_e64 v3, |v2|, s0
	v_floor_f32_e32 v3, v3
	s_mov_b32 s0, 0xcf800000
	v_fma_f32 v3, v3, s0, |v2|
	v_cvt_u32_f32_e32 v3, v3
	v_ashrrev_i32_e32 v2, 31, v2
	v_xor_b32_e32 v3, v3, v2
	v_sub_u32_e32 v2, v3, v2
	global_store_byte v[0:1], v2, off
	s_endpgm
.LBB40_3157:
	s_endpgm
.LBB40_3158:
	s_mov_b64 s[8:9], 0
	s_mov_b64 s[0:1], -1
	s_branch .LBB40_3114
.LBB40_3159:
	s_or_saveexec_b64 s[20:21], s[20:21]
                                        ; implicit-def: $sgpr23
	s_xor_b64 exec, exec, s[20:21]
	s_cbranch_execz .LBB40_2947
.LBB40_3160:
	v_add_f32_e32 v5, 0x46000000, v6
	v_and_b32_e32 v5, 0xff, v5
	v_cmp_ne_u32_e32 vcc, 0, v5
	s_andn2_b64 s[18:19], s[18:19], exec
	s_and_b64 s[24:25], vcc, exec
	s_mov_b32 s23, 0
	s_or_b64 s[18:19], s[18:19], s[24:25]
	s_or_b64 exec, exec, s[20:21]
	v_mov_b32_e32 v7, s23
	s_and_saveexec_b64 s[20:21], s[18:19]
	s_cbranch_execnz .LBB40_2948
	s_branch .LBB40_2949
.LBB40_3161:
	s_trap 2
	s_or_b64 s[14:15], s[14:15], exec
	s_cbranch_execz .LBB40_2995
	s_branch .LBB40_2996
.LBB40_3162:
	s_or_saveexec_b64 s[18:19], s[18:19]
                                        ; implicit-def: $sgpr20
	s_xor_b64 exec, exec, s[18:19]
	s_cbranch_execz .LBB40_2960
.LBB40_3163:
	v_add_f32_e32 v5, 0x42800000, v6
	v_and_b32_e32 v5, 0xff, v5
	v_cmp_ne_u32_e32 vcc, 0, v5
	s_andn2_b64 s[16:17], s[16:17], exec
	s_and_b64 s[24:25], vcc, exec
	s_mov_b32 s20, 0
	s_or_b64 s[16:17], s[16:17], s[24:25]
	s_or_b64 exec, exec, s[18:19]
	v_mov_b32_e32 v7, s20
	s_and_saveexec_b64 s[18:19], s[16:17]
	s_cbranch_execnz .LBB40_2961
	s_branch .LBB40_2962
.LBB40_3164:
	s_or_saveexec_b64 s[18:19], s[18:19]
                                        ; implicit-def: $sgpr20
	s_xor_b64 exec, exec, s[18:19]
	s_cbranch_execz .LBB40_3066
.LBB40_3165:
	v_add_f32_e32 v5, 0x46000000, v6
	v_and_b32_e32 v5, 0xff, v5
	v_cmp_ne_u32_e32 vcc, 0, v5
	s_andn2_b64 s[16:17], s[16:17], exec
	s_and_b64 s[22:23], vcc, exec
	s_mov_b32 s20, 0
	s_or_b64 s[16:17], s[16:17], s[22:23]
	s_or_b64 exec, exec, s[18:19]
	v_mov_b32_e32 v7, s20
	s_and_saveexec_b64 s[18:19], s[16:17]
	s_cbranch_execnz .LBB40_3067
	s_branch .LBB40_3068
.LBB40_3166:
	s_mov_b64 s[8:9], 0
	s_or_b64 s[14:15], s[14:15], exec
	s_trap 2
	s_branch .LBB40_3112
.LBB40_3167:
	s_or_saveexec_b64 s[16:17], s[16:17]
                                        ; implicit-def: $sgpr18
	s_xor_b64 exec, exec, s[16:17]
	s_cbranch_execz .LBB40_3078
.LBB40_3168:
	v_add_f32_e32 v5, 0x42800000, v6
	v_and_b32_e32 v5, 0xff, v5
	v_cmp_ne_u32_e32 vcc, 0, v5
	s_andn2_b64 s[10:11], s[10:11], exec
	s_and_b64 s[20:21], vcc, exec
	s_mov_b32 s18, 0
	s_or_b64 s[10:11], s[10:11], s[20:21]
	s_or_b64 exec, exec, s[16:17]
	v_mov_b32_e32 v7, s18
	s_and_saveexec_b64 s[16:17], s[10:11]
	s_cbranch_execnz .LBB40_3079
	s_branch .LBB40_3080
	.section	.rodata,"a",@progbits
	.p2align	6, 0x0
	.amdhsa_kernel _ZN2at6native32elementwise_kernel_manual_unrollILi128ELi4EZNS0_15gpu_kernel_implIZZZNS0_23launch_dirichlet_kernelERNS_18TensorIteratorBaseEENKUlvE_clEvENKUlvE0_clEvEUlffE_EEvS4_RKT_EUlibE0_EEviT1_
		.amdhsa_group_segment_fixed_size 0
		.amdhsa_private_segment_fixed_size 0
		.amdhsa_kernarg_size 432
		.amdhsa_user_sgpr_count 6
		.amdhsa_user_sgpr_private_segment_buffer 1
		.amdhsa_user_sgpr_dispatch_ptr 0
		.amdhsa_user_sgpr_queue_ptr 0
		.amdhsa_user_sgpr_kernarg_segment_ptr 1
		.amdhsa_user_sgpr_dispatch_id 0
		.amdhsa_user_sgpr_flat_scratch_init 0
		.amdhsa_user_sgpr_kernarg_preload_length 0
		.amdhsa_user_sgpr_kernarg_preload_offset 0
		.amdhsa_user_sgpr_private_segment_size 0
		.amdhsa_uses_dynamic_stack 0
		.amdhsa_system_sgpr_private_segment_wavefront_offset 0
		.amdhsa_system_sgpr_workgroup_id_x 1
		.amdhsa_system_sgpr_workgroup_id_y 0
		.amdhsa_system_sgpr_workgroup_id_z 0
		.amdhsa_system_sgpr_workgroup_info 0
		.amdhsa_system_vgpr_workitem_id 0
		.amdhsa_next_free_vgpr 26
		.amdhsa_next_free_sgpr 78
		.amdhsa_accum_offset 28
		.amdhsa_reserve_vcc 1
		.amdhsa_reserve_flat_scratch 0
		.amdhsa_float_round_mode_32 0
		.amdhsa_float_round_mode_16_64 0
		.amdhsa_float_denorm_mode_32 3
		.amdhsa_float_denorm_mode_16_64 3
		.amdhsa_dx10_clamp 1
		.amdhsa_ieee_mode 1
		.amdhsa_fp16_overflow 0
		.amdhsa_tg_split 0
		.amdhsa_exception_fp_ieee_invalid_op 0
		.amdhsa_exception_fp_denorm_src 0
		.amdhsa_exception_fp_ieee_div_zero 0
		.amdhsa_exception_fp_ieee_overflow 0
		.amdhsa_exception_fp_ieee_underflow 0
		.amdhsa_exception_fp_ieee_inexact 0
		.amdhsa_exception_int_div_zero 0
	.end_amdhsa_kernel
	.section	.text._ZN2at6native32elementwise_kernel_manual_unrollILi128ELi4EZNS0_15gpu_kernel_implIZZZNS0_23launch_dirichlet_kernelERNS_18TensorIteratorBaseEENKUlvE_clEvENKUlvE0_clEvEUlffE_EEvS4_RKT_EUlibE0_EEviT1_,"axG",@progbits,_ZN2at6native32elementwise_kernel_manual_unrollILi128ELi4EZNS0_15gpu_kernel_implIZZZNS0_23launch_dirichlet_kernelERNS_18TensorIteratorBaseEENKUlvE_clEvENKUlvE0_clEvEUlffE_EEvS4_RKT_EUlibE0_EEviT1_,comdat
.Lfunc_end40:
	.size	_ZN2at6native32elementwise_kernel_manual_unrollILi128ELi4EZNS0_15gpu_kernel_implIZZZNS0_23launch_dirichlet_kernelERNS_18TensorIteratorBaseEENKUlvE_clEvENKUlvE0_clEvEUlffE_EEvS4_RKT_EUlibE0_EEviT1_, .Lfunc_end40-_ZN2at6native32elementwise_kernel_manual_unrollILi128ELi4EZNS0_15gpu_kernel_implIZZZNS0_23launch_dirichlet_kernelERNS_18TensorIteratorBaseEENKUlvE_clEvENKUlvE0_clEvEUlffE_EEvS4_RKT_EUlibE0_EEviT1_
                                        ; -- End function
	.section	.AMDGPU.csdata,"",@progbits
; Kernel info:
; codeLenInByte = 58992
; NumSgprs: 82
; NumVgprs: 26
; NumAgprs: 0
; TotalNumVgprs: 26
; ScratchSize: 0
; MemoryBound: 1
; FloatMode: 240
; IeeeMode: 1
; LDSByteSize: 0 bytes/workgroup (compile time only)
; SGPRBlocks: 10
; VGPRBlocks: 3
; NumSGPRsForWavesPerEU: 82
; NumVGPRsForWavesPerEU: 26
; AccumOffset: 28
; Occupancy: 8
; WaveLimiterHint : 1
; COMPUTE_PGM_RSRC2:SCRATCH_EN: 0
; COMPUTE_PGM_RSRC2:USER_SGPR: 6
; COMPUTE_PGM_RSRC2:TRAP_HANDLER: 0
; COMPUTE_PGM_RSRC2:TGID_X_EN: 1
; COMPUTE_PGM_RSRC2:TGID_Y_EN: 0
; COMPUTE_PGM_RSRC2:TGID_Z_EN: 0
; COMPUTE_PGM_RSRC2:TIDIG_COMP_CNT: 0
; COMPUTE_PGM_RSRC3_GFX90A:ACCUM_OFFSET: 6
; COMPUTE_PGM_RSRC3_GFX90A:TG_SPLIT: 0
	.section	.text._ZN2at6native29vectorized_elementwise_kernelILi16EZZZNS0_23launch_dirichlet_kernelERNS_18TensorIteratorBaseEENKUlvE_clEvENKUlvE1_clEvEUlN3c104HalfES7_E_St5arrayIPcLm3EEEEviT0_T1_,"axG",@progbits,_ZN2at6native29vectorized_elementwise_kernelILi16EZZZNS0_23launch_dirichlet_kernelERNS_18TensorIteratorBaseEENKUlvE_clEvENKUlvE1_clEvEUlN3c104HalfES7_E_St5arrayIPcLm3EEEEviT0_T1_,comdat
	.globl	_ZN2at6native29vectorized_elementwise_kernelILi16EZZZNS0_23launch_dirichlet_kernelERNS_18TensorIteratorBaseEENKUlvE_clEvENKUlvE1_clEvEUlN3c104HalfES7_E_St5arrayIPcLm3EEEEviT0_T1_ ; -- Begin function _ZN2at6native29vectorized_elementwise_kernelILi16EZZZNS0_23launch_dirichlet_kernelERNS_18TensorIteratorBaseEENKUlvE_clEvENKUlvE1_clEvEUlN3c104HalfES7_E_St5arrayIPcLm3EEEEviT0_T1_
	.p2align	8
	.type	_ZN2at6native29vectorized_elementwise_kernelILi16EZZZNS0_23launch_dirichlet_kernelERNS_18TensorIteratorBaseEENKUlvE_clEvENKUlvE1_clEvEUlN3c104HalfES7_E_St5arrayIPcLm3EEEEviT0_T1_,@function
_ZN2at6native29vectorized_elementwise_kernelILi16EZZZNS0_23launch_dirichlet_kernelERNS_18TensorIteratorBaseEENKUlvE_clEvENKUlvE1_clEvEUlN3c104HalfES7_E_St5arrayIPcLm3EEEEviT0_T1_: ; @_ZN2at6native29vectorized_elementwise_kernelILi16EZZZNS0_23launch_dirichlet_kernelERNS_18TensorIteratorBaseEENKUlvE_clEvENKUlvE1_clEvEUlN3c104HalfES7_E_St5arrayIPcLm3EEEEviT0_T1_
; %bb.0:
	s_load_dword s0, s[4:5], 0x0
	s_load_dwordx4 s[8:11], s[4:5], 0x8
	s_load_dwordx2 s[12:13], s[4:5], 0x18
	s_lshl_b32 s2, s6, 11
	s_waitcnt lgkmcnt(0)
	s_sub_i32 s6, s0, s2
	s_cmpk_gt_i32 s6, 0x7ff
	s_mov_b64 s[0:1], -1
	s_cbranch_scc0 .LBB41_2
; %bb.1:
	s_ashr_i32 s3, s2, 31
	s_lshl_b64 s[0:1], s[2:3], 1
	s_add_u32 s4, s10, s0
	s_addc_u32 s5, s11, s1
	v_lshlrev_b32_e32 v1, 4, v0
	global_load_dwordx4 v[2:5], v1, s[4:5]
	s_add_u32 s4, s12, s0
	s_addc_u32 s5, s13, s1
	global_load_dwordx4 v[6:9], v1, s[4:5]
	s_movk_i32 s3, 0x400
	v_mov_b32_e32 v10, 0x400
	s_movk_i32 s4, 0x3bfe
	v_mov_b32_e32 v11, 0x3bfe
	s_add_u32 s0, s8, s0
	s_addc_u32 s1, s9, s1
	s_waitcnt vmcnt(1)
	v_cvt_f32_f16_e32 v12, v2
	v_lshrrev_b32_e32 v13, 16, v2
	v_cvt_f32_f16_e32 v19, v13
	s_waitcnt vmcnt(0)
	v_cvt_f32_f16_e32 v22, v6
	v_lshrrev_b32_e32 v23, 16, v6
	v_cvt_f32_f16_e32 v29, v23
	v_cvt_f32_f16_e32 v24, v7
	v_lshrrev_b32_e32 v25, 16, v7
	v_cvt_f32_f16_e32 v30, v25
	v_rcp_f32_e32 v32, v22
	v_rcp_f32_e32 v36, v29
	v_cvt_f32_f16_e32 v14, v3
	v_lshrrev_b32_e32 v15, 16, v3
	v_rcp_f32_e32 v33, v24
	v_cvt_f32_f16_e32 v20, v15
	v_rcp_f32_e32 v37, v30
	v_mul_f32_e32 v39, v12, v32
	v_mad_f32 v42, -v22, v39, v12
	v_mul_f32_e32 v43, v19, v36
	v_mul_f32_e32 v40, v14, v33
	v_mac_f32_e32 v39, v42, v32
	v_mad_f32 v42, -v29, v43, v19
	v_cvt_f32_f16_e32 v26, v8
	v_lshrrev_b32_e32 v27, 16, v8
	v_mad_f32 v44, -v24, v40, v14
	v_mul_f32_e32 v45, v20, v37
	v_mac_f32_e32 v43, v42, v36
	v_cvt_f32_f16_e32 v28, v9
	v_cvt_f32_f16_e32 v31, v27
	v_mac_f32_e32 v40, v44, v33
	v_mad_f32 v44, -v30, v45, v20
	v_mad_f32 v12, -v22, v39, v12
	;; [unrolled: 1-line block ×4, first 2 shown]
	v_mac_f32_e32 v45, v44, v37
	v_mul_f32_e32 v12, v12, v32
	v_mul_f32_e32 v19, v19, v36
	;; [unrolled: 1-line block ×3, first 2 shown]
	v_mad_f32 v20, -v30, v45, v20
	v_and_b32_e32 v12, 0xff800000, v12
	v_and_b32_e32 v19, 0xff800000, v19
	v_cvt_f32_f16_e32 v16, v4
	v_lshrrev_b32_e32 v17, 16, v4
	v_rcp_f32_e32 v34, v26
	v_and_b32_e32 v14, 0xff800000, v14
	v_mul_f32_e32 v20, v20, v37
	v_add_f32_e32 v12, v12, v39
	v_add_f32_e32 v19, v19, v43
	v_cvt_f32_f16_e32 v18, v5
	v_cvt_f32_f16_e32 v21, v17
	v_rcp_f32_e32 v35, v28
	v_rcp_f32_e32 v38, v31
	v_add_f32_e32 v14, v14, v40
	v_and_b32_e32 v20, 0xff800000, v20
	v_cvt_f16_f32_e32 v12, v12
	v_cvt_f16_f32_e32 v19, v19
	;; [unrolled: 1-line block ×3, first 2 shown]
	v_add_f32_e32 v20, v20, v45
	v_cvt_f16_f32_e32 v20, v20
	v_mul_f32_e32 v41, v16, v34
	v_mad_f32 v46, -v26, v41, v16
	v_mul_f32_e32 v47, v21, v38
	v_div_fixup_f16 v2, v12, v6, v2
	v_div_fixup_f16 v6, v19, v23, v13
	v_mul_f32_e32 v13, v18, v35
	v_mac_f32_e32 v41, v46, v34
	v_mad_f32 v46, -v31, v47, v21
	v_div_fixup_f16 v3, v14, v7, v3
	v_mad_f32 v14, -v28, v13, v18
	v_mac_f32_e32 v47, v46, v38
	v_div_fixup_f16 v7, v20, v25, v15
	v_mac_f32_e32 v13, v14, v35
	v_lshrrev_b32_e32 v15, 16, v9
	v_mad_f32 v21, -v31, v47, v21
	v_mad_f32 v14, -v28, v13, v18
	v_cvt_f32_f16_e32 v18, v15
	v_mul_f32_e32 v21, v21, v38
	v_and_b32_e32 v21, 0xff800000, v21
	v_add_f32_e32 v21, v21, v47
	v_lshrrev_b32_e32 v19, 16, v5
	v_cvt_f16_f32_e32 v12, v21
	v_cvt_f32_f16_e32 v20, v19
	v_rcp_f32_e32 v21, v18
	v_mul_f32_e32 v14, v14, v35
	v_and_b32_e32 v14, 0xff800000, v14
	v_add_f32_e32 v13, v14, v13
	v_mul_f32_e32 v14, v20, v21
	v_mad_f32 v22, -v18, v14, v20
	v_mac_f32_e32 v14, v22, v21
	v_mad_f32 v18, -v18, v14, v20
	v_cmp_ngt_f16_e32 vcc, s3, v3
	v_mul_f32_e32 v18, v18, v21
	v_mad_f32 v16, -v26, v41, v16
	v_cndmask_b32_e32 v3, v10, v3, vcc
	v_cmp_ngt_f16_e32 vcc, s3, v2
	v_and_b32_e32 v18, 0xff800000, v18
	v_mul_f32_e32 v16, v16, v34
	v_cndmask_b32_e32 v2, v10, v2, vcc
	v_cmp_ngt_f16_e32 vcc, s3, v7
	v_add_f32_e32 v14, v18, v14
	v_and_b32_e32 v16, 0xff800000, v16
	v_cndmask_b32_e32 v7, v10, v7, vcc
	v_cmp_ngt_f16_e32 vcc, s3, v6
	v_cvt_f16_f32_e32 v13, v13
	v_cvt_f16_f32_e32 v14, v14
	v_add_f32_e32 v16, v16, v41
	v_cndmask_b32_e32 v6, v10, v6, vcc
	v_cmp_nlt_f16_e32 vcc, s4, v2
	v_cvt_f16_f32_e32 v16, v16
	v_cndmask_b32_e32 v2, v11, v2, vcc
	v_cmp_nlt_f16_e32 vcc, s4, v3
	v_cndmask_b32_e32 v3, v11, v3, vcc
	v_cmp_nlt_f16_e32 vcc, s4, v6
	;; [unrolled: 2-line block ×3, first 2 shown]
	v_div_fixup_f16 v5, v13, v9, v5
	v_div_fixup_f16 v9, v14, v15, v19
	v_cndmask_b32_e32 v7, v11, v7, vcc
	v_cmp_ngt_f16_e32 vcc, s3, v9
	v_div_fixup_f16 v4, v16, v8, v4
	v_div_fixup_f16 v8, v12, v27, v17
	v_cndmask_b32_e32 v9, v10, v9, vcc
	v_cmp_ngt_f16_e32 vcc, s3, v5
	v_cndmask_b32_e32 v5, v10, v5, vcc
	v_cmp_ngt_f16_e32 vcc, s3, v8
	;; [unrolled: 2-line block ×3, first 2 shown]
	v_cndmask_b32_e32 v4, v10, v4, vcc
	v_cmp_nlt_f16_e32 vcc, s4, v4
	v_cndmask_b32_e32 v4, v11, v4, vcc
	v_cmp_nlt_f16_e32 vcc, s4, v8
	;; [unrolled: 2-line block ×4, first 2 shown]
	v_cndmask_b32_e32 v9, v11, v9, vcc
	s_mov_b32 s3, 0x5040100
	v_perm_b32 v5, v9, v5, s3
	v_perm_b32 v4, v8, v4, s3
	;; [unrolled: 1-line block ×4, first 2 shown]
	global_store_dwordx4 v1, v[2:5], s[0:1]
	s_mov_b64 s[0:1], 0
.LBB41_2:
	s_andn2_b64 vcc, exec, s[0:1]
	s_cbranch_vccnz .LBB41_43
; %bb.3:
	v_cmp_gt_i32_e32 vcc, s6, v0
	v_mov_b32_e32 v5, 0
	v_or_b32_e32 v2, s2, v0
	v_mov_b32_e32 v17, 0
	v_mov_b32_e32 v18, 0
	;; [unrolled: 1-line block ×3, first 2 shown]
	s_and_saveexec_b64 s[4:5], vcc
	s_cbranch_execz .LBB41_5
; %bb.4:
	v_mov_b32_e32 v3, 0
	v_lshlrev_b64 v[6:7], 1, v[2:3]
	v_mov_b32_e32 v1, s13
	v_add_co_u32_e64 v8, s[0:1], s12, v6
	v_addc_co_u32_e64 v9, s[0:1], v1, v7, s[0:1]
	v_mov_b32_e32 v1, s11
	v_add_co_u32_e64 v6, s[0:1], s10, v6
	v_addc_co_u32_e64 v7, s[0:1], v1, v7, s[0:1]
	global_load_ushort v17, v[6:7], off
	global_load_ushort v18, v[8:9], off
	v_or_b32_e32 v15, 0x100, v0
.LBB41_5:
	s_or_b64 exec, exec, s[4:5]
	v_cmp_gt_i32_e64 s[0:1], s6, v15
	v_mov_b32_e32 v16, 0
	s_and_saveexec_b64 s[4:5], s[0:1]
	s_cbranch_execz .LBB41_7
; %bb.6:
	v_add_u32_e32 v4, s2, v15
	v_mov_b32_e32 v5, 0
	v_lshlrev_b64 v[4:5], 1, v[4:5]
	v_mov_b32_e32 v1, s13
	v_add_co_u32_e64 v6, s[0:1], s12, v4
	v_addc_co_u32_e64 v7, s[0:1], v1, v5, s[0:1]
	v_mov_b32_e32 v1, s11
	v_add_co_u32_e64 v8, s[0:1], s10, v4
	v_addc_co_u32_e64 v9, s[0:1], v1, v5, s[0:1]
	global_load_ushort v5, v[8:9], off
	global_load_ushort v16, v[6:7], off
	v_add_u32_e32 v15, 0x100, v15
.LBB41_7:
	s_or_b64 exec, exec, s[4:5]
	v_cmp_gt_i32_e64 s[0:1], s6, v15
	v_mov_b32_e32 v4, 0
	v_mov_b32_e32 v13, 0
	v_mov_b32_e32 v14, 0
	s_and_saveexec_b64 s[4:5], s[0:1]
	s_cbranch_execz .LBB41_9
; %bb.8:
	v_add_u32_e32 v6, s2, v15
	v_mov_b32_e32 v7, 0
	v_lshlrev_b64 v[6:7], 1, v[6:7]
	v_mov_b32_e32 v1, s13
	v_add_co_u32_e64 v8, s[0:1], s12, v6
	v_addc_co_u32_e64 v9, s[0:1], v1, v7, s[0:1]
	v_mov_b32_e32 v1, s11
	v_add_co_u32_e64 v6, s[0:1], s10, v6
	v_addc_co_u32_e64 v7, s[0:1], v1, v7, s[0:1]
	global_load_ushort v13, v[6:7], off
	global_load_ushort v14, v[8:9], off
	v_add_u32_e32 v15, 0x100, v15
.LBB41_9:
	s_or_b64 exec, exec, s[4:5]
	v_cmp_gt_i32_e64 s[0:1], s6, v15
	v_mov_b32_e32 v10, 0
	s_and_saveexec_b64 s[4:5], s[0:1]
	s_cbranch_execz .LBB41_11
; %bb.10:
	v_add_u32_e32 v6, s2, v15
	v_mov_b32_e32 v7, 0
	v_lshlrev_b64 v[6:7], 1, v[6:7]
	v_mov_b32_e32 v1, s13
	v_add_co_u32_e64 v8, s[0:1], s12, v6
	v_addc_co_u32_e64 v9, s[0:1], v1, v7, s[0:1]
	v_mov_b32_e32 v1, s11
	v_add_co_u32_e64 v6, s[0:1], s10, v6
	v_addc_co_u32_e64 v7, s[0:1], v1, v7, s[0:1]
	global_load_ushort v4, v[6:7], off
	global_load_ushort v10, v[8:9], off
	v_add_u32_e32 v15, 0x100, v15
.LBB41_11:
	s_or_b64 exec, exec, s[4:5]
	v_cmp_gt_i32_e64 s[0:1], s6, v15
	v_mov_b32_e32 v3, 0
	v_mov_b32_e32 v11, 0
	v_mov_b32_e32 v12, 0
	s_and_saveexec_b64 s[4:5], s[0:1]
	s_cbranch_execz .LBB41_13
; %bb.12:
	v_add_u32_e32 v6, s2, v15
	v_mov_b32_e32 v7, 0
	v_lshlrev_b64 v[6:7], 1, v[6:7]
	v_mov_b32_e32 v1, s13
	v_add_co_u32_e64 v8, s[0:1], s12, v6
	v_addc_co_u32_e64 v9, s[0:1], v1, v7, s[0:1]
	v_mov_b32_e32 v1, s11
	v_add_co_u32_e64 v6, s[0:1], s10, v6
	v_addc_co_u32_e64 v7, s[0:1], v1, v7, s[0:1]
	global_load_ushort v11, v[6:7], off
	global_load_ushort v12, v[8:9], off
	v_add_u32_e32 v15, 0x100, v15
.LBB41_13:
	;; [unrolled: 40-line block ×3, first 2 shown]
	s_or_b64 exec, exec, s[4:5]
	v_cmp_gt_i32_e64 s[0:1], s6, v15
	v_mov_b32_e32 v6, 0
	s_and_saveexec_b64 s[4:5], s[0:1]
	s_cbranch_execz .LBB41_19
; %bb.18:
	v_add_u32_e32 v20, s2, v15
	v_mov_b32_e32 v21, 0
	v_lshlrev_b64 v[20:21], 1, v[20:21]
	v_mov_b32_e32 v1, s13
	v_add_co_u32_e64 v22, s[0:1], s12, v20
	v_addc_co_u32_e64 v23, s[0:1], v1, v21, s[0:1]
	v_mov_b32_e32 v1, s11
	v_add_co_u32_e64 v20, s[0:1], s10, v20
	v_addc_co_u32_e64 v21, s[0:1], v1, v21, s[0:1]
	global_load_ushort v1, v[20:21], off
	global_load_ushort v6, v[22:23], off
.LBB41_19:
	s_or_b64 exec, exec, s[4:5]
                                        ; implicit-def: $vgpr15
	s_and_saveexec_b64 s[4:5], vcc
	s_cbranch_execz .LBB41_21
; %bb.20:
	s_waitcnt vmcnt(0)
	v_cvt_f32_f16_e32 v15, v18
	v_cvt_f32_f16_e32 v19, v17
	s_movk_i32 s0, 0x400
	s_movk_i32 s3, 0x3bfe
	v_rcp_f32_e32 v20, v15
	v_mul_f32_e32 v21, v19, v20
	v_mad_f32 v22, -v15, v21, v19
	v_mac_f32_e32 v21, v22, v20
	v_mad_f32 v15, -v15, v21, v19
	v_mul_f32_e32 v15, v15, v20
	v_and_b32_e32 v15, 0xff800000, v15
	v_add_f32_e32 v15, v15, v21
	v_cvt_f16_f32_e32 v15, v15
	v_mov_b32_e32 v19, 0x400
	v_mov_b32_e32 v20, 0x3bfe
	v_div_fixup_f16 v15, v15, v18, v17
	v_cmp_ngt_f16_e64 s[0:1], s0, v15
	v_cndmask_b32_e64 v15, v19, v15, s[0:1]
	v_cmp_nlt_f16_e64 s[0:1], s3, v15
	v_cndmask_b32_e64 v15, v20, v15, s[0:1]
.LBB41_21:
	s_or_b64 exec, exec, s[4:5]
	s_waitcnt vmcnt(1)
	v_or_b32_e32 v17, 0x100, v0
	v_cmp_gt_i32_e64 s[0:1], s6, v17
                                        ; implicit-def: $vgpr18
	s_and_saveexec_b64 s[4:5], s[0:1]
	s_cbranch_execz .LBB41_23
; %bb.22:
	s_waitcnt vmcnt(0)
	v_cvt_f32_f16_e32 v18, v16
	v_cvt_f32_f16_e32 v19, v5
	s_movk_i32 s0, 0x400
	s_movk_i32 s3, 0x3bfe
	v_rcp_f32_e32 v20, v18
	v_mul_f32_e32 v21, v19, v20
	v_mad_f32 v22, -v18, v21, v19
	v_mac_f32_e32 v21, v22, v20
	v_mad_f32 v18, -v18, v21, v19
	v_mul_f32_e32 v18, v18, v20
	v_and_b32_e32 v18, 0xff800000, v18
	v_add_f32_e32 v18, v18, v21
	v_cvt_f16_f32_e32 v18, v18
	v_mov_b32_e32 v19, 0x400
	v_mov_b32_e32 v20, 0x3bfe
	v_div_fixup_f16 v5, v18, v16, v5
	v_cmp_ngt_f16_e64 s[0:1], s0, v5
	v_cndmask_b32_e64 v5, v19, v5, s[0:1]
	v_cmp_nlt_f16_e64 s[0:1], s3, v5
	v_cndmask_b32_e64 v18, v20, v5, s[0:1]
.LBB41_23:
	s_or_b64 exec, exec, s[4:5]
	v_or_b32_e32 v5, 0x200, v0
	v_cmp_gt_i32_e64 s[0:1], s6, v5
                                        ; implicit-def: $vgpr5
	s_and_saveexec_b64 s[4:5], s[0:1]
	s_cbranch_execz .LBB41_25
; %bb.24:
	s_waitcnt vmcnt(0)
	v_cvt_f32_f16_e32 v5, v14
	v_cvt_f32_f16_e32 v16, v13
	s_movk_i32 s0, 0x400
	s_movk_i32 s3, 0x3bfe
	v_rcp_f32_e32 v19, v5
	v_mul_f32_e32 v20, v16, v19
	v_mad_f32 v21, -v5, v20, v16
	v_mac_f32_e32 v20, v21, v19
	v_mad_f32 v5, -v5, v20, v16
	v_mul_f32_e32 v5, v5, v19
	v_and_b32_e32 v5, 0xff800000, v5
	v_add_f32_e32 v5, v5, v20
	v_cvt_f16_f32_e32 v5, v5
	v_mov_b32_e32 v16, 0x400
	v_mov_b32_e32 v19, 0x3bfe
	v_div_fixup_f16 v5, v5, v14, v13
	v_cmp_ngt_f16_e64 s[0:1], s0, v5
	v_cndmask_b32_e64 v5, v16, v5, s[0:1]
	v_cmp_nlt_f16_e64 s[0:1], s3, v5
	v_cndmask_b32_e64 v5, v19, v5, s[0:1]
.LBB41_25:
	s_or_b64 exec, exec, s[4:5]
	v_or_b32_e32 v13, 0x300, v0
	v_cmp_gt_i32_e64 s[0:1], s6, v13
                                        ; implicit-def: $vgpr13
	s_and_saveexec_b64 s[4:5], s[0:1]
	s_cbranch_execz .LBB41_27
; %bb.26:
	s_waitcnt vmcnt(0)
	v_cvt_f32_f16_e32 v13, v10
	v_cvt_f32_f16_e32 v14, v4
	s_movk_i32 s0, 0x400
	s_movk_i32 s3, 0x3bfe
	v_rcp_f32_e32 v16, v13
	v_mul_f32_e32 v19, v14, v16
	v_mad_f32 v20, -v13, v19, v14
	v_mac_f32_e32 v19, v20, v16
	v_mad_f32 v13, -v13, v19, v14
	v_mul_f32_e32 v13, v13, v16
	v_and_b32_e32 v13, 0xff800000, v13
	v_add_f32_e32 v13, v13, v19
	v_cvt_f16_f32_e32 v13, v13
	v_mov_b32_e32 v14, 0x400
	v_mov_b32_e32 v16, 0x3bfe
	v_div_fixup_f16 v4, v13, v10, v4
	v_cmp_ngt_f16_e64 s[0:1], s0, v4
	v_cndmask_b32_e64 v4, v14, v4, s[0:1]
	v_cmp_nlt_f16_e64 s[0:1], s3, v4
	v_cndmask_b32_e64 v13, v16, v4, s[0:1]
.LBB41_27:
	s_or_b64 exec, exec, s[4:5]
	v_or_b32_e32 v4, 0x400, v0
	s_movk_i32 s3, 0x400
	v_cmp_gt_i32_e64 s[0:1], s6, v4
                                        ; implicit-def: $vgpr4
	s_and_saveexec_b64 s[4:5], s[0:1]
	s_cbranch_execz .LBB41_29
; %bb.28:
	s_waitcnt vmcnt(0)
	v_cvt_f32_f16_e32 v4, v12
	v_cvt_f32_f16_e32 v10, v11
	s_movk_i32 s7, 0x3bfe
	v_rcp_f32_e32 v14, v4
	v_mul_f32_e32 v16, v10, v14
	v_mad_f32 v19, -v4, v16, v10
	v_mac_f32_e32 v16, v19, v14
	v_mad_f32 v4, -v4, v16, v10
	v_mul_f32_e32 v4, v4, v14
	v_and_b32_e32 v4, 0xff800000, v4
	v_add_f32_e32 v4, v4, v16
	v_cvt_f16_f32_e32 v4, v4
	v_mov_b32_e32 v10, 0x400
	v_mov_b32_e32 v14, 0x3bfe
	v_div_fixup_f16 v4, v4, v12, v11
	v_cmp_ngt_f16_e64 s[0:1], s3, v4
	v_cndmask_b32_e64 v4, v10, v4, s[0:1]
	v_cmp_nlt_f16_e64 s[0:1], s7, v4
	v_cndmask_b32_e64 v4, v14, v4, s[0:1]
.LBB41_29:
	s_or_b64 exec, exec, s[4:5]
	s_waitcnt vmcnt(0)
	v_or_b32_e32 v10, 0x500, v0
	v_cmp_gt_i32_e64 s[0:1], s6, v10
                                        ; implicit-def: $vgpr10
	s_and_saveexec_b64 s[4:5], s[0:1]
	s_cbranch_execz .LBB41_31
; %bb.30:
	v_cvt_f32_f16_e32 v10, v9
	v_cvt_f32_f16_e32 v11, v3
	s_movk_i32 s0, 0x400
	s_movk_i32 s3, 0x3bfe
	v_rcp_f32_e32 v12, v10
	v_mul_f32_e32 v14, v11, v12
	v_mad_f32 v16, -v10, v14, v11
	v_mac_f32_e32 v14, v16, v12
	v_mad_f32 v10, -v10, v14, v11
	v_mul_f32_e32 v10, v10, v12
	v_and_b32_e32 v10, 0xff800000, v10
	v_add_f32_e32 v10, v10, v14
	v_cvt_f16_f32_e32 v10, v10
	v_mov_b32_e32 v11, 0x400
	v_mov_b32_e32 v12, 0x3bfe
	v_div_fixup_f16 v3, v10, v9, v3
	v_cmp_ngt_f16_e64 s[0:1], s0, v3
	v_cndmask_b32_e64 v3, v11, v3, s[0:1]
	v_cmp_nlt_f16_e64 s[0:1], s3, v3
	v_cndmask_b32_e64 v10, v12, v3, s[0:1]
.LBB41_31:
	s_or_b64 exec, exec, s[4:5]
	v_or_b32_e32 v3, 0x600, v0
	v_cmp_gt_i32_e64 s[0:1], s6, v3
                                        ; implicit-def: $vgpr9
	s_and_saveexec_b64 s[4:5], s[0:1]
	s_cbranch_execz .LBB41_33
; %bb.32:
	v_cvt_f32_f16_e32 v3, v8
	v_cvt_f32_f16_e32 v9, v7
	s_movk_i32 s0, 0x400
	s_movk_i32 s3, 0x3bfe
	v_rcp_f32_e32 v11, v3
	v_mul_f32_e32 v12, v9, v11
	v_mad_f32 v14, -v3, v12, v9
	v_mac_f32_e32 v12, v14, v11
	v_mad_f32 v3, -v3, v12, v9
	v_mul_f32_e32 v3, v3, v11
	v_and_b32_e32 v3, 0xff800000, v3
	v_add_f32_e32 v3, v3, v12
	v_cvt_f16_f32_e32 v3, v3
	v_mov_b32_e32 v9, 0x400
	v_mov_b32_e32 v11, 0x3bfe
	v_div_fixup_f16 v3, v3, v8, v7
	v_cmp_ngt_f16_e64 s[0:1], s0, v3
	v_cndmask_b32_e64 v3, v9, v3, s[0:1]
	v_cmp_nlt_f16_e64 s[0:1], s3, v3
	v_cndmask_b32_e64 v9, v11, v3, s[0:1]
.LBB41_33:
	s_or_b64 exec, exec, s[4:5]
	v_or_b32_e32 v3, 0x700, v0
	v_cmp_gt_i32_e64 s[0:1], s6, v3
                                        ; implicit-def: $vgpr7
	s_and_saveexec_b64 s[4:5], s[0:1]
	s_cbranch_execnz .LBB41_44
; %bb.34:
	s_or_b64 exec, exec, s[4:5]
	s_and_saveexec_b64 s[0:1], vcc
	s_xor_b64 s[0:1], exec, s[0:1]
	s_cbranch_execnz .LBB41_45
.LBB41_35:
	s_or_b64 exec, exec, s[0:1]
	v_cmp_gt_i32_e32 vcc, s6, v0
	s_and_saveexec_b64 s[0:1], vcc
	s_cbranch_execnz .LBB41_46
.LBB41_36:
	s_or_b64 exec, exec, s[0:1]
	v_cmp_gt_i32_e32 vcc, s6, v0
	s_and_saveexec_b64 s[0:1], vcc
	s_cbranch_execnz .LBB41_47
.LBB41_37:
	s_or_b64 exec, exec, s[0:1]
	v_cmp_gt_i32_e32 vcc, s6, v0
	s_and_saveexec_b64 s[0:1], vcc
	s_cbranch_execnz .LBB41_48
.LBB41_38:
	s_or_b64 exec, exec, s[0:1]
	v_cmp_gt_i32_e32 vcc, s6, v0
	s_and_saveexec_b64 s[0:1], vcc
	s_cbranch_execnz .LBB41_49
.LBB41_39:
	s_or_b64 exec, exec, s[0:1]
	v_cmp_gt_i32_e32 vcc, s6, v0
	s_and_saveexec_b64 s[0:1], vcc
	s_cbranch_execnz .LBB41_50
.LBB41_40:
	s_or_b64 exec, exec, s[0:1]
	v_cmp_gt_i32_e32 vcc, s6, v0
	s_and_saveexec_b64 s[0:1], vcc
	s_cbranch_execnz .LBB41_51
.LBB41_41:
	s_or_b64 exec, exec, s[0:1]
	v_cmp_gt_i32_e32 vcc, s6, v0
	s_and_saveexec_b64 s[0:1], vcc
	s_cbranch_execz .LBB41_43
.LBB41_42:
	v_add_u32_e32 v0, s2, v0
	v_mov_b32_e32 v1, 0
	v_lshlrev_b64 v[0:1], 1, v[0:1]
	v_mov_b32_e32 v2, s9
	v_add_co_u32_e32 v0, vcc, s8, v0
	v_addc_co_u32_e32 v1, vcc, v2, v1, vcc
	global_store_short v[0:1], v7, off
.LBB41_43:
	s_endpgm
.LBB41_44:
	v_cvt_f32_f16_e32 v3, v6
	v_cvt_f32_f16_e32 v7, v1
	s_movk_i32 s0, 0x400
	s_movk_i32 s3, 0x3bfe
	v_rcp_f32_e32 v8, v3
	v_mul_f32_e32 v11, v7, v8
	v_mad_f32 v12, -v3, v11, v7
	v_mac_f32_e32 v11, v12, v8
	v_mad_f32 v3, -v3, v11, v7
	v_mul_f32_e32 v3, v3, v8
	v_and_b32_e32 v3, 0xff800000, v3
	v_add_f32_e32 v3, v3, v11
	v_cvt_f16_f32_e32 v3, v3
	v_mov_b32_e32 v7, 0x400
	v_mov_b32_e32 v8, 0x3bfe
	v_div_fixup_f16 v1, v3, v6, v1
	v_cmp_ngt_f16_e64 s[0:1], s0, v1
	v_cndmask_b32_e64 v1, v7, v1, s[0:1]
	v_cmp_nlt_f16_e64 s[0:1], s3, v1
	v_cndmask_b32_e64 v7, v8, v1, s[0:1]
	s_or_b64 exec, exec, s[4:5]
	s_and_saveexec_b64 s[0:1], vcc
	s_xor_b64 s[0:1], exec, s[0:1]
	s_cbranch_execz .LBB41_35
.LBB41_45:
	v_mov_b32_e32 v3, 0
	v_lshlrev_b64 v[0:1], 1, v[2:3]
	v_mov_b32_e32 v2, s9
	v_add_co_u32_e32 v0, vcc, s8, v0
	v_addc_co_u32_e32 v1, vcc, v2, v1, vcc
	global_store_short v[0:1], v15, off
	v_mov_b32_e32 v0, v17
	s_or_b64 exec, exec, s[0:1]
	v_cmp_gt_i32_e32 vcc, s6, v0
	s_and_saveexec_b64 s[0:1], vcc
	s_cbranch_execz .LBB41_36
.LBB41_46:
	v_add_u32_e32 v2, s2, v0
	v_mov_b32_e32 v3, 0
	v_lshlrev_b64 v[2:3], 1, v[2:3]
	v_mov_b32_e32 v1, s9
	v_add_co_u32_e32 v2, vcc, s8, v2
	v_addc_co_u32_e32 v3, vcc, v1, v3, vcc
	v_add_u32_e32 v0, 0x100, v0
	global_store_short v[2:3], v18, off
	s_or_b64 exec, exec, s[0:1]
	v_cmp_gt_i32_e32 vcc, s6, v0
	s_and_saveexec_b64 s[0:1], vcc
	s_cbranch_execz .LBB41_37
.LBB41_47:
	v_add_u32_e32 v2, s2, v0
	v_mov_b32_e32 v3, 0
	v_lshlrev_b64 v[2:3], 1, v[2:3]
	v_mov_b32_e32 v1, s9
	v_add_co_u32_e32 v2, vcc, s8, v2
	v_addc_co_u32_e32 v3, vcc, v1, v3, vcc
	v_add_u32_e32 v0, 0x100, v0
	global_store_short v[2:3], v5, off
	s_or_b64 exec, exec, s[0:1]
	v_cmp_gt_i32_e32 vcc, s6, v0
	s_and_saveexec_b64 s[0:1], vcc
	s_cbranch_execz .LBB41_38
.LBB41_48:
	v_add_u32_e32 v2, s2, v0
	v_mov_b32_e32 v3, 0
	v_lshlrev_b64 v[2:3], 1, v[2:3]
	v_mov_b32_e32 v1, s9
	v_add_co_u32_e32 v2, vcc, s8, v2
	v_addc_co_u32_e32 v3, vcc, v1, v3, vcc
	v_add_u32_e32 v0, 0x100, v0
	global_store_short v[2:3], v13, off
	s_or_b64 exec, exec, s[0:1]
	v_cmp_gt_i32_e32 vcc, s6, v0
	s_and_saveexec_b64 s[0:1], vcc
	s_cbranch_execz .LBB41_39
.LBB41_49:
	v_add_u32_e32 v2, s2, v0
	v_mov_b32_e32 v3, 0
	v_lshlrev_b64 v[2:3], 1, v[2:3]
	v_mov_b32_e32 v1, s9
	v_add_co_u32_e32 v2, vcc, s8, v2
	v_addc_co_u32_e32 v3, vcc, v1, v3, vcc
	v_add_u32_e32 v0, 0x100, v0
	global_store_short v[2:3], v4, off
	s_or_b64 exec, exec, s[0:1]
	v_cmp_gt_i32_e32 vcc, s6, v0
	s_and_saveexec_b64 s[0:1], vcc
	s_cbranch_execz .LBB41_40
.LBB41_50:
	v_add_u32_e32 v2, s2, v0
	v_mov_b32_e32 v3, 0
	v_lshlrev_b64 v[2:3], 1, v[2:3]
	v_mov_b32_e32 v1, s9
	v_add_co_u32_e32 v2, vcc, s8, v2
	v_addc_co_u32_e32 v3, vcc, v1, v3, vcc
	v_add_u32_e32 v0, 0x100, v0
	global_store_short v[2:3], v10, off
	s_or_b64 exec, exec, s[0:1]
	v_cmp_gt_i32_e32 vcc, s6, v0
	s_and_saveexec_b64 s[0:1], vcc
	s_cbranch_execz .LBB41_41
.LBB41_51:
	v_add_u32_e32 v2, s2, v0
	v_mov_b32_e32 v3, 0
	v_lshlrev_b64 v[2:3], 1, v[2:3]
	v_mov_b32_e32 v1, s9
	v_add_co_u32_e32 v2, vcc, s8, v2
	v_addc_co_u32_e32 v3, vcc, v1, v3, vcc
	v_add_u32_e32 v0, 0x100, v0
	global_store_short v[2:3], v9, off
	s_or_b64 exec, exec, s[0:1]
	v_cmp_gt_i32_e32 vcc, s6, v0
	s_and_saveexec_b64 s[0:1], vcc
	s_cbranch_execnz .LBB41_42
	s_branch .LBB41_43
	.section	.rodata,"a",@progbits
	.p2align	6, 0x0
	.amdhsa_kernel _ZN2at6native29vectorized_elementwise_kernelILi16EZZZNS0_23launch_dirichlet_kernelERNS_18TensorIteratorBaseEENKUlvE_clEvENKUlvE1_clEvEUlN3c104HalfES7_E_St5arrayIPcLm3EEEEviT0_T1_
		.amdhsa_group_segment_fixed_size 0
		.amdhsa_private_segment_fixed_size 0
		.amdhsa_kernarg_size 32
		.amdhsa_user_sgpr_count 6
		.amdhsa_user_sgpr_private_segment_buffer 1
		.amdhsa_user_sgpr_dispatch_ptr 0
		.amdhsa_user_sgpr_queue_ptr 0
		.amdhsa_user_sgpr_kernarg_segment_ptr 1
		.amdhsa_user_sgpr_dispatch_id 0
		.amdhsa_user_sgpr_flat_scratch_init 0
		.amdhsa_user_sgpr_kernarg_preload_length 0
		.amdhsa_user_sgpr_kernarg_preload_offset 0
		.amdhsa_user_sgpr_private_segment_size 0
		.amdhsa_uses_dynamic_stack 0
		.amdhsa_system_sgpr_private_segment_wavefront_offset 0
		.amdhsa_system_sgpr_workgroup_id_x 1
		.amdhsa_system_sgpr_workgroup_id_y 0
		.amdhsa_system_sgpr_workgroup_id_z 0
		.amdhsa_system_sgpr_workgroup_info 0
		.amdhsa_system_vgpr_workitem_id 0
		.amdhsa_next_free_vgpr 48
		.amdhsa_next_free_sgpr 14
		.amdhsa_accum_offset 48
		.amdhsa_reserve_vcc 1
		.amdhsa_reserve_flat_scratch 0
		.amdhsa_float_round_mode_32 0
		.amdhsa_float_round_mode_16_64 0
		.amdhsa_float_denorm_mode_32 3
		.amdhsa_float_denorm_mode_16_64 3
		.amdhsa_dx10_clamp 1
		.amdhsa_ieee_mode 1
		.amdhsa_fp16_overflow 0
		.amdhsa_tg_split 0
		.amdhsa_exception_fp_ieee_invalid_op 0
		.amdhsa_exception_fp_denorm_src 0
		.amdhsa_exception_fp_ieee_div_zero 0
		.amdhsa_exception_fp_ieee_overflow 0
		.amdhsa_exception_fp_ieee_underflow 0
		.amdhsa_exception_fp_ieee_inexact 0
		.amdhsa_exception_int_div_zero 0
	.end_amdhsa_kernel
	.section	.text._ZN2at6native29vectorized_elementwise_kernelILi16EZZZNS0_23launch_dirichlet_kernelERNS_18TensorIteratorBaseEENKUlvE_clEvENKUlvE1_clEvEUlN3c104HalfES7_E_St5arrayIPcLm3EEEEviT0_T1_,"axG",@progbits,_ZN2at6native29vectorized_elementwise_kernelILi16EZZZNS0_23launch_dirichlet_kernelERNS_18TensorIteratorBaseEENKUlvE_clEvENKUlvE1_clEvEUlN3c104HalfES7_E_St5arrayIPcLm3EEEEviT0_T1_,comdat
.Lfunc_end41:
	.size	_ZN2at6native29vectorized_elementwise_kernelILi16EZZZNS0_23launch_dirichlet_kernelERNS_18TensorIteratorBaseEENKUlvE_clEvENKUlvE1_clEvEUlN3c104HalfES7_E_St5arrayIPcLm3EEEEviT0_T1_, .Lfunc_end41-_ZN2at6native29vectorized_elementwise_kernelILi16EZZZNS0_23launch_dirichlet_kernelERNS_18TensorIteratorBaseEENKUlvE_clEvENKUlvE1_clEvEUlN3c104HalfES7_E_St5arrayIPcLm3EEEEviT0_T1_
                                        ; -- End function
	.section	.AMDGPU.csdata,"",@progbits
; Kernel info:
; codeLenInByte = 3512
; NumSgprs: 18
; NumVgprs: 48
; NumAgprs: 0
; TotalNumVgprs: 48
; ScratchSize: 0
; MemoryBound: 0
; FloatMode: 240
; IeeeMode: 1
; LDSByteSize: 0 bytes/workgroup (compile time only)
; SGPRBlocks: 2
; VGPRBlocks: 5
; NumSGPRsForWavesPerEU: 18
; NumVGPRsForWavesPerEU: 48
; AccumOffset: 48
; Occupancy: 8
; WaveLimiterHint : 0
; COMPUTE_PGM_RSRC2:SCRATCH_EN: 0
; COMPUTE_PGM_RSRC2:USER_SGPR: 6
; COMPUTE_PGM_RSRC2:TRAP_HANDLER: 0
; COMPUTE_PGM_RSRC2:TGID_X_EN: 1
; COMPUTE_PGM_RSRC2:TGID_Y_EN: 0
; COMPUTE_PGM_RSRC2:TGID_Z_EN: 0
; COMPUTE_PGM_RSRC2:TIDIG_COMP_CNT: 0
; COMPUTE_PGM_RSRC3_GFX90A:ACCUM_OFFSET: 11
; COMPUTE_PGM_RSRC3_GFX90A:TG_SPLIT: 0
	.section	.text._ZN2at6native29vectorized_elementwise_kernelILi8EZZZNS0_23launch_dirichlet_kernelERNS_18TensorIteratorBaseEENKUlvE_clEvENKUlvE1_clEvEUlN3c104HalfES7_E_St5arrayIPcLm3EEEEviT0_T1_,"axG",@progbits,_ZN2at6native29vectorized_elementwise_kernelILi8EZZZNS0_23launch_dirichlet_kernelERNS_18TensorIteratorBaseEENKUlvE_clEvENKUlvE1_clEvEUlN3c104HalfES7_E_St5arrayIPcLm3EEEEviT0_T1_,comdat
	.globl	_ZN2at6native29vectorized_elementwise_kernelILi8EZZZNS0_23launch_dirichlet_kernelERNS_18TensorIteratorBaseEENKUlvE_clEvENKUlvE1_clEvEUlN3c104HalfES7_E_St5arrayIPcLm3EEEEviT0_T1_ ; -- Begin function _ZN2at6native29vectorized_elementwise_kernelILi8EZZZNS0_23launch_dirichlet_kernelERNS_18TensorIteratorBaseEENKUlvE_clEvENKUlvE1_clEvEUlN3c104HalfES7_E_St5arrayIPcLm3EEEEviT0_T1_
	.p2align	8
	.type	_ZN2at6native29vectorized_elementwise_kernelILi8EZZZNS0_23launch_dirichlet_kernelERNS_18TensorIteratorBaseEENKUlvE_clEvENKUlvE1_clEvEUlN3c104HalfES7_E_St5arrayIPcLm3EEEEviT0_T1_,@function
_ZN2at6native29vectorized_elementwise_kernelILi8EZZZNS0_23launch_dirichlet_kernelERNS_18TensorIteratorBaseEENKUlvE_clEvENKUlvE1_clEvEUlN3c104HalfES7_E_St5arrayIPcLm3EEEEviT0_T1_: ; @_ZN2at6native29vectorized_elementwise_kernelILi8EZZZNS0_23launch_dirichlet_kernelERNS_18TensorIteratorBaseEENKUlvE_clEvENKUlvE1_clEvEUlN3c104HalfES7_E_St5arrayIPcLm3EEEEviT0_T1_
; %bb.0:
	s_load_dword s0, s[4:5], 0x0
	s_load_dwordx4 s[8:11], s[4:5], 0x8
	s_load_dwordx2 s[12:13], s[4:5], 0x18
	s_lshl_b32 s2, s6, 11
	s_waitcnt lgkmcnt(0)
	s_sub_i32 s6, s0, s2
	s_cmpk_gt_i32 s6, 0x7ff
	s_mov_b64 s[0:1], -1
	s_cbranch_scc0 .LBB42_2
; %bb.1:
	s_ashr_i32 s3, s2, 31
	s_lshl_b64 s[0:1], s[2:3], 1
	s_add_u32 s4, s10, s0
	s_addc_u32 s5, s11, s1
	v_lshlrev_b32_e32 v1, 4, v0
	global_load_dwordx4 v[2:5], v1, s[4:5]
	s_add_u32 s4, s12, s0
	s_addc_u32 s5, s13, s1
	global_load_dwordx4 v[6:9], v1, s[4:5]
	s_movk_i32 s3, 0x400
	v_mov_b32_e32 v10, 0x400
	s_movk_i32 s4, 0x3bfe
	v_mov_b32_e32 v11, 0x3bfe
	s_add_u32 s0, s8, s0
	s_addc_u32 s1, s9, s1
	s_waitcnt vmcnt(1)
	v_cvt_f32_f16_e32 v12, v2
	v_lshrrev_b32_e32 v13, 16, v2
	v_cvt_f32_f16_e32 v19, v13
	s_waitcnt vmcnt(0)
	v_cvt_f32_f16_e32 v22, v6
	v_lshrrev_b32_e32 v23, 16, v6
	v_cvt_f32_f16_e32 v29, v23
	v_cvt_f32_f16_e32 v24, v7
	v_lshrrev_b32_e32 v25, 16, v7
	v_cvt_f32_f16_e32 v30, v25
	v_rcp_f32_e32 v32, v22
	v_rcp_f32_e32 v36, v29
	v_cvt_f32_f16_e32 v14, v3
	v_lshrrev_b32_e32 v15, 16, v3
	v_rcp_f32_e32 v33, v24
	v_cvt_f32_f16_e32 v20, v15
	v_rcp_f32_e32 v37, v30
	v_mul_f32_e32 v39, v12, v32
	v_mad_f32 v42, -v22, v39, v12
	v_mul_f32_e32 v43, v19, v36
	v_mul_f32_e32 v40, v14, v33
	v_mac_f32_e32 v39, v42, v32
	v_mad_f32 v42, -v29, v43, v19
	v_cvt_f32_f16_e32 v26, v8
	v_lshrrev_b32_e32 v27, 16, v8
	v_mad_f32 v44, -v24, v40, v14
	v_mul_f32_e32 v45, v20, v37
	v_mac_f32_e32 v43, v42, v36
	v_cvt_f32_f16_e32 v28, v9
	v_cvt_f32_f16_e32 v31, v27
	v_mac_f32_e32 v40, v44, v33
	v_mad_f32 v44, -v30, v45, v20
	v_mad_f32 v12, -v22, v39, v12
	;; [unrolled: 1-line block ×4, first 2 shown]
	v_mac_f32_e32 v45, v44, v37
	v_mul_f32_e32 v12, v12, v32
	v_mul_f32_e32 v19, v19, v36
	;; [unrolled: 1-line block ×3, first 2 shown]
	v_mad_f32 v20, -v30, v45, v20
	v_and_b32_e32 v12, 0xff800000, v12
	v_and_b32_e32 v19, 0xff800000, v19
	v_cvt_f32_f16_e32 v16, v4
	v_lshrrev_b32_e32 v17, 16, v4
	v_rcp_f32_e32 v34, v26
	v_and_b32_e32 v14, 0xff800000, v14
	v_mul_f32_e32 v20, v20, v37
	v_add_f32_e32 v12, v12, v39
	v_add_f32_e32 v19, v19, v43
	v_cvt_f32_f16_e32 v18, v5
	v_cvt_f32_f16_e32 v21, v17
	v_rcp_f32_e32 v35, v28
	v_rcp_f32_e32 v38, v31
	v_add_f32_e32 v14, v14, v40
	v_and_b32_e32 v20, 0xff800000, v20
	v_cvt_f16_f32_e32 v12, v12
	v_cvt_f16_f32_e32 v19, v19
	;; [unrolled: 1-line block ×3, first 2 shown]
	v_add_f32_e32 v20, v20, v45
	v_cvt_f16_f32_e32 v20, v20
	v_mul_f32_e32 v41, v16, v34
	v_mad_f32 v46, -v26, v41, v16
	v_mul_f32_e32 v47, v21, v38
	v_div_fixup_f16 v2, v12, v6, v2
	v_div_fixup_f16 v6, v19, v23, v13
	v_mul_f32_e32 v13, v18, v35
	v_mac_f32_e32 v41, v46, v34
	v_mad_f32 v46, -v31, v47, v21
	v_div_fixup_f16 v3, v14, v7, v3
	v_mad_f32 v14, -v28, v13, v18
	v_mac_f32_e32 v47, v46, v38
	v_div_fixup_f16 v7, v20, v25, v15
	v_mac_f32_e32 v13, v14, v35
	v_lshrrev_b32_e32 v15, 16, v9
	v_mad_f32 v21, -v31, v47, v21
	v_mad_f32 v14, -v28, v13, v18
	v_cvt_f32_f16_e32 v18, v15
	v_mul_f32_e32 v21, v21, v38
	v_and_b32_e32 v21, 0xff800000, v21
	v_add_f32_e32 v21, v21, v47
	v_lshrrev_b32_e32 v19, 16, v5
	v_cvt_f16_f32_e32 v12, v21
	v_cvt_f32_f16_e32 v20, v19
	v_rcp_f32_e32 v21, v18
	v_mul_f32_e32 v14, v14, v35
	v_and_b32_e32 v14, 0xff800000, v14
	v_add_f32_e32 v13, v14, v13
	v_mul_f32_e32 v14, v20, v21
	v_mad_f32 v22, -v18, v14, v20
	v_mac_f32_e32 v14, v22, v21
	v_mad_f32 v18, -v18, v14, v20
	v_cmp_ngt_f16_e32 vcc, s3, v3
	v_mul_f32_e32 v18, v18, v21
	v_mad_f32 v16, -v26, v41, v16
	v_cndmask_b32_e32 v3, v10, v3, vcc
	v_cmp_ngt_f16_e32 vcc, s3, v2
	v_and_b32_e32 v18, 0xff800000, v18
	v_mul_f32_e32 v16, v16, v34
	v_cndmask_b32_e32 v2, v10, v2, vcc
	v_cmp_ngt_f16_e32 vcc, s3, v7
	v_add_f32_e32 v14, v18, v14
	v_and_b32_e32 v16, 0xff800000, v16
	v_cndmask_b32_e32 v7, v10, v7, vcc
	v_cmp_ngt_f16_e32 vcc, s3, v6
	v_cvt_f16_f32_e32 v13, v13
	v_cvt_f16_f32_e32 v14, v14
	v_add_f32_e32 v16, v16, v41
	v_cndmask_b32_e32 v6, v10, v6, vcc
	v_cmp_nlt_f16_e32 vcc, s4, v2
	v_cvt_f16_f32_e32 v16, v16
	v_cndmask_b32_e32 v2, v11, v2, vcc
	v_cmp_nlt_f16_e32 vcc, s4, v3
	v_cndmask_b32_e32 v3, v11, v3, vcc
	v_cmp_nlt_f16_e32 vcc, s4, v6
	;; [unrolled: 2-line block ×3, first 2 shown]
	v_div_fixup_f16 v5, v13, v9, v5
	v_div_fixup_f16 v9, v14, v15, v19
	v_cndmask_b32_e32 v7, v11, v7, vcc
	v_cmp_ngt_f16_e32 vcc, s3, v9
	v_div_fixup_f16 v4, v16, v8, v4
	v_div_fixup_f16 v8, v12, v27, v17
	v_cndmask_b32_e32 v9, v10, v9, vcc
	v_cmp_ngt_f16_e32 vcc, s3, v5
	v_cndmask_b32_e32 v5, v10, v5, vcc
	v_cmp_ngt_f16_e32 vcc, s3, v8
	v_cndmask_b32_e32 v8, v10, v8, vcc
	v_cmp_ngt_f16_e32 vcc, s3, v4
	v_cndmask_b32_e32 v4, v10, v4, vcc
	v_cmp_nlt_f16_e32 vcc, s4, v4
	v_cndmask_b32_e32 v4, v11, v4, vcc
	v_cmp_nlt_f16_e32 vcc, s4, v8
	;; [unrolled: 2-line block ×4, first 2 shown]
	v_cndmask_b32_e32 v9, v11, v9, vcc
	s_mov_b32 s3, 0x5040100
	v_perm_b32 v5, v9, v5, s3
	v_perm_b32 v4, v8, v4, s3
	;; [unrolled: 1-line block ×4, first 2 shown]
	global_store_dwordx4 v1, v[2:5], s[0:1]
	s_mov_b64 s[0:1], 0
.LBB42_2:
	s_andn2_b64 vcc, exec, s[0:1]
	s_cbranch_vccnz .LBB42_43
; %bb.3:
	v_cmp_gt_i32_e32 vcc, s6, v0
	v_mov_b32_e32 v5, 0
	v_or_b32_e32 v2, s2, v0
	v_mov_b32_e32 v17, 0
	v_mov_b32_e32 v18, 0
	;; [unrolled: 1-line block ×3, first 2 shown]
	s_and_saveexec_b64 s[4:5], vcc
	s_cbranch_execz .LBB42_5
; %bb.4:
	v_mov_b32_e32 v3, 0
	v_lshlrev_b64 v[6:7], 1, v[2:3]
	v_mov_b32_e32 v1, s13
	v_add_co_u32_e64 v8, s[0:1], s12, v6
	v_addc_co_u32_e64 v9, s[0:1], v1, v7, s[0:1]
	v_mov_b32_e32 v1, s11
	v_add_co_u32_e64 v6, s[0:1], s10, v6
	v_addc_co_u32_e64 v7, s[0:1], v1, v7, s[0:1]
	global_load_ushort v17, v[6:7], off
	global_load_ushort v18, v[8:9], off
	v_or_b32_e32 v15, 0x100, v0
.LBB42_5:
	s_or_b64 exec, exec, s[4:5]
	v_cmp_gt_i32_e64 s[0:1], s6, v15
	v_mov_b32_e32 v16, 0
	s_and_saveexec_b64 s[4:5], s[0:1]
	s_cbranch_execz .LBB42_7
; %bb.6:
	v_add_u32_e32 v4, s2, v15
	v_mov_b32_e32 v5, 0
	v_lshlrev_b64 v[4:5], 1, v[4:5]
	v_mov_b32_e32 v1, s13
	v_add_co_u32_e64 v6, s[0:1], s12, v4
	v_addc_co_u32_e64 v7, s[0:1], v1, v5, s[0:1]
	v_mov_b32_e32 v1, s11
	v_add_co_u32_e64 v8, s[0:1], s10, v4
	v_addc_co_u32_e64 v9, s[0:1], v1, v5, s[0:1]
	global_load_ushort v5, v[8:9], off
	global_load_ushort v16, v[6:7], off
	v_add_u32_e32 v15, 0x100, v15
.LBB42_7:
	s_or_b64 exec, exec, s[4:5]
	v_cmp_gt_i32_e64 s[0:1], s6, v15
	v_mov_b32_e32 v4, 0
	v_mov_b32_e32 v13, 0
	v_mov_b32_e32 v14, 0
	s_and_saveexec_b64 s[4:5], s[0:1]
	s_cbranch_execz .LBB42_9
; %bb.8:
	v_add_u32_e32 v6, s2, v15
	v_mov_b32_e32 v7, 0
	v_lshlrev_b64 v[6:7], 1, v[6:7]
	v_mov_b32_e32 v1, s13
	v_add_co_u32_e64 v8, s[0:1], s12, v6
	v_addc_co_u32_e64 v9, s[0:1], v1, v7, s[0:1]
	v_mov_b32_e32 v1, s11
	v_add_co_u32_e64 v6, s[0:1], s10, v6
	v_addc_co_u32_e64 v7, s[0:1], v1, v7, s[0:1]
	global_load_ushort v13, v[6:7], off
	global_load_ushort v14, v[8:9], off
	v_add_u32_e32 v15, 0x100, v15
.LBB42_9:
	s_or_b64 exec, exec, s[4:5]
	v_cmp_gt_i32_e64 s[0:1], s6, v15
	v_mov_b32_e32 v10, 0
	s_and_saveexec_b64 s[4:5], s[0:1]
	s_cbranch_execz .LBB42_11
; %bb.10:
	v_add_u32_e32 v6, s2, v15
	v_mov_b32_e32 v7, 0
	v_lshlrev_b64 v[6:7], 1, v[6:7]
	v_mov_b32_e32 v1, s13
	v_add_co_u32_e64 v8, s[0:1], s12, v6
	v_addc_co_u32_e64 v9, s[0:1], v1, v7, s[0:1]
	v_mov_b32_e32 v1, s11
	v_add_co_u32_e64 v6, s[0:1], s10, v6
	v_addc_co_u32_e64 v7, s[0:1], v1, v7, s[0:1]
	global_load_ushort v4, v[6:7], off
	global_load_ushort v10, v[8:9], off
	v_add_u32_e32 v15, 0x100, v15
.LBB42_11:
	s_or_b64 exec, exec, s[4:5]
	v_cmp_gt_i32_e64 s[0:1], s6, v15
	v_mov_b32_e32 v3, 0
	v_mov_b32_e32 v11, 0
	v_mov_b32_e32 v12, 0
	s_and_saveexec_b64 s[4:5], s[0:1]
	s_cbranch_execz .LBB42_13
; %bb.12:
	v_add_u32_e32 v6, s2, v15
	v_mov_b32_e32 v7, 0
	v_lshlrev_b64 v[6:7], 1, v[6:7]
	v_mov_b32_e32 v1, s13
	v_add_co_u32_e64 v8, s[0:1], s12, v6
	v_addc_co_u32_e64 v9, s[0:1], v1, v7, s[0:1]
	v_mov_b32_e32 v1, s11
	v_add_co_u32_e64 v6, s[0:1], s10, v6
	v_addc_co_u32_e64 v7, s[0:1], v1, v7, s[0:1]
	global_load_ushort v11, v[6:7], off
	global_load_ushort v12, v[8:9], off
	v_add_u32_e32 v15, 0x100, v15
.LBB42_13:
	;; [unrolled: 40-line block ×3, first 2 shown]
	s_or_b64 exec, exec, s[4:5]
	v_cmp_gt_i32_e64 s[0:1], s6, v15
	v_mov_b32_e32 v6, 0
	s_and_saveexec_b64 s[4:5], s[0:1]
	s_cbranch_execz .LBB42_19
; %bb.18:
	v_add_u32_e32 v20, s2, v15
	v_mov_b32_e32 v21, 0
	v_lshlrev_b64 v[20:21], 1, v[20:21]
	v_mov_b32_e32 v1, s13
	v_add_co_u32_e64 v22, s[0:1], s12, v20
	v_addc_co_u32_e64 v23, s[0:1], v1, v21, s[0:1]
	v_mov_b32_e32 v1, s11
	v_add_co_u32_e64 v20, s[0:1], s10, v20
	v_addc_co_u32_e64 v21, s[0:1], v1, v21, s[0:1]
	global_load_ushort v1, v[20:21], off
	global_load_ushort v6, v[22:23], off
.LBB42_19:
	s_or_b64 exec, exec, s[4:5]
                                        ; implicit-def: $vgpr15
	s_and_saveexec_b64 s[4:5], vcc
	s_cbranch_execz .LBB42_21
; %bb.20:
	s_waitcnt vmcnt(0)
	v_cvt_f32_f16_e32 v15, v18
	v_cvt_f32_f16_e32 v19, v17
	s_movk_i32 s0, 0x400
	s_movk_i32 s3, 0x3bfe
	v_rcp_f32_e32 v20, v15
	v_mul_f32_e32 v21, v19, v20
	v_mad_f32 v22, -v15, v21, v19
	v_mac_f32_e32 v21, v22, v20
	v_mad_f32 v15, -v15, v21, v19
	v_mul_f32_e32 v15, v15, v20
	v_and_b32_e32 v15, 0xff800000, v15
	v_add_f32_e32 v15, v15, v21
	v_cvt_f16_f32_e32 v15, v15
	v_mov_b32_e32 v19, 0x400
	v_mov_b32_e32 v20, 0x3bfe
	v_div_fixup_f16 v15, v15, v18, v17
	v_cmp_ngt_f16_e64 s[0:1], s0, v15
	v_cndmask_b32_e64 v15, v19, v15, s[0:1]
	v_cmp_nlt_f16_e64 s[0:1], s3, v15
	v_cndmask_b32_e64 v15, v20, v15, s[0:1]
.LBB42_21:
	s_or_b64 exec, exec, s[4:5]
	s_waitcnt vmcnt(1)
	v_or_b32_e32 v17, 0x100, v0
	v_cmp_gt_i32_e64 s[0:1], s6, v17
                                        ; implicit-def: $vgpr18
	s_and_saveexec_b64 s[4:5], s[0:1]
	s_cbranch_execz .LBB42_23
; %bb.22:
	s_waitcnt vmcnt(0)
	v_cvt_f32_f16_e32 v18, v16
	v_cvt_f32_f16_e32 v19, v5
	s_movk_i32 s0, 0x400
	s_movk_i32 s3, 0x3bfe
	v_rcp_f32_e32 v20, v18
	v_mul_f32_e32 v21, v19, v20
	v_mad_f32 v22, -v18, v21, v19
	v_mac_f32_e32 v21, v22, v20
	v_mad_f32 v18, -v18, v21, v19
	v_mul_f32_e32 v18, v18, v20
	v_and_b32_e32 v18, 0xff800000, v18
	v_add_f32_e32 v18, v18, v21
	v_cvt_f16_f32_e32 v18, v18
	v_mov_b32_e32 v19, 0x400
	v_mov_b32_e32 v20, 0x3bfe
	v_div_fixup_f16 v5, v18, v16, v5
	v_cmp_ngt_f16_e64 s[0:1], s0, v5
	v_cndmask_b32_e64 v5, v19, v5, s[0:1]
	v_cmp_nlt_f16_e64 s[0:1], s3, v5
	v_cndmask_b32_e64 v18, v20, v5, s[0:1]
.LBB42_23:
	s_or_b64 exec, exec, s[4:5]
	v_or_b32_e32 v5, 0x200, v0
	v_cmp_gt_i32_e64 s[0:1], s6, v5
                                        ; implicit-def: $vgpr5
	s_and_saveexec_b64 s[4:5], s[0:1]
	s_cbranch_execz .LBB42_25
; %bb.24:
	s_waitcnt vmcnt(0)
	v_cvt_f32_f16_e32 v5, v14
	v_cvt_f32_f16_e32 v16, v13
	s_movk_i32 s0, 0x400
	s_movk_i32 s3, 0x3bfe
	v_rcp_f32_e32 v19, v5
	v_mul_f32_e32 v20, v16, v19
	v_mad_f32 v21, -v5, v20, v16
	v_mac_f32_e32 v20, v21, v19
	v_mad_f32 v5, -v5, v20, v16
	v_mul_f32_e32 v5, v5, v19
	v_and_b32_e32 v5, 0xff800000, v5
	v_add_f32_e32 v5, v5, v20
	v_cvt_f16_f32_e32 v5, v5
	v_mov_b32_e32 v16, 0x400
	v_mov_b32_e32 v19, 0x3bfe
	v_div_fixup_f16 v5, v5, v14, v13
	v_cmp_ngt_f16_e64 s[0:1], s0, v5
	v_cndmask_b32_e64 v5, v16, v5, s[0:1]
	v_cmp_nlt_f16_e64 s[0:1], s3, v5
	v_cndmask_b32_e64 v5, v19, v5, s[0:1]
.LBB42_25:
	s_or_b64 exec, exec, s[4:5]
	v_or_b32_e32 v13, 0x300, v0
	v_cmp_gt_i32_e64 s[0:1], s6, v13
                                        ; implicit-def: $vgpr13
	s_and_saveexec_b64 s[4:5], s[0:1]
	s_cbranch_execz .LBB42_27
; %bb.26:
	s_waitcnt vmcnt(0)
	v_cvt_f32_f16_e32 v13, v10
	v_cvt_f32_f16_e32 v14, v4
	s_movk_i32 s0, 0x400
	s_movk_i32 s3, 0x3bfe
	v_rcp_f32_e32 v16, v13
	v_mul_f32_e32 v19, v14, v16
	v_mad_f32 v20, -v13, v19, v14
	v_mac_f32_e32 v19, v20, v16
	v_mad_f32 v13, -v13, v19, v14
	v_mul_f32_e32 v13, v13, v16
	v_and_b32_e32 v13, 0xff800000, v13
	v_add_f32_e32 v13, v13, v19
	v_cvt_f16_f32_e32 v13, v13
	v_mov_b32_e32 v14, 0x400
	v_mov_b32_e32 v16, 0x3bfe
	v_div_fixup_f16 v4, v13, v10, v4
	v_cmp_ngt_f16_e64 s[0:1], s0, v4
	v_cndmask_b32_e64 v4, v14, v4, s[0:1]
	v_cmp_nlt_f16_e64 s[0:1], s3, v4
	v_cndmask_b32_e64 v13, v16, v4, s[0:1]
.LBB42_27:
	s_or_b64 exec, exec, s[4:5]
	v_or_b32_e32 v4, 0x400, v0
	s_movk_i32 s3, 0x400
	v_cmp_gt_i32_e64 s[0:1], s6, v4
                                        ; implicit-def: $vgpr4
	s_and_saveexec_b64 s[4:5], s[0:1]
	s_cbranch_execz .LBB42_29
; %bb.28:
	s_waitcnt vmcnt(0)
	v_cvt_f32_f16_e32 v4, v12
	v_cvt_f32_f16_e32 v10, v11
	s_movk_i32 s7, 0x3bfe
	v_rcp_f32_e32 v14, v4
	v_mul_f32_e32 v16, v10, v14
	v_mad_f32 v19, -v4, v16, v10
	v_mac_f32_e32 v16, v19, v14
	v_mad_f32 v4, -v4, v16, v10
	v_mul_f32_e32 v4, v4, v14
	v_and_b32_e32 v4, 0xff800000, v4
	v_add_f32_e32 v4, v4, v16
	v_cvt_f16_f32_e32 v4, v4
	v_mov_b32_e32 v10, 0x400
	v_mov_b32_e32 v14, 0x3bfe
	v_div_fixup_f16 v4, v4, v12, v11
	v_cmp_ngt_f16_e64 s[0:1], s3, v4
	v_cndmask_b32_e64 v4, v10, v4, s[0:1]
	v_cmp_nlt_f16_e64 s[0:1], s7, v4
	v_cndmask_b32_e64 v4, v14, v4, s[0:1]
.LBB42_29:
	s_or_b64 exec, exec, s[4:5]
	s_waitcnt vmcnt(0)
	v_or_b32_e32 v10, 0x500, v0
	v_cmp_gt_i32_e64 s[0:1], s6, v10
                                        ; implicit-def: $vgpr10
	s_and_saveexec_b64 s[4:5], s[0:1]
	s_cbranch_execz .LBB42_31
; %bb.30:
	v_cvt_f32_f16_e32 v10, v9
	v_cvt_f32_f16_e32 v11, v3
	s_movk_i32 s0, 0x400
	s_movk_i32 s3, 0x3bfe
	v_rcp_f32_e32 v12, v10
	v_mul_f32_e32 v14, v11, v12
	v_mad_f32 v16, -v10, v14, v11
	v_mac_f32_e32 v14, v16, v12
	v_mad_f32 v10, -v10, v14, v11
	v_mul_f32_e32 v10, v10, v12
	v_and_b32_e32 v10, 0xff800000, v10
	v_add_f32_e32 v10, v10, v14
	v_cvt_f16_f32_e32 v10, v10
	v_mov_b32_e32 v11, 0x400
	v_mov_b32_e32 v12, 0x3bfe
	v_div_fixup_f16 v3, v10, v9, v3
	v_cmp_ngt_f16_e64 s[0:1], s0, v3
	v_cndmask_b32_e64 v3, v11, v3, s[0:1]
	v_cmp_nlt_f16_e64 s[0:1], s3, v3
	v_cndmask_b32_e64 v10, v12, v3, s[0:1]
.LBB42_31:
	s_or_b64 exec, exec, s[4:5]
	v_or_b32_e32 v3, 0x600, v0
	v_cmp_gt_i32_e64 s[0:1], s6, v3
                                        ; implicit-def: $vgpr9
	s_and_saveexec_b64 s[4:5], s[0:1]
	s_cbranch_execz .LBB42_33
; %bb.32:
	v_cvt_f32_f16_e32 v3, v8
	v_cvt_f32_f16_e32 v9, v7
	s_movk_i32 s0, 0x400
	s_movk_i32 s3, 0x3bfe
	v_rcp_f32_e32 v11, v3
	v_mul_f32_e32 v12, v9, v11
	v_mad_f32 v14, -v3, v12, v9
	v_mac_f32_e32 v12, v14, v11
	v_mad_f32 v3, -v3, v12, v9
	v_mul_f32_e32 v3, v3, v11
	v_and_b32_e32 v3, 0xff800000, v3
	v_add_f32_e32 v3, v3, v12
	v_cvt_f16_f32_e32 v3, v3
	v_mov_b32_e32 v9, 0x400
	v_mov_b32_e32 v11, 0x3bfe
	v_div_fixup_f16 v3, v3, v8, v7
	v_cmp_ngt_f16_e64 s[0:1], s0, v3
	v_cndmask_b32_e64 v3, v9, v3, s[0:1]
	v_cmp_nlt_f16_e64 s[0:1], s3, v3
	v_cndmask_b32_e64 v9, v11, v3, s[0:1]
.LBB42_33:
	s_or_b64 exec, exec, s[4:5]
	v_or_b32_e32 v3, 0x700, v0
	v_cmp_gt_i32_e64 s[0:1], s6, v3
                                        ; implicit-def: $vgpr7
	s_and_saveexec_b64 s[4:5], s[0:1]
	s_cbranch_execnz .LBB42_44
; %bb.34:
	s_or_b64 exec, exec, s[4:5]
	s_and_saveexec_b64 s[0:1], vcc
	s_xor_b64 s[0:1], exec, s[0:1]
	s_cbranch_execnz .LBB42_45
.LBB42_35:
	s_or_b64 exec, exec, s[0:1]
	v_cmp_gt_i32_e32 vcc, s6, v0
	s_and_saveexec_b64 s[0:1], vcc
	s_cbranch_execnz .LBB42_46
.LBB42_36:
	s_or_b64 exec, exec, s[0:1]
	v_cmp_gt_i32_e32 vcc, s6, v0
	s_and_saveexec_b64 s[0:1], vcc
	s_cbranch_execnz .LBB42_47
.LBB42_37:
	s_or_b64 exec, exec, s[0:1]
	v_cmp_gt_i32_e32 vcc, s6, v0
	s_and_saveexec_b64 s[0:1], vcc
	s_cbranch_execnz .LBB42_48
.LBB42_38:
	s_or_b64 exec, exec, s[0:1]
	v_cmp_gt_i32_e32 vcc, s6, v0
	s_and_saveexec_b64 s[0:1], vcc
	s_cbranch_execnz .LBB42_49
.LBB42_39:
	s_or_b64 exec, exec, s[0:1]
	v_cmp_gt_i32_e32 vcc, s6, v0
	s_and_saveexec_b64 s[0:1], vcc
	s_cbranch_execnz .LBB42_50
.LBB42_40:
	s_or_b64 exec, exec, s[0:1]
	v_cmp_gt_i32_e32 vcc, s6, v0
	s_and_saveexec_b64 s[0:1], vcc
	s_cbranch_execnz .LBB42_51
.LBB42_41:
	s_or_b64 exec, exec, s[0:1]
	v_cmp_gt_i32_e32 vcc, s6, v0
	s_and_saveexec_b64 s[0:1], vcc
	s_cbranch_execz .LBB42_43
.LBB42_42:
	v_add_u32_e32 v0, s2, v0
	v_mov_b32_e32 v1, 0
	v_lshlrev_b64 v[0:1], 1, v[0:1]
	v_mov_b32_e32 v2, s9
	v_add_co_u32_e32 v0, vcc, s8, v0
	v_addc_co_u32_e32 v1, vcc, v2, v1, vcc
	global_store_short v[0:1], v7, off
.LBB42_43:
	s_endpgm
.LBB42_44:
	v_cvt_f32_f16_e32 v3, v6
	v_cvt_f32_f16_e32 v7, v1
	s_movk_i32 s0, 0x400
	s_movk_i32 s3, 0x3bfe
	v_rcp_f32_e32 v8, v3
	v_mul_f32_e32 v11, v7, v8
	v_mad_f32 v12, -v3, v11, v7
	v_mac_f32_e32 v11, v12, v8
	v_mad_f32 v3, -v3, v11, v7
	v_mul_f32_e32 v3, v3, v8
	v_and_b32_e32 v3, 0xff800000, v3
	v_add_f32_e32 v3, v3, v11
	v_cvt_f16_f32_e32 v3, v3
	v_mov_b32_e32 v7, 0x400
	v_mov_b32_e32 v8, 0x3bfe
	v_div_fixup_f16 v1, v3, v6, v1
	v_cmp_ngt_f16_e64 s[0:1], s0, v1
	v_cndmask_b32_e64 v1, v7, v1, s[0:1]
	v_cmp_nlt_f16_e64 s[0:1], s3, v1
	v_cndmask_b32_e64 v7, v8, v1, s[0:1]
	s_or_b64 exec, exec, s[4:5]
	s_and_saveexec_b64 s[0:1], vcc
	s_xor_b64 s[0:1], exec, s[0:1]
	s_cbranch_execz .LBB42_35
.LBB42_45:
	v_mov_b32_e32 v3, 0
	v_lshlrev_b64 v[0:1], 1, v[2:3]
	v_mov_b32_e32 v2, s9
	v_add_co_u32_e32 v0, vcc, s8, v0
	v_addc_co_u32_e32 v1, vcc, v2, v1, vcc
	global_store_short v[0:1], v15, off
	v_mov_b32_e32 v0, v17
	s_or_b64 exec, exec, s[0:1]
	v_cmp_gt_i32_e32 vcc, s6, v0
	s_and_saveexec_b64 s[0:1], vcc
	s_cbranch_execz .LBB42_36
.LBB42_46:
	v_add_u32_e32 v2, s2, v0
	v_mov_b32_e32 v3, 0
	v_lshlrev_b64 v[2:3], 1, v[2:3]
	v_mov_b32_e32 v1, s9
	v_add_co_u32_e32 v2, vcc, s8, v2
	v_addc_co_u32_e32 v3, vcc, v1, v3, vcc
	v_add_u32_e32 v0, 0x100, v0
	global_store_short v[2:3], v18, off
	s_or_b64 exec, exec, s[0:1]
	v_cmp_gt_i32_e32 vcc, s6, v0
	s_and_saveexec_b64 s[0:1], vcc
	s_cbranch_execz .LBB42_37
.LBB42_47:
	v_add_u32_e32 v2, s2, v0
	v_mov_b32_e32 v3, 0
	v_lshlrev_b64 v[2:3], 1, v[2:3]
	v_mov_b32_e32 v1, s9
	v_add_co_u32_e32 v2, vcc, s8, v2
	v_addc_co_u32_e32 v3, vcc, v1, v3, vcc
	v_add_u32_e32 v0, 0x100, v0
	global_store_short v[2:3], v5, off
	s_or_b64 exec, exec, s[0:1]
	v_cmp_gt_i32_e32 vcc, s6, v0
	s_and_saveexec_b64 s[0:1], vcc
	s_cbranch_execz .LBB42_38
.LBB42_48:
	v_add_u32_e32 v2, s2, v0
	v_mov_b32_e32 v3, 0
	v_lshlrev_b64 v[2:3], 1, v[2:3]
	v_mov_b32_e32 v1, s9
	v_add_co_u32_e32 v2, vcc, s8, v2
	v_addc_co_u32_e32 v3, vcc, v1, v3, vcc
	v_add_u32_e32 v0, 0x100, v0
	global_store_short v[2:3], v13, off
	s_or_b64 exec, exec, s[0:1]
	v_cmp_gt_i32_e32 vcc, s6, v0
	s_and_saveexec_b64 s[0:1], vcc
	s_cbranch_execz .LBB42_39
.LBB42_49:
	v_add_u32_e32 v2, s2, v0
	v_mov_b32_e32 v3, 0
	v_lshlrev_b64 v[2:3], 1, v[2:3]
	v_mov_b32_e32 v1, s9
	v_add_co_u32_e32 v2, vcc, s8, v2
	v_addc_co_u32_e32 v3, vcc, v1, v3, vcc
	v_add_u32_e32 v0, 0x100, v0
	global_store_short v[2:3], v4, off
	s_or_b64 exec, exec, s[0:1]
	v_cmp_gt_i32_e32 vcc, s6, v0
	s_and_saveexec_b64 s[0:1], vcc
	s_cbranch_execz .LBB42_40
.LBB42_50:
	v_add_u32_e32 v2, s2, v0
	v_mov_b32_e32 v3, 0
	v_lshlrev_b64 v[2:3], 1, v[2:3]
	v_mov_b32_e32 v1, s9
	v_add_co_u32_e32 v2, vcc, s8, v2
	v_addc_co_u32_e32 v3, vcc, v1, v3, vcc
	v_add_u32_e32 v0, 0x100, v0
	global_store_short v[2:3], v10, off
	s_or_b64 exec, exec, s[0:1]
	v_cmp_gt_i32_e32 vcc, s6, v0
	s_and_saveexec_b64 s[0:1], vcc
	s_cbranch_execz .LBB42_41
.LBB42_51:
	v_add_u32_e32 v2, s2, v0
	v_mov_b32_e32 v3, 0
	v_lshlrev_b64 v[2:3], 1, v[2:3]
	v_mov_b32_e32 v1, s9
	v_add_co_u32_e32 v2, vcc, s8, v2
	v_addc_co_u32_e32 v3, vcc, v1, v3, vcc
	v_add_u32_e32 v0, 0x100, v0
	global_store_short v[2:3], v9, off
	s_or_b64 exec, exec, s[0:1]
	v_cmp_gt_i32_e32 vcc, s6, v0
	s_and_saveexec_b64 s[0:1], vcc
	s_cbranch_execnz .LBB42_42
	s_branch .LBB42_43
	.section	.rodata,"a",@progbits
	.p2align	6, 0x0
	.amdhsa_kernel _ZN2at6native29vectorized_elementwise_kernelILi8EZZZNS0_23launch_dirichlet_kernelERNS_18TensorIteratorBaseEENKUlvE_clEvENKUlvE1_clEvEUlN3c104HalfES7_E_St5arrayIPcLm3EEEEviT0_T1_
		.amdhsa_group_segment_fixed_size 0
		.amdhsa_private_segment_fixed_size 0
		.amdhsa_kernarg_size 32
		.amdhsa_user_sgpr_count 6
		.amdhsa_user_sgpr_private_segment_buffer 1
		.amdhsa_user_sgpr_dispatch_ptr 0
		.amdhsa_user_sgpr_queue_ptr 0
		.amdhsa_user_sgpr_kernarg_segment_ptr 1
		.amdhsa_user_sgpr_dispatch_id 0
		.amdhsa_user_sgpr_flat_scratch_init 0
		.amdhsa_user_sgpr_kernarg_preload_length 0
		.amdhsa_user_sgpr_kernarg_preload_offset 0
		.amdhsa_user_sgpr_private_segment_size 0
		.amdhsa_uses_dynamic_stack 0
		.amdhsa_system_sgpr_private_segment_wavefront_offset 0
		.amdhsa_system_sgpr_workgroup_id_x 1
		.amdhsa_system_sgpr_workgroup_id_y 0
		.amdhsa_system_sgpr_workgroup_id_z 0
		.amdhsa_system_sgpr_workgroup_info 0
		.amdhsa_system_vgpr_workitem_id 0
		.amdhsa_next_free_vgpr 48
		.amdhsa_next_free_sgpr 14
		.amdhsa_accum_offset 48
		.amdhsa_reserve_vcc 1
		.amdhsa_reserve_flat_scratch 0
		.amdhsa_float_round_mode_32 0
		.amdhsa_float_round_mode_16_64 0
		.amdhsa_float_denorm_mode_32 3
		.amdhsa_float_denorm_mode_16_64 3
		.amdhsa_dx10_clamp 1
		.amdhsa_ieee_mode 1
		.amdhsa_fp16_overflow 0
		.amdhsa_tg_split 0
		.amdhsa_exception_fp_ieee_invalid_op 0
		.amdhsa_exception_fp_denorm_src 0
		.amdhsa_exception_fp_ieee_div_zero 0
		.amdhsa_exception_fp_ieee_overflow 0
		.amdhsa_exception_fp_ieee_underflow 0
		.amdhsa_exception_fp_ieee_inexact 0
		.amdhsa_exception_int_div_zero 0
	.end_amdhsa_kernel
	.section	.text._ZN2at6native29vectorized_elementwise_kernelILi8EZZZNS0_23launch_dirichlet_kernelERNS_18TensorIteratorBaseEENKUlvE_clEvENKUlvE1_clEvEUlN3c104HalfES7_E_St5arrayIPcLm3EEEEviT0_T1_,"axG",@progbits,_ZN2at6native29vectorized_elementwise_kernelILi8EZZZNS0_23launch_dirichlet_kernelERNS_18TensorIteratorBaseEENKUlvE_clEvENKUlvE1_clEvEUlN3c104HalfES7_E_St5arrayIPcLm3EEEEviT0_T1_,comdat
.Lfunc_end42:
	.size	_ZN2at6native29vectorized_elementwise_kernelILi8EZZZNS0_23launch_dirichlet_kernelERNS_18TensorIteratorBaseEENKUlvE_clEvENKUlvE1_clEvEUlN3c104HalfES7_E_St5arrayIPcLm3EEEEviT0_T1_, .Lfunc_end42-_ZN2at6native29vectorized_elementwise_kernelILi8EZZZNS0_23launch_dirichlet_kernelERNS_18TensorIteratorBaseEENKUlvE_clEvENKUlvE1_clEvEUlN3c104HalfES7_E_St5arrayIPcLm3EEEEviT0_T1_
                                        ; -- End function
	.section	.AMDGPU.csdata,"",@progbits
; Kernel info:
; codeLenInByte = 3512
; NumSgprs: 18
; NumVgprs: 48
; NumAgprs: 0
; TotalNumVgprs: 48
; ScratchSize: 0
; MemoryBound: 0
; FloatMode: 240
; IeeeMode: 1
; LDSByteSize: 0 bytes/workgroup (compile time only)
; SGPRBlocks: 2
; VGPRBlocks: 5
; NumSGPRsForWavesPerEU: 18
; NumVGPRsForWavesPerEU: 48
; AccumOffset: 48
; Occupancy: 8
; WaveLimiterHint : 0
; COMPUTE_PGM_RSRC2:SCRATCH_EN: 0
; COMPUTE_PGM_RSRC2:USER_SGPR: 6
; COMPUTE_PGM_RSRC2:TRAP_HANDLER: 0
; COMPUTE_PGM_RSRC2:TGID_X_EN: 1
; COMPUTE_PGM_RSRC2:TGID_Y_EN: 0
; COMPUTE_PGM_RSRC2:TGID_Z_EN: 0
; COMPUTE_PGM_RSRC2:TIDIG_COMP_CNT: 0
; COMPUTE_PGM_RSRC3_GFX90A:ACCUM_OFFSET: 11
; COMPUTE_PGM_RSRC3_GFX90A:TG_SPLIT: 0
	.section	.text._ZN2at6native29vectorized_elementwise_kernelILi4EZZZNS0_23launch_dirichlet_kernelERNS_18TensorIteratorBaseEENKUlvE_clEvENKUlvE1_clEvEUlN3c104HalfES7_E_St5arrayIPcLm3EEEEviT0_T1_,"axG",@progbits,_ZN2at6native29vectorized_elementwise_kernelILi4EZZZNS0_23launch_dirichlet_kernelERNS_18TensorIteratorBaseEENKUlvE_clEvENKUlvE1_clEvEUlN3c104HalfES7_E_St5arrayIPcLm3EEEEviT0_T1_,comdat
	.globl	_ZN2at6native29vectorized_elementwise_kernelILi4EZZZNS0_23launch_dirichlet_kernelERNS_18TensorIteratorBaseEENKUlvE_clEvENKUlvE1_clEvEUlN3c104HalfES7_E_St5arrayIPcLm3EEEEviT0_T1_ ; -- Begin function _ZN2at6native29vectorized_elementwise_kernelILi4EZZZNS0_23launch_dirichlet_kernelERNS_18TensorIteratorBaseEENKUlvE_clEvENKUlvE1_clEvEUlN3c104HalfES7_E_St5arrayIPcLm3EEEEviT0_T1_
	.p2align	8
	.type	_ZN2at6native29vectorized_elementwise_kernelILi4EZZZNS0_23launch_dirichlet_kernelERNS_18TensorIteratorBaseEENKUlvE_clEvENKUlvE1_clEvEUlN3c104HalfES7_E_St5arrayIPcLm3EEEEviT0_T1_,@function
_ZN2at6native29vectorized_elementwise_kernelILi4EZZZNS0_23launch_dirichlet_kernelERNS_18TensorIteratorBaseEENKUlvE_clEvENKUlvE1_clEvEUlN3c104HalfES7_E_St5arrayIPcLm3EEEEviT0_T1_: ; @_ZN2at6native29vectorized_elementwise_kernelILi4EZZZNS0_23launch_dirichlet_kernelERNS_18TensorIteratorBaseEENKUlvE_clEvENKUlvE1_clEvEUlN3c104HalfES7_E_St5arrayIPcLm3EEEEviT0_T1_
; %bb.0:
	s_load_dword s0, s[4:5], 0x0
	s_load_dwordx4 s[8:11], s[4:5], 0x8
	s_load_dwordx2 s[12:13], s[4:5], 0x18
	s_lshl_b32 s2, s6, 11
	s_waitcnt lgkmcnt(0)
	s_sub_i32 s6, s0, s2
	s_cmpk_gt_i32 s6, 0x7ff
	s_mov_b64 s[0:1], -1
	s_cbranch_scc0 .LBB43_2
; %bb.1:
	s_ashr_i32 s3, s2, 31
	s_lshl_b64 s[0:1], s[2:3], 1
	s_add_u32 s4, s10, s0
	s_addc_u32 s5, s11, s1
	v_lshlrev_b32_e32 v1, 3, v0
	global_load_dwordx2 v[2:3], v1, s[4:5]
	global_load_dwordx2 v[4:5], v1, s[4:5] offset:2048
	s_add_u32 s4, s12, s0
	s_addc_u32 s5, s13, s1
	global_load_dwordx2 v[6:7], v1, s[4:5]
	global_load_dwordx2 v[8:9], v1, s[4:5] offset:2048
	s_movk_i32 s3, 0x400
	v_mov_b32_e32 v10, 0x400
	s_add_u32 s0, s8, s0
	s_addc_u32 s1, s9, s1
	s_waitcnt vmcnt(3)
	v_cvt_f32_f16_e32 v13, v3
	s_waitcnt vmcnt(2)
	v_cvt_f32_f16_e32 v15, v4
	v_lshrrev_b32_e32 v16, 16, v4
	s_waitcnt vmcnt(1)
	v_cvt_f32_f16_e32 v23, v7
	s_waitcnt vmcnt(0)
	v_cvt_f32_f16_e32 v25, v8
	v_lshrrev_b32_e32 v26, 16, v8
	v_lshrrev_b32_e32 v24, 16, v7
	v_cvt_f32_f16_e32 v30, v26
	v_cvt_f32_f16_e32 v29, v24
	;; [unrolled: 1-line block ×3, first 2 shown]
	v_lshrrev_b32_e32 v22, 16, v6
	v_rcp_f32_e32 v33, v25
	v_lshrrev_b32_e32 v14, 16, v3
	v_cvt_f32_f16_e32 v20, v16
	v_cvt_f32_f16_e32 v28, v22
	v_rcp_f32_e32 v32, v23
	v_rcp_f32_e32 v37, v30
	v_cvt_f32_f16_e32 v19, v14
	v_rcp_f32_e32 v36, v29
	v_cvt_f32_f16_e32 v11, v2
	v_lshrrev_b32_e32 v12, 16, v2
	v_rcp_f32_e32 v31, v21
	v_mul_f32_e32 v40, v15, v33
	v_cvt_f32_f16_e32 v18, v12
	v_rcp_f32_e32 v35, v28
	v_mul_f32_e32 v39, v13, v32
	v_mad_f32 v45, -v25, v40, v15
	v_mul_f32_e32 v46, v20, v37
	v_mad_f32 v43, -v23, v39, v13
	v_mul_f32_e32 v44, v19, v36
	v_mac_f32_e32 v40, v45, v33
	v_mad_f32 v45, -v30, v46, v20
	v_mac_f32_e32 v39, v43, v32
	v_mad_f32 v43, -v29, v44, v19
	v_mad_f32 v15, -v25, v40, v15
	v_mac_f32_e32 v46, v45, v37
	v_cvt_f32_f16_e32 v27, v9
	v_mul_f32_e32 v38, v11, v31
	v_mad_f32 v13, -v23, v39, v13
	v_mac_f32_e32 v44, v43, v36
	v_mul_f32_e32 v15, v15, v33
	v_mad_f32 v20, -v30, v46, v20
	v_mad_f32 v41, -v21, v38, v11
	v_mul_f32_e32 v42, v18, v35
	v_mul_f32_e32 v13, v13, v32
	v_mad_f32 v19, -v29, v44, v19
	v_and_b32_e32 v15, 0xff800000, v15
	v_mul_f32_e32 v20, v20, v37
	v_mac_f32_e32 v38, v41, v31
	v_mad_f32 v41, -v28, v42, v18
	v_and_b32_e32 v13, 0xff800000, v13
	v_mul_f32_e32 v19, v19, v36
	v_add_f32_e32 v15, v15, v40
	v_and_b32_e32 v20, 0xff800000, v20
	v_mac_f32_e32 v42, v41, v35
	v_add_f32_e32 v13, v13, v39
	v_and_b32_e32 v19, 0xff800000, v19
	v_cvt_f16_f32_e32 v15, v15
	v_add_f32_e32 v20, v20, v46
	v_cvt_f32_f16_e32 v17, v5
	v_rcp_f32_e32 v34, v27
	v_mad_f32 v11, -v21, v38, v11
	v_mad_f32 v18, -v28, v42, v18
	v_cvt_f16_f32_e32 v13, v13
	v_add_f32_e32 v19, v19, v44
	v_cvt_f16_f32_e32 v20, v20
	v_mul_f32_e32 v11, v11, v31
	v_mul_f32_e32 v18, v18, v35
	v_cvt_f16_f32_e32 v19, v19
	v_and_b32_e32 v11, 0xff800000, v11
	v_and_b32_e32 v18, 0xff800000, v18
	v_add_f32_e32 v11, v11, v38
	v_add_f32_e32 v18, v18, v42
	v_div_fixup_f16 v4, v15, v8, v4
	v_lshrrev_b32_e32 v15, 16, v9
	v_cvt_f16_f32_e32 v11, v11
	v_cvt_f16_f32_e32 v18, v18
	v_div_fixup_f16 v3, v13, v7, v3
	v_div_fixup_f16 v8, v20, v26, v16
	v_mul_f32_e32 v13, v17, v34
	v_cvt_f32_f16_e32 v16, v15
	v_div_fixup_f16 v7, v19, v24, v14
	v_mad_f32 v14, -v27, v13, v17
	v_mac_f32_e32 v13, v14, v34
	v_mad_f32 v14, -v27, v13, v17
	v_lshrrev_b32_e32 v17, 16, v5
	v_div_fixup_f16 v2, v11, v6, v2
	v_div_fixup_f16 v6, v18, v22, v12
	v_cvt_f32_f16_e32 v18, v17
	v_rcp_f32_e32 v19, v16
	v_mul_f32_e32 v14, v14, v34
	v_and_b32_e32 v14, 0xff800000, v14
	v_add_f32_e32 v13, v14, v13
	v_mul_f32_e32 v14, v18, v19
	v_mad_f32 v20, -v16, v14, v18
	v_mac_f32_e32 v14, v20, v19
	v_mad_f32 v16, -v16, v14, v18
	v_mul_f32_e32 v16, v16, v19
	v_cmp_ngt_f16_e32 vcc, s3, v2
	v_and_b32_e32 v16, 0xff800000, v16
	v_cndmask_b32_e32 v2, v10, v2, vcc
	v_cmp_ngt_f16_e32 vcc, s3, v3
	v_cvt_f16_f32_e32 v13, v13
	v_add_f32_e32 v14, v16, v14
	v_cndmask_b32_e32 v3, v10, v3, vcc
	v_cmp_ngt_f16_e32 vcc, s3, v4
	v_cvt_f16_f32_e32 v14, v14
	v_cndmask_b32_e32 v4, v10, v4, vcc
	v_cmp_ngt_f16_e32 vcc, s3, v6
	v_cndmask_b32_e32 v6, v10, v6, vcc
	v_cmp_ngt_f16_e32 vcc, s3, v7
	;; [unrolled: 2-line block ×3, first 2 shown]
	v_div_fixup_f16 v5, v13, v9, v5
	v_cndmask_b32_e32 v8, v10, v8, vcc
	v_cmp_ngt_f16_e32 vcc, s3, v5
	v_div_fixup_f16 v9, v14, v15, v17
	v_cndmask_b32_e32 v5, v10, v5, vcc
	v_cmp_ngt_f16_e32 vcc, s3, v9
	s_movk_i32 s3, 0x3bfe
	v_cndmask_b32_e32 v9, v10, v9, vcc
	v_lshlrev_b32_e32 v10, 16, v7
	v_mov_b32_e32 v13, 0x3bfe0000
	v_cmp_nlt_f16_e32 vcc, s3, v7
	v_cndmask_b32_e32 v7, v13, v10, vcc
	v_and_b32_e32 v10, 0xffff, v3
	v_mov_b32_e32 v14, 0x3bfe
	v_cmp_nlt_f16_e32 vcc, s3, v3
	v_cndmask_b32_e32 v3, v14, v10, vcc
	v_lshlrev_b32_e32 v10, 16, v6
	v_cmp_nlt_f16_e32 vcc, s3, v6
	v_and_b32_e32 v11, 0xffff, v2
	v_cndmask_b32_e32 v6, v13, v10, vcc
	v_cmp_nlt_f16_e32 vcc, s3, v2
	v_cndmask_b32_e32 v2, v14, v11, vcc
	v_or_b32_e32 v2, v6, v2
	v_or3_b32 v3, 0, v3, v7
	v_or3_b32 v2, v2, 0, 0
	global_store_dwordx2 v1, v[2:3], s[0:1]
	v_lshlrev_b32_e32 v2, 16, v9
	v_cmp_nlt_f16_e32 vcc, s3, v9
	v_cndmask_b32_e32 v2, v13, v2, vcc
	v_and_b32_e32 v3, 0xffff, v5
	v_cmp_nlt_f16_e32 vcc, s3, v5
	v_cndmask_b32_e32 v3, v14, v3, vcc
	v_lshlrev_b32_e32 v5, 16, v8
	v_cmp_nlt_f16_e32 vcc, s3, v8
	v_and_b32_e32 v12, 0xffff, v4
	v_cndmask_b32_e32 v5, v13, v5, vcc
	v_cmp_nlt_f16_e32 vcc, s3, v4
	v_cndmask_b32_e32 v4, v14, v12, vcc
	v_or_b32_e32 v4, v5, v4
	v_or3_b32 v3, 0, v3, v2
	v_or3_b32 v2, v4, 0, 0
	global_store_dwordx2 v1, v[2:3], s[0:1] offset:2048
	s_mov_b64 s[0:1], 0
.LBB43_2:
	s_andn2_b64 vcc, exec, s[0:1]
	s_cbranch_vccnz .LBB43_43
; %bb.3:
	v_cmp_gt_i32_e32 vcc, s6, v0
	v_mov_b32_e32 v5, 0
	v_or_b32_e32 v2, s2, v0
	v_mov_b32_e32 v17, 0
	v_mov_b32_e32 v18, 0
	;; [unrolled: 1-line block ×3, first 2 shown]
	s_and_saveexec_b64 s[4:5], vcc
	s_cbranch_execz .LBB43_5
; %bb.4:
	v_mov_b32_e32 v3, 0
	v_lshlrev_b64 v[6:7], 1, v[2:3]
	v_mov_b32_e32 v1, s13
	v_add_co_u32_e64 v8, s[0:1], s12, v6
	v_addc_co_u32_e64 v9, s[0:1], v1, v7, s[0:1]
	v_mov_b32_e32 v1, s11
	v_add_co_u32_e64 v6, s[0:1], s10, v6
	v_addc_co_u32_e64 v7, s[0:1], v1, v7, s[0:1]
	global_load_ushort v17, v[6:7], off
	global_load_ushort v18, v[8:9], off
	v_or_b32_e32 v15, 0x100, v0
.LBB43_5:
	s_or_b64 exec, exec, s[4:5]
	v_cmp_gt_i32_e64 s[0:1], s6, v15
	v_mov_b32_e32 v16, 0
	s_and_saveexec_b64 s[4:5], s[0:1]
	s_cbranch_execz .LBB43_7
; %bb.6:
	v_add_u32_e32 v4, s2, v15
	v_mov_b32_e32 v5, 0
	v_lshlrev_b64 v[4:5], 1, v[4:5]
	v_mov_b32_e32 v1, s13
	v_add_co_u32_e64 v6, s[0:1], s12, v4
	v_addc_co_u32_e64 v7, s[0:1], v1, v5, s[0:1]
	v_mov_b32_e32 v1, s11
	v_add_co_u32_e64 v8, s[0:1], s10, v4
	v_addc_co_u32_e64 v9, s[0:1], v1, v5, s[0:1]
	global_load_ushort v5, v[8:9], off
	global_load_ushort v16, v[6:7], off
	v_add_u32_e32 v15, 0x100, v15
.LBB43_7:
	s_or_b64 exec, exec, s[4:5]
	v_cmp_gt_i32_e64 s[0:1], s6, v15
	v_mov_b32_e32 v4, 0
	v_mov_b32_e32 v13, 0
	v_mov_b32_e32 v14, 0
	s_and_saveexec_b64 s[4:5], s[0:1]
	s_cbranch_execz .LBB43_9
; %bb.8:
	v_add_u32_e32 v6, s2, v15
	v_mov_b32_e32 v7, 0
	v_lshlrev_b64 v[6:7], 1, v[6:7]
	v_mov_b32_e32 v1, s13
	v_add_co_u32_e64 v8, s[0:1], s12, v6
	v_addc_co_u32_e64 v9, s[0:1], v1, v7, s[0:1]
	v_mov_b32_e32 v1, s11
	v_add_co_u32_e64 v6, s[0:1], s10, v6
	v_addc_co_u32_e64 v7, s[0:1], v1, v7, s[0:1]
	global_load_ushort v13, v[6:7], off
	global_load_ushort v14, v[8:9], off
	v_add_u32_e32 v15, 0x100, v15
.LBB43_9:
	s_or_b64 exec, exec, s[4:5]
	v_cmp_gt_i32_e64 s[0:1], s6, v15
	v_mov_b32_e32 v10, 0
	s_and_saveexec_b64 s[4:5], s[0:1]
	s_cbranch_execz .LBB43_11
; %bb.10:
	v_add_u32_e32 v6, s2, v15
	v_mov_b32_e32 v7, 0
	v_lshlrev_b64 v[6:7], 1, v[6:7]
	v_mov_b32_e32 v1, s13
	v_add_co_u32_e64 v8, s[0:1], s12, v6
	v_addc_co_u32_e64 v9, s[0:1], v1, v7, s[0:1]
	v_mov_b32_e32 v1, s11
	v_add_co_u32_e64 v6, s[0:1], s10, v6
	v_addc_co_u32_e64 v7, s[0:1], v1, v7, s[0:1]
	global_load_ushort v4, v[6:7], off
	global_load_ushort v10, v[8:9], off
	v_add_u32_e32 v15, 0x100, v15
.LBB43_11:
	s_or_b64 exec, exec, s[4:5]
	v_cmp_gt_i32_e64 s[0:1], s6, v15
	v_mov_b32_e32 v3, 0
	v_mov_b32_e32 v11, 0
	v_mov_b32_e32 v12, 0
	s_and_saveexec_b64 s[4:5], s[0:1]
	s_cbranch_execz .LBB43_13
; %bb.12:
	v_add_u32_e32 v6, s2, v15
	v_mov_b32_e32 v7, 0
	v_lshlrev_b64 v[6:7], 1, v[6:7]
	v_mov_b32_e32 v1, s13
	v_add_co_u32_e64 v8, s[0:1], s12, v6
	v_addc_co_u32_e64 v9, s[0:1], v1, v7, s[0:1]
	v_mov_b32_e32 v1, s11
	v_add_co_u32_e64 v6, s[0:1], s10, v6
	v_addc_co_u32_e64 v7, s[0:1], v1, v7, s[0:1]
	global_load_ushort v11, v[6:7], off
	global_load_ushort v12, v[8:9], off
	v_add_u32_e32 v15, 0x100, v15
.LBB43_13:
	;; [unrolled: 40-line block ×3, first 2 shown]
	s_or_b64 exec, exec, s[4:5]
	v_cmp_gt_i32_e64 s[0:1], s6, v15
	v_mov_b32_e32 v6, 0
	s_and_saveexec_b64 s[4:5], s[0:1]
	s_cbranch_execz .LBB43_19
; %bb.18:
	v_add_u32_e32 v20, s2, v15
	v_mov_b32_e32 v21, 0
	v_lshlrev_b64 v[20:21], 1, v[20:21]
	v_mov_b32_e32 v1, s13
	v_add_co_u32_e64 v22, s[0:1], s12, v20
	v_addc_co_u32_e64 v23, s[0:1], v1, v21, s[0:1]
	v_mov_b32_e32 v1, s11
	v_add_co_u32_e64 v20, s[0:1], s10, v20
	v_addc_co_u32_e64 v21, s[0:1], v1, v21, s[0:1]
	global_load_ushort v1, v[20:21], off
	global_load_ushort v6, v[22:23], off
.LBB43_19:
	s_or_b64 exec, exec, s[4:5]
                                        ; implicit-def: $vgpr15
	s_and_saveexec_b64 s[4:5], vcc
	s_cbranch_execz .LBB43_21
; %bb.20:
	s_waitcnt vmcnt(0)
	v_cvt_f32_f16_e32 v15, v18
	v_cvt_f32_f16_e32 v19, v17
	s_movk_i32 s0, 0x400
	s_movk_i32 s3, 0x3bfe
	v_rcp_f32_e32 v20, v15
	v_mul_f32_e32 v21, v19, v20
	v_mad_f32 v22, -v15, v21, v19
	v_mac_f32_e32 v21, v22, v20
	v_mad_f32 v15, -v15, v21, v19
	v_mul_f32_e32 v15, v15, v20
	v_and_b32_e32 v15, 0xff800000, v15
	v_add_f32_e32 v15, v15, v21
	v_cvt_f16_f32_e32 v15, v15
	v_mov_b32_e32 v19, 0x400
	v_mov_b32_e32 v20, 0x3bfe
	v_div_fixup_f16 v15, v15, v18, v17
	v_cmp_ngt_f16_e64 s[0:1], s0, v15
	v_cndmask_b32_e64 v15, v19, v15, s[0:1]
	v_cmp_nlt_f16_e64 s[0:1], s3, v15
	v_cndmask_b32_e64 v15, v20, v15, s[0:1]
.LBB43_21:
	s_or_b64 exec, exec, s[4:5]
	s_waitcnt vmcnt(1)
	v_or_b32_e32 v17, 0x100, v0
	v_cmp_gt_i32_e64 s[0:1], s6, v17
                                        ; implicit-def: $vgpr18
	s_and_saveexec_b64 s[4:5], s[0:1]
	s_cbranch_execz .LBB43_23
; %bb.22:
	s_waitcnt vmcnt(0)
	v_cvt_f32_f16_e32 v18, v16
	v_cvt_f32_f16_e32 v19, v5
	s_movk_i32 s0, 0x400
	s_movk_i32 s3, 0x3bfe
	v_rcp_f32_e32 v20, v18
	v_mul_f32_e32 v21, v19, v20
	v_mad_f32 v22, -v18, v21, v19
	v_mac_f32_e32 v21, v22, v20
	v_mad_f32 v18, -v18, v21, v19
	v_mul_f32_e32 v18, v18, v20
	v_and_b32_e32 v18, 0xff800000, v18
	v_add_f32_e32 v18, v18, v21
	v_cvt_f16_f32_e32 v18, v18
	v_mov_b32_e32 v19, 0x400
	v_mov_b32_e32 v20, 0x3bfe
	v_div_fixup_f16 v5, v18, v16, v5
	v_cmp_ngt_f16_e64 s[0:1], s0, v5
	v_cndmask_b32_e64 v5, v19, v5, s[0:1]
	v_cmp_nlt_f16_e64 s[0:1], s3, v5
	v_cndmask_b32_e64 v18, v20, v5, s[0:1]
.LBB43_23:
	s_or_b64 exec, exec, s[4:5]
	v_or_b32_e32 v5, 0x200, v0
	v_cmp_gt_i32_e64 s[0:1], s6, v5
                                        ; implicit-def: $vgpr5
	s_and_saveexec_b64 s[4:5], s[0:1]
	s_cbranch_execz .LBB43_25
; %bb.24:
	s_waitcnt vmcnt(0)
	v_cvt_f32_f16_e32 v5, v14
	v_cvt_f32_f16_e32 v16, v13
	s_movk_i32 s0, 0x400
	s_movk_i32 s3, 0x3bfe
	v_rcp_f32_e32 v19, v5
	v_mul_f32_e32 v20, v16, v19
	v_mad_f32 v21, -v5, v20, v16
	v_mac_f32_e32 v20, v21, v19
	v_mad_f32 v5, -v5, v20, v16
	v_mul_f32_e32 v5, v5, v19
	v_and_b32_e32 v5, 0xff800000, v5
	v_add_f32_e32 v5, v5, v20
	v_cvt_f16_f32_e32 v5, v5
	v_mov_b32_e32 v16, 0x400
	v_mov_b32_e32 v19, 0x3bfe
	v_div_fixup_f16 v5, v5, v14, v13
	v_cmp_ngt_f16_e64 s[0:1], s0, v5
	v_cndmask_b32_e64 v5, v16, v5, s[0:1]
	v_cmp_nlt_f16_e64 s[0:1], s3, v5
	v_cndmask_b32_e64 v5, v19, v5, s[0:1]
.LBB43_25:
	s_or_b64 exec, exec, s[4:5]
	v_or_b32_e32 v13, 0x300, v0
	v_cmp_gt_i32_e64 s[0:1], s6, v13
                                        ; implicit-def: $vgpr13
	s_and_saveexec_b64 s[4:5], s[0:1]
	s_cbranch_execz .LBB43_27
; %bb.26:
	s_waitcnt vmcnt(0)
	v_cvt_f32_f16_e32 v13, v10
	v_cvt_f32_f16_e32 v14, v4
	s_movk_i32 s0, 0x400
	s_movk_i32 s3, 0x3bfe
	v_rcp_f32_e32 v16, v13
	v_mul_f32_e32 v19, v14, v16
	v_mad_f32 v20, -v13, v19, v14
	v_mac_f32_e32 v19, v20, v16
	v_mad_f32 v13, -v13, v19, v14
	v_mul_f32_e32 v13, v13, v16
	v_and_b32_e32 v13, 0xff800000, v13
	v_add_f32_e32 v13, v13, v19
	v_cvt_f16_f32_e32 v13, v13
	v_mov_b32_e32 v14, 0x400
	v_mov_b32_e32 v16, 0x3bfe
	v_div_fixup_f16 v4, v13, v10, v4
	v_cmp_ngt_f16_e64 s[0:1], s0, v4
	v_cndmask_b32_e64 v4, v14, v4, s[0:1]
	v_cmp_nlt_f16_e64 s[0:1], s3, v4
	v_cndmask_b32_e64 v13, v16, v4, s[0:1]
.LBB43_27:
	s_or_b64 exec, exec, s[4:5]
	v_or_b32_e32 v4, 0x400, v0
	s_movk_i32 s3, 0x400
	v_cmp_gt_i32_e64 s[0:1], s6, v4
                                        ; implicit-def: $vgpr4
	s_and_saveexec_b64 s[4:5], s[0:1]
	s_cbranch_execz .LBB43_29
; %bb.28:
	s_waitcnt vmcnt(0)
	v_cvt_f32_f16_e32 v4, v12
	v_cvt_f32_f16_e32 v10, v11
	s_movk_i32 s7, 0x3bfe
	v_rcp_f32_e32 v14, v4
	v_mul_f32_e32 v16, v10, v14
	v_mad_f32 v19, -v4, v16, v10
	v_mac_f32_e32 v16, v19, v14
	v_mad_f32 v4, -v4, v16, v10
	v_mul_f32_e32 v4, v4, v14
	v_and_b32_e32 v4, 0xff800000, v4
	v_add_f32_e32 v4, v4, v16
	v_cvt_f16_f32_e32 v4, v4
	v_mov_b32_e32 v10, 0x400
	v_mov_b32_e32 v14, 0x3bfe
	v_div_fixup_f16 v4, v4, v12, v11
	v_cmp_ngt_f16_e64 s[0:1], s3, v4
	v_cndmask_b32_e64 v4, v10, v4, s[0:1]
	v_cmp_nlt_f16_e64 s[0:1], s7, v4
	v_cndmask_b32_e64 v4, v14, v4, s[0:1]
.LBB43_29:
	s_or_b64 exec, exec, s[4:5]
	s_waitcnt vmcnt(0)
	v_or_b32_e32 v10, 0x500, v0
	v_cmp_gt_i32_e64 s[0:1], s6, v10
                                        ; implicit-def: $vgpr10
	s_and_saveexec_b64 s[4:5], s[0:1]
	s_cbranch_execz .LBB43_31
; %bb.30:
	v_cvt_f32_f16_e32 v10, v9
	v_cvt_f32_f16_e32 v11, v3
	s_movk_i32 s0, 0x400
	s_movk_i32 s3, 0x3bfe
	v_rcp_f32_e32 v12, v10
	v_mul_f32_e32 v14, v11, v12
	v_mad_f32 v16, -v10, v14, v11
	v_mac_f32_e32 v14, v16, v12
	v_mad_f32 v10, -v10, v14, v11
	v_mul_f32_e32 v10, v10, v12
	v_and_b32_e32 v10, 0xff800000, v10
	v_add_f32_e32 v10, v10, v14
	v_cvt_f16_f32_e32 v10, v10
	v_mov_b32_e32 v11, 0x400
	v_mov_b32_e32 v12, 0x3bfe
	v_div_fixup_f16 v3, v10, v9, v3
	v_cmp_ngt_f16_e64 s[0:1], s0, v3
	v_cndmask_b32_e64 v3, v11, v3, s[0:1]
	v_cmp_nlt_f16_e64 s[0:1], s3, v3
	v_cndmask_b32_e64 v10, v12, v3, s[0:1]
.LBB43_31:
	s_or_b64 exec, exec, s[4:5]
	v_or_b32_e32 v3, 0x600, v0
	v_cmp_gt_i32_e64 s[0:1], s6, v3
                                        ; implicit-def: $vgpr9
	s_and_saveexec_b64 s[4:5], s[0:1]
	s_cbranch_execz .LBB43_33
; %bb.32:
	v_cvt_f32_f16_e32 v3, v8
	v_cvt_f32_f16_e32 v9, v7
	s_movk_i32 s0, 0x400
	s_movk_i32 s3, 0x3bfe
	v_rcp_f32_e32 v11, v3
	v_mul_f32_e32 v12, v9, v11
	v_mad_f32 v14, -v3, v12, v9
	v_mac_f32_e32 v12, v14, v11
	v_mad_f32 v3, -v3, v12, v9
	v_mul_f32_e32 v3, v3, v11
	v_and_b32_e32 v3, 0xff800000, v3
	v_add_f32_e32 v3, v3, v12
	v_cvt_f16_f32_e32 v3, v3
	v_mov_b32_e32 v9, 0x400
	v_mov_b32_e32 v11, 0x3bfe
	v_div_fixup_f16 v3, v3, v8, v7
	v_cmp_ngt_f16_e64 s[0:1], s0, v3
	v_cndmask_b32_e64 v3, v9, v3, s[0:1]
	v_cmp_nlt_f16_e64 s[0:1], s3, v3
	v_cndmask_b32_e64 v9, v11, v3, s[0:1]
.LBB43_33:
	s_or_b64 exec, exec, s[4:5]
	v_or_b32_e32 v3, 0x700, v0
	v_cmp_gt_i32_e64 s[0:1], s6, v3
                                        ; implicit-def: $vgpr7
	s_and_saveexec_b64 s[4:5], s[0:1]
	s_cbranch_execnz .LBB43_44
; %bb.34:
	s_or_b64 exec, exec, s[4:5]
	s_and_saveexec_b64 s[0:1], vcc
	s_xor_b64 s[0:1], exec, s[0:1]
	s_cbranch_execnz .LBB43_45
.LBB43_35:
	s_or_b64 exec, exec, s[0:1]
	v_cmp_gt_i32_e32 vcc, s6, v0
	s_and_saveexec_b64 s[0:1], vcc
	s_cbranch_execnz .LBB43_46
.LBB43_36:
	s_or_b64 exec, exec, s[0:1]
	v_cmp_gt_i32_e32 vcc, s6, v0
	s_and_saveexec_b64 s[0:1], vcc
	s_cbranch_execnz .LBB43_47
.LBB43_37:
	s_or_b64 exec, exec, s[0:1]
	v_cmp_gt_i32_e32 vcc, s6, v0
	s_and_saveexec_b64 s[0:1], vcc
	s_cbranch_execnz .LBB43_48
.LBB43_38:
	s_or_b64 exec, exec, s[0:1]
	v_cmp_gt_i32_e32 vcc, s6, v0
	s_and_saveexec_b64 s[0:1], vcc
	s_cbranch_execnz .LBB43_49
.LBB43_39:
	s_or_b64 exec, exec, s[0:1]
	v_cmp_gt_i32_e32 vcc, s6, v0
	s_and_saveexec_b64 s[0:1], vcc
	s_cbranch_execnz .LBB43_50
.LBB43_40:
	s_or_b64 exec, exec, s[0:1]
	v_cmp_gt_i32_e32 vcc, s6, v0
	s_and_saveexec_b64 s[0:1], vcc
	s_cbranch_execnz .LBB43_51
.LBB43_41:
	s_or_b64 exec, exec, s[0:1]
	v_cmp_gt_i32_e32 vcc, s6, v0
	s_and_saveexec_b64 s[0:1], vcc
	s_cbranch_execz .LBB43_43
.LBB43_42:
	v_add_u32_e32 v0, s2, v0
	v_mov_b32_e32 v1, 0
	v_lshlrev_b64 v[0:1], 1, v[0:1]
	v_mov_b32_e32 v2, s9
	v_add_co_u32_e32 v0, vcc, s8, v0
	v_addc_co_u32_e32 v1, vcc, v2, v1, vcc
	global_store_short v[0:1], v7, off
.LBB43_43:
	s_endpgm
.LBB43_44:
	v_cvt_f32_f16_e32 v3, v6
	v_cvt_f32_f16_e32 v7, v1
	s_movk_i32 s0, 0x400
	s_movk_i32 s3, 0x3bfe
	v_rcp_f32_e32 v8, v3
	v_mul_f32_e32 v11, v7, v8
	v_mad_f32 v12, -v3, v11, v7
	v_mac_f32_e32 v11, v12, v8
	v_mad_f32 v3, -v3, v11, v7
	v_mul_f32_e32 v3, v3, v8
	v_and_b32_e32 v3, 0xff800000, v3
	v_add_f32_e32 v3, v3, v11
	v_cvt_f16_f32_e32 v3, v3
	v_mov_b32_e32 v7, 0x400
	v_mov_b32_e32 v8, 0x3bfe
	v_div_fixup_f16 v1, v3, v6, v1
	v_cmp_ngt_f16_e64 s[0:1], s0, v1
	v_cndmask_b32_e64 v1, v7, v1, s[0:1]
	v_cmp_nlt_f16_e64 s[0:1], s3, v1
	v_cndmask_b32_e64 v7, v8, v1, s[0:1]
	s_or_b64 exec, exec, s[4:5]
	s_and_saveexec_b64 s[0:1], vcc
	s_xor_b64 s[0:1], exec, s[0:1]
	s_cbranch_execz .LBB43_35
.LBB43_45:
	v_mov_b32_e32 v3, 0
	v_lshlrev_b64 v[0:1], 1, v[2:3]
	v_mov_b32_e32 v2, s9
	v_add_co_u32_e32 v0, vcc, s8, v0
	v_addc_co_u32_e32 v1, vcc, v2, v1, vcc
	global_store_short v[0:1], v15, off
	v_mov_b32_e32 v0, v17
	s_or_b64 exec, exec, s[0:1]
	v_cmp_gt_i32_e32 vcc, s6, v0
	s_and_saveexec_b64 s[0:1], vcc
	s_cbranch_execz .LBB43_36
.LBB43_46:
	v_add_u32_e32 v2, s2, v0
	v_mov_b32_e32 v3, 0
	v_lshlrev_b64 v[2:3], 1, v[2:3]
	v_mov_b32_e32 v1, s9
	v_add_co_u32_e32 v2, vcc, s8, v2
	v_addc_co_u32_e32 v3, vcc, v1, v3, vcc
	v_add_u32_e32 v0, 0x100, v0
	global_store_short v[2:3], v18, off
	s_or_b64 exec, exec, s[0:1]
	v_cmp_gt_i32_e32 vcc, s6, v0
	s_and_saveexec_b64 s[0:1], vcc
	s_cbranch_execz .LBB43_37
.LBB43_47:
	v_add_u32_e32 v2, s2, v0
	v_mov_b32_e32 v3, 0
	v_lshlrev_b64 v[2:3], 1, v[2:3]
	v_mov_b32_e32 v1, s9
	v_add_co_u32_e32 v2, vcc, s8, v2
	v_addc_co_u32_e32 v3, vcc, v1, v3, vcc
	v_add_u32_e32 v0, 0x100, v0
	global_store_short v[2:3], v5, off
	s_or_b64 exec, exec, s[0:1]
	v_cmp_gt_i32_e32 vcc, s6, v0
	s_and_saveexec_b64 s[0:1], vcc
	s_cbranch_execz .LBB43_38
.LBB43_48:
	v_add_u32_e32 v2, s2, v0
	v_mov_b32_e32 v3, 0
	v_lshlrev_b64 v[2:3], 1, v[2:3]
	v_mov_b32_e32 v1, s9
	v_add_co_u32_e32 v2, vcc, s8, v2
	v_addc_co_u32_e32 v3, vcc, v1, v3, vcc
	v_add_u32_e32 v0, 0x100, v0
	global_store_short v[2:3], v13, off
	s_or_b64 exec, exec, s[0:1]
	v_cmp_gt_i32_e32 vcc, s6, v0
	s_and_saveexec_b64 s[0:1], vcc
	s_cbranch_execz .LBB43_39
.LBB43_49:
	v_add_u32_e32 v2, s2, v0
	v_mov_b32_e32 v3, 0
	v_lshlrev_b64 v[2:3], 1, v[2:3]
	v_mov_b32_e32 v1, s9
	v_add_co_u32_e32 v2, vcc, s8, v2
	v_addc_co_u32_e32 v3, vcc, v1, v3, vcc
	v_add_u32_e32 v0, 0x100, v0
	global_store_short v[2:3], v4, off
	s_or_b64 exec, exec, s[0:1]
	v_cmp_gt_i32_e32 vcc, s6, v0
	s_and_saveexec_b64 s[0:1], vcc
	s_cbranch_execz .LBB43_40
.LBB43_50:
	v_add_u32_e32 v2, s2, v0
	v_mov_b32_e32 v3, 0
	v_lshlrev_b64 v[2:3], 1, v[2:3]
	v_mov_b32_e32 v1, s9
	v_add_co_u32_e32 v2, vcc, s8, v2
	v_addc_co_u32_e32 v3, vcc, v1, v3, vcc
	v_add_u32_e32 v0, 0x100, v0
	global_store_short v[2:3], v10, off
	s_or_b64 exec, exec, s[0:1]
	v_cmp_gt_i32_e32 vcc, s6, v0
	s_and_saveexec_b64 s[0:1], vcc
	s_cbranch_execz .LBB43_41
.LBB43_51:
	v_add_u32_e32 v2, s2, v0
	v_mov_b32_e32 v3, 0
	v_lshlrev_b64 v[2:3], 1, v[2:3]
	v_mov_b32_e32 v1, s9
	v_add_co_u32_e32 v2, vcc, s8, v2
	v_addc_co_u32_e32 v3, vcc, v1, v3, vcc
	v_add_u32_e32 v0, 0x100, v0
	global_store_short v[2:3], v9, off
	s_or_b64 exec, exec, s[0:1]
	v_cmp_gt_i32_e32 vcc, s6, v0
	s_and_saveexec_b64 s[0:1], vcc
	s_cbranch_execnz .LBB43_42
	s_branch .LBB43_43
	.section	.rodata,"a",@progbits
	.p2align	6, 0x0
	.amdhsa_kernel _ZN2at6native29vectorized_elementwise_kernelILi4EZZZNS0_23launch_dirichlet_kernelERNS_18TensorIteratorBaseEENKUlvE_clEvENKUlvE1_clEvEUlN3c104HalfES7_E_St5arrayIPcLm3EEEEviT0_T1_
		.amdhsa_group_segment_fixed_size 0
		.amdhsa_private_segment_fixed_size 0
		.amdhsa_kernarg_size 32
		.amdhsa_user_sgpr_count 6
		.amdhsa_user_sgpr_private_segment_buffer 1
		.amdhsa_user_sgpr_dispatch_ptr 0
		.amdhsa_user_sgpr_queue_ptr 0
		.amdhsa_user_sgpr_kernarg_segment_ptr 1
		.amdhsa_user_sgpr_dispatch_id 0
		.amdhsa_user_sgpr_flat_scratch_init 0
		.amdhsa_user_sgpr_kernarg_preload_length 0
		.amdhsa_user_sgpr_kernarg_preload_offset 0
		.amdhsa_user_sgpr_private_segment_size 0
		.amdhsa_uses_dynamic_stack 0
		.amdhsa_system_sgpr_private_segment_wavefront_offset 0
		.amdhsa_system_sgpr_workgroup_id_x 1
		.amdhsa_system_sgpr_workgroup_id_y 0
		.amdhsa_system_sgpr_workgroup_id_z 0
		.amdhsa_system_sgpr_workgroup_info 0
		.amdhsa_system_vgpr_workitem_id 0
		.amdhsa_next_free_vgpr 47
		.amdhsa_next_free_sgpr 14
		.amdhsa_accum_offset 48
		.amdhsa_reserve_vcc 1
		.amdhsa_reserve_flat_scratch 0
		.amdhsa_float_round_mode_32 0
		.amdhsa_float_round_mode_16_64 0
		.amdhsa_float_denorm_mode_32 3
		.amdhsa_float_denorm_mode_16_64 3
		.amdhsa_dx10_clamp 1
		.amdhsa_ieee_mode 1
		.amdhsa_fp16_overflow 0
		.amdhsa_tg_split 0
		.amdhsa_exception_fp_ieee_invalid_op 0
		.amdhsa_exception_fp_denorm_src 0
		.amdhsa_exception_fp_ieee_div_zero 0
		.amdhsa_exception_fp_ieee_overflow 0
		.amdhsa_exception_fp_ieee_underflow 0
		.amdhsa_exception_fp_ieee_inexact 0
		.amdhsa_exception_int_div_zero 0
	.end_amdhsa_kernel
	.section	.text._ZN2at6native29vectorized_elementwise_kernelILi4EZZZNS0_23launch_dirichlet_kernelERNS_18TensorIteratorBaseEENKUlvE_clEvENKUlvE1_clEvEUlN3c104HalfES7_E_St5arrayIPcLm3EEEEviT0_T1_,"axG",@progbits,_ZN2at6native29vectorized_elementwise_kernelILi4EZZZNS0_23launch_dirichlet_kernelERNS_18TensorIteratorBaseEENKUlvE_clEvENKUlvE1_clEvEUlN3c104HalfES7_E_St5arrayIPcLm3EEEEviT0_T1_,comdat
.Lfunc_end43:
	.size	_ZN2at6native29vectorized_elementwise_kernelILi4EZZZNS0_23launch_dirichlet_kernelERNS_18TensorIteratorBaseEENKUlvE_clEvENKUlvE1_clEvEUlN3c104HalfES7_E_St5arrayIPcLm3EEEEviT0_T1_, .Lfunc_end43-_ZN2at6native29vectorized_elementwise_kernelILi4EZZZNS0_23launch_dirichlet_kernelERNS_18TensorIteratorBaseEENKUlvE_clEvENKUlvE1_clEvEUlN3c104HalfES7_E_St5arrayIPcLm3EEEEviT0_T1_
                                        ; -- End function
	.section	.AMDGPU.csdata,"",@progbits
; Kernel info:
; codeLenInByte = 3600
; NumSgprs: 18
; NumVgprs: 47
; NumAgprs: 0
; TotalNumVgprs: 47
; ScratchSize: 0
; MemoryBound: 0
; FloatMode: 240
; IeeeMode: 1
; LDSByteSize: 0 bytes/workgroup (compile time only)
; SGPRBlocks: 2
; VGPRBlocks: 5
; NumSGPRsForWavesPerEU: 18
; NumVGPRsForWavesPerEU: 47
; AccumOffset: 48
; Occupancy: 8
; WaveLimiterHint : 1
; COMPUTE_PGM_RSRC2:SCRATCH_EN: 0
; COMPUTE_PGM_RSRC2:USER_SGPR: 6
; COMPUTE_PGM_RSRC2:TRAP_HANDLER: 0
; COMPUTE_PGM_RSRC2:TGID_X_EN: 1
; COMPUTE_PGM_RSRC2:TGID_Y_EN: 0
; COMPUTE_PGM_RSRC2:TGID_Z_EN: 0
; COMPUTE_PGM_RSRC2:TIDIG_COMP_CNT: 0
; COMPUTE_PGM_RSRC3_GFX90A:ACCUM_OFFSET: 11
; COMPUTE_PGM_RSRC3_GFX90A:TG_SPLIT: 0
	.section	.text._ZN2at6native29vectorized_elementwise_kernelILi2EZZZNS0_23launch_dirichlet_kernelERNS_18TensorIteratorBaseEENKUlvE_clEvENKUlvE1_clEvEUlN3c104HalfES7_E_St5arrayIPcLm3EEEEviT0_T1_,"axG",@progbits,_ZN2at6native29vectorized_elementwise_kernelILi2EZZZNS0_23launch_dirichlet_kernelERNS_18TensorIteratorBaseEENKUlvE_clEvENKUlvE1_clEvEUlN3c104HalfES7_E_St5arrayIPcLm3EEEEviT0_T1_,comdat
	.globl	_ZN2at6native29vectorized_elementwise_kernelILi2EZZZNS0_23launch_dirichlet_kernelERNS_18TensorIteratorBaseEENKUlvE_clEvENKUlvE1_clEvEUlN3c104HalfES7_E_St5arrayIPcLm3EEEEviT0_T1_ ; -- Begin function _ZN2at6native29vectorized_elementwise_kernelILi2EZZZNS0_23launch_dirichlet_kernelERNS_18TensorIteratorBaseEENKUlvE_clEvENKUlvE1_clEvEUlN3c104HalfES7_E_St5arrayIPcLm3EEEEviT0_T1_
	.p2align	8
	.type	_ZN2at6native29vectorized_elementwise_kernelILi2EZZZNS0_23launch_dirichlet_kernelERNS_18TensorIteratorBaseEENKUlvE_clEvENKUlvE1_clEvEUlN3c104HalfES7_E_St5arrayIPcLm3EEEEviT0_T1_,@function
_ZN2at6native29vectorized_elementwise_kernelILi2EZZZNS0_23launch_dirichlet_kernelERNS_18TensorIteratorBaseEENKUlvE_clEvENKUlvE1_clEvEUlN3c104HalfES7_E_St5arrayIPcLm3EEEEviT0_T1_: ; @_ZN2at6native29vectorized_elementwise_kernelILi2EZZZNS0_23launch_dirichlet_kernelERNS_18TensorIteratorBaseEENKUlvE_clEvENKUlvE1_clEvEUlN3c104HalfES7_E_St5arrayIPcLm3EEEEviT0_T1_
; %bb.0:
	s_load_dword s0, s[4:5], 0x0
	s_load_dwordx4 s[8:11], s[4:5], 0x8
	s_load_dwordx2 s[12:13], s[4:5], 0x18
	s_lshl_b32 s2, s6, 11
	s_waitcnt lgkmcnt(0)
	s_sub_i32 s6, s0, s2
	s_cmpk_gt_i32 s6, 0x7ff
	s_mov_b64 s[0:1], -1
	s_cbranch_scc0 .LBB44_2
; %bb.1:
	s_ashr_i32 s3, s2, 31
	s_lshl_b64 s[0:1], s[2:3], 1
	s_add_u32 s4, s10, s0
	s_addc_u32 s5, s11, s1
	v_lshlrev_b32_e32 v1, 2, v0
	global_load_dword v2, v1, s[4:5]
	global_load_dword v3, v1, s[4:5] offset:1024
	global_load_dword v4, v1, s[4:5] offset:2048
	;; [unrolled: 1-line block ×3, first 2 shown]
	s_add_u32 s4, s12, s0
	s_addc_u32 s5, s13, s1
	global_load_dword v6, v1, s[4:5]
	global_load_dword v7, v1, s[4:5] offset:1024
	global_load_dword v8, v1, s[4:5] offset:2048
	;; [unrolled: 1-line block ×3, first 2 shown]
	s_movk_i32 s3, 0x400
	v_mov_b32_e32 v10, 0x400
	s_add_u32 s0, s8, s0
	s_addc_u32 s1, s9, s1
	s_waitcnt vmcnt(7)
	v_cvt_f32_f16_e32 v11, v2
	s_waitcnt vmcnt(6)
	v_cvt_f32_f16_e32 v13, v3
	v_lshrrev_b32_e32 v14, 16, v3
	v_cvt_f32_f16_e32 v19, v14
	s_waitcnt vmcnt(2)
	v_cvt_f32_f16_e32 v23, v7
	v_lshrrev_b32_e32 v24, 16, v7
	v_cvt_f32_f16_e32 v29, v24
	s_waitcnt vmcnt(1)
	v_cvt_f32_f16_e32 v25, v8
	v_rcp_f32_e32 v32, v23
	v_cvt_f32_f16_e32 v15, v4
	v_rcp_f32_e32 v36, v29
	v_rcp_f32_e32 v33, v25
	v_lshrrev_b32_e32 v26, 16, v8
	v_cvt_f32_f16_e32 v30, v26
	v_mul_f32_e32 v39, v13, v32
	v_mad_f32 v43, -v23, v39, v13
	v_mul_f32_e32 v44, v19, v36
	v_mul_f32_e32 v40, v15, v33
	v_mac_f32_e32 v39, v43, v32
	v_mad_f32 v43, -v29, v44, v19
	v_lshrrev_b32_e32 v16, 16, v4
	v_cvt_f32_f16_e32 v21, v6
	v_lshrrev_b32_e32 v22, 16, v6
	v_mad_f32 v45, -v25, v40, v15
	v_mac_f32_e32 v44, v43, v36
	v_cvt_f32_f16_e32 v20, v16
	s_waitcnt vmcnt(0)
	v_cvt_f32_f16_e32 v27, v9
	v_cvt_f32_f16_e32 v28, v22
	v_rcp_f32_e32 v37, v30
	v_mac_f32_e32 v40, v45, v33
	v_mad_f32 v13, -v23, v39, v13
	v_mad_f32 v19, -v29, v44, v19
	v_mad_f32 v15, -v25, v40, v15
	v_mul_f32_e32 v13, v13, v32
	v_mul_f32_e32 v19, v19, v36
	;; [unrolled: 1-line block ×3, first 2 shown]
	v_and_b32_e32 v13, 0xff800000, v13
	v_and_b32_e32 v19, 0xff800000, v19
	v_lshrrev_b32_e32 v12, 16, v2
	v_rcp_f32_e32 v31, v21
	v_and_b32_e32 v15, 0xff800000, v15
	v_add_f32_e32 v13, v13, v39
	v_add_f32_e32 v19, v19, v44
	v_cvt_f32_f16_e32 v17, v5
	v_cvt_f32_f16_e32 v18, v12
	v_rcp_f32_e32 v34, v27
	v_rcp_f32_e32 v35, v28
	v_mul_f32_e32 v46, v20, v37
	v_add_f32_e32 v15, v15, v40
	v_cvt_f16_f32_e32 v13, v13
	v_cvt_f16_f32_e32 v19, v19
	v_mad_f32 v45, -v30, v46, v20
	v_cvt_f16_f32_e32 v15, v15
	v_mac_f32_e32 v46, v45, v37
	v_mul_f32_e32 v38, v11, v31
	v_mad_f32 v20, -v30, v46, v20
	v_mad_f32 v41, -v21, v38, v11
	v_mul_f32_e32 v42, v18, v35
	v_mul_f32_e32 v20, v20, v37
	v_div_fixup_f16 v3, v13, v7, v3
	v_div_fixup_f16 v7, v19, v24, v14
	v_mul_f32_e32 v14, v17, v34
	v_mac_f32_e32 v38, v41, v31
	v_mad_f32 v41, -v28, v42, v18
	v_and_b32_e32 v20, 0xff800000, v20
	v_div_fixup_f16 v4, v15, v8, v4
	v_mad_f32 v15, -v27, v14, v17
	v_mac_f32_e32 v42, v41, v35
	v_add_f32_e32 v20, v20, v46
	v_mac_f32_e32 v14, v15, v34
	v_mad_f32 v11, -v21, v38, v11
	v_mad_f32 v18, -v28, v42, v18
	v_cvt_f16_f32_e32 v20, v20
	v_mad_f32 v15, -v27, v14, v17
	v_mul_f32_e32 v11, v11, v31
	v_mul_f32_e32 v18, v18, v35
	;; [unrolled: 1-line block ×3, first 2 shown]
	v_and_b32_e32 v11, 0xff800000, v11
	v_and_b32_e32 v18, 0xff800000, v18
	;; [unrolled: 1-line block ×3, first 2 shown]
	v_add_f32_e32 v11, v11, v38
	v_add_f32_e32 v18, v18, v42
	;; [unrolled: 1-line block ×3, first 2 shown]
	v_lshrrev_b32_e32 v15, 16, v9
	v_cvt_f16_f32_e32 v11, v11
	v_cvt_f16_f32_e32 v18, v18
	v_div_fixup_f16 v13, v20, v26, v16
	v_cvt_f32_f16_e32 v16, v15
	v_lshrrev_b32_e32 v17, 16, v5
	v_div_fixup_f16 v2, v11, v6, v2
	v_div_fixup_f16 v6, v18, v22, v12
	v_cvt_f16_f32_e32 v14, v14
	v_cvt_f32_f16_e32 v18, v17
	v_rcp_f32_e32 v19, v16
	v_cmp_ngt_f16_e32 vcc, s3, v2
	v_div_fixup_f16 v5, v14, v9, v5
	v_cndmask_b32_e32 v2, v10, v2, vcc
	v_mul_f32_e32 v9, v18, v19
	v_mad_f32 v14, -v16, v9, v18
	v_mac_f32_e32 v9, v14, v19
	v_mad_f32 v14, -v16, v9, v18
	v_mul_f32_e32 v14, v14, v19
	v_and_b32_e32 v14, 0xff800000, v14
	v_cmp_ngt_f16_e32 vcc, s3, v3
	v_add_f32_e32 v9, v14, v9
	v_cndmask_b32_e32 v3, v10, v3, vcc
	v_cmp_ngt_f16_e32 vcc, s3, v6
	v_cvt_f16_f32_e32 v9, v9
	v_cndmask_b32_e32 v6, v10, v6, vcc
	v_cmp_ngt_f16_e32 vcc, s3, v7
	v_cndmask_b32_e32 v7, v10, v7, vcc
	v_cmp_ngt_f16_e32 vcc, s3, v4
	;; [unrolled: 2-line block ×4, first 2 shown]
	v_div_fixup_f16 v9, v9, v15, v17
	v_cndmask_b32_e32 v5, v10, v5, vcc
	v_cmp_ngt_f16_e32 vcc, s3, v9
	s_movk_i32 s3, 0x3bfe
	v_cndmask_b32_e32 v9, v10, v9, vcc
	v_lshlrev_b32_e32 v10, 16, v6
	v_mov_b32_e32 v15, 0x3bfe0000
	v_cmp_nlt_f16_e32 vcc, s3, v6
	v_and_b32_e32 v8, 0xffff, v2
	v_cndmask_b32_e32 v6, v15, v10, vcc
	v_mov_b32_e32 v10, 0x3bfe
	v_cmp_nlt_f16_e32 vcc, s3, v2
	v_cndmask_b32_e32 v2, v10, v8, vcc
	v_or_b32_e32 v2, v6, v2
	global_store_dword v1, v2, s[0:1]
	v_lshlrev_b32_e32 v2, 16, v7
	v_cmp_nlt_f16_e32 vcc, s3, v7
	v_and_b32_e32 v11, 0xffff, v3
	v_cndmask_b32_e32 v2, v15, v2, vcc
	v_cmp_nlt_f16_e32 vcc, s3, v3
	v_cndmask_b32_e32 v3, v10, v11, vcc
	v_or_b32_e32 v2, v2, v3
	global_store_dword v1, v2, s[0:1] offset:1024
	v_lshlrev_b32_e32 v2, 16, v13
	v_cmp_nlt_f16_e32 vcc, s3, v13
	v_and_b32_e32 v12, 0xffff, v4
	v_cndmask_b32_e32 v2, v15, v2, vcc
	v_cmp_nlt_f16_e32 vcc, s3, v4
	v_cndmask_b32_e32 v3, v10, v12, vcc
	v_or_b32_e32 v2, v2, v3
	global_store_dword v1, v2, s[0:1] offset:2048
	v_lshlrev_b32_e32 v2, 16, v9
	v_cmp_nlt_f16_e32 vcc, s3, v9
	v_and_b32_e32 v14, 0xffff, v5
	v_cndmask_b32_e32 v2, v15, v2, vcc
	v_cmp_nlt_f16_e32 vcc, s3, v5
	v_cndmask_b32_e32 v3, v10, v14, vcc
	v_or_b32_e32 v2, v2, v3
	global_store_dword v1, v2, s[0:1] offset:3072
	s_mov_b64 s[0:1], 0
.LBB44_2:
	s_andn2_b64 vcc, exec, s[0:1]
	s_cbranch_vccnz .LBB44_43
; %bb.3:
	v_cmp_gt_i32_e32 vcc, s6, v0
	v_mov_b32_e32 v5, 0
	v_or_b32_e32 v2, s2, v0
	v_mov_b32_e32 v17, 0
	v_mov_b32_e32 v18, 0
	;; [unrolled: 1-line block ×3, first 2 shown]
	s_and_saveexec_b64 s[4:5], vcc
	s_cbranch_execz .LBB44_5
; %bb.4:
	v_mov_b32_e32 v3, 0
	v_lshlrev_b64 v[6:7], 1, v[2:3]
	v_mov_b32_e32 v1, s13
	v_add_co_u32_e64 v8, s[0:1], s12, v6
	v_addc_co_u32_e64 v9, s[0:1], v1, v7, s[0:1]
	v_mov_b32_e32 v1, s11
	v_add_co_u32_e64 v6, s[0:1], s10, v6
	v_addc_co_u32_e64 v7, s[0:1], v1, v7, s[0:1]
	global_load_ushort v17, v[6:7], off
	global_load_ushort v18, v[8:9], off
	v_or_b32_e32 v15, 0x100, v0
.LBB44_5:
	s_or_b64 exec, exec, s[4:5]
	v_cmp_gt_i32_e64 s[0:1], s6, v15
	v_mov_b32_e32 v16, 0
	s_and_saveexec_b64 s[4:5], s[0:1]
	s_cbranch_execz .LBB44_7
; %bb.6:
	v_add_u32_e32 v4, s2, v15
	v_mov_b32_e32 v5, 0
	v_lshlrev_b64 v[4:5], 1, v[4:5]
	v_mov_b32_e32 v1, s13
	v_add_co_u32_e64 v6, s[0:1], s12, v4
	v_addc_co_u32_e64 v7, s[0:1], v1, v5, s[0:1]
	v_mov_b32_e32 v1, s11
	v_add_co_u32_e64 v8, s[0:1], s10, v4
	v_addc_co_u32_e64 v9, s[0:1], v1, v5, s[0:1]
	global_load_ushort v5, v[8:9], off
	global_load_ushort v16, v[6:7], off
	v_add_u32_e32 v15, 0x100, v15
.LBB44_7:
	s_or_b64 exec, exec, s[4:5]
	v_cmp_gt_i32_e64 s[0:1], s6, v15
	v_mov_b32_e32 v4, 0
	v_mov_b32_e32 v13, 0
	v_mov_b32_e32 v14, 0
	s_and_saveexec_b64 s[4:5], s[0:1]
	s_cbranch_execz .LBB44_9
; %bb.8:
	v_add_u32_e32 v6, s2, v15
	v_mov_b32_e32 v7, 0
	v_lshlrev_b64 v[6:7], 1, v[6:7]
	v_mov_b32_e32 v1, s13
	v_add_co_u32_e64 v8, s[0:1], s12, v6
	v_addc_co_u32_e64 v9, s[0:1], v1, v7, s[0:1]
	v_mov_b32_e32 v1, s11
	v_add_co_u32_e64 v6, s[0:1], s10, v6
	v_addc_co_u32_e64 v7, s[0:1], v1, v7, s[0:1]
	global_load_ushort v13, v[6:7], off
	global_load_ushort v14, v[8:9], off
	v_add_u32_e32 v15, 0x100, v15
.LBB44_9:
	s_or_b64 exec, exec, s[4:5]
	v_cmp_gt_i32_e64 s[0:1], s6, v15
	v_mov_b32_e32 v10, 0
	s_and_saveexec_b64 s[4:5], s[0:1]
	s_cbranch_execz .LBB44_11
; %bb.10:
	v_add_u32_e32 v6, s2, v15
	v_mov_b32_e32 v7, 0
	v_lshlrev_b64 v[6:7], 1, v[6:7]
	v_mov_b32_e32 v1, s13
	v_add_co_u32_e64 v8, s[0:1], s12, v6
	v_addc_co_u32_e64 v9, s[0:1], v1, v7, s[0:1]
	v_mov_b32_e32 v1, s11
	v_add_co_u32_e64 v6, s[0:1], s10, v6
	v_addc_co_u32_e64 v7, s[0:1], v1, v7, s[0:1]
	global_load_ushort v4, v[6:7], off
	global_load_ushort v10, v[8:9], off
	v_add_u32_e32 v15, 0x100, v15
.LBB44_11:
	s_or_b64 exec, exec, s[4:5]
	v_cmp_gt_i32_e64 s[0:1], s6, v15
	v_mov_b32_e32 v3, 0
	v_mov_b32_e32 v11, 0
	v_mov_b32_e32 v12, 0
	s_and_saveexec_b64 s[4:5], s[0:1]
	s_cbranch_execz .LBB44_13
; %bb.12:
	v_add_u32_e32 v6, s2, v15
	v_mov_b32_e32 v7, 0
	v_lshlrev_b64 v[6:7], 1, v[6:7]
	v_mov_b32_e32 v1, s13
	v_add_co_u32_e64 v8, s[0:1], s12, v6
	v_addc_co_u32_e64 v9, s[0:1], v1, v7, s[0:1]
	v_mov_b32_e32 v1, s11
	v_add_co_u32_e64 v6, s[0:1], s10, v6
	v_addc_co_u32_e64 v7, s[0:1], v1, v7, s[0:1]
	global_load_ushort v11, v[6:7], off
	global_load_ushort v12, v[8:9], off
	v_add_u32_e32 v15, 0x100, v15
.LBB44_13:
	;; [unrolled: 40-line block ×3, first 2 shown]
	s_or_b64 exec, exec, s[4:5]
	v_cmp_gt_i32_e64 s[0:1], s6, v15
	v_mov_b32_e32 v6, 0
	s_and_saveexec_b64 s[4:5], s[0:1]
	s_cbranch_execz .LBB44_19
; %bb.18:
	v_add_u32_e32 v20, s2, v15
	v_mov_b32_e32 v21, 0
	v_lshlrev_b64 v[20:21], 1, v[20:21]
	v_mov_b32_e32 v1, s13
	v_add_co_u32_e64 v22, s[0:1], s12, v20
	v_addc_co_u32_e64 v23, s[0:1], v1, v21, s[0:1]
	v_mov_b32_e32 v1, s11
	v_add_co_u32_e64 v20, s[0:1], s10, v20
	v_addc_co_u32_e64 v21, s[0:1], v1, v21, s[0:1]
	global_load_ushort v1, v[20:21], off
	global_load_ushort v6, v[22:23], off
.LBB44_19:
	s_or_b64 exec, exec, s[4:5]
                                        ; implicit-def: $vgpr15
	s_and_saveexec_b64 s[4:5], vcc
	s_cbranch_execz .LBB44_21
; %bb.20:
	s_waitcnt vmcnt(0)
	v_cvt_f32_f16_e32 v15, v18
	v_cvt_f32_f16_e32 v19, v17
	s_movk_i32 s0, 0x400
	s_movk_i32 s3, 0x3bfe
	v_rcp_f32_e32 v20, v15
	v_mul_f32_e32 v21, v19, v20
	v_mad_f32 v22, -v15, v21, v19
	v_mac_f32_e32 v21, v22, v20
	v_mad_f32 v15, -v15, v21, v19
	v_mul_f32_e32 v15, v15, v20
	v_and_b32_e32 v15, 0xff800000, v15
	v_add_f32_e32 v15, v15, v21
	v_cvt_f16_f32_e32 v15, v15
	v_mov_b32_e32 v19, 0x400
	v_mov_b32_e32 v20, 0x3bfe
	v_div_fixup_f16 v15, v15, v18, v17
	v_cmp_ngt_f16_e64 s[0:1], s0, v15
	v_cndmask_b32_e64 v15, v19, v15, s[0:1]
	v_cmp_nlt_f16_e64 s[0:1], s3, v15
	v_cndmask_b32_e64 v15, v20, v15, s[0:1]
.LBB44_21:
	s_or_b64 exec, exec, s[4:5]
	s_waitcnt vmcnt(1)
	v_or_b32_e32 v17, 0x100, v0
	v_cmp_gt_i32_e64 s[0:1], s6, v17
                                        ; implicit-def: $vgpr18
	s_and_saveexec_b64 s[4:5], s[0:1]
	s_cbranch_execz .LBB44_23
; %bb.22:
	s_waitcnt vmcnt(0)
	v_cvt_f32_f16_e32 v18, v16
	v_cvt_f32_f16_e32 v19, v5
	s_movk_i32 s0, 0x400
	s_movk_i32 s3, 0x3bfe
	v_rcp_f32_e32 v20, v18
	v_mul_f32_e32 v21, v19, v20
	v_mad_f32 v22, -v18, v21, v19
	v_mac_f32_e32 v21, v22, v20
	v_mad_f32 v18, -v18, v21, v19
	v_mul_f32_e32 v18, v18, v20
	v_and_b32_e32 v18, 0xff800000, v18
	v_add_f32_e32 v18, v18, v21
	v_cvt_f16_f32_e32 v18, v18
	v_mov_b32_e32 v19, 0x400
	v_mov_b32_e32 v20, 0x3bfe
	v_div_fixup_f16 v5, v18, v16, v5
	v_cmp_ngt_f16_e64 s[0:1], s0, v5
	v_cndmask_b32_e64 v5, v19, v5, s[0:1]
	v_cmp_nlt_f16_e64 s[0:1], s3, v5
	v_cndmask_b32_e64 v18, v20, v5, s[0:1]
.LBB44_23:
	s_or_b64 exec, exec, s[4:5]
	v_or_b32_e32 v5, 0x200, v0
	v_cmp_gt_i32_e64 s[0:1], s6, v5
                                        ; implicit-def: $vgpr5
	s_and_saveexec_b64 s[4:5], s[0:1]
	s_cbranch_execz .LBB44_25
; %bb.24:
	s_waitcnt vmcnt(0)
	v_cvt_f32_f16_e32 v5, v14
	v_cvt_f32_f16_e32 v16, v13
	s_movk_i32 s0, 0x400
	s_movk_i32 s3, 0x3bfe
	v_rcp_f32_e32 v19, v5
	v_mul_f32_e32 v20, v16, v19
	v_mad_f32 v21, -v5, v20, v16
	v_mac_f32_e32 v20, v21, v19
	v_mad_f32 v5, -v5, v20, v16
	v_mul_f32_e32 v5, v5, v19
	v_and_b32_e32 v5, 0xff800000, v5
	v_add_f32_e32 v5, v5, v20
	v_cvt_f16_f32_e32 v5, v5
	v_mov_b32_e32 v16, 0x400
	v_mov_b32_e32 v19, 0x3bfe
	v_div_fixup_f16 v5, v5, v14, v13
	v_cmp_ngt_f16_e64 s[0:1], s0, v5
	v_cndmask_b32_e64 v5, v16, v5, s[0:1]
	v_cmp_nlt_f16_e64 s[0:1], s3, v5
	v_cndmask_b32_e64 v5, v19, v5, s[0:1]
.LBB44_25:
	s_or_b64 exec, exec, s[4:5]
	v_or_b32_e32 v13, 0x300, v0
	v_cmp_gt_i32_e64 s[0:1], s6, v13
                                        ; implicit-def: $vgpr13
	s_and_saveexec_b64 s[4:5], s[0:1]
	s_cbranch_execz .LBB44_27
; %bb.26:
	s_waitcnt vmcnt(0)
	v_cvt_f32_f16_e32 v13, v10
	v_cvt_f32_f16_e32 v14, v4
	s_movk_i32 s0, 0x400
	s_movk_i32 s3, 0x3bfe
	v_rcp_f32_e32 v16, v13
	v_mul_f32_e32 v19, v14, v16
	v_mad_f32 v20, -v13, v19, v14
	v_mac_f32_e32 v19, v20, v16
	v_mad_f32 v13, -v13, v19, v14
	v_mul_f32_e32 v13, v13, v16
	v_and_b32_e32 v13, 0xff800000, v13
	v_add_f32_e32 v13, v13, v19
	v_cvt_f16_f32_e32 v13, v13
	v_mov_b32_e32 v14, 0x400
	v_mov_b32_e32 v16, 0x3bfe
	v_div_fixup_f16 v4, v13, v10, v4
	v_cmp_ngt_f16_e64 s[0:1], s0, v4
	v_cndmask_b32_e64 v4, v14, v4, s[0:1]
	v_cmp_nlt_f16_e64 s[0:1], s3, v4
	v_cndmask_b32_e64 v13, v16, v4, s[0:1]
.LBB44_27:
	s_or_b64 exec, exec, s[4:5]
	v_or_b32_e32 v4, 0x400, v0
	s_movk_i32 s3, 0x400
	v_cmp_gt_i32_e64 s[0:1], s6, v4
                                        ; implicit-def: $vgpr4
	s_and_saveexec_b64 s[4:5], s[0:1]
	s_cbranch_execz .LBB44_29
; %bb.28:
	s_waitcnt vmcnt(0)
	v_cvt_f32_f16_e32 v4, v12
	v_cvt_f32_f16_e32 v10, v11
	s_movk_i32 s7, 0x3bfe
	v_rcp_f32_e32 v14, v4
	v_mul_f32_e32 v16, v10, v14
	v_mad_f32 v19, -v4, v16, v10
	v_mac_f32_e32 v16, v19, v14
	v_mad_f32 v4, -v4, v16, v10
	v_mul_f32_e32 v4, v4, v14
	v_and_b32_e32 v4, 0xff800000, v4
	v_add_f32_e32 v4, v4, v16
	v_cvt_f16_f32_e32 v4, v4
	v_mov_b32_e32 v10, 0x400
	v_mov_b32_e32 v14, 0x3bfe
	v_div_fixup_f16 v4, v4, v12, v11
	v_cmp_ngt_f16_e64 s[0:1], s3, v4
	v_cndmask_b32_e64 v4, v10, v4, s[0:1]
	v_cmp_nlt_f16_e64 s[0:1], s7, v4
	v_cndmask_b32_e64 v4, v14, v4, s[0:1]
.LBB44_29:
	s_or_b64 exec, exec, s[4:5]
	s_waitcnt vmcnt(0)
	v_or_b32_e32 v10, 0x500, v0
	v_cmp_gt_i32_e64 s[0:1], s6, v10
                                        ; implicit-def: $vgpr10
	s_and_saveexec_b64 s[4:5], s[0:1]
	s_cbranch_execz .LBB44_31
; %bb.30:
	v_cvt_f32_f16_e32 v10, v9
	v_cvt_f32_f16_e32 v11, v3
	s_movk_i32 s0, 0x400
	s_movk_i32 s3, 0x3bfe
	v_rcp_f32_e32 v12, v10
	v_mul_f32_e32 v14, v11, v12
	v_mad_f32 v16, -v10, v14, v11
	v_mac_f32_e32 v14, v16, v12
	v_mad_f32 v10, -v10, v14, v11
	v_mul_f32_e32 v10, v10, v12
	v_and_b32_e32 v10, 0xff800000, v10
	v_add_f32_e32 v10, v10, v14
	v_cvt_f16_f32_e32 v10, v10
	v_mov_b32_e32 v11, 0x400
	v_mov_b32_e32 v12, 0x3bfe
	v_div_fixup_f16 v3, v10, v9, v3
	v_cmp_ngt_f16_e64 s[0:1], s0, v3
	v_cndmask_b32_e64 v3, v11, v3, s[0:1]
	v_cmp_nlt_f16_e64 s[0:1], s3, v3
	v_cndmask_b32_e64 v10, v12, v3, s[0:1]
.LBB44_31:
	s_or_b64 exec, exec, s[4:5]
	v_or_b32_e32 v3, 0x600, v0
	v_cmp_gt_i32_e64 s[0:1], s6, v3
                                        ; implicit-def: $vgpr9
	s_and_saveexec_b64 s[4:5], s[0:1]
	s_cbranch_execz .LBB44_33
; %bb.32:
	v_cvt_f32_f16_e32 v3, v8
	v_cvt_f32_f16_e32 v9, v7
	s_movk_i32 s0, 0x400
	s_movk_i32 s3, 0x3bfe
	v_rcp_f32_e32 v11, v3
	v_mul_f32_e32 v12, v9, v11
	v_mad_f32 v14, -v3, v12, v9
	v_mac_f32_e32 v12, v14, v11
	v_mad_f32 v3, -v3, v12, v9
	v_mul_f32_e32 v3, v3, v11
	v_and_b32_e32 v3, 0xff800000, v3
	v_add_f32_e32 v3, v3, v12
	v_cvt_f16_f32_e32 v3, v3
	v_mov_b32_e32 v9, 0x400
	v_mov_b32_e32 v11, 0x3bfe
	v_div_fixup_f16 v3, v3, v8, v7
	v_cmp_ngt_f16_e64 s[0:1], s0, v3
	v_cndmask_b32_e64 v3, v9, v3, s[0:1]
	v_cmp_nlt_f16_e64 s[0:1], s3, v3
	v_cndmask_b32_e64 v9, v11, v3, s[0:1]
.LBB44_33:
	s_or_b64 exec, exec, s[4:5]
	v_or_b32_e32 v3, 0x700, v0
	v_cmp_gt_i32_e64 s[0:1], s6, v3
                                        ; implicit-def: $vgpr7
	s_and_saveexec_b64 s[4:5], s[0:1]
	s_cbranch_execnz .LBB44_44
; %bb.34:
	s_or_b64 exec, exec, s[4:5]
	s_and_saveexec_b64 s[0:1], vcc
	s_xor_b64 s[0:1], exec, s[0:1]
	s_cbranch_execnz .LBB44_45
.LBB44_35:
	s_or_b64 exec, exec, s[0:1]
	v_cmp_gt_i32_e32 vcc, s6, v0
	s_and_saveexec_b64 s[0:1], vcc
	s_cbranch_execnz .LBB44_46
.LBB44_36:
	s_or_b64 exec, exec, s[0:1]
	v_cmp_gt_i32_e32 vcc, s6, v0
	s_and_saveexec_b64 s[0:1], vcc
	s_cbranch_execnz .LBB44_47
.LBB44_37:
	s_or_b64 exec, exec, s[0:1]
	v_cmp_gt_i32_e32 vcc, s6, v0
	s_and_saveexec_b64 s[0:1], vcc
	s_cbranch_execnz .LBB44_48
.LBB44_38:
	s_or_b64 exec, exec, s[0:1]
	v_cmp_gt_i32_e32 vcc, s6, v0
	s_and_saveexec_b64 s[0:1], vcc
	s_cbranch_execnz .LBB44_49
.LBB44_39:
	s_or_b64 exec, exec, s[0:1]
	v_cmp_gt_i32_e32 vcc, s6, v0
	s_and_saveexec_b64 s[0:1], vcc
	s_cbranch_execnz .LBB44_50
.LBB44_40:
	s_or_b64 exec, exec, s[0:1]
	v_cmp_gt_i32_e32 vcc, s6, v0
	s_and_saveexec_b64 s[0:1], vcc
	s_cbranch_execnz .LBB44_51
.LBB44_41:
	s_or_b64 exec, exec, s[0:1]
	v_cmp_gt_i32_e32 vcc, s6, v0
	s_and_saveexec_b64 s[0:1], vcc
	s_cbranch_execz .LBB44_43
.LBB44_42:
	v_add_u32_e32 v0, s2, v0
	v_mov_b32_e32 v1, 0
	v_lshlrev_b64 v[0:1], 1, v[0:1]
	v_mov_b32_e32 v2, s9
	v_add_co_u32_e32 v0, vcc, s8, v0
	v_addc_co_u32_e32 v1, vcc, v2, v1, vcc
	global_store_short v[0:1], v7, off
.LBB44_43:
	s_endpgm
.LBB44_44:
	v_cvt_f32_f16_e32 v3, v6
	v_cvt_f32_f16_e32 v7, v1
	s_movk_i32 s0, 0x400
	s_movk_i32 s3, 0x3bfe
	v_rcp_f32_e32 v8, v3
	v_mul_f32_e32 v11, v7, v8
	v_mad_f32 v12, -v3, v11, v7
	v_mac_f32_e32 v11, v12, v8
	v_mad_f32 v3, -v3, v11, v7
	v_mul_f32_e32 v3, v3, v8
	v_and_b32_e32 v3, 0xff800000, v3
	v_add_f32_e32 v3, v3, v11
	v_cvt_f16_f32_e32 v3, v3
	v_mov_b32_e32 v7, 0x400
	v_mov_b32_e32 v8, 0x3bfe
	v_div_fixup_f16 v1, v3, v6, v1
	v_cmp_ngt_f16_e64 s[0:1], s0, v1
	v_cndmask_b32_e64 v1, v7, v1, s[0:1]
	v_cmp_nlt_f16_e64 s[0:1], s3, v1
	v_cndmask_b32_e64 v7, v8, v1, s[0:1]
	s_or_b64 exec, exec, s[4:5]
	s_and_saveexec_b64 s[0:1], vcc
	s_xor_b64 s[0:1], exec, s[0:1]
	s_cbranch_execz .LBB44_35
.LBB44_45:
	v_mov_b32_e32 v3, 0
	v_lshlrev_b64 v[0:1], 1, v[2:3]
	v_mov_b32_e32 v2, s9
	v_add_co_u32_e32 v0, vcc, s8, v0
	v_addc_co_u32_e32 v1, vcc, v2, v1, vcc
	global_store_short v[0:1], v15, off
	v_mov_b32_e32 v0, v17
	s_or_b64 exec, exec, s[0:1]
	v_cmp_gt_i32_e32 vcc, s6, v0
	s_and_saveexec_b64 s[0:1], vcc
	s_cbranch_execz .LBB44_36
.LBB44_46:
	v_add_u32_e32 v2, s2, v0
	v_mov_b32_e32 v3, 0
	v_lshlrev_b64 v[2:3], 1, v[2:3]
	v_mov_b32_e32 v1, s9
	v_add_co_u32_e32 v2, vcc, s8, v2
	v_addc_co_u32_e32 v3, vcc, v1, v3, vcc
	v_add_u32_e32 v0, 0x100, v0
	global_store_short v[2:3], v18, off
	s_or_b64 exec, exec, s[0:1]
	v_cmp_gt_i32_e32 vcc, s6, v0
	s_and_saveexec_b64 s[0:1], vcc
	s_cbranch_execz .LBB44_37
.LBB44_47:
	v_add_u32_e32 v2, s2, v0
	v_mov_b32_e32 v3, 0
	v_lshlrev_b64 v[2:3], 1, v[2:3]
	v_mov_b32_e32 v1, s9
	v_add_co_u32_e32 v2, vcc, s8, v2
	v_addc_co_u32_e32 v3, vcc, v1, v3, vcc
	v_add_u32_e32 v0, 0x100, v0
	global_store_short v[2:3], v5, off
	s_or_b64 exec, exec, s[0:1]
	v_cmp_gt_i32_e32 vcc, s6, v0
	s_and_saveexec_b64 s[0:1], vcc
	s_cbranch_execz .LBB44_38
.LBB44_48:
	v_add_u32_e32 v2, s2, v0
	v_mov_b32_e32 v3, 0
	v_lshlrev_b64 v[2:3], 1, v[2:3]
	v_mov_b32_e32 v1, s9
	v_add_co_u32_e32 v2, vcc, s8, v2
	v_addc_co_u32_e32 v3, vcc, v1, v3, vcc
	v_add_u32_e32 v0, 0x100, v0
	global_store_short v[2:3], v13, off
	s_or_b64 exec, exec, s[0:1]
	v_cmp_gt_i32_e32 vcc, s6, v0
	s_and_saveexec_b64 s[0:1], vcc
	s_cbranch_execz .LBB44_39
.LBB44_49:
	v_add_u32_e32 v2, s2, v0
	v_mov_b32_e32 v3, 0
	v_lshlrev_b64 v[2:3], 1, v[2:3]
	v_mov_b32_e32 v1, s9
	v_add_co_u32_e32 v2, vcc, s8, v2
	v_addc_co_u32_e32 v3, vcc, v1, v3, vcc
	v_add_u32_e32 v0, 0x100, v0
	global_store_short v[2:3], v4, off
	s_or_b64 exec, exec, s[0:1]
	v_cmp_gt_i32_e32 vcc, s6, v0
	s_and_saveexec_b64 s[0:1], vcc
	s_cbranch_execz .LBB44_40
.LBB44_50:
	v_add_u32_e32 v2, s2, v0
	v_mov_b32_e32 v3, 0
	v_lshlrev_b64 v[2:3], 1, v[2:3]
	v_mov_b32_e32 v1, s9
	v_add_co_u32_e32 v2, vcc, s8, v2
	v_addc_co_u32_e32 v3, vcc, v1, v3, vcc
	v_add_u32_e32 v0, 0x100, v0
	global_store_short v[2:3], v10, off
	s_or_b64 exec, exec, s[0:1]
	v_cmp_gt_i32_e32 vcc, s6, v0
	s_and_saveexec_b64 s[0:1], vcc
	s_cbranch_execz .LBB44_41
.LBB44_51:
	v_add_u32_e32 v2, s2, v0
	v_mov_b32_e32 v3, 0
	v_lshlrev_b64 v[2:3], 1, v[2:3]
	v_mov_b32_e32 v1, s9
	v_add_co_u32_e32 v2, vcc, s8, v2
	v_addc_co_u32_e32 v3, vcc, v1, v3, vcc
	v_add_u32_e32 v0, 0x100, v0
	global_store_short v[2:3], v9, off
	s_or_b64 exec, exec, s[0:1]
	v_cmp_gt_i32_e32 vcc, s6, v0
	s_and_saveexec_b64 s[0:1], vcc
	s_cbranch_execnz .LBB44_42
	s_branch .LBB44_43
	.section	.rodata,"a",@progbits
	.p2align	6, 0x0
	.amdhsa_kernel _ZN2at6native29vectorized_elementwise_kernelILi2EZZZNS0_23launch_dirichlet_kernelERNS_18TensorIteratorBaseEENKUlvE_clEvENKUlvE1_clEvEUlN3c104HalfES7_E_St5arrayIPcLm3EEEEviT0_T1_
		.amdhsa_group_segment_fixed_size 0
		.amdhsa_private_segment_fixed_size 0
		.amdhsa_kernarg_size 32
		.amdhsa_user_sgpr_count 6
		.amdhsa_user_sgpr_private_segment_buffer 1
		.amdhsa_user_sgpr_dispatch_ptr 0
		.amdhsa_user_sgpr_queue_ptr 0
		.amdhsa_user_sgpr_kernarg_segment_ptr 1
		.amdhsa_user_sgpr_dispatch_id 0
		.amdhsa_user_sgpr_flat_scratch_init 0
		.amdhsa_user_sgpr_kernarg_preload_length 0
		.amdhsa_user_sgpr_kernarg_preload_offset 0
		.amdhsa_user_sgpr_private_segment_size 0
		.amdhsa_uses_dynamic_stack 0
		.amdhsa_system_sgpr_private_segment_wavefront_offset 0
		.amdhsa_system_sgpr_workgroup_id_x 1
		.amdhsa_system_sgpr_workgroup_id_y 0
		.amdhsa_system_sgpr_workgroup_id_z 0
		.amdhsa_system_sgpr_workgroup_info 0
		.amdhsa_system_vgpr_workitem_id 0
		.amdhsa_next_free_vgpr 47
		.amdhsa_next_free_sgpr 14
		.amdhsa_accum_offset 48
		.amdhsa_reserve_vcc 1
		.amdhsa_reserve_flat_scratch 0
		.amdhsa_float_round_mode_32 0
		.amdhsa_float_round_mode_16_64 0
		.amdhsa_float_denorm_mode_32 3
		.amdhsa_float_denorm_mode_16_64 3
		.amdhsa_dx10_clamp 1
		.amdhsa_ieee_mode 1
		.amdhsa_fp16_overflow 0
		.amdhsa_tg_split 0
		.amdhsa_exception_fp_ieee_invalid_op 0
		.amdhsa_exception_fp_denorm_src 0
		.amdhsa_exception_fp_ieee_div_zero 0
		.amdhsa_exception_fp_ieee_overflow 0
		.amdhsa_exception_fp_ieee_underflow 0
		.amdhsa_exception_fp_ieee_inexact 0
		.amdhsa_exception_int_div_zero 0
	.end_amdhsa_kernel
	.section	.text._ZN2at6native29vectorized_elementwise_kernelILi2EZZZNS0_23launch_dirichlet_kernelERNS_18TensorIteratorBaseEENKUlvE_clEvENKUlvE1_clEvEUlN3c104HalfES7_E_St5arrayIPcLm3EEEEviT0_T1_,"axG",@progbits,_ZN2at6native29vectorized_elementwise_kernelILi2EZZZNS0_23launch_dirichlet_kernelERNS_18TensorIteratorBaseEENKUlvE_clEvENKUlvE1_clEvEUlN3c104HalfES7_E_St5arrayIPcLm3EEEEviT0_T1_,comdat
.Lfunc_end44:
	.size	_ZN2at6native29vectorized_elementwise_kernelILi2EZZZNS0_23launch_dirichlet_kernelERNS_18TensorIteratorBaseEENKUlvE_clEvENKUlvE1_clEvEUlN3c104HalfES7_E_St5arrayIPcLm3EEEEviT0_T1_, .Lfunc_end44-_ZN2at6native29vectorized_elementwise_kernelILi2EZZZNS0_23launch_dirichlet_kernelERNS_18TensorIteratorBaseEENKUlvE_clEvENKUlvE1_clEvEUlN3c104HalfES7_E_St5arrayIPcLm3EEEEviT0_T1_
                                        ; -- End function
	.section	.AMDGPU.csdata,"",@progbits
; Kernel info:
; codeLenInByte = 3628
; NumSgprs: 18
; NumVgprs: 47
; NumAgprs: 0
; TotalNumVgprs: 47
; ScratchSize: 0
; MemoryBound: 0
; FloatMode: 240
; IeeeMode: 1
; LDSByteSize: 0 bytes/workgroup (compile time only)
; SGPRBlocks: 2
; VGPRBlocks: 5
; NumSGPRsForWavesPerEU: 18
; NumVGPRsForWavesPerEU: 47
; AccumOffset: 48
; Occupancy: 8
; WaveLimiterHint : 1
; COMPUTE_PGM_RSRC2:SCRATCH_EN: 0
; COMPUTE_PGM_RSRC2:USER_SGPR: 6
; COMPUTE_PGM_RSRC2:TRAP_HANDLER: 0
; COMPUTE_PGM_RSRC2:TGID_X_EN: 1
; COMPUTE_PGM_RSRC2:TGID_Y_EN: 0
; COMPUTE_PGM_RSRC2:TGID_Z_EN: 0
; COMPUTE_PGM_RSRC2:TIDIG_COMP_CNT: 0
; COMPUTE_PGM_RSRC3_GFX90A:ACCUM_OFFSET: 11
; COMPUTE_PGM_RSRC3_GFX90A:TG_SPLIT: 0
	.section	.text._ZN2at6native27unrolled_elementwise_kernelIZZZNS0_23launch_dirichlet_kernelERNS_18TensorIteratorBaseEENKUlvE_clEvENKUlvE1_clEvEUlN3c104HalfES7_E_St5arrayIPcLm3EELi4E23TrivialOffsetCalculatorILi2EjESC_ILi1EjENS0_6memory15LoadWithoutCastENSF_16StoreWithoutCastEEEviT_T0_T2_T3_T4_T5_,"axG",@progbits,_ZN2at6native27unrolled_elementwise_kernelIZZZNS0_23launch_dirichlet_kernelERNS_18TensorIteratorBaseEENKUlvE_clEvENKUlvE1_clEvEUlN3c104HalfES7_E_St5arrayIPcLm3EELi4E23TrivialOffsetCalculatorILi2EjESC_ILi1EjENS0_6memory15LoadWithoutCastENSF_16StoreWithoutCastEEEviT_T0_T2_T3_T4_T5_,comdat
	.globl	_ZN2at6native27unrolled_elementwise_kernelIZZZNS0_23launch_dirichlet_kernelERNS_18TensorIteratorBaseEENKUlvE_clEvENKUlvE1_clEvEUlN3c104HalfES7_E_St5arrayIPcLm3EELi4E23TrivialOffsetCalculatorILi2EjESC_ILi1EjENS0_6memory15LoadWithoutCastENSF_16StoreWithoutCastEEEviT_T0_T2_T3_T4_T5_ ; -- Begin function _ZN2at6native27unrolled_elementwise_kernelIZZZNS0_23launch_dirichlet_kernelERNS_18TensorIteratorBaseEENKUlvE_clEvENKUlvE1_clEvEUlN3c104HalfES7_E_St5arrayIPcLm3EELi4E23TrivialOffsetCalculatorILi2EjESC_ILi1EjENS0_6memory15LoadWithoutCastENSF_16StoreWithoutCastEEEviT_T0_T2_T3_T4_T5_
	.p2align	8
	.type	_ZN2at6native27unrolled_elementwise_kernelIZZZNS0_23launch_dirichlet_kernelERNS_18TensorIteratorBaseEENKUlvE_clEvENKUlvE1_clEvEUlN3c104HalfES7_E_St5arrayIPcLm3EELi4E23TrivialOffsetCalculatorILi2EjESC_ILi1EjENS0_6memory15LoadWithoutCastENSF_16StoreWithoutCastEEEviT_T0_T2_T3_T4_T5_,@function
_ZN2at6native27unrolled_elementwise_kernelIZZZNS0_23launch_dirichlet_kernelERNS_18TensorIteratorBaseEENKUlvE_clEvENKUlvE1_clEvEUlN3c104HalfES7_E_St5arrayIPcLm3EELi4E23TrivialOffsetCalculatorILi2EjESC_ILi1EjENS0_6memory15LoadWithoutCastENSF_16StoreWithoutCastEEEviT_T0_T2_T3_T4_T5_: ; @_ZN2at6native27unrolled_elementwise_kernelIZZZNS0_23launch_dirichlet_kernelERNS_18TensorIteratorBaseEENKUlvE_clEvENKUlvE1_clEvEUlN3c104HalfES7_E_St5arrayIPcLm3EELi4E23TrivialOffsetCalculatorILi2EjESC_ILi1EjENS0_6memory15LoadWithoutCastENSF_16StoreWithoutCastEEEviT_T0_T2_T3_T4_T5_
; %bb.0:
	s_load_dword s0, s[4:5], 0x0
	s_load_dwordx4 s[8:11], s[4:5], 0x8
	s_load_dwordx2 s[2:3], s[4:5], 0x18
	s_lshl_b32 s6, s6, 10
	v_mov_b32_e32 v4, 0
	s_waitcnt lgkmcnt(0)
	s_sub_i32 s7, s0, s6
	v_cmp_gt_i32_e32 vcc, s7, v0
	v_or_b32_e32 v2, s6, v0
	v_mov_b32_e32 v8, 0
	v_mov_b32_e32 v9, 0
	;; [unrolled: 1-line block ×3, first 2 shown]
	s_and_saveexec_b64 s[4:5], vcc
	s_cbranch_execz .LBB45_2
; %bb.1:
	v_mov_b32_e32 v3, 0
	v_lshlrev_b64 v[6:7], 1, v[2:3]
	v_mov_b32_e32 v1, s11
	v_add_co_u32_e64 v10, s[0:1], s10, v6
	v_addc_co_u32_e64 v11, s[0:1], v1, v7, s[0:1]
	v_mov_b32_e32 v1, s3
	v_add_co_u32_e64 v6, s[0:1], s2, v6
	v_addc_co_u32_e64 v7, s[0:1], v1, v7, s[0:1]
	global_load_ushort v8, v[10:11], off
	global_load_ushort v9, v[6:7], off
	v_or_b32_e32 v10, 0x100, v0
.LBB45_2:
	s_or_b64 exec, exec, s[4:5]
	v_cmp_gt_i32_e64 s[0:1], s7, v10
	v_mov_b32_e32 v7, 0
	s_and_saveexec_b64 s[4:5], s[0:1]
	s_cbranch_execz .LBB45_4
; %bb.3:
	v_add_u32_e32 v4, s6, v10
	v_mov_b32_e32 v5, 0
	v_lshlrev_b64 v[4:5], 1, v[4:5]
	v_mov_b32_e32 v1, s11
	v_add_co_u32_e64 v12, s[0:1], s10, v4
	v_addc_co_u32_e64 v13, s[0:1], v1, v5, s[0:1]
	v_mov_b32_e32 v1, s3
	v_add_co_u32_e64 v14, s[0:1], s2, v4
	v_addc_co_u32_e64 v15, s[0:1], v1, v5, s[0:1]
	global_load_ushort v4, v[12:13], off
	global_load_ushort v7, v[14:15], off
	v_add_u32_e32 v10, 0x100, v10
.LBB45_4:
	s_or_b64 exec, exec, s[4:5]
	v_cmp_gt_i32_e64 s[0:1], s7, v10
	v_mov_b32_e32 v1, 0
	v_mov_b32_e32 v5, 0
	;; [unrolled: 1-line block ×3, first 2 shown]
	s_and_saveexec_b64 s[4:5], s[0:1]
	s_cbranch_execz .LBB45_6
; %bb.5:
	v_add_u32_e32 v12, s6, v10
	v_mov_b32_e32 v13, 0
	v_lshlrev_b64 v[12:13], 1, v[12:13]
	v_mov_b32_e32 v3, s11
	v_add_co_u32_e64 v14, s[0:1], s10, v12
	v_addc_co_u32_e64 v15, s[0:1], v3, v13, s[0:1]
	v_mov_b32_e32 v3, s3
	v_add_co_u32_e64 v12, s[0:1], s2, v12
	v_addc_co_u32_e64 v13, s[0:1], v3, v13, s[0:1]
	global_load_ushort v5, v[14:15], off
	global_load_ushort v6, v[12:13], off
	v_add_u32_e32 v10, 0x100, v10
.LBB45_6:
	s_or_b64 exec, exec, s[4:5]
	v_cmp_gt_i32_e64 s[0:1], s7, v10
	v_mov_b32_e32 v3, 0
	s_and_saveexec_b64 s[4:5], s[0:1]
	s_cbranch_execz .LBB45_8
; %bb.7:
	v_add_u32_e32 v10, s6, v10
	v_mov_b32_e32 v11, 0
	v_lshlrev_b64 v[10:11], 1, v[10:11]
	v_mov_b32_e32 v1, s11
	v_add_co_u32_e64 v12, s[0:1], s10, v10
	v_addc_co_u32_e64 v13, s[0:1], v1, v11, s[0:1]
	v_mov_b32_e32 v1, s3
	v_add_co_u32_e64 v10, s[0:1], s2, v10
	v_addc_co_u32_e64 v11, s[0:1], v1, v11, s[0:1]
	global_load_ushort v1, v[12:13], off
	global_load_ushort v3, v[10:11], off
.LBB45_8:
	s_or_b64 exec, exec, s[4:5]
                                        ; implicit-def: $vgpr10
	s_and_saveexec_b64 s[2:3], vcc
	s_cbranch_execz .LBB45_10
; %bb.9:
	s_waitcnt vmcnt(0)
	v_cvt_f32_f16_e32 v10, v9
	v_cvt_f32_f16_e32 v11, v8
	s_movk_i32 s0, 0x400
	s_movk_i32 s4, 0x3bfe
	v_rcp_f32_e32 v12, v10
	v_mul_f32_e32 v13, v11, v12
	v_mad_f32 v14, -v10, v13, v11
	v_mac_f32_e32 v13, v14, v12
	v_mad_f32 v10, -v10, v13, v11
	v_mul_f32_e32 v10, v10, v12
	v_and_b32_e32 v10, 0xff800000, v10
	v_add_f32_e32 v10, v10, v13
	v_cvt_f16_f32_e32 v10, v10
	v_mov_b32_e32 v11, 0x400
	v_mov_b32_e32 v12, 0x3bfe
	v_div_fixup_f16 v8, v10, v9, v8
	v_cmp_ngt_f16_e64 s[0:1], s0, v8
	v_cndmask_b32_e64 v8, v11, v8, s[0:1]
	v_cmp_nlt_f16_e64 s[0:1], s4, v8
	v_cndmask_b32_e64 v10, v12, v8, s[0:1]
.LBB45_10:
	s_or_b64 exec, exec, s[2:3]
	s_waitcnt vmcnt(1)
	v_or_b32_e32 v8, 0x100, v0
	v_cmp_gt_i32_e64 s[0:1], s7, v8
                                        ; implicit-def: $vgpr9
	s_and_saveexec_b64 s[2:3], s[0:1]
	s_cbranch_execz .LBB45_12
; %bb.11:
	s_waitcnt vmcnt(0)
	v_cvt_f32_f16_e32 v9, v7
	v_cvt_f32_f16_e32 v11, v4
	s_movk_i32 s0, 0x400
	s_movk_i32 s4, 0x3bfe
	v_rcp_f32_e32 v12, v9
	v_mul_f32_e32 v13, v11, v12
	v_mad_f32 v14, -v9, v13, v11
	v_mac_f32_e32 v13, v14, v12
	v_mad_f32 v9, -v9, v13, v11
	v_mul_f32_e32 v9, v9, v12
	v_and_b32_e32 v9, 0xff800000, v9
	v_add_f32_e32 v9, v9, v13
	v_cvt_f16_f32_e32 v9, v9
	v_mov_b32_e32 v11, 0x400
	v_mov_b32_e32 v12, 0x3bfe
	v_div_fixup_f16 v4, v9, v7, v4
	v_cmp_ngt_f16_e64 s[0:1], s0, v4
	v_cndmask_b32_e64 v4, v11, v4, s[0:1]
	v_cmp_nlt_f16_e64 s[0:1], s4, v4
	v_cndmask_b32_e64 v9, v12, v4, s[0:1]
.LBB45_12:
	s_or_b64 exec, exec, s[2:3]
	v_or_b32_e32 v4, 0x200, v0
	v_cmp_gt_i32_e64 s[0:1], s7, v4
                                        ; implicit-def: $vgpr4
	s_and_saveexec_b64 s[2:3], s[0:1]
	s_cbranch_execz .LBB45_14
; %bb.13:
	s_waitcnt vmcnt(0)
	v_cvt_f32_f16_e32 v4, v6
	v_cvt_f32_f16_e32 v7, v5
	s_movk_i32 s0, 0x400
	s_movk_i32 s4, 0x3bfe
	v_rcp_f32_e32 v11, v4
	v_mul_f32_e32 v12, v7, v11
	v_mad_f32 v13, -v4, v12, v7
	v_mac_f32_e32 v12, v13, v11
	v_mad_f32 v4, -v4, v12, v7
	v_mul_f32_e32 v4, v4, v11
	v_and_b32_e32 v4, 0xff800000, v4
	v_add_f32_e32 v4, v4, v12
	v_cvt_f16_f32_e32 v4, v4
	v_mov_b32_e32 v7, 0x400
	v_mov_b32_e32 v11, 0x3bfe
	v_div_fixup_f16 v4, v4, v6, v5
	v_cmp_ngt_f16_e64 s[0:1], s0, v4
	v_cndmask_b32_e64 v4, v7, v4, s[0:1]
	v_cmp_nlt_f16_e64 s[0:1], s4, v4
	v_cndmask_b32_e64 v4, v11, v4, s[0:1]
.LBB45_14:
	s_or_b64 exec, exec, s[2:3]
	v_or_b32_e32 v5, 0x300, v0
	v_cmp_gt_i32_e64 s[0:1], s7, v5
                                        ; implicit-def: $vgpr5
	s_and_saveexec_b64 s[2:3], s[0:1]
	s_cbranch_execnz .LBB45_20
; %bb.15:
	s_or_b64 exec, exec, s[2:3]
	s_and_saveexec_b64 s[0:1], vcc
	s_xor_b64 s[0:1], exec, s[0:1]
	s_cbranch_execnz .LBB45_21
.LBB45_16:
	s_or_b64 exec, exec, s[0:1]
	v_cmp_gt_i32_e32 vcc, s7, v0
	s_and_saveexec_b64 s[0:1], vcc
	s_cbranch_execnz .LBB45_22
.LBB45_17:
	s_or_b64 exec, exec, s[0:1]
	v_cmp_gt_i32_e32 vcc, s7, v0
	s_and_saveexec_b64 s[0:1], vcc
	s_cbranch_execnz .LBB45_23
.LBB45_18:
	s_or_b64 exec, exec, s[0:1]
	v_cmp_gt_i32_e32 vcc, s7, v0
	s_and_saveexec_b64 s[0:1], vcc
	s_cbranch_execnz .LBB45_24
.LBB45_19:
	s_endpgm
.LBB45_20:
	s_waitcnt vmcnt(0)
	v_cvt_f32_f16_e32 v5, v3
	v_cvt_f32_f16_e32 v6, v1
	s_movk_i32 s0, 0x400
	s_movk_i32 s4, 0x3bfe
	v_rcp_f32_e32 v7, v5
	v_mul_f32_e32 v11, v6, v7
	v_mad_f32 v12, -v5, v11, v6
	v_mac_f32_e32 v11, v12, v7
	v_mad_f32 v5, -v5, v11, v6
	v_mul_f32_e32 v5, v5, v7
	v_and_b32_e32 v5, 0xff800000, v5
	v_add_f32_e32 v5, v5, v11
	v_cvt_f16_f32_e32 v5, v5
	v_mov_b32_e32 v6, 0x400
	v_mov_b32_e32 v7, 0x3bfe
	v_div_fixup_f16 v1, v5, v3, v1
	v_cmp_ngt_f16_e64 s[0:1], s0, v1
	v_cndmask_b32_e64 v1, v6, v1, s[0:1]
	v_cmp_nlt_f16_e64 s[0:1], s4, v1
	v_cndmask_b32_e64 v5, v7, v1, s[0:1]
	s_or_b64 exec, exec, s[2:3]
	s_and_saveexec_b64 s[0:1], vcc
	s_xor_b64 s[0:1], exec, s[0:1]
	s_cbranch_execz .LBB45_16
.LBB45_21:
	s_waitcnt vmcnt(0)
	v_mov_b32_e32 v3, 0
	v_lshlrev_b64 v[0:1], 1, v[2:3]
	v_mov_b32_e32 v2, s9
	v_add_co_u32_e32 v0, vcc, s8, v0
	v_addc_co_u32_e32 v1, vcc, v2, v1, vcc
	global_store_short v[0:1], v10, off
	v_mov_b32_e32 v0, v8
	s_or_b64 exec, exec, s[0:1]
	v_cmp_gt_i32_e32 vcc, s7, v0
	s_and_saveexec_b64 s[0:1], vcc
	s_cbranch_execz .LBB45_17
.LBB45_22:
	v_add_u32_e32 v2, 0x100, v0
	v_add_u32_e32 v0, s6, v0
	v_mov_b32_e32 v1, 0
	v_lshlrev_b64 v[0:1], 1, v[0:1]
	s_waitcnt vmcnt(0)
	v_mov_b32_e32 v3, s9
	v_add_co_u32_e32 v0, vcc, s8, v0
	v_addc_co_u32_e32 v1, vcc, v3, v1, vcc
	global_store_short v[0:1], v9, off
	v_mov_b32_e32 v0, v2
	s_or_b64 exec, exec, s[0:1]
	v_cmp_gt_i32_e32 vcc, s7, v0
	s_and_saveexec_b64 s[0:1], vcc
	s_cbranch_execz .LBB45_18
.LBB45_23:
	v_add_u32_e32 v2, 0x100, v0
	v_add_u32_e32 v0, s6, v0
	v_mov_b32_e32 v1, 0
	v_lshlrev_b64 v[0:1], 1, v[0:1]
	s_waitcnt vmcnt(0)
	v_mov_b32_e32 v3, s9
	v_add_co_u32_e32 v0, vcc, s8, v0
	v_addc_co_u32_e32 v1, vcc, v3, v1, vcc
	global_store_short v[0:1], v4, off
	v_mov_b32_e32 v0, v2
	s_or_b64 exec, exec, s[0:1]
	v_cmp_gt_i32_e32 vcc, s7, v0
	s_and_saveexec_b64 s[0:1], vcc
	s_cbranch_execz .LBB45_19
.LBB45_24:
	v_add_u32_e32 v0, s6, v0
	v_mov_b32_e32 v1, 0
	v_lshlrev_b64 v[0:1], 1, v[0:1]
	v_mov_b32_e32 v2, s9
	v_add_co_u32_e32 v0, vcc, s8, v0
	v_addc_co_u32_e32 v1, vcc, v2, v1, vcc
	global_store_short v[0:1], v5, off
	s_endpgm
	.section	.rodata,"a",@progbits
	.p2align	6, 0x0
	.amdhsa_kernel _ZN2at6native27unrolled_elementwise_kernelIZZZNS0_23launch_dirichlet_kernelERNS_18TensorIteratorBaseEENKUlvE_clEvENKUlvE1_clEvEUlN3c104HalfES7_E_St5arrayIPcLm3EELi4E23TrivialOffsetCalculatorILi2EjESC_ILi1EjENS0_6memory15LoadWithoutCastENSF_16StoreWithoutCastEEEviT_T0_T2_T3_T4_T5_
		.amdhsa_group_segment_fixed_size 0
		.amdhsa_private_segment_fixed_size 0
		.amdhsa_kernarg_size 36
		.amdhsa_user_sgpr_count 6
		.amdhsa_user_sgpr_private_segment_buffer 1
		.amdhsa_user_sgpr_dispatch_ptr 0
		.amdhsa_user_sgpr_queue_ptr 0
		.amdhsa_user_sgpr_kernarg_segment_ptr 1
		.amdhsa_user_sgpr_dispatch_id 0
		.amdhsa_user_sgpr_flat_scratch_init 0
		.amdhsa_user_sgpr_kernarg_preload_length 0
		.amdhsa_user_sgpr_kernarg_preload_offset 0
		.amdhsa_user_sgpr_private_segment_size 0
		.amdhsa_uses_dynamic_stack 0
		.amdhsa_system_sgpr_private_segment_wavefront_offset 0
		.amdhsa_system_sgpr_workgroup_id_x 1
		.amdhsa_system_sgpr_workgroup_id_y 0
		.amdhsa_system_sgpr_workgroup_id_z 0
		.amdhsa_system_sgpr_workgroup_info 0
		.amdhsa_system_vgpr_workitem_id 0
		.amdhsa_next_free_vgpr 16
		.amdhsa_next_free_sgpr 12
		.amdhsa_accum_offset 16
		.amdhsa_reserve_vcc 1
		.amdhsa_reserve_flat_scratch 0
		.amdhsa_float_round_mode_32 0
		.amdhsa_float_round_mode_16_64 0
		.amdhsa_float_denorm_mode_32 3
		.amdhsa_float_denorm_mode_16_64 3
		.amdhsa_dx10_clamp 1
		.amdhsa_ieee_mode 1
		.amdhsa_fp16_overflow 0
		.amdhsa_tg_split 0
		.amdhsa_exception_fp_ieee_invalid_op 0
		.amdhsa_exception_fp_denorm_src 0
		.amdhsa_exception_fp_ieee_div_zero 0
		.amdhsa_exception_fp_ieee_overflow 0
		.amdhsa_exception_fp_ieee_underflow 0
		.amdhsa_exception_fp_ieee_inexact 0
		.amdhsa_exception_int_div_zero 0
	.end_amdhsa_kernel
	.section	.text._ZN2at6native27unrolled_elementwise_kernelIZZZNS0_23launch_dirichlet_kernelERNS_18TensorIteratorBaseEENKUlvE_clEvENKUlvE1_clEvEUlN3c104HalfES7_E_St5arrayIPcLm3EELi4E23TrivialOffsetCalculatorILi2EjESC_ILi1EjENS0_6memory15LoadWithoutCastENSF_16StoreWithoutCastEEEviT_T0_T2_T3_T4_T5_,"axG",@progbits,_ZN2at6native27unrolled_elementwise_kernelIZZZNS0_23launch_dirichlet_kernelERNS_18TensorIteratorBaseEENKUlvE_clEvENKUlvE1_clEvEUlN3c104HalfES7_E_St5arrayIPcLm3EELi4E23TrivialOffsetCalculatorILi2EjESC_ILi1EjENS0_6memory15LoadWithoutCastENSF_16StoreWithoutCastEEEviT_T0_T2_T3_T4_T5_,comdat
.Lfunc_end45:
	.size	_ZN2at6native27unrolled_elementwise_kernelIZZZNS0_23launch_dirichlet_kernelERNS_18TensorIteratorBaseEENKUlvE_clEvENKUlvE1_clEvEUlN3c104HalfES7_E_St5arrayIPcLm3EELi4E23TrivialOffsetCalculatorILi2EjESC_ILi1EjENS0_6memory15LoadWithoutCastENSF_16StoreWithoutCastEEEviT_T0_T2_T3_T4_T5_, .Lfunc_end45-_ZN2at6native27unrolled_elementwise_kernelIZZZNS0_23launch_dirichlet_kernelERNS_18TensorIteratorBaseEENKUlvE_clEvENKUlvE1_clEvEUlN3c104HalfES7_E_St5arrayIPcLm3EELi4E23TrivialOffsetCalculatorILi2EjESC_ILi1EjENS0_6memory15LoadWithoutCastENSF_16StoreWithoutCastEEEviT_T0_T2_T3_T4_T5_
                                        ; -- End function
	.section	.AMDGPU.csdata,"",@progbits
; Kernel info:
; codeLenInByte = 1368
; NumSgprs: 16
; NumVgprs: 16
; NumAgprs: 0
; TotalNumVgprs: 16
; ScratchSize: 0
; MemoryBound: 0
; FloatMode: 240
; IeeeMode: 1
; LDSByteSize: 0 bytes/workgroup (compile time only)
; SGPRBlocks: 1
; VGPRBlocks: 1
; NumSGPRsForWavesPerEU: 16
; NumVGPRsForWavesPerEU: 16
; AccumOffset: 16
; Occupancy: 8
; WaveLimiterHint : 0
; COMPUTE_PGM_RSRC2:SCRATCH_EN: 0
; COMPUTE_PGM_RSRC2:USER_SGPR: 6
; COMPUTE_PGM_RSRC2:TRAP_HANDLER: 0
; COMPUTE_PGM_RSRC2:TGID_X_EN: 1
; COMPUTE_PGM_RSRC2:TGID_Y_EN: 0
; COMPUTE_PGM_RSRC2:TGID_Z_EN: 0
; COMPUTE_PGM_RSRC2:TIDIG_COMP_CNT: 0
; COMPUTE_PGM_RSRC3_GFX90A:ACCUM_OFFSET: 3
; COMPUTE_PGM_RSRC3_GFX90A:TG_SPLIT: 0
	.section	.text._ZN2at6native32elementwise_kernel_manual_unrollILi128ELi8EZNS0_22gpu_kernel_impl_nocastIZZZNS0_23launch_dirichlet_kernelERNS_18TensorIteratorBaseEENKUlvE_clEvENKUlvE1_clEvEUlN3c104HalfES8_E_EEvS4_RKT_EUlibE_EEviT1_,"axG",@progbits,_ZN2at6native32elementwise_kernel_manual_unrollILi128ELi8EZNS0_22gpu_kernel_impl_nocastIZZZNS0_23launch_dirichlet_kernelERNS_18TensorIteratorBaseEENKUlvE_clEvENKUlvE1_clEvEUlN3c104HalfES8_E_EEvS4_RKT_EUlibE_EEviT1_,comdat
	.globl	_ZN2at6native32elementwise_kernel_manual_unrollILi128ELi8EZNS0_22gpu_kernel_impl_nocastIZZZNS0_23launch_dirichlet_kernelERNS_18TensorIteratorBaseEENKUlvE_clEvENKUlvE1_clEvEUlN3c104HalfES8_E_EEvS4_RKT_EUlibE_EEviT1_ ; -- Begin function _ZN2at6native32elementwise_kernel_manual_unrollILi128ELi8EZNS0_22gpu_kernel_impl_nocastIZZZNS0_23launch_dirichlet_kernelERNS_18TensorIteratorBaseEENKUlvE_clEvENKUlvE1_clEvEUlN3c104HalfES8_E_EEvS4_RKT_EUlibE_EEviT1_
	.p2align	8
	.type	_ZN2at6native32elementwise_kernel_manual_unrollILi128ELi8EZNS0_22gpu_kernel_impl_nocastIZZZNS0_23launch_dirichlet_kernelERNS_18TensorIteratorBaseEENKUlvE_clEvENKUlvE1_clEvEUlN3c104HalfES8_E_EEvS4_RKT_EUlibE_EEviT1_,@function
_ZN2at6native32elementwise_kernel_manual_unrollILi128ELi8EZNS0_22gpu_kernel_impl_nocastIZZZNS0_23launch_dirichlet_kernelERNS_18TensorIteratorBaseEENKUlvE_clEvENKUlvE1_clEvEUlN3c104HalfES8_E_EEvS4_RKT_EUlibE_EEviT1_: ; @_ZN2at6native32elementwise_kernel_manual_unrollILi128ELi8EZNS0_22gpu_kernel_impl_nocastIZZZNS0_23launch_dirichlet_kernelERNS_18TensorIteratorBaseEENKUlvE_clEvENKUlvE1_clEvEUlN3c104HalfES8_E_EEvS4_RKT_EUlibE_EEviT1_
; %bb.0:
	s_load_dword s36, s[4:5], 0x0
	s_load_dword s33, s[4:5], 0x8
	s_or_b32 s4, s4, 8
	v_lshl_or_b32 v36, s6, 10, v0
	v_or_b32_e32 v48, 0x380, v36
	s_waitcnt lgkmcnt(0)
	v_cmp_le_i32_e32 vcc, s36, v48
	s_add_i32 s34, s33, -1
	s_cmp_gt_u32 s34, 1
	s_cselect_b64 s[6:7], -1, 0
	s_and_saveexec_b64 s[0:1], vcc
	s_xor_b64 s[16:17], exec, s[0:1]
	s_cbranch_execz .LBB46_98
; %bb.1:
	s_load_dwordx4 s[12:15], s[4:5], 0x4
	s_load_dwordx2 s[22:23], s[4:5], 0x14
	s_load_dwordx4 s[8:11], s[4:5], 0xc4
	s_load_dwordx2 s[20:21], s[4:5], 0xd4
	s_load_dwordx2 s[18:19], s[4:5], 0x198
	s_load_dwordx4 s[0:3], s[4:5], 0x188
	s_cmp_lg_u32 s33, 0
	s_cselect_b64 s[26:27], -1, 0
	s_min_u32 s35, s34, 15
	s_cmp_gt_u32 s33, 1
	s_cselect_b64 s[24:25], -1, 0
	v_cmp_gt_i32_e32 vcc, s36, v36
	s_and_saveexec_b64 s[28:29], vcc
	s_cbranch_execnz .LBB46_9
; %bb.2:
	s_or_b64 exec, exec, s[28:29]
	v_cmp_gt_i32_e32 vcc, s36, v36
	s_and_saveexec_b64 s[28:29], vcc
	s_cbranch_execnz .LBB46_20
.LBB46_3:
	s_or_b64 exec, exec, s[28:29]
	v_cmp_gt_i32_e32 vcc, s36, v36
	s_and_saveexec_b64 s[28:29], vcc
	s_cbranch_execnz .LBB46_31
.LBB46_4:
	s_or_b64 exec, exec, s[28:29]
	v_cmp_gt_i32_e32 vcc, s36, v36
	s_and_saveexec_b64 s[28:29], vcc
	s_cbranch_execnz .LBB46_42
.LBB46_5:
	s_or_b64 exec, exec, s[28:29]
	v_cmp_gt_i32_e32 vcc, s36, v36
	s_and_saveexec_b64 s[28:29], vcc
	s_cbranch_execnz .LBB46_53
.LBB46_6:
	s_or_b64 exec, exec, s[28:29]
	v_cmp_gt_i32_e32 vcc, s36, v36
	s_and_saveexec_b64 s[28:29], vcc
	s_cbranch_execnz .LBB46_64
.LBB46_7:
	s_or_b64 exec, exec, s[28:29]
	v_cmp_gt_i32_e32 vcc, s36, v36
	s_and_saveexec_b64 s[28:29], vcc
	s_cbranch_execnz .LBB46_75
.LBB46_8:
	s_or_b64 exec, exec, s[28:29]
	v_cmp_gt_i32_e32 vcc, s36, v36
	s_and_saveexec_b64 s[28:29], vcc
	s_cbranch_execnz .LBB46_86
	s_branch .LBB46_97
.LBB46_9:
	s_andn2_b64 vcc, exec, s[6:7]
	s_cbranch_vccnz .LBB46_16
; %bb.10:
	s_andn2_b64 vcc, exec, s[26:27]
	v_mov_b32_e32 v2, 0
	v_mov_b32_e32 v4, 0
	;; [unrolled: 1-line block ×3, first 2 shown]
	s_cbranch_vccnz .LBB46_15
; %bb.11:
	s_add_i32 s30, s35, 1
	s_and_b32 s37, s30, 30
	s_add_u32 s30, s4, 0xffffffec
	s_addc_u32 s31, s5, -1
	v_mov_b32_e32 v0, 0
	v_mov_b32_e32 v1, v36
	v_mov_b32_e32 v4, 0
	v_mov_b32_e32 v2, 0
.LBB46_12:                              ; =>This Inner Loop Header: Depth=1
	s_mov_b64 s[38:39], s[30:31]
	s_load_dwordx4 s[40:43], s[38:39], 0x18
	s_load_dwordx2 s[48:49], s[38:39], 0x28
	s_load_dwordx2 s[50:51], s[38:39], 0xe8
	s_load_dwordx4 s[44:47], s[38:39], 0xd8
	s_add_u32 s30, s38, 24
	s_waitcnt lgkmcnt(0)
	v_mul_hi_u32 v3, s41, v1
	v_add_u32_e32 v3, v1, v3
	v_lshrrev_b32_e32 v3, s42, v3
	v_mul_lo_u32 v5, v3, s40
	v_mul_hi_u32 v6, s48, v3
	v_sub_u32_e32 v1, v1, v5
	v_add_u32_e32 v5, v3, v6
	v_mul_lo_u32 v6, v1, s44
	v_mul_lo_u32 v7, v1, s45
	v_mul_lo_u32 v8, v1, s46
	v_lshrrev_b32_e32 v1, s49, v5
	v_mul_lo_u32 v5, v1, s43
	v_sub_u32_e32 v3, v3, v5
	s_addc_u32 s31, s39, 0
	s_add_i32 s37, s37, -2
	v_mul_lo_u32 v5, v3, s47
	v_mul_lo_u32 v9, v3, s50
	;; [unrolled: 1-line block ×3, first 2 shown]
	s_cmp_lg_u32 s37, 0
	v_add3_u32 v0, v6, v0, v5
	v_add3_u32 v2, v8, v2, v3
	;; [unrolled: 1-line block ×3, first 2 shown]
	s_cbranch_scc1 .LBB46_12
; %bb.13:
	s_bitcmp1_b32 s35, 0
	s_cselect_b64 s[38:39], -1, 0
	s_and_b64 vcc, exec, s[38:39]
	s_cbranch_vccnz .LBB46_15
; %bb.14:
	s_load_dwordx2 s[38:39], s[30:31], 0x18
	s_load_dword s37, s[30:31], 0x20
	s_load_dword s42, s[30:31], 0xe0
	s_load_dwordx2 s[40:41], s[30:31], 0xd8
	s_waitcnt lgkmcnt(0)
	v_mul_hi_u32 v3, s39, v1
	v_add_u32_e32 v3, v1, v3
	v_lshrrev_b32_e32 v3, s37, v3
	v_mul_lo_u32 v3, v3, s38
	v_sub_u32_e32 v3, v1, v3
	v_mad_u64_u32 v[0:1], s[30:31], v3, s40, v[0:1]
	v_mad_u64_u32 v[4:5], s[30:31], v3, s41, v[4:5]
	;; [unrolled: 1-line block ×3, first 2 shown]
.LBB46_15:
	s_cbranch_execz .LBB46_17
	s_branch .LBB46_19
.LBB46_16:
                                        ; implicit-def: $vgpr2
                                        ; implicit-def: $vgpr4
                                        ; implicit-def: $vgpr0
.LBB46_17:
	s_waitcnt lgkmcnt(0)
	v_mul_hi_u32 v0, s13, v36
	v_add_u32_e32 v0, v36, v0
	v_lshrrev_b32_e32 v1, s14, v0
	v_mul_lo_u32 v0, v1, s12
	v_sub_u32_e32 v3, v36, v0
	v_mul_lo_u32 v0, v3, s8
	v_mul_lo_u32 v2, v3, s10
	s_andn2_b64 vcc, exec, s[24:25]
	v_mul_lo_u32 v4, v3, s9
	s_cbranch_vccnz .LBB46_19
; %bb.18:
	v_mul_hi_u32 v3, s22, v1
	v_add_u32_e32 v3, v1, v3
	v_lshrrev_b32_e32 v3, s23, v3
	v_mul_lo_u32 v3, v3, s15
	v_sub_u32_e32 v3, v1, v3
	v_mad_u64_u32 v[0:1], s[30:31], v3, s11, v[0:1]
	v_mad_u64_u32 v[4:5], s[30:31], v3, s20, v[4:5]
	;; [unrolled: 1-line block ×3, first 2 shown]
.LBB46_19:
	s_waitcnt lgkmcnt(0)
	global_load_ushort v1, v2, s[18:19]
	global_load_ushort v3, v4, s[2:3]
	s_movk_i32 s30, 0x400
	s_movk_i32 s31, 0x3bfe
	v_add_u32_e32 v36, 0x80, v36
	s_waitcnt vmcnt(1)
	v_cvt_f32_f16_e32 v2, v1
	s_waitcnt vmcnt(0)
	v_cvt_f32_f16_e32 v4, v3
	v_rcp_f32_e32 v5, v2
	v_mul_f32_e32 v6, v4, v5
	v_mad_f32 v7, -v2, v6, v4
	v_mac_f32_e32 v6, v7, v5
	v_mad_f32 v2, -v2, v6, v4
	v_mul_f32_e32 v2, v2, v5
	v_and_b32_e32 v2, 0xff800000, v2
	v_add_f32_e32 v2, v2, v6
	v_cvt_f16_f32_e32 v2, v2
	v_mov_b32_e32 v4, 0x400
	v_mov_b32_e32 v5, 0x3bfe
	v_div_fixup_f16 v1, v2, v1, v3
	v_cmp_ngt_f16_e32 vcc, s30, v1
	v_cndmask_b32_e32 v1, v4, v1, vcc
	v_cmp_nlt_f16_e32 vcc, s31, v1
	v_cndmask_b32_e32 v1, v5, v1, vcc
	global_store_short v0, v1, s[0:1]
	s_or_b64 exec, exec, s[28:29]
	v_cmp_gt_i32_e32 vcc, s36, v36
	s_and_saveexec_b64 s[28:29], vcc
	s_cbranch_execz .LBB46_3
.LBB46_20:
	s_andn2_b64 vcc, exec, s[6:7]
	s_cbranch_vccnz .LBB46_27
; %bb.21:
	s_andn2_b64 vcc, exec, s[26:27]
	v_mov_b32_e32 v2, 0
	v_mov_b32_e32 v4, 0
	;; [unrolled: 1-line block ×3, first 2 shown]
	s_cbranch_vccnz .LBB46_26
; %bb.22:
	s_add_i32 s30, s35, 1
	s_and_b32 s37, s30, 30
	s_add_u32 s30, s4, 0xffffffec
	s_addc_u32 s31, s5, -1
	v_mov_b32_e32 v0, 0
	v_mov_b32_e32 v1, v36
	;; [unrolled: 1-line block ×4, first 2 shown]
.LBB46_23:                              ; =>This Inner Loop Header: Depth=1
	s_mov_b64 s[38:39], s[30:31]
	s_load_dwordx4 s[40:43], s[38:39], 0x18
	s_load_dwordx2 s[48:49], s[38:39], 0x28
	s_load_dwordx2 s[50:51], s[38:39], 0xe8
	s_load_dwordx4 s[44:47], s[38:39], 0xd8
	s_add_u32 s30, s38, 24
	s_waitcnt lgkmcnt(0)
	v_mul_hi_u32 v3, s41, v1
	v_add_u32_e32 v3, v1, v3
	v_lshrrev_b32_e32 v3, s42, v3
	v_mul_lo_u32 v5, v3, s40
	v_mul_hi_u32 v6, s48, v3
	v_sub_u32_e32 v1, v1, v5
	v_add_u32_e32 v5, v3, v6
	v_mul_lo_u32 v6, v1, s44
	v_mul_lo_u32 v7, v1, s45
	;; [unrolled: 1-line block ×3, first 2 shown]
	v_lshrrev_b32_e32 v1, s49, v5
	v_mul_lo_u32 v5, v1, s43
	v_sub_u32_e32 v3, v3, v5
	s_addc_u32 s31, s39, 0
	s_add_i32 s37, s37, -2
	v_mul_lo_u32 v5, v3, s47
	v_mul_lo_u32 v9, v3, s50
	;; [unrolled: 1-line block ×3, first 2 shown]
	s_cmp_eq_u32 s37, 0
	v_add3_u32 v0, v6, v0, v5
	v_add3_u32 v2, v8, v2, v3
	;; [unrolled: 1-line block ×3, first 2 shown]
	s_cbranch_scc0 .LBB46_23
; %bb.24:
	s_bitcmp1_b32 s35, 0
	s_cselect_b64 s[38:39], -1, 0
	s_and_b64 vcc, exec, s[38:39]
	s_cbranch_vccnz .LBB46_26
; %bb.25:
	s_load_dwordx2 s[38:39], s[30:31], 0x18
	s_load_dword s37, s[30:31], 0x20
	s_load_dword s42, s[30:31], 0xe0
	s_load_dwordx2 s[40:41], s[30:31], 0xd8
	s_waitcnt lgkmcnt(0)
	v_mul_hi_u32 v3, s39, v1
	v_add_u32_e32 v3, v1, v3
	v_lshrrev_b32_e32 v3, s37, v3
	v_mul_lo_u32 v3, v3, s38
	v_sub_u32_e32 v3, v1, v3
	v_mad_u64_u32 v[0:1], s[30:31], v3, s40, v[0:1]
	v_mad_u64_u32 v[4:5], s[30:31], v3, s41, v[4:5]
	;; [unrolled: 1-line block ×3, first 2 shown]
.LBB46_26:
	s_cbranch_execz .LBB46_28
	s_branch .LBB46_30
.LBB46_27:
                                        ; implicit-def: $vgpr2
                                        ; implicit-def: $vgpr4
                                        ; implicit-def: $vgpr0
.LBB46_28:
	s_waitcnt lgkmcnt(0)
	v_mul_hi_u32 v0, s13, v36
	v_add_u32_e32 v0, v36, v0
	v_lshrrev_b32_e32 v1, s14, v0
	v_mul_lo_u32 v0, v1, s12
	v_sub_u32_e32 v3, v36, v0
	v_mul_lo_u32 v0, v3, s8
	v_mul_lo_u32 v2, v3, s10
	s_andn2_b64 vcc, exec, s[24:25]
	v_mul_lo_u32 v4, v3, s9
	s_cbranch_vccnz .LBB46_30
; %bb.29:
	v_mul_hi_u32 v3, s22, v1
	v_add_u32_e32 v3, v1, v3
	v_lshrrev_b32_e32 v3, s23, v3
	v_mul_lo_u32 v3, v3, s15
	v_sub_u32_e32 v3, v1, v3
	v_mad_u64_u32 v[0:1], s[30:31], v3, s11, v[0:1]
	v_mad_u64_u32 v[4:5], s[30:31], v3, s20, v[4:5]
	;; [unrolled: 1-line block ×3, first 2 shown]
.LBB46_30:
	s_waitcnt lgkmcnt(0)
	global_load_ushort v1, v2, s[18:19]
	global_load_ushort v3, v4, s[2:3]
	s_movk_i32 s30, 0x400
	s_movk_i32 s31, 0x3bfe
	v_add_u32_e32 v36, 0x80, v36
	s_waitcnt vmcnt(1)
	v_cvt_f32_f16_e32 v2, v1
	s_waitcnt vmcnt(0)
	v_cvt_f32_f16_e32 v4, v3
	v_rcp_f32_e32 v5, v2
	v_mul_f32_e32 v6, v4, v5
	v_mad_f32 v7, -v2, v6, v4
	v_mac_f32_e32 v6, v7, v5
	v_mad_f32 v2, -v2, v6, v4
	v_mul_f32_e32 v2, v2, v5
	v_and_b32_e32 v2, 0xff800000, v2
	v_add_f32_e32 v2, v2, v6
	v_cvt_f16_f32_e32 v2, v2
	v_mov_b32_e32 v4, 0x400
	v_mov_b32_e32 v5, 0x3bfe
	v_div_fixup_f16 v1, v2, v1, v3
	v_cmp_ngt_f16_e32 vcc, s30, v1
	v_cndmask_b32_e32 v1, v4, v1, vcc
	v_cmp_nlt_f16_e32 vcc, s31, v1
	v_cndmask_b32_e32 v1, v5, v1, vcc
	global_store_short v0, v1, s[0:1]
	s_or_b64 exec, exec, s[28:29]
	v_cmp_gt_i32_e32 vcc, s36, v36
	s_and_saveexec_b64 s[28:29], vcc
	s_cbranch_execz .LBB46_4
.LBB46_31:
	s_andn2_b64 vcc, exec, s[6:7]
	s_cbranch_vccnz .LBB46_38
; %bb.32:
	s_andn2_b64 vcc, exec, s[26:27]
	v_mov_b32_e32 v2, 0
	v_mov_b32_e32 v4, 0
	;; [unrolled: 1-line block ×3, first 2 shown]
	s_cbranch_vccnz .LBB46_37
; %bb.33:
	s_add_i32 s30, s35, 1
	s_and_b32 s37, s30, 30
	s_add_u32 s30, s4, 0xffffffec
	s_addc_u32 s31, s5, -1
	v_mov_b32_e32 v0, 0
	v_mov_b32_e32 v1, v36
	;; [unrolled: 1-line block ×4, first 2 shown]
.LBB46_34:                              ; =>This Inner Loop Header: Depth=1
	s_mov_b64 s[38:39], s[30:31]
	s_load_dwordx4 s[40:43], s[38:39], 0x18
	s_load_dwordx2 s[48:49], s[38:39], 0x28
	s_load_dwordx2 s[50:51], s[38:39], 0xe8
	s_load_dwordx4 s[44:47], s[38:39], 0xd8
	s_add_u32 s30, s38, 24
	s_waitcnt lgkmcnt(0)
	v_mul_hi_u32 v3, s41, v1
	v_add_u32_e32 v3, v1, v3
	v_lshrrev_b32_e32 v3, s42, v3
	v_mul_lo_u32 v5, v3, s40
	v_mul_hi_u32 v6, s48, v3
	v_sub_u32_e32 v1, v1, v5
	v_add_u32_e32 v5, v3, v6
	v_mul_lo_u32 v6, v1, s44
	v_mul_lo_u32 v7, v1, s45
	;; [unrolled: 1-line block ×3, first 2 shown]
	v_lshrrev_b32_e32 v1, s49, v5
	v_mul_lo_u32 v5, v1, s43
	v_sub_u32_e32 v3, v3, v5
	s_addc_u32 s31, s39, 0
	s_add_i32 s37, s37, -2
	v_mul_lo_u32 v5, v3, s47
	v_mul_lo_u32 v9, v3, s50
	v_mul_lo_u32 v3, v3, s51
	s_cmp_eq_u32 s37, 0
	v_add3_u32 v0, v6, v0, v5
	v_add3_u32 v2, v8, v2, v3
	;; [unrolled: 1-line block ×3, first 2 shown]
	s_cbranch_scc0 .LBB46_34
; %bb.35:
	s_bitcmp1_b32 s35, 0
	s_cselect_b64 s[38:39], -1, 0
	s_and_b64 vcc, exec, s[38:39]
	s_cbranch_vccnz .LBB46_37
; %bb.36:
	s_load_dwordx2 s[38:39], s[30:31], 0x18
	s_load_dword s37, s[30:31], 0x20
	s_load_dword s42, s[30:31], 0xe0
	s_load_dwordx2 s[40:41], s[30:31], 0xd8
	s_waitcnt lgkmcnt(0)
	v_mul_hi_u32 v3, s39, v1
	v_add_u32_e32 v3, v1, v3
	v_lshrrev_b32_e32 v3, s37, v3
	v_mul_lo_u32 v3, v3, s38
	v_sub_u32_e32 v3, v1, v3
	v_mad_u64_u32 v[0:1], s[30:31], v3, s40, v[0:1]
	v_mad_u64_u32 v[4:5], s[30:31], v3, s41, v[4:5]
	;; [unrolled: 1-line block ×3, first 2 shown]
.LBB46_37:
	s_cbranch_execz .LBB46_39
	s_branch .LBB46_41
.LBB46_38:
                                        ; implicit-def: $vgpr2
                                        ; implicit-def: $vgpr4
                                        ; implicit-def: $vgpr0
.LBB46_39:
	s_waitcnt lgkmcnt(0)
	v_mul_hi_u32 v0, s13, v36
	v_add_u32_e32 v0, v36, v0
	v_lshrrev_b32_e32 v1, s14, v0
	v_mul_lo_u32 v0, v1, s12
	v_sub_u32_e32 v3, v36, v0
	v_mul_lo_u32 v0, v3, s8
	v_mul_lo_u32 v2, v3, s10
	s_andn2_b64 vcc, exec, s[24:25]
	v_mul_lo_u32 v4, v3, s9
	s_cbranch_vccnz .LBB46_41
; %bb.40:
	v_mul_hi_u32 v3, s22, v1
	v_add_u32_e32 v3, v1, v3
	v_lshrrev_b32_e32 v3, s23, v3
	v_mul_lo_u32 v3, v3, s15
	v_sub_u32_e32 v3, v1, v3
	v_mad_u64_u32 v[0:1], s[30:31], v3, s11, v[0:1]
	v_mad_u64_u32 v[4:5], s[30:31], v3, s20, v[4:5]
	;; [unrolled: 1-line block ×3, first 2 shown]
.LBB46_41:
	s_waitcnt lgkmcnt(0)
	global_load_ushort v1, v2, s[18:19]
	global_load_ushort v3, v4, s[2:3]
	s_movk_i32 s30, 0x400
	s_movk_i32 s31, 0x3bfe
	v_add_u32_e32 v36, 0x80, v36
	s_waitcnt vmcnt(1)
	v_cvt_f32_f16_e32 v2, v1
	s_waitcnt vmcnt(0)
	v_cvt_f32_f16_e32 v4, v3
	v_rcp_f32_e32 v5, v2
	v_mul_f32_e32 v6, v4, v5
	v_mad_f32 v7, -v2, v6, v4
	v_mac_f32_e32 v6, v7, v5
	v_mad_f32 v2, -v2, v6, v4
	v_mul_f32_e32 v2, v2, v5
	v_and_b32_e32 v2, 0xff800000, v2
	v_add_f32_e32 v2, v2, v6
	v_cvt_f16_f32_e32 v2, v2
	v_mov_b32_e32 v4, 0x400
	v_mov_b32_e32 v5, 0x3bfe
	v_div_fixup_f16 v1, v2, v1, v3
	v_cmp_ngt_f16_e32 vcc, s30, v1
	v_cndmask_b32_e32 v1, v4, v1, vcc
	v_cmp_nlt_f16_e32 vcc, s31, v1
	v_cndmask_b32_e32 v1, v5, v1, vcc
	global_store_short v0, v1, s[0:1]
	s_or_b64 exec, exec, s[28:29]
	v_cmp_gt_i32_e32 vcc, s36, v36
	s_and_saveexec_b64 s[28:29], vcc
	s_cbranch_execz .LBB46_5
.LBB46_42:
	s_andn2_b64 vcc, exec, s[6:7]
	s_cbranch_vccnz .LBB46_49
; %bb.43:
	s_andn2_b64 vcc, exec, s[26:27]
	v_mov_b32_e32 v2, 0
	v_mov_b32_e32 v4, 0
	;; [unrolled: 1-line block ×3, first 2 shown]
	s_cbranch_vccnz .LBB46_48
; %bb.44:
	s_add_i32 s30, s35, 1
	s_and_b32 s37, s30, 30
	s_add_u32 s30, s4, 0xffffffec
	s_addc_u32 s31, s5, -1
	v_mov_b32_e32 v0, 0
	v_mov_b32_e32 v1, v36
	;; [unrolled: 1-line block ×4, first 2 shown]
.LBB46_45:                              ; =>This Inner Loop Header: Depth=1
	s_mov_b64 s[38:39], s[30:31]
	s_load_dwordx4 s[40:43], s[38:39], 0x18
	s_load_dwordx2 s[48:49], s[38:39], 0x28
	s_load_dwordx2 s[50:51], s[38:39], 0xe8
	s_load_dwordx4 s[44:47], s[38:39], 0xd8
	s_add_u32 s30, s38, 24
	s_waitcnt lgkmcnt(0)
	v_mul_hi_u32 v3, s41, v1
	v_add_u32_e32 v3, v1, v3
	v_lshrrev_b32_e32 v3, s42, v3
	v_mul_lo_u32 v5, v3, s40
	v_mul_hi_u32 v6, s48, v3
	v_sub_u32_e32 v1, v1, v5
	v_add_u32_e32 v5, v3, v6
	v_mul_lo_u32 v6, v1, s44
	v_mul_lo_u32 v7, v1, s45
	;; [unrolled: 1-line block ×3, first 2 shown]
	v_lshrrev_b32_e32 v1, s49, v5
	v_mul_lo_u32 v5, v1, s43
	v_sub_u32_e32 v3, v3, v5
	s_addc_u32 s31, s39, 0
	s_add_i32 s37, s37, -2
	v_mul_lo_u32 v5, v3, s47
	v_mul_lo_u32 v9, v3, s50
	;; [unrolled: 1-line block ×3, first 2 shown]
	s_cmp_eq_u32 s37, 0
	v_add3_u32 v0, v6, v0, v5
	v_add3_u32 v2, v8, v2, v3
	;; [unrolled: 1-line block ×3, first 2 shown]
	s_cbranch_scc0 .LBB46_45
; %bb.46:
	s_bitcmp1_b32 s35, 0
	s_cselect_b64 s[38:39], -1, 0
	s_and_b64 vcc, exec, s[38:39]
	s_cbranch_vccnz .LBB46_48
; %bb.47:
	s_load_dwordx2 s[38:39], s[30:31], 0x18
	s_load_dword s37, s[30:31], 0x20
	s_load_dword s42, s[30:31], 0xe0
	s_load_dwordx2 s[40:41], s[30:31], 0xd8
	s_waitcnt lgkmcnt(0)
	v_mul_hi_u32 v3, s39, v1
	v_add_u32_e32 v3, v1, v3
	v_lshrrev_b32_e32 v3, s37, v3
	v_mul_lo_u32 v3, v3, s38
	v_sub_u32_e32 v3, v1, v3
	v_mad_u64_u32 v[0:1], s[30:31], v3, s40, v[0:1]
	v_mad_u64_u32 v[4:5], s[30:31], v3, s41, v[4:5]
	;; [unrolled: 1-line block ×3, first 2 shown]
.LBB46_48:
	s_cbranch_execz .LBB46_50
	s_branch .LBB46_52
.LBB46_49:
                                        ; implicit-def: $vgpr2
                                        ; implicit-def: $vgpr4
                                        ; implicit-def: $vgpr0
.LBB46_50:
	s_waitcnt lgkmcnt(0)
	v_mul_hi_u32 v0, s13, v36
	v_add_u32_e32 v0, v36, v0
	v_lshrrev_b32_e32 v1, s14, v0
	v_mul_lo_u32 v0, v1, s12
	v_sub_u32_e32 v3, v36, v0
	v_mul_lo_u32 v0, v3, s8
	v_mul_lo_u32 v2, v3, s10
	s_andn2_b64 vcc, exec, s[24:25]
	v_mul_lo_u32 v4, v3, s9
	s_cbranch_vccnz .LBB46_52
; %bb.51:
	v_mul_hi_u32 v3, s22, v1
	v_add_u32_e32 v3, v1, v3
	v_lshrrev_b32_e32 v3, s23, v3
	v_mul_lo_u32 v3, v3, s15
	v_sub_u32_e32 v3, v1, v3
	v_mad_u64_u32 v[0:1], s[30:31], v3, s11, v[0:1]
	v_mad_u64_u32 v[4:5], s[30:31], v3, s20, v[4:5]
	;; [unrolled: 1-line block ×3, first 2 shown]
.LBB46_52:
	s_waitcnt lgkmcnt(0)
	global_load_ushort v1, v2, s[18:19]
	global_load_ushort v3, v4, s[2:3]
	s_movk_i32 s30, 0x400
	s_movk_i32 s31, 0x3bfe
	v_add_u32_e32 v36, 0x80, v36
	s_waitcnt vmcnt(1)
	v_cvt_f32_f16_e32 v2, v1
	s_waitcnt vmcnt(0)
	v_cvt_f32_f16_e32 v4, v3
	v_rcp_f32_e32 v5, v2
	v_mul_f32_e32 v6, v4, v5
	v_mad_f32 v7, -v2, v6, v4
	v_mac_f32_e32 v6, v7, v5
	v_mad_f32 v2, -v2, v6, v4
	v_mul_f32_e32 v2, v2, v5
	v_and_b32_e32 v2, 0xff800000, v2
	v_add_f32_e32 v2, v2, v6
	v_cvt_f16_f32_e32 v2, v2
	v_mov_b32_e32 v4, 0x400
	v_mov_b32_e32 v5, 0x3bfe
	v_div_fixup_f16 v1, v2, v1, v3
	v_cmp_ngt_f16_e32 vcc, s30, v1
	v_cndmask_b32_e32 v1, v4, v1, vcc
	v_cmp_nlt_f16_e32 vcc, s31, v1
	v_cndmask_b32_e32 v1, v5, v1, vcc
	global_store_short v0, v1, s[0:1]
	s_or_b64 exec, exec, s[28:29]
	v_cmp_gt_i32_e32 vcc, s36, v36
	s_and_saveexec_b64 s[28:29], vcc
	s_cbranch_execz .LBB46_6
.LBB46_53:
	s_andn2_b64 vcc, exec, s[6:7]
	s_cbranch_vccnz .LBB46_60
; %bb.54:
	s_andn2_b64 vcc, exec, s[26:27]
	v_mov_b32_e32 v2, 0
	v_mov_b32_e32 v4, 0
	;; [unrolled: 1-line block ×3, first 2 shown]
	s_cbranch_vccnz .LBB46_59
; %bb.55:
	s_add_i32 s30, s35, 1
	s_and_b32 s37, s30, 30
	s_add_u32 s30, s4, 0xffffffec
	s_addc_u32 s31, s5, -1
	v_mov_b32_e32 v0, 0
	v_mov_b32_e32 v1, v36
	;; [unrolled: 1-line block ×4, first 2 shown]
.LBB46_56:                              ; =>This Inner Loop Header: Depth=1
	s_mov_b64 s[38:39], s[30:31]
	s_load_dwordx4 s[40:43], s[38:39], 0x18
	s_load_dwordx2 s[48:49], s[38:39], 0x28
	s_load_dwordx2 s[50:51], s[38:39], 0xe8
	s_load_dwordx4 s[44:47], s[38:39], 0xd8
	s_add_u32 s30, s38, 24
	s_waitcnt lgkmcnt(0)
	v_mul_hi_u32 v3, s41, v1
	v_add_u32_e32 v3, v1, v3
	v_lshrrev_b32_e32 v3, s42, v3
	v_mul_lo_u32 v5, v3, s40
	v_mul_hi_u32 v6, s48, v3
	v_sub_u32_e32 v1, v1, v5
	v_add_u32_e32 v5, v3, v6
	v_mul_lo_u32 v6, v1, s44
	v_mul_lo_u32 v7, v1, s45
	;; [unrolled: 1-line block ×3, first 2 shown]
	v_lshrrev_b32_e32 v1, s49, v5
	v_mul_lo_u32 v5, v1, s43
	v_sub_u32_e32 v3, v3, v5
	s_addc_u32 s31, s39, 0
	s_add_i32 s37, s37, -2
	v_mul_lo_u32 v5, v3, s47
	v_mul_lo_u32 v9, v3, s50
	;; [unrolled: 1-line block ×3, first 2 shown]
	s_cmp_eq_u32 s37, 0
	v_add3_u32 v0, v6, v0, v5
	v_add3_u32 v2, v8, v2, v3
	;; [unrolled: 1-line block ×3, first 2 shown]
	s_cbranch_scc0 .LBB46_56
; %bb.57:
	s_bitcmp1_b32 s35, 0
	s_cselect_b64 s[38:39], -1, 0
	s_and_b64 vcc, exec, s[38:39]
	s_cbranch_vccnz .LBB46_59
; %bb.58:
	s_load_dwordx2 s[38:39], s[30:31], 0x18
	s_load_dword s37, s[30:31], 0x20
	s_load_dword s42, s[30:31], 0xe0
	s_load_dwordx2 s[40:41], s[30:31], 0xd8
	s_waitcnt lgkmcnt(0)
	v_mul_hi_u32 v3, s39, v1
	v_add_u32_e32 v3, v1, v3
	v_lshrrev_b32_e32 v3, s37, v3
	v_mul_lo_u32 v3, v3, s38
	v_sub_u32_e32 v3, v1, v3
	v_mad_u64_u32 v[0:1], s[30:31], v3, s40, v[0:1]
	v_mad_u64_u32 v[4:5], s[30:31], v3, s41, v[4:5]
	;; [unrolled: 1-line block ×3, first 2 shown]
.LBB46_59:
	s_cbranch_execz .LBB46_61
	s_branch .LBB46_63
.LBB46_60:
                                        ; implicit-def: $vgpr2
                                        ; implicit-def: $vgpr4
                                        ; implicit-def: $vgpr0
.LBB46_61:
	s_waitcnt lgkmcnt(0)
	v_mul_hi_u32 v0, s13, v36
	v_add_u32_e32 v0, v36, v0
	v_lshrrev_b32_e32 v1, s14, v0
	v_mul_lo_u32 v0, v1, s12
	v_sub_u32_e32 v3, v36, v0
	v_mul_lo_u32 v0, v3, s8
	v_mul_lo_u32 v2, v3, s10
	s_andn2_b64 vcc, exec, s[24:25]
	v_mul_lo_u32 v4, v3, s9
	s_cbranch_vccnz .LBB46_63
; %bb.62:
	v_mul_hi_u32 v3, s22, v1
	v_add_u32_e32 v3, v1, v3
	v_lshrrev_b32_e32 v3, s23, v3
	v_mul_lo_u32 v3, v3, s15
	v_sub_u32_e32 v3, v1, v3
	v_mad_u64_u32 v[0:1], s[30:31], v3, s11, v[0:1]
	v_mad_u64_u32 v[4:5], s[30:31], v3, s20, v[4:5]
	;; [unrolled: 1-line block ×3, first 2 shown]
.LBB46_63:
	s_waitcnt lgkmcnt(0)
	global_load_ushort v1, v2, s[18:19]
	global_load_ushort v3, v4, s[2:3]
	s_movk_i32 s30, 0x400
	s_movk_i32 s31, 0x3bfe
	v_add_u32_e32 v36, 0x80, v36
	s_waitcnt vmcnt(1)
	v_cvt_f32_f16_e32 v2, v1
	s_waitcnt vmcnt(0)
	v_cvt_f32_f16_e32 v4, v3
	v_rcp_f32_e32 v5, v2
	v_mul_f32_e32 v6, v4, v5
	v_mad_f32 v7, -v2, v6, v4
	v_mac_f32_e32 v6, v7, v5
	v_mad_f32 v2, -v2, v6, v4
	v_mul_f32_e32 v2, v2, v5
	v_and_b32_e32 v2, 0xff800000, v2
	v_add_f32_e32 v2, v2, v6
	v_cvt_f16_f32_e32 v2, v2
	v_mov_b32_e32 v4, 0x400
	v_mov_b32_e32 v5, 0x3bfe
	v_div_fixup_f16 v1, v2, v1, v3
	v_cmp_ngt_f16_e32 vcc, s30, v1
	v_cndmask_b32_e32 v1, v4, v1, vcc
	v_cmp_nlt_f16_e32 vcc, s31, v1
	v_cndmask_b32_e32 v1, v5, v1, vcc
	global_store_short v0, v1, s[0:1]
	s_or_b64 exec, exec, s[28:29]
	v_cmp_gt_i32_e32 vcc, s36, v36
	s_and_saveexec_b64 s[28:29], vcc
	s_cbranch_execz .LBB46_7
.LBB46_64:
	s_andn2_b64 vcc, exec, s[6:7]
	s_cbranch_vccnz .LBB46_71
; %bb.65:
	s_andn2_b64 vcc, exec, s[26:27]
	v_mov_b32_e32 v2, 0
	v_mov_b32_e32 v4, 0
	;; [unrolled: 1-line block ×3, first 2 shown]
	s_cbranch_vccnz .LBB46_70
; %bb.66:
	s_add_i32 s30, s35, 1
	s_and_b32 s37, s30, 30
	s_add_u32 s30, s4, 0xffffffec
	s_addc_u32 s31, s5, -1
	v_mov_b32_e32 v0, 0
	v_mov_b32_e32 v1, v36
	;; [unrolled: 1-line block ×4, first 2 shown]
.LBB46_67:                              ; =>This Inner Loop Header: Depth=1
	s_mov_b64 s[38:39], s[30:31]
	s_load_dwordx4 s[40:43], s[38:39], 0x18
	s_load_dwordx2 s[48:49], s[38:39], 0x28
	s_load_dwordx2 s[50:51], s[38:39], 0xe8
	s_load_dwordx4 s[44:47], s[38:39], 0xd8
	s_add_u32 s30, s38, 24
	s_waitcnt lgkmcnt(0)
	v_mul_hi_u32 v3, s41, v1
	v_add_u32_e32 v3, v1, v3
	v_lshrrev_b32_e32 v3, s42, v3
	v_mul_lo_u32 v5, v3, s40
	v_mul_hi_u32 v6, s48, v3
	v_sub_u32_e32 v1, v1, v5
	v_add_u32_e32 v5, v3, v6
	v_mul_lo_u32 v6, v1, s44
	v_mul_lo_u32 v7, v1, s45
	;; [unrolled: 1-line block ×3, first 2 shown]
	v_lshrrev_b32_e32 v1, s49, v5
	v_mul_lo_u32 v5, v1, s43
	v_sub_u32_e32 v3, v3, v5
	s_addc_u32 s31, s39, 0
	s_add_i32 s37, s37, -2
	v_mul_lo_u32 v5, v3, s47
	v_mul_lo_u32 v9, v3, s50
	;; [unrolled: 1-line block ×3, first 2 shown]
	s_cmp_eq_u32 s37, 0
	v_add3_u32 v0, v6, v0, v5
	v_add3_u32 v2, v8, v2, v3
	v_add3_u32 v4, v7, v4, v9
	s_cbranch_scc0 .LBB46_67
; %bb.68:
	s_bitcmp1_b32 s35, 0
	s_cselect_b64 s[38:39], -1, 0
	s_and_b64 vcc, exec, s[38:39]
	s_cbranch_vccnz .LBB46_70
; %bb.69:
	s_load_dwordx2 s[38:39], s[30:31], 0x18
	s_load_dword s37, s[30:31], 0x20
	s_load_dword s42, s[30:31], 0xe0
	s_load_dwordx2 s[40:41], s[30:31], 0xd8
	s_waitcnt lgkmcnt(0)
	v_mul_hi_u32 v3, s39, v1
	v_add_u32_e32 v3, v1, v3
	v_lshrrev_b32_e32 v3, s37, v3
	v_mul_lo_u32 v3, v3, s38
	v_sub_u32_e32 v3, v1, v3
	v_mad_u64_u32 v[0:1], s[30:31], v3, s40, v[0:1]
	v_mad_u64_u32 v[4:5], s[30:31], v3, s41, v[4:5]
	;; [unrolled: 1-line block ×3, first 2 shown]
.LBB46_70:
	s_cbranch_execz .LBB46_72
	s_branch .LBB46_74
.LBB46_71:
                                        ; implicit-def: $vgpr2
                                        ; implicit-def: $vgpr4
                                        ; implicit-def: $vgpr0
.LBB46_72:
	s_waitcnt lgkmcnt(0)
	v_mul_hi_u32 v0, s13, v36
	v_add_u32_e32 v0, v36, v0
	v_lshrrev_b32_e32 v1, s14, v0
	v_mul_lo_u32 v0, v1, s12
	v_sub_u32_e32 v3, v36, v0
	v_mul_lo_u32 v0, v3, s8
	v_mul_lo_u32 v2, v3, s10
	s_andn2_b64 vcc, exec, s[24:25]
	v_mul_lo_u32 v4, v3, s9
	s_cbranch_vccnz .LBB46_74
; %bb.73:
	v_mul_hi_u32 v3, s22, v1
	v_add_u32_e32 v3, v1, v3
	v_lshrrev_b32_e32 v3, s23, v3
	v_mul_lo_u32 v3, v3, s15
	v_sub_u32_e32 v3, v1, v3
	v_mad_u64_u32 v[0:1], s[30:31], v3, s11, v[0:1]
	v_mad_u64_u32 v[4:5], s[30:31], v3, s20, v[4:5]
	;; [unrolled: 1-line block ×3, first 2 shown]
.LBB46_74:
	s_waitcnt lgkmcnt(0)
	global_load_ushort v1, v2, s[18:19]
	global_load_ushort v3, v4, s[2:3]
	s_movk_i32 s30, 0x400
	s_movk_i32 s31, 0x3bfe
	v_add_u32_e32 v36, 0x80, v36
	s_waitcnt vmcnt(1)
	v_cvt_f32_f16_e32 v2, v1
	s_waitcnt vmcnt(0)
	v_cvt_f32_f16_e32 v4, v3
	v_rcp_f32_e32 v5, v2
	v_mul_f32_e32 v6, v4, v5
	v_mad_f32 v7, -v2, v6, v4
	v_mac_f32_e32 v6, v7, v5
	v_mad_f32 v2, -v2, v6, v4
	v_mul_f32_e32 v2, v2, v5
	v_and_b32_e32 v2, 0xff800000, v2
	v_add_f32_e32 v2, v2, v6
	v_cvt_f16_f32_e32 v2, v2
	v_mov_b32_e32 v4, 0x400
	v_mov_b32_e32 v5, 0x3bfe
	v_div_fixup_f16 v1, v2, v1, v3
	v_cmp_ngt_f16_e32 vcc, s30, v1
	v_cndmask_b32_e32 v1, v4, v1, vcc
	v_cmp_nlt_f16_e32 vcc, s31, v1
	v_cndmask_b32_e32 v1, v5, v1, vcc
	global_store_short v0, v1, s[0:1]
	s_or_b64 exec, exec, s[28:29]
	v_cmp_gt_i32_e32 vcc, s36, v36
	s_and_saveexec_b64 s[28:29], vcc
	s_cbranch_execz .LBB46_8
.LBB46_75:
	s_andn2_b64 vcc, exec, s[6:7]
	s_cbranch_vccnz .LBB46_82
; %bb.76:
	s_andn2_b64 vcc, exec, s[26:27]
	v_mov_b32_e32 v2, 0
	v_mov_b32_e32 v4, 0
	;; [unrolled: 1-line block ×3, first 2 shown]
	s_cbranch_vccnz .LBB46_81
; %bb.77:
	s_add_i32 s30, s35, 1
	s_and_b32 s37, s30, 30
	s_add_u32 s30, s4, 0xffffffec
	s_addc_u32 s31, s5, -1
	v_mov_b32_e32 v0, 0
	v_mov_b32_e32 v1, v36
	;; [unrolled: 1-line block ×4, first 2 shown]
.LBB46_78:                              ; =>This Inner Loop Header: Depth=1
	s_mov_b64 s[38:39], s[30:31]
	s_load_dwordx4 s[40:43], s[38:39], 0x18
	s_load_dwordx2 s[48:49], s[38:39], 0x28
	s_load_dwordx2 s[50:51], s[38:39], 0xe8
	s_load_dwordx4 s[44:47], s[38:39], 0xd8
	s_add_u32 s30, s38, 24
	s_waitcnt lgkmcnt(0)
	v_mul_hi_u32 v3, s41, v1
	v_add_u32_e32 v3, v1, v3
	v_lshrrev_b32_e32 v3, s42, v3
	v_mul_lo_u32 v5, v3, s40
	v_mul_hi_u32 v6, s48, v3
	v_sub_u32_e32 v1, v1, v5
	v_add_u32_e32 v5, v3, v6
	v_mul_lo_u32 v6, v1, s44
	v_mul_lo_u32 v7, v1, s45
	;; [unrolled: 1-line block ×3, first 2 shown]
	v_lshrrev_b32_e32 v1, s49, v5
	v_mul_lo_u32 v5, v1, s43
	v_sub_u32_e32 v3, v3, v5
	s_addc_u32 s31, s39, 0
	s_add_i32 s37, s37, -2
	v_mul_lo_u32 v5, v3, s47
	v_mul_lo_u32 v9, v3, s50
	;; [unrolled: 1-line block ×3, first 2 shown]
	s_cmp_eq_u32 s37, 0
	v_add3_u32 v0, v6, v0, v5
	v_add3_u32 v2, v8, v2, v3
	;; [unrolled: 1-line block ×3, first 2 shown]
	s_cbranch_scc0 .LBB46_78
; %bb.79:
	s_bitcmp1_b32 s35, 0
	s_cselect_b64 s[38:39], -1, 0
	s_and_b64 vcc, exec, s[38:39]
	s_cbranch_vccnz .LBB46_81
; %bb.80:
	s_load_dwordx2 s[38:39], s[30:31], 0x18
	s_load_dword s37, s[30:31], 0x20
	s_load_dword s42, s[30:31], 0xe0
	s_load_dwordx2 s[40:41], s[30:31], 0xd8
	s_waitcnt lgkmcnt(0)
	v_mul_hi_u32 v3, s39, v1
	v_add_u32_e32 v3, v1, v3
	v_lshrrev_b32_e32 v3, s37, v3
	v_mul_lo_u32 v3, v3, s38
	v_sub_u32_e32 v3, v1, v3
	v_mad_u64_u32 v[0:1], s[30:31], v3, s40, v[0:1]
	v_mad_u64_u32 v[4:5], s[30:31], v3, s41, v[4:5]
	;; [unrolled: 1-line block ×3, first 2 shown]
.LBB46_81:
	s_cbranch_execz .LBB46_83
	s_branch .LBB46_85
.LBB46_82:
                                        ; implicit-def: $vgpr2
                                        ; implicit-def: $vgpr4
                                        ; implicit-def: $vgpr0
.LBB46_83:
	s_waitcnt lgkmcnt(0)
	v_mul_hi_u32 v0, s13, v36
	v_add_u32_e32 v0, v36, v0
	v_lshrrev_b32_e32 v1, s14, v0
	v_mul_lo_u32 v0, v1, s12
	v_sub_u32_e32 v3, v36, v0
	v_mul_lo_u32 v0, v3, s8
	v_mul_lo_u32 v2, v3, s10
	s_andn2_b64 vcc, exec, s[24:25]
	v_mul_lo_u32 v4, v3, s9
	s_cbranch_vccnz .LBB46_85
; %bb.84:
	v_mul_hi_u32 v3, s22, v1
	v_add_u32_e32 v3, v1, v3
	v_lshrrev_b32_e32 v3, s23, v3
	v_mul_lo_u32 v3, v3, s15
	v_sub_u32_e32 v3, v1, v3
	v_mad_u64_u32 v[0:1], s[30:31], v3, s11, v[0:1]
	v_mad_u64_u32 v[4:5], s[30:31], v3, s20, v[4:5]
	;; [unrolled: 1-line block ×3, first 2 shown]
.LBB46_85:
	s_waitcnt lgkmcnt(0)
	global_load_ushort v1, v2, s[18:19]
	global_load_ushort v3, v4, s[2:3]
	s_movk_i32 s30, 0x400
	s_movk_i32 s31, 0x3bfe
	v_add_u32_e32 v36, 0x80, v36
	s_waitcnt vmcnt(1)
	v_cvt_f32_f16_e32 v2, v1
	s_waitcnt vmcnt(0)
	v_cvt_f32_f16_e32 v4, v3
	v_rcp_f32_e32 v5, v2
	v_mul_f32_e32 v6, v4, v5
	v_mad_f32 v7, -v2, v6, v4
	v_mac_f32_e32 v6, v7, v5
	v_mad_f32 v2, -v2, v6, v4
	v_mul_f32_e32 v2, v2, v5
	v_and_b32_e32 v2, 0xff800000, v2
	v_add_f32_e32 v2, v2, v6
	v_cvt_f16_f32_e32 v2, v2
	v_mov_b32_e32 v4, 0x400
	v_mov_b32_e32 v5, 0x3bfe
	v_div_fixup_f16 v1, v2, v1, v3
	v_cmp_ngt_f16_e32 vcc, s30, v1
	v_cndmask_b32_e32 v1, v4, v1, vcc
	v_cmp_nlt_f16_e32 vcc, s31, v1
	v_cndmask_b32_e32 v1, v5, v1, vcc
	global_store_short v0, v1, s[0:1]
	s_or_b64 exec, exec, s[28:29]
	v_cmp_gt_i32_e32 vcc, s36, v36
	s_and_saveexec_b64 s[28:29], vcc
	s_cbranch_execz .LBB46_97
.LBB46_86:
	s_andn2_b64 vcc, exec, s[6:7]
	s_cbranch_vccnz .LBB46_93
; %bb.87:
	s_andn2_b64 vcc, exec, s[26:27]
	v_mov_b32_e32 v2, 0
	v_mov_b32_e32 v4, 0
	;; [unrolled: 1-line block ×3, first 2 shown]
	s_cbranch_vccnz .LBB46_92
; %bb.88:
	s_add_i32 s26, s35, 1
	s_and_b32 s30, s26, 30
	s_add_u32 s26, s4, 0xffffffec
	s_addc_u32 s27, s5, -1
	v_mov_b32_e32 v0, 0
	v_mov_b32_e32 v1, v36
	;; [unrolled: 1-line block ×4, first 2 shown]
.LBB46_89:                              ; =>This Inner Loop Header: Depth=1
	s_mov_b64 s[44:45], s[26:27]
	s_load_dwordx4 s[36:39], s[44:45], 0x18
	s_load_dwordx2 s[46:47], s[44:45], 0x28
	s_load_dwordx2 s[48:49], s[44:45], 0xe8
	s_load_dwordx4 s[40:43], s[44:45], 0xd8
	s_add_u32 s26, s44, 24
	s_waitcnt lgkmcnt(0)
	v_mul_hi_u32 v3, s37, v1
	v_add_u32_e32 v3, v1, v3
	v_lshrrev_b32_e32 v3, s38, v3
	v_mul_lo_u32 v5, v3, s36
	v_mul_hi_u32 v6, s46, v3
	v_sub_u32_e32 v1, v1, v5
	v_add_u32_e32 v5, v3, v6
	v_mul_lo_u32 v6, v1, s40
	v_mul_lo_u32 v7, v1, s41
	;; [unrolled: 1-line block ×3, first 2 shown]
	v_lshrrev_b32_e32 v1, s47, v5
	v_mul_lo_u32 v5, v1, s39
	v_sub_u32_e32 v3, v3, v5
	s_addc_u32 s27, s45, 0
	s_add_i32 s30, s30, -2
	v_mul_lo_u32 v5, v3, s43
	v_mul_lo_u32 v9, v3, s48
	v_mul_lo_u32 v3, v3, s49
	s_cmp_eq_u32 s30, 0
	v_add3_u32 v0, v6, v0, v5
	v_add3_u32 v2, v8, v2, v3
	;; [unrolled: 1-line block ×3, first 2 shown]
	s_cbranch_scc0 .LBB46_89
; %bb.90:
	s_bitcmp1_b32 s35, 0
	s_cselect_b64 s[30:31], -1, 0
	s_and_b64 vcc, exec, s[30:31]
	s_cbranch_vccnz .LBB46_92
; %bb.91:
	s_load_dwordx2 s[30:31], s[26:27], 0x18
	s_load_dword s35, s[26:27], 0x20
	s_load_dword s38, s[26:27], 0xe0
	s_load_dwordx2 s[36:37], s[26:27], 0xd8
	s_waitcnt lgkmcnt(0)
	v_mul_hi_u32 v3, s31, v1
	v_add_u32_e32 v3, v1, v3
	v_lshrrev_b32_e32 v3, s35, v3
	v_mul_lo_u32 v3, v3, s30
	v_sub_u32_e32 v3, v1, v3
	v_mad_u64_u32 v[0:1], s[26:27], v3, s36, v[0:1]
	v_mad_u64_u32 v[4:5], s[26:27], v3, s37, v[4:5]
	;; [unrolled: 1-line block ×3, first 2 shown]
.LBB46_92:
	s_cbranch_execz .LBB46_94
	s_branch .LBB46_96
.LBB46_93:
                                        ; implicit-def: $vgpr2
                                        ; implicit-def: $vgpr4
                                        ; implicit-def: $vgpr0
.LBB46_94:
	s_waitcnt lgkmcnt(0)
	v_mul_hi_u32 v0, s13, v36
	v_add_u32_e32 v0, v36, v0
	v_lshrrev_b32_e32 v1, s14, v0
	v_mul_lo_u32 v0, v1, s12
	v_sub_u32_e32 v3, v36, v0
	v_mul_lo_u32 v0, v3, s8
	v_mul_lo_u32 v2, v3, s10
	s_andn2_b64 vcc, exec, s[24:25]
	v_mul_lo_u32 v4, v3, s9
	s_cbranch_vccnz .LBB46_96
; %bb.95:
	v_mul_hi_u32 v3, s22, v1
	v_add_u32_e32 v3, v1, v3
	v_lshrrev_b32_e32 v3, s23, v3
	v_mul_lo_u32 v3, v3, s15
	v_sub_u32_e32 v3, v1, v3
	v_mad_u64_u32 v[0:1], s[8:9], v3, s11, v[0:1]
	v_mad_u64_u32 v[4:5], s[8:9], v3, s20, v[4:5]
	;; [unrolled: 1-line block ×3, first 2 shown]
.LBB46_96:
	s_waitcnt lgkmcnt(0)
	global_load_ushort v1, v2, s[18:19]
	global_load_ushort v3, v4, s[2:3]
	s_movk_i32 s2, 0x400
	s_movk_i32 s3, 0x3bfe
	s_waitcnt vmcnt(1)
	v_cvt_f32_f16_e32 v2, v1
	s_waitcnt vmcnt(0)
	v_cvt_f32_f16_e32 v4, v3
	v_rcp_f32_e32 v5, v2
	v_mul_f32_e32 v6, v4, v5
	v_mad_f32 v7, -v2, v6, v4
	v_mac_f32_e32 v6, v7, v5
	v_mad_f32 v2, -v2, v6, v4
	v_mul_f32_e32 v2, v2, v5
	v_and_b32_e32 v2, 0xff800000, v2
	v_add_f32_e32 v2, v2, v6
	v_cvt_f16_f32_e32 v2, v2
	v_mov_b32_e32 v4, 0x400
	v_mov_b32_e32 v5, 0x3bfe
	v_div_fixup_f16 v1, v2, v1, v3
	v_cmp_ngt_f16_e32 vcc, s2, v1
	v_cndmask_b32_e32 v1, v4, v1, vcc
	v_cmp_nlt_f16_e32 vcc, s3, v1
	v_cndmask_b32_e32 v1, v5, v1, vcc
	global_store_short v0, v1, s[0:1]
.LBB46_97:
	s_or_b64 exec, exec, s[28:29]
                                        ; implicit-def: $vgpr48
                                        ; implicit-def: $vgpr36
.LBB46_98:
	s_waitcnt lgkmcnt(0)
	s_andn2_saveexec_b64 s[0:1], s[16:17]
	s_cbranch_execz .LBB46_105
; %bb.99:
	v_cndmask_b32_e64 v0, 0, 1, s[6:7]
	v_cmp_ne_u32_e64 s[0:1], 1, v0
	s_andn2_b64 vcc, exec, s[6:7]
	s_cbranch_vccnz .LBB46_106
; %bb.100:
	s_cmp_lg_u32 s33, 0
	v_mov_b32_e32 v4, 0
	v_mov_b32_e32 v2, 0
	;; [unrolled: 1-line block ×3, first 2 shown]
	s_cbranch_scc0 .LBB46_107
; %bb.101:
	s_min_u32 s6, s34, 15
	s_add_i32 s2, s6, 1
	s_and_b32 s7, s2, 30
	s_add_u32 s2, s4, 0xffffffec
	s_addc_u32 s3, s5, -1
	v_mov_b32_e32 v0, 0
	v_mov_b32_e32 v1, v36
	;; [unrolled: 1-line block ×4, first 2 shown]
.LBB46_102:                             ; =>This Inner Loop Header: Depth=1
	s_mov_b64 s[16:17], s[2:3]
	s_load_dwordx4 s[8:11], s[16:17], 0x18
	s_load_dwordx2 s[18:19], s[16:17], 0x28
	s_load_dwordx2 s[20:21], s[16:17], 0xe8
	s_load_dwordx4 s[12:15], s[16:17], 0xd8
	s_add_u32 s2, s16, 24
	s_waitcnt lgkmcnt(0)
	v_mul_hi_u32 v3, s9, v1
	v_add_u32_e32 v3, v1, v3
	v_lshrrev_b32_e32 v3, s10, v3
	v_mul_lo_u32 v5, v3, s8
	v_mul_hi_u32 v6, s18, v3
	v_sub_u32_e32 v1, v1, v5
	v_add_u32_e32 v5, v3, v6
	v_mul_lo_u32 v6, v1, s12
	v_mul_lo_u32 v7, v1, s13
	;; [unrolled: 1-line block ×3, first 2 shown]
	v_lshrrev_b32_e32 v1, s19, v5
	v_mul_lo_u32 v5, v1, s11
	v_sub_u32_e32 v3, v3, v5
	s_addc_u32 s3, s17, 0
	s_add_i32 s7, s7, -2
	v_mul_lo_u32 v5, v3, s15
	v_mul_lo_u32 v9, v3, s20
	;; [unrolled: 1-line block ×3, first 2 shown]
	s_cmp_lg_u32 s7, 0
	v_add3_u32 v0, v6, v0, v5
	v_add3_u32 v4, v8, v4, v3
	;; [unrolled: 1-line block ×3, first 2 shown]
	s_cbranch_scc1 .LBB46_102
; %bb.103:
	s_bitcmp1_b32 s6, 0
	s_cselect_b64 s[6:7], -1, 0
	s_and_b64 vcc, exec, s[6:7]
	s_cbranch_vccnz .LBB46_107
; %bb.104:
	s_load_dwordx2 s[6:7], s[2:3], 0x18
	s_load_dword s10, s[2:3], 0x20
	s_load_dword s11, s[2:3], 0xe0
	s_load_dwordx2 s[8:9], s[2:3], 0xd8
	s_waitcnt lgkmcnt(0)
	v_mul_hi_u32 v3, s7, v1
	v_add_u32_e32 v3, v1, v3
	v_lshrrev_b32_e32 v3, s10, v3
	v_mul_lo_u32 v3, v3, s6
	v_sub_u32_e32 v5, v1, v3
	v_mad_u64_u32 v[0:1], s[2:3], v5, s8, v[0:1]
	v_mad_u64_u32 v[2:3], s[2:3], v5, s9, v[2:3]
	;; [unrolled: 1-line block ×3, first 2 shown]
	s_cbranch_execz .LBB46_108
	s_branch .LBB46_110
.LBB46_105:
	s_endpgm
.LBB46_106:
                                        ; implicit-def: $vgpr4
                                        ; implicit-def: $vgpr2
                                        ; implicit-def: $vgpr0
	s_branch .LBB46_108
.LBB46_107:
	s_cbranch_execnz .LBB46_110
.LBB46_108:
	s_load_dwordx4 s[8:11], s[4:5], 0x4
	s_load_dwordx4 s[12:15], s[4:5], 0xc4
	s_cmp_lt_u32 s33, 2
	s_waitcnt lgkmcnt(0)
	v_mul_hi_u32 v0, s9, v36
	v_add_u32_e32 v0, v36, v0
	v_lshrrev_b32_e32 v1, s10, v0
	v_mul_lo_u32 v0, v1, s8
	v_sub_u32_e32 v2, v36, v0
	v_mul_lo_u32 v0, v2, s12
	v_mul_lo_u32 v4, v2, s14
	;; [unrolled: 1-line block ×3, first 2 shown]
	s_cbranch_scc1 .LBB46_110
; %bb.109:
	s_load_dwordx4 s[8:11], s[4:5], 0x10
	s_load_dwordx4 s[12:15], s[4:5], 0xd0
	s_waitcnt lgkmcnt(0)
	v_mul_hi_u32 v3, s9, v1
	v_add_u32_e32 v3, v1, v3
	v_lshrrev_b32_e32 v3, s10, v3
	v_mul_lo_u32 v3, v3, s8
	v_sub_u32_e32 v5, v1, v3
	v_mad_u64_u32 v[0:1], s[2:3], v5, s12, v[0:1]
	v_mad_u64_u32 v[2:3], s[2:3], v5, s13, v[2:3]
	;; [unrolled: 1-line block ×3, first 2 shown]
.LBB46_110:
	s_and_b64 vcc, exec, s[0:1]
	v_add_u32_e32 v1, 0x80, v36
	s_cbranch_vccnz .LBB46_116
; %bb.111:
	s_cmp_lg_u32 s33, 0
	v_mov_b32_e32 v8, 0
	v_mov_b32_e32 v10, 0
	;; [unrolled: 1-line block ×3, first 2 shown]
	s_cbranch_scc0 .LBB46_117
; %bb.112:
	s_min_u32 s6, s34, 15
	s_add_i32 s2, s6, 1
	s_and_b32 s7, s2, 30
	s_add_u32 s2, s4, 0xffffffec
	s_addc_u32 s3, s5, -1
	v_mov_b32_e32 v6, 0
	v_mov_b32_e32 v3, v1
	;; [unrolled: 1-line block ×4, first 2 shown]
.LBB46_113:                             ; =>This Inner Loop Header: Depth=1
	s_mov_b64 s[16:17], s[2:3]
	s_load_dwordx4 s[8:11], s[16:17], 0x18
	s_load_dwordx2 s[18:19], s[16:17], 0x28
	s_load_dwordx2 s[20:21], s[16:17], 0xe8
	s_load_dwordx4 s[12:15], s[16:17], 0xd8
	s_add_u32 s2, s16, 24
	s_waitcnt lgkmcnt(0)
	v_mul_hi_u32 v5, s9, v3
	v_add_u32_e32 v5, v3, v5
	v_lshrrev_b32_e32 v5, s10, v5
	v_mul_lo_u32 v7, v5, s8
	v_mul_hi_u32 v9, s18, v5
	v_sub_u32_e32 v3, v3, v7
	v_add_u32_e32 v7, v5, v9
	v_mul_lo_u32 v9, v3, s12
	v_mul_lo_u32 v11, v3, s13
	;; [unrolled: 1-line block ×3, first 2 shown]
	v_lshrrev_b32_e32 v3, s19, v7
	v_mul_lo_u32 v7, v3, s11
	v_sub_u32_e32 v5, v5, v7
	s_addc_u32 s3, s17, 0
	s_add_i32 s7, s7, -2
	v_mul_lo_u32 v7, v5, s15
	v_mul_lo_u32 v13, v5, s20
	;; [unrolled: 1-line block ×3, first 2 shown]
	s_cmp_lg_u32 s7, 0
	v_add3_u32 v6, v9, v6, v7
	v_add3_u32 v8, v12, v8, v5
	;; [unrolled: 1-line block ×3, first 2 shown]
	s_cbranch_scc1 .LBB46_113
; %bb.114:
	s_bitcmp1_b32 s6, 0
	s_cselect_b64 s[6:7], -1, 0
	s_and_b64 vcc, exec, s[6:7]
	s_cbranch_vccnz .LBB46_117
; %bb.115:
	s_load_dwordx2 s[6:7], s[2:3], 0x18
	s_load_dword s10, s[2:3], 0x20
	s_load_dword s11, s[2:3], 0xe0
	s_load_dwordx2 s[8:9], s[2:3], 0xd8
	s_waitcnt lgkmcnt(0)
	v_mul_hi_u32 v5, s7, v3
	v_add_u32_e32 v5, v3, v5
	v_lshrrev_b32_e32 v5, s10, v5
	v_mul_lo_u32 v5, v5, s6
	v_sub_u32_e32 v3, v3, v5
	v_mad_u64_u32 v[6:7], s[2:3], v3, s8, v[6:7]
	v_mad_u64_u32 v[10:11], s[2:3], v3, s9, v[10:11]
	;; [unrolled: 1-line block ×3, first 2 shown]
	s_cbranch_execz .LBB46_118
	s_branch .LBB46_120
.LBB46_116:
                                        ; implicit-def: $vgpr8
                                        ; implicit-def: $vgpr10
                                        ; implicit-def: $vgpr6
	s_branch .LBB46_118
.LBB46_117:
	s_cbranch_execnz .LBB46_120
.LBB46_118:
	s_load_dwordx4 s[8:11], s[4:5], 0x4
	s_load_dwordx4 s[12:15], s[4:5], 0xc4
	s_cmp_lt_u32 s33, 2
	s_waitcnt lgkmcnt(0)
	v_mul_hi_u32 v3, s9, v1
	v_add_u32_e32 v3, v1, v3
	v_lshrrev_b32_e32 v3, s10, v3
	v_mul_lo_u32 v5, v3, s8
	v_sub_u32_e32 v1, v1, v5
	v_mul_lo_u32 v6, v1, s12
	v_mul_lo_u32 v8, v1, s14
	;; [unrolled: 1-line block ×3, first 2 shown]
	s_cbranch_scc1 .LBB46_120
; %bb.119:
	s_load_dwordx4 s[8:11], s[4:5], 0x10
	s_load_dwordx4 s[12:15], s[4:5], 0xd0
	s_waitcnt lgkmcnt(0)
	v_mul_hi_u32 v1, s9, v3
	v_add_u32_e32 v1, v3, v1
	v_lshrrev_b32_e32 v1, s10, v1
	v_mul_lo_u32 v1, v1, s8
	v_sub_u32_e32 v1, v3, v1
	v_mad_u64_u32 v[6:7], s[2:3], v1, s12, v[6:7]
	v_mad_u64_u32 v[10:11], s[2:3], v1, s13, v[10:11]
	;; [unrolled: 1-line block ×3, first 2 shown]
.LBB46_120:
	s_and_b64 vcc, exec, s[0:1]
	v_add_u32_e32 v1, 0x100, v36
	s_cbranch_vccnz .LBB46_126
; %bb.121:
	s_cmp_lg_u32 s33, 0
	v_mov_b32_e32 v14, 0
	v_mov_b32_e32 v16, 0
	;; [unrolled: 1-line block ×3, first 2 shown]
	s_cbranch_scc0 .LBB46_127
; %bb.122:
	s_min_u32 s6, s34, 15
	s_add_i32 s2, s6, 1
	s_and_b32 s7, s2, 30
	s_add_u32 s2, s4, 0xffffffec
	s_addc_u32 s3, s5, -1
	v_mov_b32_e32 v12, 0
	v_mov_b32_e32 v3, v1
	;; [unrolled: 1-line block ×4, first 2 shown]
.LBB46_123:                             ; =>This Inner Loop Header: Depth=1
	s_mov_b64 s[16:17], s[2:3]
	s_load_dwordx4 s[8:11], s[16:17], 0x18
	s_load_dwordx2 s[18:19], s[16:17], 0x28
	s_load_dwordx2 s[20:21], s[16:17], 0xe8
	s_load_dwordx4 s[12:15], s[16:17], 0xd8
	s_add_u32 s2, s16, 24
	s_waitcnt lgkmcnt(0)
	v_mul_hi_u32 v5, s9, v3
	v_add_u32_e32 v5, v3, v5
	v_lshrrev_b32_e32 v5, s10, v5
	v_mul_lo_u32 v7, v5, s8
	v_mul_hi_u32 v9, s18, v5
	v_sub_u32_e32 v3, v3, v7
	v_add_u32_e32 v7, v5, v9
	v_mul_lo_u32 v9, v3, s12
	v_mul_lo_u32 v11, v3, s13
	v_mul_lo_u32 v13, v3, s14
	v_lshrrev_b32_e32 v3, s19, v7
	v_mul_lo_u32 v7, v3, s11
	v_sub_u32_e32 v5, v5, v7
	s_addc_u32 s3, s17, 0
	s_add_i32 s7, s7, -2
	v_mul_lo_u32 v7, v5, s15
	v_mul_lo_u32 v15, v5, s20
	;; [unrolled: 1-line block ×3, first 2 shown]
	s_cmp_lg_u32 s7, 0
	v_add3_u32 v12, v9, v12, v7
	v_add3_u32 v14, v13, v14, v5
	;; [unrolled: 1-line block ×3, first 2 shown]
	s_cbranch_scc1 .LBB46_123
; %bb.124:
	s_bitcmp1_b32 s6, 0
	s_cselect_b64 s[6:7], -1, 0
	s_and_b64 vcc, exec, s[6:7]
	s_cbranch_vccnz .LBB46_127
; %bb.125:
	s_load_dwordx2 s[6:7], s[2:3], 0x18
	s_load_dword s10, s[2:3], 0x20
	s_load_dword s11, s[2:3], 0xe0
	s_load_dwordx2 s[8:9], s[2:3], 0xd8
	s_waitcnt lgkmcnt(0)
	v_mul_hi_u32 v5, s7, v3
	v_add_u32_e32 v5, v3, v5
	v_lshrrev_b32_e32 v5, s10, v5
	v_mul_lo_u32 v5, v5, s6
	v_sub_u32_e32 v3, v3, v5
	v_mad_u64_u32 v[12:13], s[2:3], v3, s8, v[12:13]
	v_mad_u64_u32 v[16:17], s[2:3], v3, s9, v[16:17]
	;; [unrolled: 1-line block ×3, first 2 shown]
	s_cbranch_execz .LBB46_128
	s_branch .LBB46_130
.LBB46_126:
                                        ; implicit-def: $vgpr14
                                        ; implicit-def: $vgpr16
                                        ; implicit-def: $vgpr12
	s_branch .LBB46_128
.LBB46_127:
	s_cbranch_execnz .LBB46_130
.LBB46_128:
	s_load_dwordx4 s[8:11], s[4:5], 0x4
	s_load_dwordx4 s[12:15], s[4:5], 0xc4
	s_cmp_lt_u32 s33, 2
	s_waitcnt lgkmcnt(0)
	v_mul_hi_u32 v3, s9, v1
	v_add_u32_e32 v3, v1, v3
	v_lshrrev_b32_e32 v3, s10, v3
	v_mul_lo_u32 v5, v3, s8
	v_sub_u32_e32 v1, v1, v5
	v_mul_lo_u32 v12, v1, s12
	v_mul_lo_u32 v14, v1, s14
	;; [unrolled: 1-line block ×3, first 2 shown]
	s_cbranch_scc1 .LBB46_130
; %bb.129:
	s_load_dwordx4 s[8:11], s[4:5], 0x10
	s_load_dwordx4 s[12:15], s[4:5], 0xd0
	s_waitcnt lgkmcnt(0)
	v_mul_hi_u32 v1, s9, v3
	v_add_u32_e32 v1, v3, v1
	v_lshrrev_b32_e32 v1, s10, v1
	v_mul_lo_u32 v1, v1, s8
	v_sub_u32_e32 v1, v3, v1
	v_mad_u64_u32 v[12:13], s[2:3], v1, s12, v[12:13]
	v_mad_u64_u32 v[16:17], s[2:3], v1, s13, v[16:17]
	v_mad_u64_u32 v[14:15], s[2:3], v1, s14, v[14:15]
.LBB46_130:
	s_and_b64 vcc, exec, s[0:1]
	v_add_u32_e32 v1, 0x180, v36
	s_cbranch_vccnz .LBB46_136
; %bb.131:
	s_cmp_lg_u32 s33, 0
	v_mov_b32_e32 v20, 0
	v_mov_b32_e32 v22, 0
	;; [unrolled: 1-line block ×3, first 2 shown]
	s_cbranch_scc0 .LBB46_137
; %bb.132:
	s_min_u32 s6, s34, 15
	s_add_i32 s2, s6, 1
	s_and_b32 s7, s2, 30
	s_add_u32 s2, s4, 0xffffffec
	s_addc_u32 s3, s5, -1
	v_mov_b32_e32 v18, 0
	v_mov_b32_e32 v3, v1
	v_mov_b32_e32 v22, 0
	v_mov_b32_e32 v20, 0
.LBB46_133:                             ; =>This Inner Loop Header: Depth=1
	s_mov_b64 s[16:17], s[2:3]
	s_load_dwordx4 s[8:11], s[16:17], 0x18
	s_load_dwordx2 s[18:19], s[16:17], 0x28
	s_load_dwordx2 s[20:21], s[16:17], 0xe8
	s_load_dwordx4 s[12:15], s[16:17], 0xd8
	s_add_u32 s2, s16, 24
	s_waitcnt lgkmcnt(0)
	v_mul_hi_u32 v5, s9, v3
	v_add_u32_e32 v5, v3, v5
	v_lshrrev_b32_e32 v5, s10, v5
	v_mul_lo_u32 v7, v5, s8
	v_mul_hi_u32 v9, s18, v5
	v_sub_u32_e32 v3, v3, v7
	v_add_u32_e32 v7, v5, v9
	v_mul_lo_u32 v9, v3, s12
	v_mul_lo_u32 v11, v3, s13
	;; [unrolled: 1-line block ×3, first 2 shown]
	v_lshrrev_b32_e32 v3, s19, v7
	v_mul_lo_u32 v7, v3, s11
	v_sub_u32_e32 v5, v5, v7
	s_addc_u32 s3, s17, 0
	s_add_i32 s7, s7, -2
	v_mul_lo_u32 v7, v5, s15
	v_mul_lo_u32 v15, v5, s20
	;; [unrolled: 1-line block ×3, first 2 shown]
	s_cmp_lg_u32 s7, 0
	v_add3_u32 v18, v9, v18, v7
	v_add3_u32 v20, v13, v20, v5
	;; [unrolled: 1-line block ×3, first 2 shown]
	s_cbranch_scc1 .LBB46_133
; %bb.134:
	s_bitcmp1_b32 s6, 0
	s_cselect_b64 s[6:7], -1, 0
	s_and_b64 vcc, exec, s[6:7]
	s_cbranch_vccnz .LBB46_137
; %bb.135:
	s_load_dwordx2 s[6:7], s[2:3], 0x18
	s_load_dword s10, s[2:3], 0x20
	s_load_dword s11, s[2:3], 0xe0
	s_load_dwordx2 s[8:9], s[2:3], 0xd8
	s_waitcnt lgkmcnt(0)
	v_mul_hi_u32 v5, s7, v3
	v_add_u32_e32 v5, v3, v5
	v_lshrrev_b32_e32 v5, s10, v5
	v_mul_lo_u32 v5, v5, s6
	v_sub_u32_e32 v3, v3, v5
	v_mad_u64_u32 v[18:19], s[2:3], v3, s8, v[18:19]
	v_mad_u64_u32 v[22:23], s[2:3], v3, s9, v[22:23]
	;; [unrolled: 1-line block ×3, first 2 shown]
	s_cbranch_execz .LBB46_138
	s_branch .LBB46_140
.LBB46_136:
                                        ; implicit-def: $vgpr20
                                        ; implicit-def: $vgpr22
                                        ; implicit-def: $vgpr18
	s_branch .LBB46_138
.LBB46_137:
	s_cbranch_execnz .LBB46_140
.LBB46_138:
	s_load_dwordx4 s[8:11], s[4:5], 0x4
	s_load_dwordx4 s[12:15], s[4:5], 0xc4
	s_cmp_lt_u32 s33, 2
	s_waitcnt lgkmcnt(0)
	v_mul_hi_u32 v3, s9, v1
	v_add_u32_e32 v3, v1, v3
	v_lshrrev_b32_e32 v3, s10, v3
	v_mul_lo_u32 v5, v3, s8
	v_sub_u32_e32 v1, v1, v5
	v_mul_lo_u32 v18, v1, s12
	v_mul_lo_u32 v20, v1, s14
	;; [unrolled: 1-line block ×3, first 2 shown]
	s_cbranch_scc1 .LBB46_140
; %bb.139:
	s_load_dwordx4 s[8:11], s[4:5], 0x10
	s_load_dwordx4 s[12:15], s[4:5], 0xd0
	s_waitcnt lgkmcnt(0)
	v_mul_hi_u32 v1, s9, v3
	v_add_u32_e32 v1, v3, v1
	v_lshrrev_b32_e32 v1, s10, v1
	v_mul_lo_u32 v1, v1, s8
	v_sub_u32_e32 v1, v3, v1
	v_mad_u64_u32 v[18:19], s[2:3], v1, s12, v[18:19]
	v_mad_u64_u32 v[22:23], s[2:3], v1, s13, v[22:23]
	;; [unrolled: 1-line block ×3, first 2 shown]
.LBB46_140:
	s_and_b64 vcc, exec, s[0:1]
	v_add_u32_e32 v1, 0x200, v36
	s_cbranch_vccnz .LBB46_146
; %bb.141:
	s_cmp_lg_u32 s33, 0
	v_mov_b32_e32 v28, 0
	v_mov_b32_e32 v26, 0
	;; [unrolled: 1-line block ×3, first 2 shown]
	s_cbranch_scc0 .LBB46_147
; %bb.142:
	s_min_u32 s6, s34, 15
	s_add_i32 s2, s6, 1
	s_and_b32 s7, s2, 30
	s_add_u32 s2, s4, 0xffffffec
	s_addc_u32 s3, s5, -1
	v_mov_b32_e32 v24, 0
	v_mov_b32_e32 v3, v1
	;; [unrolled: 1-line block ×4, first 2 shown]
.LBB46_143:                             ; =>This Inner Loop Header: Depth=1
	s_mov_b64 s[16:17], s[2:3]
	s_load_dwordx4 s[8:11], s[16:17], 0x18
	s_load_dwordx2 s[18:19], s[16:17], 0x28
	s_load_dwordx2 s[20:21], s[16:17], 0xe8
	s_load_dwordx4 s[12:15], s[16:17], 0xd8
	s_add_u32 s2, s16, 24
	s_waitcnt lgkmcnt(0)
	v_mul_hi_u32 v5, s9, v3
	v_add_u32_e32 v5, v3, v5
	v_lshrrev_b32_e32 v5, s10, v5
	v_mul_lo_u32 v7, v5, s8
	v_mul_hi_u32 v9, s18, v5
	v_sub_u32_e32 v3, v3, v7
	v_add_u32_e32 v7, v5, v9
	v_mul_lo_u32 v9, v3, s12
	v_mul_lo_u32 v11, v3, s13
	;; [unrolled: 1-line block ×3, first 2 shown]
	v_lshrrev_b32_e32 v3, s19, v7
	v_mul_lo_u32 v7, v3, s11
	v_sub_u32_e32 v5, v5, v7
	s_addc_u32 s3, s17, 0
	s_add_i32 s7, s7, -2
	v_mul_lo_u32 v7, v5, s15
	v_mul_lo_u32 v15, v5, s20
	v_mul_lo_u32 v5, v5, s21
	s_cmp_lg_u32 s7, 0
	v_add3_u32 v24, v9, v24, v7
	v_add3_u32 v28, v13, v28, v5
	v_add3_u32 v26, v11, v26, v15
	s_cbranch_scc1 .LBB46_143
; %bb.144:
	s_bitcmp1_b32 s6, 0
	s_cselect_b64 s[6:7], -1, 0
	s_and_b64 vcc, exec, s[6:7]
	s_cbranch_vccnz .LBB46_147
; %bb.145:
	s_load_dwordx2 s[6:7], s[2:3], 0x18
	s_load_dword s10, s[2:3], 0x20
	s_load_dword s11, s[2:3], 0xe0
	s_load_dwordx2 s[8:9], s[2:3], 0xd8
	s_waitcnt lgkmcnt(0)
	v_mul_hi_u32 v5, s7, v3
	v_add_u32_e32 v5, v3, v5
	v_lshrrev_b32_e32 v5, s10, v5
	v_mul_lo_u32 v5, v5, s6
	v_sub_u32_e32 v3, v3, v5
	v_mad_u64_u32 v[24:25], s[2:3], v3, s8, v[24:25]
	v_mad_u64_u32 v[26:27], s[2:3], v3, s9, v[26:27]
	;; [unrolled: 1-line block ×3, first 2 shown]
	s_cbranch_execz .LBB46_148
	s_branch .LBB46_150
.LBB46_146:
                                        ; implicit-def: $vgpr28
                                        ; implicit-def: $vgpr26
                                        ; implicit-def: $vgpr24
	s_branch .LBB46_148
.LBB46_147:
	s_cbranch_execnz .LBB46_150
.LBB46_148:
	s_load_dwordx4 s[8:11], s[4:5], 0x4
	s_load_dwordx4 s[12:15], s[4:5], 0xc4
	s_cmp_lt_u32 s33, 2
	s_waitcnt lgkmcnt(0)
	v_mul_hi_u32 v3, s9, v1
	v_add_u32_e32 v3, v1, v3
	v_lshrrev_b32_e32 v3, s10, v3
	v_mul_lo_u32 v5, v3, s8
	v_sub_u32_e32 v1, v1, v5
	v_mul_lo_u32 v24, v1, s12
	v_mul_lo_u32 v28, v1, s14
	;; [unrolled: 1-line block ×3, first 2 shown]
	s_cbranch_scc1 .LBB46_150
; %bb.149:
	s_load_dwordx4 s[8:11], s[4:5], 0x10
	s_load_dwordx4 s[12:15], s[4:5], 0xd0
	s_waitcnt lgkmcnt(0)
	v_mul_hi_u32 v1, s9, v3
	v_add_u32_e32 v1, v3, v1
	v_lshrrev_b32_e32 v1, s10, v1
	v_mul_lo_u32 v1, v1, s8
	v_sub_u32_e32 v1, v3, v1
	v_mad_u64_u32 v[24:25], s[2:3], v1, s12, v[24:25]
	v_mad_u64_u32 v[26:27], s[2:3], v1, s13, v[26:27]
	;; [unrolled: 1-line block ×3, first 2 shown]
.LBB46_150:
	s_and_b64 vcc, exec, s[0:1]
	v_add_u32_e32 v1, 0x280, v36
	s_cbranch_vccnz .LBB46_156
; %bb.151:
	s_cmp_lg_u32 s33, 0
	v_mov_b32_e32 v32, 0
	v_mov_b32_e32 v34, 0
	;; [unrolled: 1-line block ×3, first 2 shown]
	s_cbranch_scc0 .LBB46_157
; %bb.152:
	s_min_u32 s6, s34, 15
	s_add_i32 s2, s6, 1
	s_and_b32 s7, s2, 30
	s_add_u32 s2, s4, 0xffffffec
	s_addc_u32 s3, s5, -1
	v_mov_b32_e32 v30, 0
	v_mov_b32_e32 v3, v1
	;; [unrolled: 1-line block ×4, first 2 shown]
.LBB46_153:                             ; =>This Inner Loop Header: Depth=1
	s_mov_b64 s[16:17], s[2:3]
	s_load_dwordx4 s[8:11], s[16:17], 0x18
	s_load_dwordx2 s[18:19], s[16:17], 0x28
	s_load_dwordx2 s[20:21], s[16:17], 0xe8
	s_load_dwordx4 s[12:15], s[16:17], 0xd8
	s_add_u32 s2, s16, 24
	s_waitcnt lgkmcnt(0)
	v_mul_hi_u32 v5, s9, v3
	v_add_u32_e32 v5, v3, v5
	v_lshrrev_b32_e32 v5, s10, v5
	v_mul_lo_u32 v7, v5, s8
	v_mul_hi_u32 v9, s18, v5
	v_sub_u32_e32 v3, v3, v7
	v_add_u32_e32 v7, v5, v9
	v_mul_lo_u32 v9, v3, s12
	v_mul_lo_u32 v11, v3, s13
	;; [unrolled: 1-line block ×3, first 2 shown]
	v_lshrrev_b32_e32 v3, s19, v7
	v_mul_lo_u32 v7, v3, s11
	v_sub_u32_e32 v5, v5, v7
	s_addc_u32 s3, s17, 0
	s_add_i32 s7, s7, -2
	v_mul_lo_u32 v7, v5, s15
	v_mul_lo_u32 v15, v5, s20
	;; [unrolled: 1-line block ×3, first 2 shown]
	s_cmp_lg_u32 s7, 0
	v_add3_u32 v30, v9, v30, v7
	v_add3_u32 v32, v13, v32, v5
	;; [unrolled: 1-line block ×3, first 2 shown]
	s_cbranch_scc1 .LBB46_153
; %bb.154:
	s_bitcmp1_b32 s6, 0
	s_cselect_b64 s[6:7], -1, 0
	s_and_b64 vcc, exec, s[6:7]
	s_cbranch_vccnz .LBB46_157
; %bb.155:
	s_load_dwordx2 s[6:7], s[2:3], 0x18
	s_load_dword s10, s[2:3], 0x20
	s_load_dword s11, s[2:3], 0xe0
	s_load_dwordx2 s[8:9], s[2:3], 0xd8
	s_waitcnt lgkmcnt(0)
	v_mul_hi_u32 v5, s7, v3
	v_add_u32_e32 v5, v3, v5
	v_lshrrev_b32_e32 v5, s10, v5
	v_mul_lo_u32 v5, v5, s6
	v_sub_u32_e32 v3, v3, v5
	v_mad_u64_u32 v[30:31], s[2:3], v3, s8, v[30:31]
	v_mad_u64_u32 v[34:35], s[2:3], v3, s9, v[34:35]
	;; [unrolled: 1-line block ×3, first 2 shown]
	s_cbranch_execz .LBB46_158
	s_branch .LBB46_160
.LBB46_156:
                                        ; implicit-def: $vgpr32
                                        ; implicit-def: $vgpr34
                                        ; implicit-def: $vgpr30
	s_branch .LBB46_158
.LBB46_157:
	s_cbranch_execnz .LBB46_160
.LBB46_158:
	s_load_dwordx4 s[8:11], s[4:5], 0x4
	s_load_dwordx4 s[12:15], s[4:5], 0xc4
	s_cmp_lt_u32 s33, 2
	s_waitcnt lgkmcnt(0)
	v_mul_hi_u32 v3, s9, v1
	v_add_u32_e32 v3, v1, v3
	v_lshrrev_b32_e32 v3, s10, v3
	v_mul_lo_u32 v5, v3, s8
	v_sub_u32_e32 v1, v1, v5
	v_mul_lo_u32 v30, v1, s12
	v_mul_lo_u32 v32, v1, s14
	;; [unrolled: 1-line block ×3, first 2 shown]
	s_cbranch_scc1 .LBB46_160
; %bb.159:
	s_load_dwordx4 s[8:11], s[4:5], 0x10
	s_load_dwordx4 s[12:15], s[4:5], 0xd0
	s_waitcnt lgkmcnt(0)
	v_mul_hi_u32 v1, s9, v3
	v_add_u32_e32 v1, v3, v1
	v_lshrrev_b32_e32 v1, s10, v1
	v_mul_lo_u32 v1, v1, s8
	v_sub_u32_e32 v1, v3, v1
	v_mad_u64_u32 v[30:31], s[2:3], v1, s12, v[30:31]
	v_mad_u64_u32 v[34:35], s[2:3], v1, s13, v[34:35]
	;; [unrolled: 1-line block ×3, first 2 shown]
.LBB46_160:
	s_and_b64 vcc, exec, s[0:1]
	v_add_u32_e32 v1, 0x300, v36
	s_cbranch_vccnz .LBB46_166
; %bb.161:
	s_cmp_lg_u32 s33, 0
	v_mov_b32_e32 v38, 0
	v_mov_b32_e32 v40, 0
	;; [unrolled: 1-line block ×3, first 2 shown]
	s_cbranch_scc0 .LBB46_167
; %bb.162:
	s_min_u32 s6, s34, 15
	s_add_i32 s2, s6, 1
	s_and_b32 s7, s2, 30
	s_add_u32 s2, s4, 0xffffffec
	s_addc_u32 s3, s5, -1
	v_mov_b32_e32 v36, 0
	v_mov_b32_e32 v3, v1
	;; [unrolled: 1-line block ×4, first 2 shown]
.LBB46_163:                             ; =>This Inner Loop Header: Depth=1
	s_mov_b64 s[16:17], s[2:3]
	s_load_dwordx4 s[8:11], s[16:17], 0x18
	s_load_dwordx2 s[18:19], s[16:17], 0x28
	s_load_dwordx2 s[20:21], s[16:17], 0xe8
	s_load_dwordx4 s[12:15], s[16:17], 0xd8
	s_add_u32 s2, s16, 24
	s_waitcnt lgkmcnt(0)
	v_mul_hi_u32 v5, s9, v3
	v_add_u32_e32 v5, v3, v5
	v_lshrrev_b32_e32 v5, s10, v5
	v_mul_lo_u32 v7, v5, s8
	v_mul_hi_u32 v9, s18, v5
	v_sub_u32_e32 v3, v3, v7
	v_add_u32_e32 v7, v5, v9
	v_mul_lo_u32 v9, v3, s12
	v_mul_lo_u32 v11, v3, s13
	;; [unrolled: 1-line block ×3, first 2 shown]
	v_lshrrev_b32_e32 v3, s19, v7
	v_mul_lo_u32 v7, v3, s11
	v_sub_u32_e32 v5, v5, v7
	s_addc_u32 s3, s17, 0
	s_add_i32 s7, s7, -2
	v_mul_lo_u32 v7, v5, s15
	v_mul_lo_u32 v15, v5, s20
	;; [unrolled: 1-line block ×3, first 2 shown]
	s_cmp_lg_u32 s7, 0
	v_add3_u32 v36, v9, v36, v7
	v_add3_u32 v38, v13, v38, v5
	;; [unrolled: 1-line block ×3, first 2 shown]
	s_cbranch_scc1 .LBB46_163
; %bb.164:
	s_bitcmp1_b32 s6, 0
	s_cselect_b64 s[6:7], -1, 0
	s_and_b64 vcc, exec, s[6:7]
	s_cbranch_vccnz .LBB46_167
; %bb.165:
	s_load_dwordx2 s[6:7], s[2:3], 0x18
	s_load_dword s10, s[2:3], 0x20
	s_load_dword s11, s[2:3], 0xe0
	s_load_dwordx2 s[8:9], s[2:3], 0xd8
	s_waitcnt lgkmcnt(0)
	v_mul_hi_u32 v5, s7, v3
	v_add_u32_e32 v5, v3, v5
	v_lshrrev_b32_e32 v5, s10, v5
	v_mul_lo_u32 v5, v5, s6
	v_sub_u32_e32 v3, v3, v5
	v_mad_u64_u32 v[36:37], s[2:3], v3, s8, v[36:37]
	v_mad_u64_u32 v[40:41], s[2:3], v3, s9, v[40:41]
	v_mad_u64_u32 v[38:39], s[2:3], v3, s11, v[38:39]
	s_cbranch_execz .LBB46_168
	s_branch .LBB46_170
.LBB46_166:
                                        ; implicit-def: $vgpr38
                                        ; implicit-def: $vgpr40
                                        ; implicit-def: $vgpr36
	s_branch .LBB46_168
.LBB46_167:
	s_cbranch_execnz .LBB46_170
.LBB46_168:
	s_load_dwordx4 s[8:11], s[4:5], 0x4
	s_load_dwordx4 s[12:15], s[4:5], 0xc4
	s_cmp_lt_u32 s33, 2
	s_waitcnt lgkmcnt(0)
	v_mul_hi_u32 v3, s9, v1
	v_add_u32_e32 v3, v1, v3
	v_lshrrev_b32_e32 v3, s10, v3
	v_mul_lo_u32 v5, v3, s8
	v_sub_u32_e32 v1, v1, v5
	v_mul_lo_u32 v36, v1, s12
	v_mul_lo_u32 v38, v1, s14
	;; [unrolled: 1-line block ×3, first 2 shown]
	s_cbranch_scc1 .LBB46_170
; %bb.169:
	s_load_dwordx4 s[8:11], s[4:5], 0x10
	s_load_dwordx4 s[12:15], s[4:5], 0xd0
	s_waitcnt lgkmcnt(0)
	v_mul_hi_u32 v1, s9, v3
	v_add_u32_e32 v1, v3, v1
	v_lshrrev_b32_e32 v1, s10, v1
	v_mul_lo_u32 v1, v1, s8
	v_sub_u32_e32 v1, v3, v1
	v_mad_u64_u32 v[36:37], s[2:3], v1, s12, v[36:37]
	v_mad_u64_u32 v[40:41], s[2:3], v1, s13, v[40:41]
	;; [unrolled: 1-line block ×3, first 2 shown]
.LBB46_170:
	s_and_b64 vcc, exec, s[0:1]
	s_cbranch_vccnz .LBB46_176
; %bb.171:
	s_cmp_lg_u32 s33, 0
	v_mov_b32_e32 v44, 0
	v_mov_b32_e32 v46, 0
	;; [unrolled: 1-line block ×3, first 2 shown]
	s_cbranch_scc0 .LBB46_177
; %bb.172:
	s_min_u32 s2, s34, 15
	s_add_i32 s0, s2, 1
	s_and_b32 s3, s0, 30
	s_add_u32 s0, s4, 0xffffffec
	s_addc_u32 s1, s5, -1
	v_mov_b32_e32 v42, 0
	v_mov_b32_e32 v1, v48
	;; [unrolled: 1-line block ×4, first 2 shown]
.LBB46_173:                             ; =>This Inner Loop Header: Depth=1
	s_mov_b64 s[6:7], s[0:1]
	s_load_dwordx4 s[8:11], s[6:7], 0x18
	s_load_dwordx2 s[16:17], s[6:7], 0x28
	s_load_dwordx2 s[18:19], s[6:7], 0xe8
	s_load_dwordx4 s[12:15], s[6:7], 0xd8
	s_add_u32 s0, s6, 24
	s_waitcnt lgkmcnt(0)
	v_mul_hi_u32 v3, s9, v1
	v_add_u32_e32 v3, v1, v3
	v_lshrrev_b32_e32 v3, s10, v3
	v_mul_lo_u32 v5, v3, s8
	v_mul_hi_u32 v7, s16, v3
	v_sub_u32_e32 v1, v1, v5
	v_add_u32_e32 v5, v3, v7
	v_mul_lo_u32 v7, v1, s12
	v_mul_lo_u32 v9, v1, s13
	;; [unrolled: 1-line block ×3, first 2 shown]
	v_lshrrev_b32_e32 v1, s17, v5
	v_mul_lo_u32 v5, v1, s11
	v_sub_u32_e32 v3, v3, v5
	s_addc_u32 s1, s7, 0
	s_add_i32 s3, s3, -2
	v_mul_lo_u32 v5, v3, s15
	v_mul_lo_u32 v13, v3, s18
	;; [unrolled: 1-line block ×3, first 2 shown]
	s_cmp_lg_u32 s3, 0
	v_add3_u32 v42, v7, v42, v5
	v_add3_u32 v44, v11, v44, v3
	;; [unrolled: 1-line block ×3, first 2 shown]
	s_cbranch_scc1 .LBB46_173
; %bb.174:
	s_bitcmp1_b32 s2, 0
	s_cselect_b64 s[2:3], -1, 0
	s_and_b64 vcc, exec, s[2:3]
	s_cbranch_vccnz .LBB46_177
; %bb.175:
	s_load_dwordx2 s[2:3], s[0:1], 0x18
	s_load_dword s8, s[0:1], 0x20
	s_load_dword s9, s[0:1], 0xe0
	s_load_dwordx2 s[6:7], s[0:1], 0xd8
	s_waitcnt lgkmcnt(0)
	v_mul_hi_u32 v3, s3, v1
	v_add_u32_e32 v3, v1, v3
	v_lshrrev_b32_e32 v3, s8, v3
	v_mul_lo_u32 v3, v3, s2
	v_sub_u32_e32 v1, v1, v3
	v_mad_u64_u32 v[42:43], s[0:1], v1, s6, v[42:43]
	v_mad_u64_u32 v[46:47], s[0:1], v1, s7, v[46:47]
	;; [unrolled: 1-line block ×3, first 2 shown]
	s_cbranch_execz .LBB46_178
	s_branch .LBB46_180
.LBB46_176:
                                        ; implicit-def: $vgpr44
                                        ; implicit-def: $vgpr46
                                        ; implicit-def: $vgpr42
	s_branch .LBB46_178
.LBB46_177:
	s_cbranch_execnz .LBB46_180
.LBB46_178:
	s_load_dwordx4 s[0:3], s[4:5], 0x4
	s_load_dwordx4 s[8:11], s[4:5], 0xc4
	s_cmp_lt_u32 s33, 2
	s_waitcnt lgkmcnt(0)
	v_mul_hi_u32 v1, s1, v48
	v_add_u32_e32 v1, v48, v1
	v_lshrrev_b32_e32 v1, s2, v1
	v_mul_lo_u32 v3, v1, s0
	v_sub_u32_e32 v3, v48, v3
	v_mul_lo_u32 v42, v3, s8
	v_mul_lo_u32 v44, v3, s10
	;; [unrolled: 1-line block ×3, first 2 shown]
	s_cbranch_scc1 .LBB46_180
; %bb.179:
	s_load_dwordx4 s[0:3], s[4:5], 0x10
	s_load_dwordx4 s[8:11], s[4:5], 0xd0
	s_waitcnt lgkmcnt(0)
	v_mul_hi_u32 v3, s1, v1
	v_add_u32_e32 v3, v1, v3
	v_lshrrev_b32_e32 v3, s2, v3
	v_mul_lo_u32 v3, v3, s0
	v_sub_u32_e32 v1, v1, v3
	v_mad_u64_u32 v[42:43], s[0:1], v1, s8, v[42:43]
	v_mad_u64_u32 v[46:47], s[0:1], v1, s9, v[46:47]
	;; [unrolled: 1-line block ×3, first 2 shown]
.LBB46_180:
	s_load_dwordx4 s[0:3], s[4:5], 0x188
	s_load_dwordx2 s[6:7], s[4:5], 0x198
	s_movk_i32 s4, 0x400
	s_movk_i32 s5, 0x3bfe
	s_waitcnt lgkmcnt(0)
	global_load_ushort v1, v2, s[2:3]
	global_load_ushort v3, v4, s[6:7]
	;; [unrolled: 1-line block ×16, first 2 shown]
	v_mov_b32_e32 v2, 0x400
	v_mov_b32_e32 v4, 0x3bfe
	s_waitcnt vmcnt(15)
	v_cvt_f32_f16_e32 v20, v1
	s_waitcnt vmcnt(14)
	v_cvt_f32_f16_e32 v22, v3
	;; [unrolled: 2-line block ×8, first 2 shown]
	v_rcp_f32_e32 v38, v26
	s_waitcnt vmcnt(6)
	v_cvt_f32_f16_e32 v33, v19
	v_rcp_f32_e32 v37, v22
	v_rcp_f32_e32 v40, v31
	v_rcp_f32_e32 v39, v28
	v_mul_f32_e32 v45, v25, v38
	v_cvt_f32_f16_e32 v32, v17
	v_rcp_f32_e32 v41, v33
	v_mul_f32_e32 v44, v20, v37
	v_mul_f32_e32 v47, v29, v40
	v_mad_f32 v51, -v26, v45, v25
	v_mad_f32 v50, -v22, v44, v20
	v_mac_f32_e32 v45, v51, v38
	v_mad_f32 v51, -v31, v47, v29
	v_mac_f32_e32 v44, v50, v37
	v_mac_f32_e32 v47, v51, v40
	v_mul_f32_e32 v46, v27, v39
	v_mad_f32 v20, -v22, v44, v20
	v_mad_f32 v22, -v26, v45, v25
	;; [unrolled: 1-line block ×3, first 2 shown]
	v_mul_f32_e32 v48, v32, v41
	v_mad_f32 v50, -v28, v46, v27
	v_mul_f32_e32 v20, v20, v37
	v_mul_f32_e32 v22, v22, v38
	v_mul_f32_e32 v26, v26, v40
	v_mac_f32_e32 v46, v50, v39
	v_mad_f32 v50, -v33, v48, v32
	v_and_b32_e32 v20, 0xff800000, v20
	v_and_b32_e32 v22, 0xff800000, v22
	;; [unrolled: 1-line block ×3, first 2 shown]
	v_mac_f32_e32 v48, v50, v41
	v_add_f32_e32 v20, v20, v44
	v_add_f32_e32 v22, v22, v45
	;; [unrolled: 1-line block ×3, first 2 shown]
	v_mad_f32 v25, -v28, v46, v27
	v_mad_f32 v27, -v33, v48, v32
	v_cvt_f16_f32_e32 v20, v20
	v_cvt_f16_f32_e32 v22, v22
	;; [unrolled: 1-line block ×3, first 2 shown]
	v_mul_f32_e32 v25, v25, v39
	v_mul_f32_e32 v27, v27, v41
	v_and_b32_e32 v25, 0xff800000, v25
	v_and_b32_e32 v27, 0xff800000, v27
	v_add_f32_e32 v25, v25, v46
	v_add_f32_e32 v27, v27, v48
	v_cvt_f16_f32_e32 v25, v25
	v_cvt_f16_f32_e32 v27, v27
	v_div_fixup_f16 v1, v20, v3, v1
	v_div_fixup_f16 v3, v22, v7, v5
	;; [unrolled: 1-line block ×3, first 2 shown]
	s_waitcnt vmcnt(2)
	v_cvt_f32_f16_e32 v13, v10
	v_div_fixup_f16 v5, v25, v11, v9
	v_div_fixup_f16 v9, v27, v19, v17
	v_cvt_f32_f16_e32 v15, v8
	v_rcp_f32_e32 v17, v13
	v_cvt_f32_f16_e32 v35, v23
	v_cvt_f32_f16_e32 v34, v21
	v_cmp_ngt_f16_e32 vcc, s4, v1
	v_mul_f32_e32 v19, v15, v17
	v_rcp_f32_e32 v43, v35
	v_mad_f32 v20, -v13, v19, v15
	v_mac_f32_e32 v19, v20, v17
	v_mad_f32 v13, -v13, v19, v15
	s_waitcnt vmcnt(0)
	v_cvt_f32_f16_e32 v15, v16
	v_mul_f32_e32 v13, v13, v17
	v_mul_f32_e32 v49, v34, v43
	v_and_b32_e32 v13, 0xff800000, v13
	v_mad_f32 v51, -v35, v49, v34
	v_add_f32_e32 v13, v13, v19
	v_mac_f32_e32 v49, v51, v43
	v_cvt_f16_f32_e32 v13, v13
	v_cvt_f32_f16_e32 v17, v14
	v_rcp_f32_e32 v19, v15
	v_mad_f32 v28, -v35, v49, v34
	v_cndmask_b32_e32 v1, v2, v1, vcc
	v_cmp_ngt_f16_e32 vcc, s4, v3
	v_cndmask_b32_e32 v3, v2, v3, vcc
	v_cmp_ngt_f16_e32 vcc, s4, v5
	v_mul_f32_e32 v11, v28, v43
	v_cndmask_b32_e32 v5, v2, v5, vcc
	v_cmp_ngt_f16_e32 vcc, s4, v7
	v_and_b32_e32 v11, 0xff800000, v11
	v_cndmask_b32_e32 v7, v2, v7, vcc
	v_cmp_ngt_f16_e32 vcc, s4, v9
	v_add_f32_e32 v11, v11, v49
	v_div_fixup_f16 v8, v13, v10, v8
	v_mul_f32_e32 v10, v17, v19
	v_cndmask_b32_e32 v9, v2, v9, vcc
	v_cmp_nlt_f16_e32 vcc, s5, v1
	v_cvt_f16_f32_e32 v11, v11
	v_mad_f32 v13, -v15, v10, v17
	v_cndmask_b32_e32 v1, v4, v1, vcc
	v_cmp_nlt_f16_e32 vcc, s5, v3
	v_mac_f32_e32 v10, v13, v19
	v_cndmask_b32_e32 v3, v4, v3, vcc
	v_cmp_nlt_f16_e32 vcc, s5, v5
	v_mad_f32 v13, -v15, v10, v17
	v_cndmask_b32_e32 v5, v4, v5, vcc
	v_cmp_nlt_f16_e32 vcc, s5, v7
	v_mul_f32_e32 v13, v13, v19
	v_cndmask_b32_e32 v7, v4, v7, vcc
	v_cmp_nlt_f16_e32 vcc, s5, v9
	v_div_fixup_f16 v11, v11, v23, v21
	v_and_b32_e32 v13, 0xff800000, v13
	v_cndmask_b32_e32 v9, v4, v9, vcc
	v_cmp_ngt_f16_e32 vcc, s4, v11
	v_add_f32_e32 v10, v13, v10
	v_cndmask_b32_e32 v11, v2, v11, vcc
	v_cvt_f16_f32_e32 v10, v10
	v_cmp_nlt_f16_e32 vcc, s5, v11
	v_cndmask_b32_e32 v11, v4, v11, vcc
	v_cmp_ngt_f16_e32 vcc, s4, v8
	v_cndmask_b32_e32 v8, v2, v8, vcc
	v_cmp_nlt_f16_e32 vcc, s5, v8
	v_div_fixup_f16 v10, v10, v16, v14
	v_cndmask_b32_e32 v8, v4, v8, vcc
	v_cmp_ngt_f16_e32 vcc, s4, v10
	v_cndmask_b32_e32 v2, v2, v10, vcc
	v_cmp_nlt_f16_e32 vcc, s5, v2
	v_cndmask_b32_e32 v2, v4, v2, vcc
	global_store_short v0, v1, s[0:1]
	global_store_short v6, v3, s[0:1]
	global_store_short v12, v5, s[0:1]
	global_store_short v18, v7, s[0:1]
	global_store_short v24, v9, s[0:1]
	global_store_short v30, v11, s[0:1]
	global_store_short v36, v8, s[0:1]
	global_store_short v42, v2, s[0:1]
	s_endpgm
	.section	.rodata,"a",@progbits
	.p2align	6, 0x0
	.amdhsa_kernel _ZN2at6native32elementwise_kernel_manual_unrollILi128ELi8EZNS0_22gpu_kernel_impl_nocastIZZZNS0_23launch_dirichlet_kernelERNS_18TensorIteratorBaseEENKUlvE_clEvENKUlvE1_clEvEUlN3c104HalfES8_E_EEvS4_RKT_EUlibE_EEviT1_
		.amdhsa_group_segment_fixed_size 0
		.amdhsa_private_segment_fixed_size 0
		.amdhsa_kernarg_size 432
		.amdhsa_user_sgpr_count 6
		.amdhsa_user_sgpr_private_segment_buffer 1
		.amdhsa_user_sgpr_dispatch_ptr 0
		.amdhsa_user_sgpr_queue_ptr 0
		.amdhsa_user_sgpr_kernarg_segment_ptr 1
		.amdhsa_user_sgpr_dispatch_id 0
		.amdhsa_user_sgpr_flat_scratch_init 0
		.amdhsa_user_sgpr_kernarg_preload_length 0
		.amdhsa_user_sgpr_kernarg_preload_offset 0
		.amdhsa_user_sgpr_private_segment_size 0
		.amdhsa_uses_dynamic_stack 0
		.amdhsa_system_sgpr_private_segment_wavefront_offset 0
		.amdhsa_system_sgpr_workgroup_id_x 1
		.amdhsa_system_sgpr_workgroup_id_y 0
		.amdhsa_system_sgpr_workgroup_id_z 0
		.amdhsa_system_sgpr_workgroup_info 0
		.amdhsa_system_vgpr_workitem_id 0
		.amdhsa_next_free_vgpr 52
		.amdhsa_next_free_sgpr 52
		.amdhsa_accum_offset 52
		.amdhsa_reserve_vcc 1
		.amdhsa_reserve_flat_scratch 0
		.amdhsa_float_round_mode_32 0
		.amdhsa_float_round_mode_16_64 0
		.amdhsa_float_denorm_mode_32 3
		.amdhsa_float_denorm_mode_16_64 3
		.amdhsa_dx10_clamp 1
		.amdhsa_ieee_mode 1
		.amdhsa_fp16_overflow 0
		.amdhsa_tg_split 0
		.amdhsa_exception_fp_ieee_invalid_op 0
		.amdhsa_exception_fp_denorm_src 0
		.amdhsa_exception_fp_ieee_div_zero 0
		.amdhsa_exception_fp_ieee_overflow 0
		.amdhsa_exception_fp_ieee_underflow 0
		.amdhsa_exception_fp_ieee_inexact 0
		.amdhsa_exception_int_div_zero 0
	.end_amdhsa_kernel
	.section	.text._ZN2at6native32elementwise_kernel_manual_unrollILi128ELi8EZNS0_22gpu_kernel_impl_nocastIZZZNS0_23launch_dirichlet_kernelERNS_18TensorIteratorBaseEENKUlvE_clEvENKUlvE1_clEvEUlN3c104HalfES8_E_EEvS4_RKT_EUlibE_EEviT1_,"axG",@progbits,_ZN2at6native32elementwise_kernel_manual_unrollILi128ELi8EZNS0_22gpu_kernel_impl_nocastIZZZNS0_23launch_dirichlet_kernelERNS_18TensorIteratorBaseEENKUlvE_clEvENKUlvE1_clEvEUlN3c104HalfES8_E_EEvS4_RKT_EUlibE_EEviT1_,comdat
.Lfunc_end46:
	.size	_ZN2at6native32elementwise_kernel_manual_unrollILi128ELi8EZNS0_22gpu_kernel_impl_nocastIZZZNS0_23launch_dirichlet_kernelERNS_18TensorIteratorBaseEENKUlvE_clEvENKUlvE1_clEvEUlN3c104HalfES8_E_EEvS4_RKT_EUlibE_EEviT1_, .Lfunc_end46-_ZN2at6native32elementwise_kernel_manual_unrollILi128ELi8EZNS0_22gpu_kernel_impl_nocastIZZZNS0_23launch_dirichlet_kernelERNS_18TensorIteratorBaseEENKUlvE_clEvENKUlvE1_clEvEUlN3c104HalfES8_E_EEvS4_RKT_EUlibE_EEviT1_
                                        ; -- End function
	.section	.AMDGPU.csdata,"",@progbits
; Kernel info:
; codeLenInByte = 10624
; NumSgprs: 56
; NumVgprs: 52
; NumAgprs: 0
; TotalNumVgprs: 52
; ScratchSize: 0
; MemoryBound: 0
; FloatMode: 240
; IeeeMode: 1
; LDSByteSize: 0 bytes/workgroup (compile time only)
; SGPRBlocks: 6
; VGPRBlocks: 6
; NumSGPRsForWavesPerEU: 56
; NumVGPRsForWavesPerEU: 52
; AccumOffset: 52
; Occupancy: 8
; WaveLimiterHint : 1
; COMPUTE_PGM_RSRC2:SCRATCH_EN: 0
; COMPUTE_PGM_RSRC2:USER_SGPR: 6
; COMPUTE_PGM_RSRC2:TRAP_HANDLER: 0
; COMPUTE_PGM_RSRC2:TGID_X_EN: 1
; COMPUTE_PGM_RSRC2:TGID_Y_EN: 0
; COMPUTE_PGM_RSRC2:TGID_Z_EN: 0
; COMPUTE_PGM_RSRC2:TIDIG_COMP_CNT: 0
; COMPUTE_PGM_RSRC3_GFX90A:ACCUM_OFFSET: 12
; COMPUTE_PGM_RSRC3_GFX90A:TG_SPLIT: 0
	.section	.text._ZN2at6native32elementwise_kernel_manual_unrollILi128ELi4EZNS0_15gpu_kernel_implIZZZNS0_23launch_dirichlet_kernelERNS_18TensorIteratorBaseEENKUlvE_clEvENKUlvE1_clEvEUlN3c104HalfES8_E_EEvS4_RKT_EUlibE_EEviT1_,"axG",@progbits,_ZN2at6native32elementwise_kernel_manual_unrollILi128ELi4EZNS0_15gpu_kernel_implIZZZNS0_23launch_dirichlet_kernelERNS_18TensorIteratorBaseEENKUlvE_clEvENKUlvE1_clEvEUlN3c104HalfES8_E_EEvS4_RKT_EUlibE_EEviT1_,comdat
	.globl	_ZN2at6native32elementwise_kernel_manual_unrollILi128ELi4EZNS0_15gpu_kernel_implIZZZNS0_23launch_dirichlet_kernelERNS_18TensorIteratorBaseEENKUlvE_clEvENKUlvE1_clEvEUlN3c104HalfES8_E_EEvS4_RKT_EUlibE_EEviT1_ ; -- Begin function _ZN2at6native32elementwise_kernel_manual_unrollILi128ELi4EZNS0_15gpu_kernel_implIZZZNS0_23launch_dirichlet_kernelERNS_18TensorIteratorBaseEENKUlvE_clEvENKUlvE1_clEvEUlN3c104HalfES8_E_EEvS4_RKT_EUlibE_EEviT1_
	.p2align	8
	.type	_ZN2at6native32elementwise_kernel_manual_unrollILi128ELi4EZNS0_15gpu_kernel_implIZZZNS0_23launch_dirichlet_kernelERNS_18TensorIteratorBaseEENKUlvE_clEvENKUlvE1_clEvEUlN3c104HalfES8_E_EEvS4_RKT_EUlibE_EEviT1_,@function
_ZN2at6native32elementwise_kernel_manual_unrollILi128ELi4EZNS0_15gpu_kernel_implIZZZNS0_23launch_dirichlet_kernelERNS_18TensorIteratorBaseEENKUlvE_clEvENKUlvE1_clEvEUlN3c104HalfES8_E_EEvS4_RKT_EUlibE_EEviT1_: ; @_ZN2at6native32elementwise_kernel_manual_unrollILi128ELi4EZNS0_15gpu_kernel_implIZZZNS0_23launch_dirichlet_kernelERNS_18TensorIteratorBaseEENKUlvE_clEvENKUlvE1_clEvEUlN3c104HalfES8_E_EEvS4_RKT_EUlibE_EEviT1_
; %bb.0:
	v_mov_b32_e32 v1, 0
	global_load_ushort v2, v1, s[4:5] offset:45
	global_load_sbyte v4, v1, s[4:5] offset:47
	s_load_dword s33, s[4:5], 0x0
	s_load_dwordx4 s[8:11], s[4:5], 0x8
	s_load_dwordx2 s[2:3], s[4:5], 0x18
	s_load_dwordx4 s[12:15], s[4:5], 0x20
	v_lshl_or_b32 v3, s6, 9, v0
	v_or_b32_e32 v0, 0x180, v3
	s_mov_b64 s[16:17], 0
	s_waitcnt lgkmcnt(0)
	v_cmp_le_i32_e32 vcc, s33, v0
	s_mov_b64 s[6:7], 0
	s_waitcnt vmcnt(1)
	v_lshrrev_b32_e32 v5, 8, v2
	s_and_saveexec_b64 s[0:1], vcc
	s_xor_b64 s[4:5], exec, s[0:1]
	s_cbranch_execz .LBB47_1544
; %bb.1:
	v_cmp_gt_i32_e32 vcc, s33, v3
	s_mov_b64 s[0:1], -1
	s_mov_b64 s[26:27], 0
	s_mov_b64 s[20:21], 0
	;; [unrolled: 1-line block ×3, first 2 shown]
	s_and_saveexec_b64 s[22:23], vcc
	s_cbranch_execz .LBB47_383
; %bb.2:
	v_mul_lo_u32 v0, v3, s13
	v_ashrrev_i32_e32 v1, 31, v0
	v_mov_b32_e32 v6, s11
	v_add_co_u32_e32 v0, vcc, s10, v0
	v_addc_co_u32_e32 v1, vcc, v6, v1, vcc
	v_mov_b32_e32 v6, 11
	v_cmp_lt_i16_sdwa s[0:1], v5, v6 src0_sel:BYTE_0 src1_sel:DWORD
	s_and_b64 vcc, exec, s[0:1]
	s_cbranch_vccnz .LBB47_9
; %bb.3:
	v_mov_b32_e32 v6, 25
	v_cmp_gt_i16_sdwa s[0:1], v5, v6 src0_sel:BYTE_0 src1_sel:DWORD
	s_and_b64 vcc, exec, s[0:1]
	s_cbranch_vccz .LBB47_18
; %bb.4:
	v_mov_b32_e32 v6, 28
	v_cmp_gt_i16_sdwa s[0:1], v5, v6 src0_sel:BYTE_0 src1_sel:DWORD
	s_and_b64 vcc, exec, s[0:1]
	s_cbranch_vccz .LBB47_28
	;; [unrolled: 5-line block ×4, first 2 shown]
; %bb.7:
	v_mov_b32_e32 v6, 46
	v_cmp_eq_u16_sdwa s[0:1], v5, v6 src0_sel:BYTE_0 src1_sel:DWORD
	s_and_b64 vcc, exec, s[0:1]
	s_cbranch_vccz .LBB47_37
; %bb.8:
	global_load_dword v6, v[0:1], off
	s_mov_b64 s[0:1], -1
	s_waitcnt vmcnt(0)
	v_lshlrev_b32_e32 v6, 16, v6
	v_cvt_f16_f32_e32 v6, v6
	s_branch .LBB47_39
.LBB47_9:
                                        ; implicit-def: $vgpr6
	s_mov_b64 s[0:1], 0
	s_cbranch_execnz .LBB47_105
.LBB47_10:
	s_andn2_b64 vcc, exec, s[0:1]
	s_cbranch_vccnz .LBB47_152
.LBB47_11:
	v_mul_lo_u32 v0, v3, s14
	v_ashrrev_i32_e32 v1, 31, v0
	v_mov_b32_e32 v7, s3
	v_add_co_u32_e32 v0, vcc, s2, v0
	v_addc_co_u32_e32 v1, vcc, v7, v1, vcc
	v_mov_b32_e32 v7, 11
	s_waitcnt vmcnt(0)
	v_cmp_lt_i16_sdwa s[0:1], v4, v7 src0_sel:BYTE_0 src1_sel:DWORD
	s_and_b64 vcc, exec, s[0:1]
	s_cbranch_vccnz .LBB47_19
; %bb.12:
	v_mov_b32_e32 v7, 25
	v_cmp_gt_i16_sdwa s[0:1], v4, v7 src0_sel:BYTE_0 src1_sel:DWORD
	s_and_b64 vcc, exec, s[0:1]
	s_cbranch_vccz .LBB47_29
; %bb.13:
	v_mov_b32_e32 v7, 28
	v_cmp_gt_i16_sdwa s[0:1], v4, v7 src0_sel:BYTE_0 src1_sel:DWORD
	s_and_b64 vcc, exec, s[0:1]
	s_cbranch_vccz .LBB47_32
	;; [unrolled: 5-line block ×4, first 2 shown]
; %bb.16:
	v_mov_b32_e32 v7, 46
	v_cmp_eq_u16_sdwa s[0:1], v4, v7 src0_sel:BYTE_0 src1_sel:DWORD
	s_mov_b64 s[6:7], 0
	s_and_b64 vcc, exec, s[0:1]
	s_cbranch_vccz .LBB47_153
; %bb.17:
	global_load_dword v7, v[0:1], off
	s_mov_b64 s[0:1], -1
	s_mov_b64 s[18:19], 0
	s_waitcnt vmcnt(0)
	v_lshlrev_b32_e32 v7, 16, v7
	v_cvt_f16_f32_e32 v7, v7
	s_branch .LBB47_155
.LBB47_18:
	s_mov_b64 s[0:1], 0
                                        ; implicit-def: $vgpr6
	s_cbranch_execnz .LBB47_70
	s_branch .LBB47_104
.LBB47_19:
	s_mov_b64 s[18:19], 0
                                        ; implicit-def: $vgpr7
	s_mov_b64 s[0:1], 0
	s_cbranch_execnz .LBB47_332
.LBB47_20:
	s_andn2_b64 vcc, exec, s[0:1]
	s_cbranch_vccnz .LBB47_380
.LBB47_21:
	s_waitcnt vmcnt(0)
	v_cvt_f32_f16_e32 v0, v7
	v_cvt_f32_f16_e32 v1, v6
	s_movk_i32 s0, 0x400
	v_mov_b32_e32 v9, 0x400
	v_rcp_f32_e32 v8, v0
	s_movk_i32 s1, 0x3bfe
	v_mul_f32_e32 v10, v1, v8
	v_mad_f32 v11, -v0, v10, v1
	v_mac_f32_e32 v10, v11, v8
	v_mad_f32 v0, -v0, v10, v1
	v_mul_f32_e32 v0, v0, v8
	v_and_b32_e32 v0, 0xff800000, v0
	v_add_f32_e32 v0, v0, v10
	v_cvt_f16_f32_e32 v0, v0
	v_mov_b32_e32 v1, 0x3bfe
	v_mul_lo_u32 v8, v3, s12
	v_ashrrev_i32_e32 v10, 31, v8
	v_div_fixup_f16 v0, v0, v7, v6
	v_cmp_ngt_f16_e32 vcc, s0, v0
	v_cndmask_b32_e32 v0, v9, v0, vcc
	v_cmp_nlt_f16_e32 vcc, s1, v0
	v_cndmask_b32_e32 v6, v1, v0, vcc
	v_mov_b32_e32 v1, s9
	v_add_co_u32_e32 v0, vcc, s8, v8
	v_mov_b32_e32 v7, 11
	v_addc_co_u32_e32 v1, vcc, v1, v10, vcc
	v_cmp_lt_i16_sdwa s[0:1], v2, v7 src0_sel:BYTE_0 src1_sel:DWORD
	s_and_b64 vcc, exec, s[0:1]
	s_cbranch_vccnz .LBB47_30
; %bb.22:
	v_mov_b32_e32 v7, 25
	v_cmp_gt_i16_sdwa s[0:1], v2, v7 src0_sel:BYTE_0 src1_sel:DWORD
	s_and_b64 vcc, exec, s[0:1]
	s_cbranch_vccz .LBB47_33
; %bb.23:
	v_mov_b32_e32 v7, 28
	v_cmp_gt_i16_sdwa s[0:1], v2, v7 src0_sel:BYTE_0 src1_sel:DWORD
	s_and_b64 vcc, exec, s[0:1]
	s_cbranch_vccz .LBB47_36
	;; [unrolled: 5-line block ×4, first 2 shown]
; %bb.26:
	v_mov_b32_e32 v7, 46
	v_cmp_eq_u16_sdwa s[6:7], v2, v7 src0_sel:BYTE_0 src1_sel:DWORD
	s_mov_b64 s[24:25], 0
	s_mov_b64 s[0:1], -1
	s_and_b64 vcc, exec, s[6:7]
	s_mov_b64 s[6:7], 0
	s_cbranch_vccz .LBB47_159
; %bb.27:
	v_cvt_f32_f16_e32 v7, v6
	s_movk_i32 s0, 0x7fff
	v_mov_b32_e32 v8, 0x7fc0
	v_cmp_o_f16_e32 vcc, v6, v6
	v_bfe_u32 v9, v7, 16, 1
	v_add3_u32 v7, v7, v9, s0
	v_lshrrev_b32_e32 v7, 16, v7
	v_cndmask_b32_e32 v7, v8, v7, vcc
	global_store_dword v[0:1], v7, off
	s_mov_b64 s[6:7], -1
	s_mov_b64 s[0:1], 0
	s_branch .LBB47_159
.LBB47_28:
	s_mov_b64 s[6:7], -1
	s_mov_b64 s[0:1], 0
                                        ; implicit-def: $vgpr6
	s_branch .LBB47_51
.LBB47_29:
	s_mov_b64 s[6:7], -1
	s_mov_b64 s[18:19], 0
	s_mov_b64 s[0:1], 0
                                        ; implicit-def: $vgpr7
	s_branch .LBB47_296
.LBB47_30:
	s_mov_b64 s[24:25], -1
	s_mov_b64 s[0:1], 0
	s_mov_b64 s[6:7], 0
	s_branch .LBB47_228
.LBB47_31:
	s_mov_b64 s[6:7], -1
	s_mov_b64 s[0:1], 0
                                        ; implicit-def: $vgpr6
	s_branch .LBB47_46
.LBB47_32:
	s_mov_b64 s[6:7], -1
	s_mov_b64 s[18:19], 0
	s_mov_b64 s[0:1], 0
                                        ; implicit-def: $vgpr7
	s_branch .LBB47_277
.LBB47_33:
	s_mov_b64 s[24:25], -1
	s_mov_b64 s[0:1], 0
	s_mov_b64 s[6:7], 0
	s_branch .LBB47_186
.LBB47_34:
	s_mov_b64 s[6:7], -1
	s_branch .LBB47_38
.LBB47_35:
	s_mov_b64 s[6:7], -1
	s_mov_b64 s[18:19], 0
	s_mov_b64 s[0:1], 0
                                        ; implicit-def: $vgpr7
	s_branch .LBB47_272
.LBB47_36:
	s_mov_b64 s[24:25], -1
	s_mov_b64 s[0:1], 0
	s_mov_b64 s[6:7], 0
	s_branch .LBB47_169
.LBB47_37:
	s_mov_b64 s[20:21], -1
.LBB47_38:
	s_mov_b64 s[0:1], 0
                                        ; implicit-def: $vgpr6
.LBB47_39:
	s_and_b64 vcc, exec, s[6:7]
	s_cbranch_vccz .LBB47_45
; %bb.40:
	v_mov_b32_e32 v6, 44
	v_cmp_eq_u16_sdwa s[6:7], v5, v6 src0_sel:BYTE_0 src1_sel:DWORD
	s_and_b64 vcc, exec, s[6:7]
	s_cbranch_vccz .LBB47_44
; %bb.41:
	global_load_ubyte v6, v[0:1], off
	s_movk_i32 s6, 0xff
	v_mov_b32_e32 v8, 0x7e00
	s_mov_b64 s[0:1], -1
	s_mov_b64 s[20:21], 0
	s_waitcnt vmcnt(0)
	v_lshlrev_b32_e32 v7, 23, v6
	v_cvt_f16_f32_e32 v7, v7
	v_cmp_ne_u32_e32 vcc, s6, v6
	v_cndmask_b32_e32 v7, v8, v7, vcc
	v_cmp_ne_u32_e32 vcc, 0, v6
	v_cndmask_b32_e32 v6, 0, v7, vcc
	s_branch .LBB47_45
.LBB47_42:
	s_mov_b64 s[6:7], -1
	s_mov_b64 s[18:19], 0
	s_branch .LBB47_154
.LBB47_43:
	s_mov_b64 s[24:25], -1
	s_mov_b64 s[0:1], 0
	s_mov_b64 s[6:7], 0
	s_branch .LBB47_165
.LBB47_44:
	s_mov_b64 s[20:21], -1
                                        ; implicit-def: $vgpr6
.LBB47_45:
	s_mov_b64 s[6:7], 0
.LBB47_46:
	s_and_b64 vcc, exec, s[6:7]
	s_cbranch_vccz .LBB47_50
; %bb.47:
	v_mov_b32_e32 v6, 29
	v_cmp_eq_u16_sdwa s[6:7], v5, v6 src0_sel:BYTE_0 src1_sel:DWORD
	s_and_b64 vcc, exec, s[6:7]
	s_cbranch_vccz .LBB47_49
; %bb.48:
	global_load_dwordx2 v[6:7], v[0:1], off
	s_mov_b64 s[0:1], -1
	s_mov_b64 s[20:21], 0
	s_mov_b64 s[6:7], 0
	s_waitcnt vmcnt(0)
	v_ffbh_u32_e32 v8, v7
	v_min_u32_e32 v8, 32, v8
	v_lshlrev_b64 v[6:7], v8, v[6:7]
	v_min_u32_e32 v6, 1, v6
	v_or_b32_e32 v6, v7, v6
	v_cvt_f32_u32_e32 v6, v6
	v_sub_u32_e32 v7, 32, v8
	v_ldexp_f32 v6, v6, v7
	v_cvt_f16_f32_e32 v6, v6
	s_branch .LBB47_51
.LBB47_49:
	s_mov_b64 s[20:21], -1
                                        ; implicit-def: $vgpr6
.LBB47_50:
	s_mov_b64 s[6:7], 0
.LBB47_51:
	s_and_b64 vcc, exec, s[6:7]
	s_cbranch_vccz .LBB47_69
; %bb.52:
	v_mov_b32_e32 v6, 27
	v_cmp_lt_i16_sdwa s[0:1], v5, v6 src0_sel:BYTE_0 src1_sel:DWORD
	s_and_b64 vcc, exec, s[0:1]
	s_cbranch_vccnz .LBB47_55
; %bb.53:
	v_cmp_gt_i16_sdwa s[0:1], v5, v6 src0_sel:BYTE_0 src1_sel:DWORD
	s_and_b64 vcc, exec, s[0:1]
	s_cbranch_vccz .LBB47_56
; %bb.54:
	global_load_dword v6, v[0:1], off
	s_mov_b64 s[0:1], 0
	s_waitcnt vmcnt(0)
	v_cvt_f32_u32_e32 v6, v6
	v_cvt_f16_f32_e32 v6, v6
	s_branch .LBB47_57
.LBB47_55:
	s_mov_b64 s[0:1], -1
                                        ; implicit-def: $vgpr6
	s_branch .LBB47_60
.LBB47_56:
	s_mov_b64 s[0:1], -1
                                        ; implicit-def: $vgpr6
.LBB47_57:
	s_andn2_b64 vcc, exec, s[0:1]
	s_cbranch_vccnz .LBB47_59
; %bb.58:
	global_load_ushort v6, v[0:1], off
	s_waitcnt vmcnt(0)
	v_cvt_f16_u16_e32 v6, v6
.LBB47_59:
	s_mov_b64 s[0:1], 0
.LBB47_60:
	s_andn2_b64 vcc, exec, s[0:1]
	s_cbranch_vccnz .LBB47_68
; %bb.61:
	global_load_ubyte v7, v[0:1], off
	s_movk_i32 s0, 0x7f
                                        ; implicit-def: $sgpr15
	s_waitcnt vmcnt(0)
	v_cmp_lt_i16_e32 vcc, s0, v7
	s_mov_b64 s[0:1], 0
	s_and_saveexec_b64 s[6:7], vcc
	s_xor_b64 s[6:7], exec, s[6:7]
	s_cbranch_execz .LBB47_81
; %bb.62:
	s_movk_i32 s0, 0x80
	v_cmp_eq_u16_e32 vcc, s0, v7
	s_mov_b64 s[0:1], -1
                                        ; implicit-def: $sgpr15
	s_and_saveexec_b64 s[18:19], vcc
; %bb.63:
	s_movk_i32 s15, 0x7e00
	s_xor_b64 s[0:1], exec, -1
; %bb.64:
	s_or_b64 exec, exec, s[18:19]
	s_and_b64 s[0:1], s[0:1], exec
	s_or_saveexec_b64 s[6:7], s[6:7]
	v_mov_b32_e32 v6, s15
	s_xor_b64 exec, exec, s[6:7]
	s_cbranch_execnz .LBB47_82
.LBB47_65:
	s_or_b64 exec, exec, s[6:7]
	s_and_saveexec_b64 s[6:7], s[0:1]
	s_cbranch_execz .LBB47_67
.LBB47_66:
	v_lshlrev_b32_e32 v6, 24, v7
	v_and_b32_e32 v7, 0xffff, v7
	v_and_b32_e32 v8, 7, v7
	v_ffbh_u32_e32 v10, v8
	v_min_u32_e32 v10, 32, v10
	v_subrev_u32_e32 v11, 28, v10
	v_bfe_u32 v9, v7, 3, 4
	v_lshlrev_b32_e32 v7, v11, v7
	v_sub_u32_e32 v10, 29, v10
	v_and_b32_e32 v7, 7, v7
	v_cmp_eq_u32_e32 vcc, 0, v9
	v_cndmask_b32_e32 v9, v9, v10, vcc
	v_cndmask_b32_e32 v7, v8, v7, vcc
	v_mov_b32_e32 v8, 0x3b800000
	v_lshlrev_b32_e32 v7, 20, v7
	v_and_b32_e32 v6, 0x80000000, v6
	v_lshl_add_u32 v8, v9, 23, v8
	v_or3_b32 v6, v6, v8, v7
	v_cvt_f16_f32_e32 v6, v6
.LBB47_67:
	s_or_b64 exec, exec, s[6:7]
.LBB47_68:
	s_mov_b64 s[0:1], -1
.LBB47_69:
	s_branch .LBB47_104
.LBB47_70:
	v_mov_b32_e32 v6, 22
	v_cmp_gt_i16_sdwa s[6:7], v5, v6 src0_sel:BYTE_0 src1_sel:DWORD
	s_and_b64 vcc, exec, s[6:7]
	s_cbranch_vccz .LBB47_80
; %bb.71:
	v_mov_b32_e32 v6, 24
	v_cmp_lt_i16_sdwa s[0:1], v5, v6 src0_sel:BYTE_0 src1_sel:DWORD
	s_and_b64 vcc, exec, s[0:1]
	s_cbranch_vccnz .LBB47_83
; %bb.72:
	v_cmp_gt_i16_sdwa s[0:1], v5, v6 src0_sel:BYTE_0 src1_sel:DWORD
	s_and_b64 vcc, exec, s[0:1]
	s_cbranch_vccz .LBB47_84
; %bb.73:
	global_load_ubyte v7, v[0:1], off
	s_movk_i32 s0, 0x7f
                                        ; implicit-def: $sgpr15
	s_waitcnt vmcnt(0)
	v_cmp_lt_i16_e32 vcc, s0, v7
	s_mov_b64 s[0:1], 0
	s_and_saveexec_b64 s[6:7], vcc
	s_xor_b64 s[6:7], exec, s[6:7]
	s_cbranch_execz .LBB47_96
; %bb.74:
	s_movk_i32 s0, 0x80
	v_cmp_eq_u16_e32 vcc, s0, v7
	s_mov_b64 s[0:1], -1
                                        ; implicit-def: $sgpr15
	s_and_saveexec_b64 s[18:19], vcc
; %bb.75:
	s_movk_i32 s15, 0x7e00
	s_xor_b64 s[0:1], exec, -1
; %bb.76:
	s_or_b64 exec, exec, s[18:19]
	s_and_b64 s[0:1], s[0:1], exec
	s_or_saveexec_b64 s[6:7], s[6:7]
	v_mov_b32_e32 v6, s15
	s_xor_b64 exec, exec, s[6:7]
	s_cbranch_execnz .LBB47_97
.LBB47_77:
	s_or_b64 exec, exec, s[6:7]
	s_and_saveexec_b64 s[6:7], s[0:1]
	s_cbranch_execz .LBB47_79
.LBB47_78:
	v_lshlrev_b32_e32 v6, 24, v7
	v_and_b32_e32 v7, 0xffff, v7
	v_and_b32_e32 v8, 3, v7
	v_ffbh_u32_e32 v10, v8
	v_min_u32_e32 v10, 32, v10
	v_subrev_u32_e32 v11, 29, v10
	v_bfe_u32 v9, v7, 2, 5
	v_lshlrev_b32_e32 v7, v11, v7
	v_sub_u32_e32 v10, 30, v10
	v_and_b32_e32 v7, 3, v7
	v_cmp_eq_u32_e32 vcc, 0, v9
	v_cndmask_b32_e32 v9, v9, v10, vcc
	v_cndmask_b32_e32 v7, v8, v7, vcc
	v_mov_b32_e32 v8, 0x37800000
	v_lshlrev_b32_e32 v7, 21, v7
	v_and_b32_e32 v6, 0x80000000, v6
	v_lshl_add_u32 v8, v9, 23, v8
	v_or3_b32 v6, v6, v8, v7
	v_cvt_f16_f32_e32 v6, v6
.LBB47_79:
	s_or_b64 exec, exec, s[6:7]
	s_mov_b64 s[0:1], 0
	s_branch .LBB47_85
.LBB47_80:
	s_mov_b64 s[6:7], -1
                                        ; implicit-def: $vgpr6
	s_branch .LBB47_91
.LBB47_81:
	s_or_saveexec_b64 s[6:7], s[6:7]
	v_mov_b32_e32 v6, s15
	s_xor_b64 exec, exec, s[6:7]
	s_cbranch_execz .LBB47_65
.LBB47_82:
	v_cmp_ne_u16_e32 vcc, 0, v7
	s_andn2_b64 s[0:1], s[0:1], exec
	s_and_b64 s[18:19], vcc, exec
	s_or_b64 s[0:1], s[0:1], s[18:19]
	v_mov_b32_e32 v6, v7
	s_or_b64 exec, exec, s[6:7]
	s_and_saveexec_b64 s[6:7], s[0:1]
	s_cbranch_execnz .LBB47_66
	s_branch .LBB47_67
.LBB47_83:
	s_mov_b64 s[0:1], -1
                                        ; implicit-def: $vgpr6
	s_branch .LBB47_88
.LBB47_84:
	s_mov_b64 s[0:1], -1
                                        ; implicit-def: $vgpr6
.LBB47_85:
	s_and_b64 vcc, exec, s[0:1]
	s_cbranch_vccz .LBB47_87
; %bb.86:
	global_load_ubyte v6, v[0:1], off
	s_mov_b32 s0, 0x7f800000
	s_waitcnt vmcnt(0)
	v_lshlrev_b32_e32 v6, 24, v6
	v_and_b32_e32 v7, 0x7f000000, v6
	v_ffbh_u32_e32 v8, v7
	v_min_u32_e32 v8, 32, v8
	v_sub_u32_e64 v8, v8, 4 clamp
	v_lshlrev_b32_e32 v10, v8, v7
	v_lshlrev_b32_e32 v8, 23, v8
	v_lshrrev_b32_e32 v10, 4, v10
	v_add_u32_e32 v9, 0x1000000, v7
	v_sub_u32_e32 v8, v10, v8
	v_ashrrev_i32_e32 v9, 8, v9
	v_add_u32_e32 v8, 0x3c000000, v8
	v_and_or_b32 v8, v9, s0, v8
	v_cmp_ne_u32_e32 vcc, 0, v7
	v_cndmask_b32_e32 v7, 0, v8, vcc
	s_brev_b32 s0, 1
	v_and_or_b32 v6, v6, s0, v7
	v_cvt_f16_f32_e32 v6, v6
.LBB47_87:
	s_mov_b64 s[0:1], 0
.LBB47_88:
	s_andn2_b64 vcc, exec, s[0:1]
	s_cbranch_vccnz .LBB47_90
; %bb.89:
	global_load_ubyte v6, v[0:1], off
	s_movk_i32 s0, 0x7f00
	s_brev_b32 s1, 16
	s_waitcnt vmcnt(0)
	v_lshlrev_b16_e32 v7, 8, v6
	v_lshlrev_b32_e32 v6, 25, v6
	v_lshrrev_b32_e32 v8, 4, v6
	v_and_or_b32 v9, v7, s0, 0.5
	v_or_b32_e32 v8, 0x70000000, v8
	v_add_f32_e32 v9, -0.5, v9
	v_mul_f32_e32 v8, 0x7800000, v8
	v_cmp_gt_u32_e32 vcc, s1, v6
	v_bfe_i32 v7, v7, 0, 16
	v_cndmask_b32_e32 v6, v8, v9, vcc
	s_brev_b32 s0, 1
	v_and_or_b32 v6, v7, s0, v6
	v_cvt_f16_f32_e32 v6, v6
.LBB47_90:
	s_mov_b64 s[6:7], 0
	s_mov_b64 s[0:1], -1
.LBB47_91:
	s_andn2_b64 vcc, exec, s[6:7]
	s_cbranch_vccnz .LBB47_104
; %bb.92:
	v_mov_b32_e32 v6, 14
	v_cmp_gt_i16_sdwa s[6:7], v5, v6 src0_sel:BYTE_0 src1_sel:DWORD
	s_and_b64 vcc, exec, s[6:7]
	s_cbranch_vccz .LBB47_95
; %bb.93:
	v_mov_b32_e32 v6, 15
	v_cmp_eq_u16_sdwa s[6:7], v5, v6 src0_sel:BYTE_0 src1_sel:DWORD
	s_and_b64 vcc, exec, s[6:7]
	s_cbranch_vccz .LBB47_98
; %bb.94:
	global_load_ushort v6, v[0:1], off
	s_mov_b64 s[0:1], -1
	s_mov_b64 s[20:21], 0
	s_waitcnt vmcnt(0)
	v_lshlrev_b32_e32 v6, 16, v6
	v_cvt_f16_f32_e32 v6, v6
	s_branch .LBB47_99
.LBB47_95:
	s_mov_b64 s[6:7], -1
                                        ; implicit-def: $vgpr6
	s_branch .LBB47_100
.LBB47_96:
	s_or_saveexec_b64 s[6:7], s[6:7]
	v_mov_b32_e32 v6, s15
	s_xor_b64 exec, exec, s[6:7]
	s_cbranch_execz .LBB47_77
.LBB47_97:
	v_cmp_ne_u16_e32 vcc, 0, v7
	s_andn2_b64 s[0:1], s[0:1], exec
	s_and_b64 s[18:19], vcc, exec
	s_or_b64 s[0:1], s[0:1], s[18:19]
	v_mov_b32_e32 v6, v7
	s_or_b64 exec, exec, s[6:7]
	s_and_saveexec_b64 s[6:7], s[0:1]
	s_cbranch_execnz .LBB47_78
	s_branch .LBB47_79
.LBB47_98:
	s_mov_b64 s[20:21], -1
                                        ; implicit-def: $vgpr6
.LBB47_99:
	s_mov_b64 s[6:7], 0
.LBB47_100:
	s_and_b64 vcc, exec, s[6:7]
	s_cbranch_vccz .LBB47_104
; %bb.101:
	v_mov_b32_e32 v6, 11
	v_cmp_eq_u16_sdwa s[6:7], v5, v6 src0_sel:BYTE_0 src1_sel:DWORD
	s_and_b64 vcc, exec, s[6:7]
	s_cbranch_vccz .LBB47_103
; %bb.102:
	global_load_ubyte v6, v[0:1], off
	v_mov_b32_e32 v7, 0x3c00
	s_mov_b64 s[0:1], -1
	s_mov_b64 s[20:21], 0
	s_waitcnt vmcnt(0)
	v_cmp_ne_u16_e32 vcc, 0, v6
	v_cndmask_b32_e32 v6, 0, v7, vcc
	s_branch .LBB47_104
.LBB47_103:
	s_mov_b64 s[20:21], -1
                                        ; implicit-def: $vgpr6
.LBB47_104:
	s_branch .LBB47_10
.LBB47_105:
	v_mov_b32_e32 v6, 5
	v_cmp_lt_i16_sdwa s[0:1], v5, v6 src0_sel:BYTE_0 src1_sel:DWORD
	s_and_b64 vcc, exec, s[0:1]
	s_cbranch_vccnz .LBB47_110
; %bb.106:
	v_mov_b32_e32 v6, 8
	v_cmp_lt_i16_sdwa s[0:1], v5, v6 src0_sel:BYTE_0 src1_sel:DWORD
	s_and_b64 vcc, exec, s[0:1]
	s_cbranch_vccnz .LBB47_111
; %bb.107:
	;; [unrolled: 5-line block ×3, first 2 shown]
	v_cmp_gt_i16_sdwa s[0:1], v5, v6 src0_sel:BYTE_0 src1_sel:DWORD
	s_and_b64 vcc, exec, s[0:1]
	s_cbranch_vccz .LBB47_113
; %bb.109:
	global_load_dwordx2 v[6:7], v[0:1], off
	s_mov_b64 s[0:1], 0
	s_waitcnt vmcnt(0)
	v_cvt_f32_f64_e32 v6, v[6:7]
	v_cvt_f16_f32_e32 v6, v6
	s_branch .LBB47_114
.LBB47_110:
                                        ; implicit-def: $vgpr6
	s_branch .LBB47_132
.LBB47_111:
	s_mov_b64 s[0:1], -1
                                        ; implicit-def: $vgpr6
	s_branch .LBB47_120
.LBB47_112:
	s_mov_b64 s[0:1], -1
                                        ; implicit-def: $vgpr6
	s_branch .LBB47_117
.LBB47_113:
	s_mov_b64 s[0:1], -1
                                        ; implicit-def: $vgpr6
.LBB47_114:
	s_andn2_b64 vcc, exec, s[0:1]
	s_cbranch_vccnz .LBB47_116
; %bb.115:
	global_load_dword v6, v[0:1], off
	s_waitcnt vmcnt(0)
	v_cvt_f16_f32_e32 v6, v6
.LBB47_116:
	s_mov_b64 s[0:1], 0
.LBB47_117:
	s_andn2_b64 vcc, exec, s[0:1]
	s_cbranch_vccnz .LBB47_119
; %bb.118:
	global_load_dword v6, v[0:1], off
.LBB47_119:
	s_mov_b64 s[0:1], 0
.LBB47_120:
	s_andn2_b64 vcc, exec, s[0:1]
	s_cbranch_vccnz .LBB47_131
; %bb.121:
	s_waitcnt vmcnt(0)
	v_mov_b32_e32 v6, 6
	v_cmp_lt_i16_sdwa s[0:1], v5, v6 src0_sel:BYTE_0 src1_sel:DWORD
	s_and_b64 vcc, exec, s[0:1]
	s_cbranch_vccnz .LBB47_124
; %bb.122:
	v_cmp_gt_i16_sdwa s[0:1], v5, v6 src0_sel:BYTE_0 src1_sel:DWORD
	s_and_b64 vcc, exec, s[0:1]
	s_cbranch_vccz .LBB47_125
; %bb.123:
	global_load_dwordx2 v[6:7], v[0:1], off
	s_mov_b64 s[0:1], 0
	s_waitcnt vmcnt(0)
	v_cvt_f32_f64_e32 v6, v[6:7]
	v_cvt_f16_f32_e32 v6, v6
	s_branch .LBB47_126
.LBB47_124:
	s_mov_b64 s[0:1], -1
                                        ; implicit-def: $vgpr6
	s_branch .LBB47_129
.LBB47_125:
	s_mov_b64 s[0:1], -1
                                        ; implicit-def: $vgpr6
.LBB47_126:
	s_andn2_b64 vcc, exec, s[0:1]
	s_cbranch_vccnz .LBB47_128
; %bb.127:
	global_load_dword v6, v[0:1], off
	s_waitcnt vmcnt(0)
	v_cvt_f16_f32_e32 v6, v6
.LBB47_128:
	s_mov_b64 s[0:1], 0
.LBB47_129:
	s_andn2_b64 vcc, exec, s[0:1]
	s_cbranch_vccnz .LBB47_131
; %bb.130:
	global_load_ushort v6, v[0:1], off
.LBB47_131:
	s_cbranch_execnz .LBB47_151
.LBB47_132:
	s_waitcnt vmcnt(0)
	v_mov_b32_e32 v6, 2
	v_cmp_lt_i16_sdwa s[0:1], v5, v6 src0_sel:BYTE_0 src1_sel:DWORD
	s_and_b64 vcc, exec, s[0:1]
	s_cbranch_vccnz .LBB47_136
; %bb.133:
	v_mov_b32_e32 v6, 3
	v_cmp_lt_i16_sdwa s[0:1], v5, v6 src0_sel:BYTE_0 src1_sel:DWORD
	s_and_b64 vcc, exec, s[0:1]
	s_cbranch_vccnz .LBB47_137
; %bb.134:
	v_cmp_gt_i16_sdwa s[0:1], v5, v6 src0_sel:BYTE_0 src1_sel:DWORD
	s_and_b64 vcc, exec, s[0:1]
	s_cbranch_vccz .LBB47_138
; %bb.135:
	global_load_dwordx2 v[6:7], v[0:1], off
	s_mov_b64 s[0:1], 0
	s_waitcnt vmcnt(0)
	v_xor_b32_e32 v9, v6, v7
	v_ffbh_i32_e32 v8, v7
	v_ashrrev_i32_e32 v9, 31, v9
	v_add_u32_e32 v8, -1, v8
	v_add_u32_e32 v9, 32, v9
	v_min_u32_e32 v8, v8, v9
	v_lshlrev_b64 v[6:7], v8, v[6:7]
	v_min_u32_e32 v6, 1, v6
	v_or_b32_e32 v6, v7, v6
	v_cvt_f32_i32_e32 v6, v6
	v_sub_u32_e32 v7, 32, v8
	v_ldexp_f32 v6, v6, v7
	v_cvt_f16_f32_e32 v6, v6
	s_branch .LBB47_139
.LBB47_136:
	s_mov_b64 s[0:1], -1
                                        ; implicit-def: $vgpr6
	s_branch .LBB47_145
.LBB47_137:
	s_mov_b64 s[0:1], -1
                                        ; implicit-def: $vgpr6
	s_branch .LBB47_142
.LBB47_138:
	s_mov_b64 s[0:1], -1
                                        ; implicit-def: $vgpr6
.LBB47_139:
	s_andn2_b64 vcc, exec, s[0:1]
	s_cbranch_vccnz .LBB47_141
; %bb.140:
	global_load_dword v6, v[0:1], off
	s_waitcnt vmcnt(0)
	v_cvt_f32_i32_e32 v6, v6
	v_cvt_f16_f32_e32 v6, v6
.LBB47_141:
	s_mov_b64 s[0:1], 0
.LBB47_142:
	s_andn2_b64 vcc, exec, s[0:1]
	s_cbranch_vccnz .LBB47_144
; %bb.143:
	global_load_ushort v6, v[0:1], off
	s_waitcnt vmcnt(0)
	v_cvt_f16_i16_e32 v6, v6
.LBB47_144:
	s_mov_b64 s[0:1], 0
.LBB47_145:
	s_andn2_b64 vcc, exec, s[0:1]
	s_cbranch_vccnz .LBB47_151
; %bb.146:
	v_mov_b32_e32 v6, 0
	v_cmp_gt_i16_sdwa s[0:1], v5, v6 src0_sel:BYTE_0 src1_sel:DWORD
	s_and_b64 vcc, exec, s[0:1]
	s_cbranch_vccz .LBB47_148
; %bb.147:
	global_load_sbyte v6, v[0:1], off
	s_mov_b64 s[0:1], 0
	s_waitcnt vmcnt(0)
	v_cvt_f16_i16_e32 v6, v6
	s_branch .LBB47_149
.LBB47_148:
	s_mov_b64 s[0:1], -1
                                        ; implicit-def: $vgpr6
.LBB47_149:
	s_andn2_b64 vcc, exec, s[0:1]
	s_cbranch_vccnz .LBB47_151
; %bb.150:
	global_load_ubyte v0, v[0:1], off
	s_waitcnt vmcnt(0)
	v_cvt_f16_u16_e32 v6, v0
.LBB47_151:
	s_branch .LBB47_11
.LBB47_152:
	s_mov_b64 s[0:1], 0
	s_mov_b64 s[18:19], 0
	s_branch .LBB47_381
.LBB47_153:
	s_mov_b64 s[18:19], -1
.LBB47_154:
	s_mov_b64 s[0:1], 0
                                        ; implicit-def: $vgpr7
.LBB47_155:
	s_and_b64 vcc, exec, s[6:7]
	s_cbranch_vccz .LBB47_271
; %bb.156:
	v_mov_b32_e32 v7, 44
	v_cmp_eq_u16_sdwa s[6:7], v4, v7 src0_sel:BYTE_0 src1_sel:DWORD
	s_and_b64 vcc, exec, s[6:7]
	s_cbranch_vccz .LBB47_270
; %bb.157:
	global_load_ubyte v7, v[0:1], off
	s_movk_i32 s6, 0xff
	v_mov_b32_e32 v9, 0x7e00
	s_mov_b64 s[0:1], -1
	s_mov_b64 s[18:19], 0
	s_waitcnt vmcnt(0)
	v_lshlrev_b32_e32 v8, 23, v7
	v_cvt_f16_f32_e32 v8, v8
	v_cmp_ne_u32_e32 vcc, s6, v7
	v_cndmask_b32_e32 v8, v9, v8, vcc
	v_cmp_ne_u32_e32 vcc, 0, v7
	v_cndmask_b32_e32 v7, 0, v8, vcc
	s_branch .LBB47_271
.LBB47_158:
	s_mov_b64 s[24:25], -1
	s_mov_b64 s[0:1], 0
	s_mov_b64 s[6:7], 0
.LBB47_159:
	s_and_b64 vcc, exec, s[24:25]
	s_cbranch_vccz .LBB47_164
; %bb.160:
	v_mov_b32_e32 v7, 44
	v_cmp_eq_u16_sdwa s[24:25], v2, v7 src0_sel:BYTE_0 src1_sel:DWORD
	s_mov_b64 s[0:1], -1
	s_and_b64 vcc, exec, s[24:25]
	s_cbranch_vccz .LBB47_164
; %bb.161:
	v_cvt_f32_f16_e32 v7, v6
	s_movk_i32 s0, 0xff
	v_mov_b32_e32 v9, 0xff
	v_bfe_u32 v8, v7, 23, 8
	v_cmp_ne_u32_e32 vcc, s0, v8
	s_and_saveexec_b64 s[6:7], vcc
; %bb.162:
	s_mov_b32 s0, 0x3fffff
	v_lshrrev_b32_e32 v9, 23, v7
	v_and_b32_e32 v10, 0x400000, v7
	v_and_or_b32 v7, v7, s0, v8
	v_cmp_ne_u32_e32 vcc, 0, v10
	v_cmp_ne_u32_e64 s[0:1], 0, v7
	s_and_b64 s[0:1], vcc, s[0:1]
	v_cndmask_b32_e64 v7, 0, 1, s[0:1]
	v_add_u32_e32 v9, v9, v7
; %bb.163:
	s_or_b64 exec, exec, s[6:7]
	s_mov_b64 s[6:7], -1
	s_mov_b64 s[0:1], 0
	global_store_byte v[0:1], v9, off
.LBB47_164:
	s_mov_b64 s[24:25], 0
.LBB47_165:
	s_and_b64 vcc, exec, s[24:25]
	s_cbranch_vccz .LBB47_168
; %bb.166:
	v_mov_b32_e32 v7, 29
	v_cmp_eq_u16_sdwa s[24:25], v2, v7 src0_sel:BYTE_0 src1_sel:DWORD
	s_mov_b64 s[0:1], -1
	s_and_b64 vcc, exec, s[24:25]
	s_cbranch_vccz .LBB47_168
; %bb.167:
	v_cvt_f32_f16_e32 v7, v6
	v_mov_b32_e32 v9, 0
	s_mov_b64 s[6:7], -1
	s_mov_b64 s[0:1], 0
	v_cvt_u32_f32_e32 v8, v7
	s_mov_b64 s[24:25], 0
	global_store_dwordx2 v[0:1], v[8:9], off
	s_branch .LBB47_169
.LBB47_168:
	s_mov_b64 s[24:25], 0
.LBB47_169:
	s_and_b64 vcc, exec, s[24:25]
	s_cbranch_vccz .LBB47_185
; %bb.170:
	v_mov_b32_e32 v7, 27
	v_cmp_lt_i16_sdwa s[24:25], v2, v7 src0_sel:BYTE_0 src1_sel:DWORD
	s_mov_b64 s[6:7], -1
	s_and_b64 vcc, exec, s[24:25]
	s_cbranch_vccnz .LBB47_176
; %bb.171:
	v_cmp_gt_i16_sdwa s[24:25], v2, v7 src0_sel:BYTE_0 src1_sel:DWORD
	s_and_b64 vcc, exec, s[24:25]
	s_cbranch_vccz .LBB47_173
; %bb.172:
	v_cvt_f32_f16_e32 v7, v6
	s_mov_b64 s[6:7], 0
	v_cvt_u32_f32_e32 v7, v7
	global_store_dword v[0:1], v7, off
.LBB47_173:
	s_andn2_b64 vcc, exec, s[6:7]
	s_cbranch_vccnz .LBB47_175
; %bb.174:
	v_cvt_u16_f16_e32 v7, v6
	global_store_short v[0:1], v7, off
.LBB47_175:
	s_mov_b64 s[6:7], 0
.LBB47_176:
	s_andn2_b64 vcc, exec, s[6:7]
	s_cbranch_vccnz .LBB47_184
; %bb.177:
	v_cvt_f32_f16_e32 v7, v6
	s_mov_b32 s6, 0x43800000
	v_mov_b32_e32 v9, 0x80
	v_and_b32_e32 v8, 0x7fffffff, v7
	v_cmp_gt_u32_e32 vcc, s6, v8
	s_and_saveexec_b64 s[6:7], vcc
	s_cbranch_execz .LBB47_183
; %bb.178:
	s_mov_b32 s15, 0x3bffffff
	v_cmp_lt_u32_e32 vcc, s15, v8
	s_mov_b64 s[24:25], 0
                                        ; implicit-def: $vgpr8
	s_and_saveexec_b64 s[28:29], vcc
	s_xor_b64 s[28:29], exec, s[28:29]
	s_cbranch_execz .LBB47_412
; %bb.179:
	v_bfe_u32 v8, v7, 20, 1
	s_mov_b32 s15, 0x487ffff
	v_add3_u32 v8, v7, v8, s15
	s_mov_b64 s[24:25], exec
	v_lshrrev_b32_e32 v8, 20, v8
	s_or_saveexec_b64 s[28:29], s[28:29]
                                        ; implicit-def: $sgpr15
	s_xor_b64 exec, exec, s[28:29]
	s_cbranch_execnz .LBB47_413
.LBB47_180:
	s_or_b64 exec, exec, s[28:29]
	v_mov_b32_e32 v9, s15
	s_and_saveexec_b64 s[28:29], s[24:25]
.LBB47_181:
	v_lshrrev_b32_e32 v7, 24, v7
	s_movk_i32 s15, 0x80
	v_and_or_b32 v9, v7, s15, v8
.LBB47_182:
	s_or_b64 exec, exec, s[28:29]
.LBB47_183:
	s_or_b64 exec, exec, s[6:7]
	global_store_byte v[0:1], v9, off
.LBB47_184:
	s_mov_b64 s[6:7], -1
.LBB47_185:
	s_mov_b64 s[24:25], 0
.LBB47_186:
	s_and_b64 vcc, exec, s[24:25]
	s_cbranch_vccz .LBB47_227
; %bb.187:
	v_mov_b32_e32 v7, 22
	v_cmp_gt_i16_sdwa s[28:29], v2, v7 src0_sel:BYTE_0 src1_sel:DWORD
	s_mov_b64 s[24:25], -1
	s_and_b64 vcc, exec, s[28:29]
	s_cbranch_vccz .LBB47_219
; %bb.188:
	v_mov_b32_e32 v7, 24
	v_cmp_lt_i16_sdwa s[24:25], v2, v7 src0_sel:BYTE_0 src1_sel:DWORD
	s_mov_b64 s[6:7], -1
	s_and_b64 vcc, exec, s[24:25]
	s_cbranch_vccnz .LBB47_208
; %bb.189:
	v_cmp_gt_i16_sdwa s[24:25], v2, v7 src0_sel:BYTE_0 src1_sel:DWORD
	s_and_b64 vcc, exec, s[24:25]
	s_cbranch_vccz .LBB47_197
; %bb.190:
	v_cvt_f32_f16_e32 v7, v6
	s_mov_b32 s6, 0x47800000
	v_mov_b32_e32 v9, 0x80
	v_and_b32_e32 v8, 0x7fffffff, v7
	v_cmp_gt_u32_e32 vcc, s6, v8
	s_and_saveexec_b64 s[6:7], vcc
	s_cbranch_execz .LBB47_196
; %bb.191:
	s_mov_b32 s15, 0x37ffffff
	v_cmp_lt_u32_e32 vcc, s15, v8
	s_mov_b64 s[24:25], 0
                                        ; implicit-def: $vgpr8
	s_and_saveexec_b64 s[28:29], vcc
	s_xor_b64 s[28:29], exec, s[28:29]
	s_cbranch_execz .LBB47_531
; %bb.192:
	v_bfe_u32 v8, v7, 21, 1
	s_mov_b32 s15, 0x88fffff
	v_add3_u32 v8, v7, v8, s15
	s_mov_b64 s[24:25], exec
	v_lshrrev_b32_e32 v8, 21, v8
	s_or_saveexec_b64 s[28:29], s[28:29]
                                        ; implicit-def: $sgpr15
	s_xor_b64 exec, exec, s[28:29]
	s_cbranch_execnz .LBB47_532
.LBB47_193:
	s_or_b64 exec, exec, s[28:29]
	v_mov_b32_e32 v9, s15
	s_and_saveexec_b64 s[28:29], s[24:25]
.LBB47_194:
	v_lshrrev_b32_e32 v7, 24, v7
	s_movk_i32 s15, 0x80
	v_and_or_b32 v9, v7, s15, v8
.LBB47_195:
	s_or_b64 exec, exec, s[28:29]
.LBB47_196:
	s_or_b64 exec, exec, s[6:7]
	s_mov_b64 s[6:7], 0
	global_store_byte v[0:1], v9, off
.LBB47_197:
	s_and_b64 vcc, exec, s[6:7]
	s_cbranch_vccz .LBB47_207
; %bb.198:
	v_cvt_f32_f16_e32 v7, v6
	s_mov_b32 s6, 0x43f00000
                                        ; implicit-def: $vgpr8
	v_and_b32_e32 v9, 0x7fffffff, v7
	v_cmp_gt_u32_e32 vcc, s6, v9
	s_and_saveexec_b64 s[6:7], vcc
	s_xor_b64 s[6:7], exec, s[6:7]
	s_cbranch_execz .LBB47_204
; %bb.199:
	s_mov_b32 s15, 0x3c7fffff
	v_cmp_lt_u32_e32 vcc, s15, v9
                                        ; implicit-def: $vgpr8
	s_and_saveexec_b64 s[24:25], vcc
	s_xor_b64 s[24:25], exec, s[24:25]
; %bb.200:
	v_bfe_u32 v8, v7, 20, 1
	s_mov_b32 s15, 0x407ffff
	v_add3_u32 v8, v7, v8, s15
	v_lshrrev_b32_e32 v9, 20, v8
	v_and_b32_e32 v8, 0xff00000, v8
	s_mov_b32 s15, 0x7f00000
	v_mov_b32_e32 v10, 0x7e
	v_cmp_ne_u32_e32 vcc, s15, v8
	v_cndmask_b32_e32 v8, v10, v9, vcc
; %bb.201:
	s_andn2_saveexec_b64 s[24:25], s[24:25]
; %bb.202:
	s_mov_b32 s15, 0x46800000
	v_add_f32_e64 v8, |v7|, s15
; %bb.203:
	s_or_b64 exec, exec, s[24:25]
                                        ; implicit-def: $vgpr9
.LBB47_204:
	s_andn2_saveexec_b64 s[6:7], s[6:7]
; %bb.205:
	s_mov_b32 s15, 0x7f800000
	v_mov_b32_e32 v8, 0x7e
	v_mov_b32_e32 v10, 0x7f
	v_cmp_lt_u32_e32 vcc, s15, v9
	v_cndmask_b32_e32 v8, v8, v10, vcc
; %bb.206:
	s_or_b64 exec, exec, s[6:7]
	v_lshrrev_b32_e32 v7, 24, v7
	s_movk_i32 s6, 0x80
	v_and_or_b32 v7, v7, s6, v8
	global_store_byte v[0:1], v7, off
.LBB47_207:
	s_mov_b64 s[6:7], 0
.LBB47_208:
	s_andn2_b64 vcc, exec, s[6:7]
	s_cbranch_vccnz .LBB47_218
; %bb.209:
	v_cvt_f32_f16_e32 v7, v6
	s_mov_b32 s6, 0x47800000
                                        ; implicit-def: $vgpr8
	v_and_b32_e32 v9, 0x7fffffff, v7
	v_cmp_gt_u32_e32 vcc, s6, v9
	s_and_saveexec_b64 s[6:7], vcc
	s_xor_b64 s[6:7], exec, s[6:7]
	s_cbranch_execz .LBB47_215
; %bb.210:
	s_mov_b32 s15, 0x387fffff
	v_cmp_lt_u32_e32 vcc, s15, v9
                                        ; implicit-def: $vgpr8
	s_and_saveexec_b64 s[24:25], vcc
	s_xor_b64 s[24:25], exec, s[24:25]
; %bb.211:
	v_bfe_u32 v8, v7, 21, 1
	s_mov_b32 s15, 0x80fffff
	v_add3_u32 v8, v7, v8, s15
	v_lshrrev_b32_e32 v8, 21, v8
; %bb.212:
	s_andn2_saveexec_b64 s[24:25], s[24:25]
; %bb.213:
	s_mov_b32 s15, 0x43000000
	v_add_f32_e64 v8, |v7|, s15
; %bb.214:
	s_or_b64 exec, exec, s[24:25]
                                        ; implicit-def: $vgpr9
.LBB47_215:
	s_andn2_saveexec_b64 s[6:7], s[6:7]
; %bb.216:
	s_mov_b32 s15, 0x7f800000
	v_mov_b32_e32 v8, 0x7c
	v_mov_b32_e32 v10, 0x7f
	v_cmp_lt_u32_e32 vcc, s15, v9
	v_cndmask_b32_e32 v8, v8, v10, vcc
; %bb.217:
	s_or_b64 exec, exec, s[6:7]
	v_lshrrev_b32_e32 v7, 24, v7
	s_movk_i32 s6, 0x80
	v_and_or_b32 v7, v7, s6, v8
	global_store_byte v[0:1], v7, off
.LBB47_218:
	s_mov_b64 s[24:25], 0
	s_mov_b64 s[6:7], -1
.LBB47_219:
	s_andn2_b64 vcc, exec, s[24:25]
	s_cbranch_vccnz .LBB47_227
; %bb.220:
	v_mov_b32_e32 v7, 14
	v_cmp_gt_i16_sdwa s[28:29], v2, v7 src0_sel:BYTE_0 src1_sel:DWORD
	s_mov_b64 s[24:25], -1
	s_and_b64 vcc, exec, s[28:29]
	s_cbranch_vccz .LBB47_224
; %bb.221:
	v_mov_b32_e32 v7, 15
	v_cmp_eq_u16_sdwa s[24:25], v2, v7 src0_sel:BYTE_0 src1_sel:DWORD
	s_mov_b64 s[0:1], -1
	s_and_b64 vcc, exec, s[24:25]
	s_cbranch_vccz .LBB47_223
; %bb.222:
	v_cvt_f32_f16_e32 v7, v6
	s_movk_i32 s0, 0x7fff
	v_mov_b32_e32 v8, 0x7fc0
	v_cmp_o_f16_e32 vcc, v6, v6
	v_bfe_u32 v9, v7, 16, 1
	v_add3_u32 v7, v7, v9, s0
	v_lshrrev_b32_e32 v7, 16, v7
	v_cndmask_b32_e32 v7, v8, v7, vcc
	global_store_short v[0:1], v7, off
	s_mov_b64 s[6:7], -1
	s_mov_b64 s[0:1], 0
.LBB47_223:
	s_mov_b64 s[24:25], 0
.LBB47_224:
	s_and_b64 vcc, exec, s[24:25]
	s_cbranch_vccz .LBB47_227
; %bb.225:
	v_mov_b32_e32 v7, 11
	v_cmp_eq_u16_sdwa s[24:25], v2, v7 src0_sel:BYTE_0 src1_sel:DWORD
	s_mov_b64 s[0:1], -1
	s_and_b64 vcc, exec, s[24:25]
	s_cbranch_vccz .LBB47_227
; %bb.226:
	v_and_b32_e32 v7, 0x7fff, v6
	v_cmp_ne_u16_e32 vcc, 0, v7
	v_cndmask_b32_e64 v7, 0, 1, vcc
	s_mov_b64 s[6:7], -1
	s_mov_b64 s[0:1], 0
	global_store_byte v[0:1], v7, off
.LBB47_227:
	s_mov_b64 s[24:25], 0
.LBB47_228:
	s_and_b64 vcc, exec, s[24:25]
	s_cbranch_vccz .LBB47_267
; %bb.229:
	v_mov_b32_e32 v7, 5
	v_cmp_lt_i16_sdwa s[24:25], v2, v7 src0_sel:BYTE_0 src1_sel:DWORD
	s_mov_b64 s[6:7], -1
	s_and_b64 vcc, exec, s[24:25]
	s_cbranch_vccnz .LBB47_250
; %bb.230:
	v_mov_b32_e32 v7, 8
	v_cmp_lt_i16_sdwa s[24:25], v2, v7 src0_sel:BYTE_0 src1_sel:DWORD
	s_and_b64 vcc, exec, s[24:25]
	s_cbranch_vccnz .LBB47_240
; %bb.231:
	v_mov_b32_e32 v7, 9
	v_cmp_lt_i16_sdwa s[24:25], v2, v7 src0_sel:BYTE_0 src1_sel:DWORD
	s_and_b64 vcc, exec, s[24:25]
	s_cbranch_vccnz .LBB47_237
; %bb.232:
	v_cmp_gt_i16_sdwa s[24:25], v2, v7 src0_sel:BYTE_0 src1_sel:DWORD
	s_and_b64 vcc, exec, s[24:25]
	s_cbranch_vccz .LBB47_234
; %bb.233:
	v_cvt_f32_f16_e32 v7, v6
	v_mov_b32_e32 v10, 0
	v_mov_b32_e32 v11, v10
	s_mov_b64 s[6:7], 0
	v_cvt_f64_f32_e32 v[8:9], v7
	global_store_dwordx4 v[0:1], v[8:11], off
.LBB47_234:
	s_andn2_b64 vcc, exec, s[6:7]
	s_cbranch_vccnz .LBB47_236
; %bb.235:
	v_cvt_f32_f16_e32 v8, v6
	v_mov_b32_e32 v9, 0
	global_store_dwordx2 v[0:1], v[8:9], off
.LBB47_236:
	s_mov_b64 s[6:7], 0
.LBB47_237:
	s_andn2_b64 vcc, exec, s[6:7]
	s_cbranch_vccnz .LBB47_239
; %bb.238:
	v_and_b32_e32 v7, 0xffff, v6
	global_store_dword v[0:1], v7, off
.LBB47_239:
	s_mov_b64 s[6:7], 0
.LBB47_240:
	s_andn2_b64 vcc, exec, s[6:7]
	s_cbranch_vccnz .LBB47_249
; %bb.241:
	v_mov_b32_e32 v7, 6
	v_cmp_lt_i16_sdwa s[24:25], v2, v7 src0_sel:BYTE_0 src1_sel:DWORD
	s_mov_b64 s[6:7], -1
	s_and_b64 vcc, exec, s[24:25]
	s_cbranch_vccnz .LBB47_247
; %bb.242:
	v_cmp_gt_i16_sdwa s[24:25], v2, v7 src0_sel:BYTE_0 src1_sel:DWORD
	s_and_b64 vcc, exec, s[24:25]
	s_cbranch_vccz .LBB47_244
; %bb.243:
	v_cvt_f32_f16_e32 v7, v6
	s_mov_b64 s[6:7], 0
	v_cvt_f64_f32_e32 v[8:9], v7
	global_store_dwordx2 v[0:1], v[8:9], off
.LBB47_244:
	s_andn2_b64 vcc, exec, s[6:7]
	s_cbranch_vccnz .LBB47_246
; %bb.245:
	v_cvt_f32_f16_e32 v7, v6
	global_store_dword v[0:1], v7, off
.LBB47_246:
	s_mov_b64 s[6:7], 0
.LBB47_247:
	s_andn2_b64 vcc, exec, s[6:7]
	s_cbranch_vccnz .LBB47_249
; %bb.248:
	global_store_short v[0:1], v6, off
.LBB47_249:
	s_mov_b64 s[6:7], 0
.LBB47_250:
	s_andn2_b64 vcc, exec, s[6:7]
	s_cbranch_vccnz .LBB47_266
; %bb.251:
	v_mov_b32_e32 v7, 2
	v_cmp_lt_i16_sdwa s[24:25], v2, v7 src0_sel:BYTE_0 src1_sel:DWORD
	s_mov_b64 s[6:7], -1
	s_and_b64 vcc, exec, s[24:25]
	s_cbranch_vccnz .LBB47_261
; %bb.252:
	v_mov_b32_e32 v7, 3
	v_cmp_lt_i16_sdwa s[24:25], v2, v7 src0_sel:BYTE_0 src1_sel:DWORD
	s_and_b64 vcc, exec, s[24:25]
	s_cbranch_vccnz .LBB47_258
; %bb.253:
	v_cmp_gt_i16_sdwa s[24:25], v2, v7 src0_sel:BYTE_0 src1_sel:DWORD
	s_and_b64 vcc, exec, s[24:25]
	s_cbranch_vccz .LBB47_255
; %bb.254:
	v_cvt_f32_f16_e32 v7, v6
	s_mov_b64 s[6:7], 0
	v_cvt_i32_f32_e32 v8, v7
	v_ashrrev_i32_e32 v9, 31, v8
	global_store_dwordx2 v[0:1], v[8:9], off
.LBB47_255:
	s_andn2_b64 vcc, exec, s[6:7]
	s_cbranch_vccnz .LBB47_257
; %bb.256:
	v_cvt_f32_f16_e32 v7, v6
	v_cvt_i32_f32_e32 v7, v7
	global_store_dword v[0:1], v7, off
.LBB47_257:
	s_mov_b64 s[6:7], 0
.LBB47_258:
	s_andn2_b64 vcc, exec, s[6:7]
	s_cbranch_vccnz .LBB47_260
; %bb.259:
	v_cvt_i16_f16_e32 v7, v6
	global_store_short v[0:1], v7, off
.LBB47_260:
	s_mov_b64 s[6:7], 0
.LBB47_261:
	s_andn2_b64 vcc, exec, s[6:7]
	s_cbranch_vccnz .LBB47_266
; %bb.262:
	v_mov_b32_e32 v7, 0
	v_cmp_gt_i16_sdwa s[24:25], v2, v7 src0_sel:BYTE_0 src1_sel:DWORD
	s_mov_b64 s[6:7], -1
	s_and_b64 vcc, exec, s[24:25]
	s_cbranch_vccz .LBB47_264
; %bb.263:
	v_cvt_i16_f16_e32 v7, v6
	global_store_byte v[0:1], v7, off
	s_mov_b64 s[6:7], 0
.LBB47_264:
	s_andn2_b64 vcc, exec, s[6:7]
	s_cbranch_vccnz .LBB47_266
; %bb.265:
	v_cvt_f32_f16_e32 v6, v6
	v_cvt_i32_f32_e32 v6, v6
	global_store_byte v[0:1], v6, off
.LBB47_266:
	s_mov_b64 s[6:7], -1
.LBB47_267:
	s_andn2_b64 vcc, exec, s[6:7]
	s_cbranch_vccnz .LBB47_269
; %bb.268:
	v_add_u32_e32 v3, 0x80, v3
	s_mov_b64 s[24:25], -1
	s_branch .LBB47_382
.LBB47_269:
	s_mov_b64 s[24:25], 0
                                        ; implicit-def: $vgpr3
	s_branch .LBB47_382
.LBB47_270:
	s_mov_b64 s[18:19], -1
                                        ; implicit-def: $vgpr7
.LBB47_271:
	s_mov_b64 s[6:7], 0
.LBB47_272:
	s_and_b64 vcc, exec, s[6:7]
	s_cbranch_vccz .LBB47_276
; %bb.273:
	v_mov_b32_e32 v7, 29
	v_cmp_eq_u16_sdwa s[6:7], v4, v7 src0_sel:BYTE_0 src1_sel:DWORD
	s_and_b64 vcc, exec, s[6:7]
	s_cbranch_vccz .LBB47_275
; %bb.274:
	global_load_dwordx2 v[8:9], v[0:1], off
	s_mov_b64 s[0:1], -1
	s_mov_b64 s[18:19], 0
	s_mov_b64 s[6:7], 0
	s_waitcnt vmcnt(0)
	v_ffbh_u32_e32 v7, v9
	v_min_u32_e32 v7, 32, v7
	v_lshlrev_b64 v[8:9], v7, v[8:9]
	v_min_u32_e32 v8, 1, v8
	v_or_b32_e32 v8, v9, v8
	v_cvt_f32_u32_e32 v8, v8
	v_sub_u32_e32 v7, 32, v7
	v_ldexp_f32 v7, v8, v7
	v_cvt_f16_f32_e32 v7, v7
	s_branch .LBB47_277
.LBB47_275:
	s_mov_b64 s[18:19], -1
                                        ; implicit-def: $vgpr7
.LBB47_276:
	s_mov_b64 s[6:7], 0
.LBB47_277:
	s_and_b64 vcc, exec, s[6:7]
	s_cbranch_vccz .LBB47_295
; %bb.278:
	v_mov_b32_e32 v7, 27
	v_cmp_lt_i16_sdwa s[0:1], v4, v7 src0_sel:BYTE_0 src1_sel:DWORD
	s_and_b64 vcc, exec, s[0:1]
	s_cbranch_vccnz .LBB47_281
; %bb.279:
	v_cmp_gt_i16_sdwa s[0:1], v4, v7 src0_sel:BYTE_0 src1_sel:DWORD
	s_and_b64 vcc, exec, s[0:1]
	s_cbranch_vccz .LBB47_282
; %bb.280:
	global_load_dword v7, v[0:1], off
	s_mov_b64 s[0:1], 0
	s_waitcnt vmcnt(0)
	v_cvt_f32_u32_e32 v7, v7
	v_cvt_f16_f32_e32 v7, v7
	s_branch .LBB47_283
.LBB47_281:
	s_mov_b64 s[0:1], -1
                                        ; implicit-def: $vgpr7
	s_branch .LBB47_286
.LBB47_282:
	s_mov_b64 s[0:1], -1
                                        ; implicit-def: $vgpr7
.LBB47_283:
	s_andn2_b64 vcc, exec, s[0:1]
	s_cbranch_vccnz .LBB47_285
; %bb.284:
	global_load_ushort v7, v[0:1], off
	s_waitcnt vmcnt(0)
	v_cvt_f16_u16_e32 v7, v7
.LBB47_285:
	s_mov_b64 s[0:1], 0
.LBB47_286:
	s_andn2_b64 vcc, exec, s[0:1]
	s_cbranch_vccnz .LBB47_294
; %bb.287:
	global_load_ubyte v8, v[0:1], off
	s_movk_i32 s0, 0x7f
                                        ; implicit-def: $sgpr15
	s_waitcnt vmcnt(0)
	v_cmp_lt_i16_e32 vcc, s0, v8
	s_mov_b64 s[0:1], 0
	s_and_saveexec_b64 s[6:7], vcc
	s_xor_b64 s[6:7], exec, s[6:7]
	s_cbranch_execz .LBB47_308
; %bb.288:
	s_movk_i32 s0, 0x80
	v_cmp_eq_u16_e32 vcc, s0, v8
	s_mov_b64 s[0:1], -1
                                        ; implicit-def: $sgpr15
	s_and_saveexec_b64 s[24:25], vcc
; %bb.289:
	s_movk_i32 s15, 0x7e00
	s_xor_b64 s[0:1], exec, -1
; %bb.290:
	s_or_b64 exec, exec, s[24:25]
	s_and_b64 s[0:1], s[0:1], exec
	s_or_saveexec_b64 s[6:7], s[6:7]
	v_mov_b32_e32 v7, s15
	s_xor_b64 exec, exec, s[6:7]
	s_cbranch_execnz .LBB47_309
.LBB47_291:
	s_or_b64 exec, exec, s[6:7]
	s_and_saveexec_b64 s[6:7], s[0:1]
	s_cbranch_execz .LBB47_293
.LBB47_292:
	v_lshlrev_b32_e32 v7, 24, v8
	v_and_b32_e32 v8, 0xffff, v8
	v_and_b32_e32 v9, 7, v8
	v_ffbh_u32_e32 v11, v9
	v_min_u32_e32 v11, 32, v11
	v_subrev_u32_e32 v12, 28, v11
	v_bfe_u32 v10, v8, 3, 4
	v_lshlrev_b32_e32 v8, v12, v8
	v_sub_u32_e32 v11, 29, v11
	v_and_b32_e32 v8, 7, v8
	v_cmp_eq_u32_e32 vcc, 0, v10
	v_cndmask_b32_e32 v10, v10, v11, vcc
	v_cndmask_b32_e32 v8, v9, v8, vcc
	v_mov_b32_e32 v9, 0x3b800000
	v_lshlrev_b32_e32 v8, 20, v8
	v_and_b32_e32 v7, 0x80000000, v7
	v_lshl_add_u32 v9, v10, 23, v9
	v_or3_b32 v7, v7, v9, v8
	v_cvt_f16_f32_e32 v7, v7
.LBB47_293:
	s_or_b64 exec, exec, s[6:7]
.LBB47_294:
	s_mov_b64 s[0:1], -1
.LBB47_295:
	s_mov_b64 s[6:7], 0
.LBB47_296:
	s_and_b64 vcc, exec, s[6:7]
	s_cbranch_vccz .LBB47_331
; %bb.297:
	v_mov_b32_e32 v7, 22
	v_cmp_gt_i16_sdwa s[6:7], v4, v7 src0_sel:BYTE_0 src1_sel:DWORD
	s_and_b64 vcc, exec, s[6:7]
	s_cbranch_vccz .LBB47_307
; %bb.298:
	v_mov_b32_e32 v7, 24
	v_cmp_lt_i16_sdwa s[0:1], v4, v7 src0_sel:BYTE_0 src1_sel:DWORD
	s_and_b64 vcc, exec, s[0:1]
	s_cbranch_vccnz .LBB47_310
; %bb.299:
	v_cmp_gt_i16_sdwa s[0:1], v4, v7 src0_sel:BYTE_0 src1_sel:DWORD
	s_and_b64 vcc, exec, s[0:1]
	s_cbranch_vccz .LBB47_311
; %bb.300:
	global_load_ubyte v8, v[0:1], off
	s_movk_i32 s0, 0x7f
                                        ; implicit-def: $sgpr15
	s_waitcnt vmcnt(0)
	v_cmp_lt_i16_e32 vcc, s0, v8
	s_mov_b64 s[0:1], 0
	s_and_saveexec_b64 s[6:7], vcc
	s_xor_b64 s[6:7], exec, s[6:7]
	s_cbranch_execz .LBB47_323
; %bb.301:
	s_movk_i32 s0, 0x80
	v_cmp_eq_u16_e32 vcc, s0, v8
	s_mov_b64 s[0:1], -1
                                        ; implicit-def: $sgpr15
	s_and_saveexec_b64 s[24:25], vcc
; %bb.302:
	s_movk_i32 s15, 0x7e00
	s_xor_b64 s[0:1], exec, -1
; %bb.303:
	s_or_b64 exec, exec, s[24:25]
	s_and_b64 s[0:1], s[0:1], exec
	s_or_saveexec_b64 s[6:7], s[6:7]
	v_mov_b32_e32 v7, s15
	s_xor_b64 exec, exec, s[6:7]
	s_cbranch_execnz .LBB47_324
.LBB47_304:
	s_or_b64 exec, exec, s[6:7]
	s_and_saveexec_b64 s[6:7], s[0:1]
	s_cbranch_execz .LBB47_306
.LBB47_305:
	v_lshlrev_b32_e32 v7, 24, v8
	v_and_b32_e32 v8, 0xffff, v8
	v_and_b32_e32 v9, 3, v8
	v_ffbh_u32_e32 v11, v9
	v_min_u32_e32 v11, 32, v11
	v_subrev_u32_e32 v12, 29, v11
	v_bfe_u32 v10, v8, 2, 5
	v_lshlrev_b32_e32 v8, v12, v8
	v_sub_u32_e32 v11, 30, v11
	v_and_b32_e32 v8, 3, v8
	v_cmp_eq_u32_e32 vcc, 0, v10
	v_cndmask_b32_e32 v10, v10, v11, vcc
	v_cndmask_b32_e32 v8, v9, v8, vcc
	v_mov_b32_e32 v9, 0x37800000
	v_lshlrev_b32_e32 v8, 21, v8
	v_and_b32_e32 v7, 0x80000000, v7
	v_lshl_add_u32 v9, v10, 23, v9
	v_or3_b32 v7, v7, v9, v8
	v_cvt_f16_f32_e32 v7, v7
.LBB47_306:
	s_or_b64 exec, exec, s[6:7]
	s_mov_b64 s[0:1], 0
	s_branch .LBB47_312
.LBB47_307:
	s_mov_b64 s[6:7], -1
                                        ; implicit-def: $vgpr7
	s_branch .LBB47_318
.LBB47_308:
	s_or_saveexec_b64 s[6:7], s[6:7]
	v_mov_b32_e32 v7, s15
	s_xor_b64 exec, exec, s[6:7]
	s_cbranch_execz .LBB47_291
.LBB47_309:
	v_cmp_ne_u16_e32 vcc, 0, v8
	s_andn2_b64 s[0:1], s[0:1], exec
	s_and_b64 s[24:25], vcc, exec
	s_or_b64 s[0:1], s[0:1], s[24:25]
	v_mov_b32_e32 v7, v8
	s_or_b64 exec, exec, s[6:7]
	s_and_saveexec_b64 s[6:7], s[0:1]
	s_cbranch_execnz .LBB47_292
	s_branch .LBB47_293
.LBB47_310:
	s_mov_b64 s[0:1], -1
                                        ; implicit-def: $vgpr7
	s_branch .LBB47_315
.LBB47_311:
	s_mov_b64 s[0:1], -1
                                        ; implicit-def: $vgpr7
.LBB47_312:
	s_and_b64 vcc, exec, s[0:1]
	s_cbranch_vccz .LBB47_314
; %bb.313:
	global_load_ubyte v7, v[0:1], off
	s_mov_b32 s0, 0x7f800000
	s_waitcnt vmcnt(0)
	v_lshlrev_b32_e32 v7, 24, v7
	v_and_b32_e32 v8, 0x7f000000, v7
	v_ffbh_u32_e32 v9, v8
	v_min_u32_e32 v9, 32, v9
	v_sub_u32_e64 v9, v9, 4 clamp
	v_lshlrev_b32_e32 v11, v9, v8
	v_lshlrev_b32_e32 v9, 23, v9
	v_lshrrev_b32_e32 v11, 4, v11
	v_add_u32_e32 v10, 0x1000000, v8
	v_sub_u32_e32 v9, v11, v9
	v_ashrrev_i32_e32 v10, 8, v10
	v_add_u32_e32 v9, 0x3c000000, v9
	v_and_or_b32 v9, v10, s0, v9
	v_cmp_ne_u32_e32 vcc, 0, v8
	v_cndmask_b32_e32 v8, 0, v9, vcc
	s_brev_b32 s0, 1
	v_and_or_b32 v7, v7, s0, v8
	v_cvt_f16_f32_e32 v7, v7
.LBB47_314:
	s_mov_b64 s[0:1], 0
.LBB47_315:
	s_andn2_b64 vcc, exec, s[0:1]
	s_cbranch_vccnz .LBB47_317
; %bb.316:
	global_load_ubyte v7, v[0:1], off
	s_movk_i32 s0, 0x7f00
	s_brev_b32 s1, 16
	s_waitcnt vmcnt(0)
	v_lshlrev_b16_e32 v8, 8, v7
	v_lshlrev_b32_e32 v7, 25, v7
	v_lshrrev_b32_e32 v9, 4, v7
	v_and_or_b32 v10, v8, s0, 0.5
	v_or_b32_e32 v9, 0x70000000, v9
	v_add_f32_e32 v10, -0.5, v10
	v_mul_f32_e32 v9, 0x7800000, v9
	v_cmp_gt_u32_e32 vcc, s1, v7
	v_bfe_i32 v8, v8, 0, 16
	v_cndmask_b32_e32 v7, v9, v10, vcc
	s_brev_b32 s0, 1
	v_and_or_b32 v7, v8, s0, v7
	v_cvt_f16_f32_e32 v7, v7
.LBB47_317:
	s_mov_b64 s[6:7], 0
	s_mov_b64 s[0:1], -1
.LBB47_318:
	s_andn2_b64 vcc, exec, s[6:7]
	s_cbranch_vccnz .LBB47_331
; %bb.319:
	v_mov_b32_e32 v7, 14
	v_cmp_gt_i16_sdwa s[6:7], v4, v7 src0_sel:BYTE_0 src1_sel:DWORD
	s_and_b64 vcc, exec, s[6:7]
	s_cbranch_vccz .LBB47_322
; %bb.320:
	v_mov_b32_e32 v7, 15
	v_cmp_eq_u16_sdwa s[6:7], v4, v7 src0_sel:BYTE_0 src1_sel:DWORD
	s_and_b64 vcc, exec, s[6:7]
	s_cbranch_vccz .LBB47_325
; %bb.321:
	global_load_ushort v7, v[0:1], off
	s_mov_b64 s[0:1], -1
	s_mov_b64 s[18:19], 0
	s_waitcnt vmcnt(0)
	v_lshlrev_b32_e32 v7, 16, v7
	v_cvt_f16_f32_e32 v7, v7
	s_branch .LBB47_326
.LBB47_322:
	s_mov_b64 s[6:7], -1
                                        ; implicit-def: $vgpr7
	s_branch .LBB47_327
.LBB47_323:
	s_or_saveexec_b64 s[6:7], s[6:7]
	v_mov_b32_e32 v7, s15
	s_xor_b64 exec, exec, s[6:7]
	s_cbranch_execz .LBB47_304
.LBB47_324:
	v_cmp_ne_u16_e32 vcc, 0, v8
	s_andn2_b64 s[0:1], s[0:1], exec
	s_and_b64 s[24:25], vcc, exec
	s_or_b64 s[0:1], s[0:1], s[24:25]
	v_mov_b32_e32 v7, v8
	s_or_b64 exec, exec, s[6:7]
	s_and_saveexec_b64 s[6:7], s[0:1]
	s_cbranch_execnz .LBB47_305
	s_branch .LBB47_306
.LBB47_325:
	s_mov_b64 s[18:19], -1
                                        ; implicit-def: $vgpr7
.LBB47_326:
	s_mov_b64 s[6:7], 0
.LBB47_327:
	s_and_b64 vcc, exec, s[6:7]
	s_cbranch_vccz .LBB47_331
; %bb.328:
	v_mov_b32_e32 v7, 11
	v_cmp_eq_u16_sdwa s[6:7], v4, v7 src0_sel:BYTE_0 src1_sel:DWORD
	s_and_b64 vcc, exec, s[6:7]
	s_cbranch_vccz .LBB47_330
; %bb.329:
	global_load_ubyte v7, v[0:1], off
	v_mov_b32_e32 v8, 0x3c00
	s_mov_b64 s[0:1], -1
	s_mov_b64 s[18:19], 0
	s_waitcnt vmcnt(0)
	v_cmp_ne_u16_e32 vcc, 0, v7
	v_cndmask_b32_e32 v7, 0, v8, vcc
	s_branch .LBB47_331
.LBB47_330:
	s_mov_b64 s[18:19], -1
                                        ; implicit-def: $vgpr7
.LBB47_331:
	s_branch .LBB47_20
.LBB47_332:
	v_mov_b32_e32 v7, 5
	v_cmp_lt_i16_sdwa s[0:1], v4, v7 src0_sel:BYTE_0 src1_sel:DWORD
	s_and_b64 vcc, exec, s[0:1]
	s_cbranch_vccnz .LBB47_337
; %bb.333:
	v_mov_b32_e32 v7, 8
	v_cmp_lt_i16_sdwa s[0:1], v4, v7 src0_sel:BYTE_0 src1_sel:DWORD
	s_and_b64 vcc, exec, s[0:1]
	s_cbranch_vccnz .LBB47_338
; %bb.334:
	;; [unrolled: 5-line block ×3, first 2 shown]
	v_cmp_gt_i16_sdwa s[0:1], v4, v7 src0_sel:BYTE_0 src1_sel:DWORD
	s_and_b64 vcc, exec, s[0:1]
	s_cbranch_vccz .LBB47_340
; %bb.336:
	global_load_dwordx2 v[8:9], v[0:1], off
	s_mov_b64 s[0:1], 0
	s_waitcnt vmcnt(0)
	v_cvt_f32_f64_e32 v7, v[8:9]
	v_cvt_f16_f32_e32 v7, v7
	s_branch .LBB47_341
.LBB47_337:
	s_mov_b64 s[0:1], -1
                                        ; implicit-def: $vgpr7
	s_branch .LBB47_359
.LBB47_338:
	s_mov_b64 s[0:1], -1
                                        ; implicit-def: $vgpr7
	s_branch .LBB47_347
.LBB47_339:
	s_mov_b64 s[0:1], -1
                                        ; implicit-def: $vgpr7
	s_branch .LBB47_344
.LBB47_340:
	s_mov_b64 s[0:1], -1
                                        ; implicit-def: $vgpr7
.LBB47_341:
	s_andn2_b64 vcc, exec, s[0:1]
	s_cbranch_vccnz .LBB47_343
; %bb.342:
	global_load_dword v7, v[0:1], off
	s_waitcnt vmcnt(0)
	v_cvt_f16_f32_e32 v7, v7
.LBB47_343:
	s_mov_b64 s[0:1], 0
.LBB47_344:
	s_andn2_b64 vcc, exec, s[0:1]
	s_cbranch_vccnz .LBB47_346
; %bb.345:
	global_load_dword v7, v[0:1], off
.LBB47_346:
	s_mov_b64 s[0:1], 0
.LBB47_347:
	s_andn2_b64 vcc, exec, s[0:1]
	s_cbranch_vccnz .LBB47_358
; %bb.348:
	s_waitcnt vmcnt(0)
	v_mov_b32_e32 v7, 6
	v_cmp_lt_i16_sdwa s[0:1], v4, v7 src0_sel:BYTE_0 src1_sel:DWORD
	s_and_b64 vcc, exec, s[0:1]
	s_cbranch_vccnz .LBB47_351
; %bb.349:
	v_cmp_gt_i16_sdwa s[0:1], v4, v7 src0_sel:BYTE_0 src1_sel:DWORD
	s_and_b64 vcc, exec, s[0:1]
	s_cbranch_vccz .LBB47_352
; %bb.350:
	global_load_dwordx2 v[8:9], v[0:1], off
	s_mov_b64 s[0:1], 0
	s_waitcnt vmcnt(0)
	v_cvt_f32_f64_e32 v7, v[8:9]
	v_cvt_f16_f32_e32 v7, v7
	s_branch .LBB47_353
.LBB47_351:
	s_mov_b64 s[0:1], -1
                                        ; implicit-def: $vgpr7
	s_branch .LBB47_356
.LBB47_352:
	s_mov_b64 s[0:1], -1
                                        ; implicit-def: $vgpr7
.LBB47_353:
	s_andn2_b64 vcc, exec, s[0:1]
	s_cbranch_vccnz .LBB47_355
; %bb.354:
	global_load_dword v7, v[0:1], off
	s_waitcnt vmcnt(0)
	v_cvt_f16_f32_e32 v7, v7
.LBB47_355:
	s_mov_b64 s[0:1], 0
.LBB47_356:
	s_andn2_b64 vcc, exec, s[0:1]
	s_cbranch_vccnz .LBB47_358
; %bb.357:
	global_load_ushort v7, v[0:1], off
.LBB47_358:
	s_mov_b64 s[0:1], 0
.LBB47_359:
	s_andn2_b64 vcc, exec, s[0:1]
	s_cbranch_vccnz .LBB47_379
; %bb.360:
	s_waitcnt vmcnt(0)
	v_mov_b32_e32 v7, 2
	v_cmp_lt_i16_sdwa s[0:1], v4, v7 src0_sel:BYTE_0 src1_sel:DWORD
	s_and_b64 vcc, exec, s[0:1]
	s_cbranch_vccnz .LBB47_364
; %bb.361:
	v_mov_b32_e32 v7, 3
	v_cmp_lt_i16_sdwa s[0:1], v4, v7 src0_sel:BYTE_0 src1_sel:DWORD
	s_and_b64 vcc, exec, s[0:1]
	s_cbranch_vccnz .LBB47_365
; %bb.362:
	v_cmp_gt_i16_sdwa s[0:1], v4, v7 src0_sel:BYTE_0 src1_sel:DWORD
	s_and_b64 vcc, exec, s[0:1]
	s_cbranch_vccz .LBB47_366
; %bb.363:
	global_load_dwordx2 v[8:9], v[0:1], off
	s_mov_b64 s[0:1], 0
	s_waitcnt vmcnt(0)
	v_xor_b32_e32 v10, v8, v9
	v_ffbh_i32_e32 v7, v9
	v_ashrrev_i32_e32 v10, 31, v10
	v_add_u32_e32 v7, -1, v7
	v_add_u32_e32 v10, 32, v10
	v_min_u32_e32 v7, v7, v10
	v_lshlrev_b64 v[8:9], v7, v[8:9]
	v_min_u32_e32 v8, 1, v8
	v_or_b32_e32 v8, v9, v8
	v_cvt_f32_i32_e32 v8, v8
	v_sub_u32_e32 v7, 32, v7
	v_ldexp_f32 v7, v8, v7
	v_cvt_f16_f32_e32 v7, v7
	s_branch .LBB47_367
.LBB47_364:
	s_mov_b64 s[0:1], -1
                                        ; implicit-def: $vgpr7
	s_branch .LBB47_373
.LBB47_365:
	s_mov_b64 s[0:1], -1
                                        ; implicit-def: $vgpr7
	s_branch .LBB47_370
.LBB47_366:
	s_mov_b64 s[0:1], -1
                                        ; implicit-def: $vgpr7
.LBB47_367:
	s_andn2_b64 vcc, exec, s[0:1]
	s_cbranch_vccnz .LBB47_369
; %bb.368:
	global_load_dword v7, v[0:1], off
	s_waitcnt vmcnt(0)
	v_cvt_f32_i32_e32 v7, v7
	v_cvt_f16_f32_e32 v7, v7
.LBB47_369:
	s_mov_b64 s[0:1], 0
.LBB47_370:
	s_andn2_b64 vcc, exec, s[0:1]
	s_cbranch_vccnz .LBB47_372
; %bb.371:
	global_load_ushort v7, v[0:1], off
	s_waitcnt vmcnt(0)
	v_cvt_f16_i16_e32 v7, v7
.LBB47_372:
	s_mov_b64 s[0:1], 0
.LBB47_373:
	s_andn2_b64 vcc, exec, s[0:1]
	s_cbranch_vccnz .LBB47_379
; %bb.374:
	v_mov_b32_e32 v7, 0
	v_cmp_gt_i16_sdwa s[0:1], v4, v7 src0_sel:BYTE_0 src1_sel:DWORD
	s_and_b64 vcc, exec, s[0:1]
	s_cbranch_vccz .LBB47_376
; %bb.375:
	global_load_sbyte v7, v[0:1], off
	s_mov_b64 s[0:1], 0
	s_waitcnt vmcnt(0)
	v_cvt_f16_i16_e32 v7, v7
	s_branch .LBB47_377
.LBB47_376:
	s_mov_b64 s[0:1], -1
                                        ; implicit-def: $vgpr7
.LBB47_377:
	s_andn2_b64 vcc, exec, s[0:1]
	s_cbranch_vccnz .LBB47_379
; %bb.378:
	global_load_ubyte v0, v[0:1], off
	s_waitcnt vmcnt(0)
	v_cvt_f16_u16_e32 v7, v0
.LBB47_379:
	s_branch .LBB47_21
.LBB47_380:
	s_mov_b64 s[0:1], 0
.LBB47_381:
                                        ; implicit-def: $vgpr3
	s_mov_b64 s[24:25], 0
.LBB47_382:
	s_and_b64 s[6:7], s[0:1], exec
	s_and_b64 s[18:19], s[18:19], exec
	s_and_b64 s[20:21], s[20:21], exec
	s_orn2_b64 s[0:1], s[24:25], exec
.LBB47_383:
	s_or_b64 exec, exec, s[22:23]
	s_mov_b64 s[30:31], 0
	s_mov_b64 s[28:29], 0
                                        ; implicit-def: $vgpr7
                                        ; implicit-def: $vgpr0_vgpr1
                                        ; implicit-def: $vgpr6
	s_and_saveexec_b64 s[22:23], s[0:1]
	s_cbranch_execz .LBB47_392
; %bb.384:
	v_cmp_gt_i32_e32 vcc, s33, v3
	s_mov_b64 s[0:1], -1
	s_mov_b64 s[24:25], s[20:21]
	s_mov_b64 s[26:27], s[18:19]
	;; [unrolled: 1-line block ×3, first 2 shown]
	s_and_saveexec_b64 s[30:31], vcc
	s_cbranch_execz .LBB47_773
; %bb.385:
	v_mul_lo_u32 v0, v3, s13
	v_ashrrev_i32_e32 v1, 31, v0
	s_waitcnt vmcnt(0)
	v_mov_b32_e32 v6, s11
	v_add_co_u32_e32 v0, vcc, s10, v0
	v_addc_co_u32_e32 v1, vcc, v6, v1, vcc
	v_mov_b32_e32 v6, 11
	v_cmp_lt_i16_sdwa s[0:1], v5, v6 src0_sel:BYTE_0 src1_sel:DWORD
	s_and_b64 vcc, exec, s[0:1]
	s_cbranch_vccnz .LBB47_395
; %bb.386:
	v_mov_b32_e32 v6, 25
	v_cmp_gt_i16_sdwa s[0:1], v5, v6 src0_sel:BYTE_0 src1_sel:DWORD
	s_and_b64 vcc, exec, s[0:1]
	s_cbranch_vccz .LBB47_404
; %bb.387:
	v_mov_b32_e32 v6, 28
	v_cmp_gt_i16_sdwa s[0:1], v5, v6 src0_sel:BYTE_0 src1_sel:DWORD
	s_and_b64 vcc, exec, s[0:1]
	s_cbranch_vccz .LBB47_406
	;; [unrolled: 5-line block ×4, first 2 shown]
; %bb.390:
	v_mov_b32_e32 v6, 46
	v_cmp_eq_u16_sdwa s[0:1], v5, v6 src0_sel:BYTE_0 src1_sel:DWORD
	s_mov_b64 s[26:27], 0
	s_and_b64 vcc, exec, s[0:1]
	s_cbranch_vccz .LBB47_414
; %bb.391:
	global_load_dword v6, v[0:1], off
	s_mov_b64 s[0:1], -1
	s_mov_b64 s[24:25], 0
	s_waitcnt vmcnt(0)
	v_lshlrev_b32_e32 v6, 16, v6
	v_cvt_f16_f32_e32 v6, v6
	s_branch .LBB47_415
.LBB47_392:
	s_or_b64 exec, exec, s[22:23]
	s_mov_b64 s[22:23], 0
	s_and_saveexec_b64 s[0:1], s[20:21]
	s_cbranch_execnz .LBB47_1248
.LBB47_393:
	s_or_b64 exec, exec, s[0:1]
	s_and_saveexec_b64 s[0:1], s[26:27]
	s_xor_b64 s[0:1], exec, s[0:1]
	s_cbranch_execz .LBB47_1249
.LBB47_394:
	global_load_ubyte v5, v[0:1], off
	s_waitcnt vmcnt(1)
	v_mov_b32_e32 v6, 0x3c00
	s_or_b64 s[28:29], s[28:29], exec
	s_waitcnt vmcnt(0)
	v_cmp_ne_u16_e32 vcc, 0, v5
	v_cndmask_b32_e32 v6, 0, v6, vcc
	s_or_b64 exec, exec, s[0:1]
	s_and_saveexec_b64 s[0:1], s[30:31]
	s_cbranch_execz .LBB47_1295
	s_branch .LBB47_1250
.LBB47_395:
	s_mov_b64 s[0:1], 0
                                        ; implicit-def: $vgpr6
	s_mov_b64 s[24:25], s[20:21]
	s_cbranch_execnz .LBB47_481
.LBB47_396:
	s_andn2_b64 vcc, exec, s[0:1]
	s_cbranch_vccnz .LBB47_529
.LBB47_397:
	v_mul_lo_u32 v0, v3, s14
	v_ashrrev_i32_e32 v1, 31, v0
	v_mov_b32_e32 v7, s3
	v_add_co_u32_e32 v0, vcc, s2, v0
	v_addc_co_u32_e32 v1, vcc, v7, v1, vcc
	v_mov_b32_e32 v7, 11
	v_cmp_lt_i16_sdwa s[0:1], v4, v7 src0_sel:BYTE_0 src1_sel:DWORD
	s_and_b64 vcc, exec, s[0:1]
	s_cbranch_vccnz .LBB47_405
; %bb.398:
	v_mov_b32_e32 v7, 25
	v_cmp_gt_i16_sdwa s[0:1], v4, v7 src0_sel:BYTE_0 src1_sel:DWORD
	s_and_b64 vcc, exec, s[0:1]
	s_cbranch_vccz .LBB47_407
; %bb.399:
	v_mov_b32_e32 v7, 28
	v_cmp_gt_i16_sdwa s[0:1], v4, v7 src0_sel:BYTE_0 src1_sel:DWORD
	s_and_b64 vcc, exec, s[0:1]
	s_cbranch_vccz .LBB47_409
	;; [unrolled: 5-line block ×4, first 2 shown]
; %bb.402:
	v_mov_b32_e32 v7, 46
	v_cmp_eq_u16_sdwa s[0:1], v4, v7 src0_sel:BYTE_0 src1_sel:DWORD
	s_mov_b64 s[28:29], 0
	s_and_b64 vcc, exec, s[0:1]
	s_cbranch_vccz .LBB47_533
; %bb.403:
	global_load_dword v7, v[0:1], off
	s_mov_b64 s[0:1], -1
	s_mov_b64 s[26:27], 0
	s_waitcnt vmcnt(0)
	v_lshlrev_b32_e32 v7, 16, v7
	v_cvt_f16_f32_e32 v7, v7
	s_branch .LBB47_534
.LBB47_404:
	s_mov_b64 s[26:27], -1
	s_mov_b64 s[0:1], 0
	s_mov_b64 s[24:25], s[20:21]
                                        ; implicit-def: $vgpr6
	s_branch .LBB47_445
.LBB47_405:
	s_mov_b64 s[28:29], -1
	s_mov_b64 s[0:1], 0
                                        ; implicit-def: $vgpr7
	s_mov_b64 s[26:27], s[18:19]
	s_branch .LBB47_599
.LBB47_406:
	s_mov_b64 s[26:27], -1
	s_mov_b64 s[0:1], 0
	s_mov_b64 s[24:25], s[20:21]
                                        ; implicit-def: $vgpr6
	s_branch .LBB47_426
.LBB47_407:
	s_mov_b64 s[28:29], -1
	s_mov_b64 s[0:1], 0
	s_mov_b64 s[26:27], s[18:19]
                                        ; implicit-def: $vgpr7
	s_branch .LBB47_563
.LBB47_408:
	s_mov_b64 s[26:27], -1
	s_mov_b64 s[0:1], 0
	s_mov_b64 s[24:25], s[20:21]
                                        ; implicit-def: $vgpr6
	s_branch .LBB47_421
.LBB47_409:
	s_mov_b64 s[28:29], -1
	s_mov_b64 s[0:1], 0
	s_mov_b64 s[26:27], s[18:19]
                                        ; implicit-def: $vgpr7
	s_branch .LBB47_544
.LBB47_410:
	s_mov_b64 s[26:27], -1
	s_mov_b64 s[0:1], 0
	s_mov_b64 s[24:25], s[20:21]
                                        ; implicit-def: $vgpr6
	s_branch .LBB47_415
.LBB47_411:
	s_mov_b64 s[28:29], -1
	s_mov_b64 s[0:1], 0
	s_mov_b64 s[26:27], s[18:19]
                                        ; implicit-def: $vgpr7
	s_branch .LBB47_539
.LBB47_412:
	s_or_saveexec_b64 s[28:29], s[28:29]
                                        ; implicit-def: $sgpr15
	s_xor_b64 exec, exec, s[28:29]
	s_cbranch_execz .LBB47_180
.LBB47_413:
	s_mov_b32 s15, 0x46000000
	v_add_f32_e64 v8, |v7|, s15
	v_and_b32_e32 v8, 0xff, v8
	v_cmp_ne_u32_e32 vcc, 0, v8
	s_andn2_b64 s[24:25], s[24:25], exec
	s_and_b64 s[30:31], vcc, exec
	s_mov_b32 s15, 0
	s_or_b64 s[24:25], s[24:25], s[30:31]
	s_or_b64 exec, exec, s[28:29]
	v_mov_b32_e32 v9, s15
	s_and_saveexec_b64 s[28:29], s[24:25]
	s_cbranch_execnz .LBB47_181
	s_branch .LBB47_182
.LBB47_414:
	s_mov_b64 s[24:25], -1
                                        ; implicit-def: $vgpr6
	s_mov_b64 s[0:1], 0
.LBB47_415:
	s_and_b64 vcc, exec, s[26:27]
	s_cbranch_vccz .LBB47_420
; %bb.416:
	v_mov_b32_e32 v6, 44
	v_cmp_eq_u16_sdwa s[24:25], v5, v6 src0_sel:BYTE_0 src1_sel:DWORD
	s_and_b64 vcc, exec, s[24:25]
	s_cbranch_vccz .LBB47_419
; %bb.417:
	global_load_ubyte v6, v[0:1], off
	s_movk_i32 s15, 0xff
	v_mov_b32_e32 v8, 0x7e00
	s_mov_b64 s[0:1], -1
	s_mov_b64 s[24:25], 0
	s_waitcnt vmcnt(0)
	v_lshlrev_b32_e32 v7, 23, v6
	v_cvt_f16_f32_e32 v7, v7
	v_cmp_ne_u32_e32 vcc, s15, v6
	v_cndmask_b32_e32 v7, v8, v7, vcc
	v_cmp_ne_u32_e32 vcc, 0, v6
	v_cndmask_b32_e32 v6, 0, v7, vcc
	s_branch .LBB47_420
.LBB47_418:
	s_mov_b64 s[28:29], -1
	s_mov_b64 s[0:1], 0
	s_mov_b64 s[26:27], s[18:19]
                                        ; implicit-def: $vgpr7
	s_branch .LBB47_534
.LBB47_419:
	s_mov_b64 s[24:25], -1
                                        ; implicit-def: $vgpr6
.LBB47_420:
	s_mov_b64 s[26:27], 0
.LBB47_421:
	s_and_b64 vcc, exec, s[26:27]
	s_cbranch_vccz .LBB47_425
; %bb.422:
	v_mov_b32_e32 v6, 29
	v_cmp_eq_u16_sdwa s[24:25], v5, v6 src0_sel:BYTE_0 src1_sel:DWORD
	s_and_b64 vcc, exec, s[24:25]
	s_cbranch_vccz .LBB47_424
; %bb.423:
	global_load_dwordx2 v[6:7], v[0:1], off
	s_mov_b64 s[0:1], -1
	s_mov_b64 s[24:25], 0
	s_mov_b64 s[26:27], 0
	s_waitcnt vmcnt(0)
	v_ffbh_u32_e32 v8, v7
	v_min_u32_e32 v8, 32, v8
	v_lshlrev_b64 v[6:7], v8, v[6:7]
	v_min_u32_e32 v6, 1, v6
	v_or_b32_e32 v6, v7, v6
	v_cvt_f32_u32_e32 v6, v6
	v_sub_u32_e32 v7, 32, v8
	v_ldexp_f32 v6, v6, v7
	v_cvt_f16_f32_e32 v6, v6
	s_branch .LBB47_426
.LBB47_424:
	s_mov_b64 s[24:25], -1
                                        ; implicit-def: $vgpr6
.LBB47_425:
	s_mov_b64 s[26:27], 0
.LBB47_426:
	s_and_b64 vcc, exec, s[26:27]
	s_cbranch_vccz .LBB47_444
; %bb.427:
	v_mov_b32_e32 v6, 27
	v_cmp_lt_i16_sdwa s[0:1], v5, v6 src0_sel:BYTE_0 src1_sel:DWORD
	s_and_b64 vcc, exec, s[0:1]
	s_cbranch_vccnz .LBB47_430
; %bb.428:
	v_cmp_gt_i16_sdwa s[0:1], v5, v6 src0_sel:BYTE_0 src1_sel:DWORD
	s_and_b64 vcc, exec, s[0:1]
	s_cbranch_vccz .LBB47_431
; %bb.429:
	global_load_dword v6, v[0:1], off
	s_mov_b64 s[0:1], 0
	s_waitcnt vmcnt(0)
	v_cvt_f32_u32_e32 v6, v6
	v_cvt_f16_f32_e32 v6, v6
	s_branch .LBB47_432
.LBB47_430:
	s_mov_b64 s[0:1], -1
                                        ; implicit-def: $vgpr6
	s_branch .LBB47_435
.LBB47_431:
	s_mov_b64 s[0:1], -1
                                        ; implicit-def: $vgpr6
.LBB47_432:
	s_andn2_b64 vcc, exec, s[0:1]
	s_cbranch_vccnz .LBB47_434
; %bb.433:
	global_load_ushort v6, v[0:1], off
	s_waitcnt vmcnt(0)
	v_cvt_f16_u16_e32 v6, v6
.LBB47_434:
	s_mov_b64 s[0:1], 0
.LBB47_435:
	s_andn2_b64 vcc, exec, s[0:1]
	s_cbranch_vccnz .LBB47_443
; %bb.436:
	global_load_ubyte v7, v[0:1], off
	s_movk_i32 s0, 0x7f
                                        ; implicit-def: $sgpr15
	s_waitcnt vmcnt(0)
	v_cmp_lt_i16_e32 vcc, s0, v7
	s_mov_b64 s[0:1], 0
	s_and_saveexec_b64 s[26:27], vcc
	s_xor_b64 s[26:27], exec, s[26:27]
	s_cbranch_execz .LBB47_457
; %bb.437:
	s_movk_i32 s0, 0x80
	v_cmp_eq_u16_e32 vcc, s0, v7
	s_mov_b64 s[0:1], -1
                                        ; implicit-def: $sgpr15
	s_and_saveexec_b64 s[28:29], vcc
; %bb.438:
	s_movk_i32 s15, 0x7e00
	s_xor_b64 s[0:1], exec, -1
; %bb.439:
	s_or_b64 exec, exec, s[28:29]
	s_and_b64 s[0:1], s[0:1], exec
	s_or_saveexec_b64 s[26:27], s[26:27]
	v_mov_b32_e32 v6, s15
	s_xor_b64 exec, exec, s[26:27]
	s_cbranch_execnz .LBB47_458
.LBB47_440:
	s_or_b64 exec, exec, s[26:27]
	s_and_saveexec_b64 s[26:27], s[0:1]
	s_cbranch_execz .LBB47_442
.LBB47_441:
	v_lshlrev_b32_e32 v6, 24, v7
	v_and_b32_e32 v7, 0xffff, v7
	v_and_b32_e32 v8, 7, v7
	v_ffbh_u32_e32 v10, v8
	v_min_u32_e32 v10, 32, v10
	v_subrev_u32_e32 v11, 28, v10
	v_bfe_u32 v9, v7, 3, 4
	v_lshlrev_b32_e32 v7, v11, v7
	v_sub_u32_e32 v10, 29, v10
	v_and_b32_e32 v7, 7, v7
	v_cmp_eq_u32_e32 vcc, 0, v9
	v_cndmask_b32_e32 v9, v9, v10, vcc
	v_cndmask_b32_e32 v7, v8, v7, vcc
	v_mov_b32_e32 v8, 0x3b800000
	v_lshlrev_b32_e32 v7, 20, v7
	v_and_b32_e32 v6, 0x80000000, v6
	v_lshl_add_u32 v8, v9, 23, v8
	v_or3_b32 v6, v6, v8, v7
	v_cvt_f16_f32_e32 v6, v6
.LBB47_442:
	s_or_b64 exec, exec, s[26:27]
.LBB47_443:
	s_mov_b64 s[0:1], -1
.LBB47_444:
	s_mov_b64 s[26:27], 0
.LBB47_445:
	s_and_b64 vcc, exec, s[26:27]
	s_cbranch_vccz .LBB47_480
; %bb.446:
	v_mov_b32_e32 v6, 22
	v_cmp_gt_i16_sdwa s[26:27], v5, v6 src0_sel:BYTE_0 src1_sel:DWORD
	s_and_b64 vcc, exec, s[26:27]
	s_cbranch_vccz .LBB47_456
; %bb.447:
	v_mov_b32_e32 v6, 24
	v_cmp_lt_i16_sdwa s[0:1], v5, v6 src0_sel:BYTE_0 src1_sel:DWORD
	s_and_b64 vcc, exec, s[0:1]
	s_cbranch_vccnz .LBB47_459
; %bb.448:
	v_cmp_gt_i16_sdwa s[0:1], v5, v6 src0_sel:BYTE_0 src1_sel:DWORD
	s_and_b64 vcc, exec, s[0:1]
	s_cbranch_vccz .LBB47_460
; %bb.449:
	global_load_ubyte v7, v[0:1], off
	s_movk_i32 s0, 0x7f
                                        ; implicit-def: $sgpr15
	s_waitcnt vmcnt(0)
	v_cmp_lt_i16_e32 vcc, s0, v7
	s_mov_b64 s[0:1], 0
	s_and_saveexec_b64 s[26:27], vcc
	s_xor_b64 s[26:27], exec, s[26:27]
	s_cbranch_execz .LBB47_472
; %bb.450:
	s_movk_i32 s0, 0x80
	v_cmp_eq_u16_e32 vcc, s0, v7
	s_mov_b64 s[0:1], -1
                                        ; implicit-def: $sgpr15
	s_and_saveexec_b64 s[28:29], vcc
; %bb.451:
	s_movk_i32 s15, 0x7e00
	s_xor_b64 s[0:1], exec, -1
; %bb.452:
	s_or_b64 exec, exec, s[28:29]
	s_and_b64 s[0:1], s[0:1], exec
	s_or_saveexec_b64 s[26:27], s[26:27]
	v_mov_b32_e32 v6, s15
	s_xor_b64 exec, exec, s[26:27]
	s_cbranch_execnz .LBB47_473
.LBB47_453:
	s_or_b64 exec, exec, s[26:27]
	s_and_saveexec_b64 s[26:27], s[0:1]
	s_cbranch_execz .LBB47_455
.LBB47_454:
	v_lshlrev_b32_e32 v6, 24, v7
	v_and_b32_e32 v7, 0xffff, v7
	v_and_b32_e32 v8, 3, v7
	v_ffbh_u32_e32 v10, v8
	v_min_u32_e32 v10, 32, v10
	v_subrev_u32_e32 v11, 29, v10
	v_bfe_u32 v9, v7, 2, 5
	v_lshlrev_b32_e32 v7, v11, v7
	v_sub_u32_e32 v10, 30, v10
	v_and_b32_e32 v7, 3, v7
	v_cmp_eq_u32_e32 vcc, 0, v9
	v_cndmask_b32_e32 v9, v9, v10, vcc
	v_cndmask_b32_e32 v7, v8, v7, vcc
	v_mov_b32_e32 v8, 0x37800000
	v_lshlrev_b32_e32 v7, 21, v7
	v_and_b32_e32 v6, 0x80000000, v6
	v_lshl_add_u32 v8, v9, 23, v8
	v_or3_b32 v6, v6, v8, v7
	v_cvt_f16_f32_e32 v6, v6
.LBB47_455:
	s_or_b64 exec, exec, s[26:27]
	s_mov_b64 s[0:1], 0
	s_branch .LBB47_461
.LBB47_456:
	s_mov_b64 s[26:27], -1
                                        ; implicit-def: $vgpr6
	s_branch .LBB47_467
.LBB47_457:
	s_or_saveexec_b64 s[26:27], s[26:27]
	v_mov_b32_e32 v6, s15
	s_xor_b64 exec, exec, s[26:27]
	s_cbranch_execz .LBB47_440
.LBB47_458:
	v_cmp_ne_u16_e32 vcc, 0, v7
	s_andn2_b64 s[0:1], s[0:1], exec
	s_and_b64 s[28:29], vcc, exec
	s_or_b64 s[0:1], s[0:1], s[28:29]
	v_mov_b32_e32 v6, v7
	s_or_b64 exec, exec, s[26:27]
	s_and_saveexec_b64 s[26:27], s[0:1]
	s_cbranch_execnz .LBB47_441
	s_branch .LBB47_442
.LBB47_459:
	s_mov_b64 s[0:1], -1
                                        ; implicit-def: $vgpr6
	s_branch .LBB47_464
.LBB47_460:
	s_mov_b64 s[0:1], -1
                                        ; implicit-def: $vgpr6
.LBB47_461:
	s_and_b64 vcc, exec, s[0:1]
	s_cbranch_vccz .LBB47_463
; %bb.462:
	global_load_ubyte v6, v[0:1], off
	s_mov_b32 s0, 0x7f800000
	s_waitcnt vmcnt(0)
	v_lshlrev_b32_e32 v6, 24, v6
	v_and_b32_e32 v7, 0x7f000000, v6
	v_ffbh_u32_e32 v8, v7
	v_min_u32_e32 v8, 32, v8
	v_sub_u32_e64 v8, v8, 4 clamp
	v_lshlrev_b32_e32 v10, v8, v7
	v_lshlrev_b32_e32 v8, 23, v8
	v_lshrrev_b32_e32 v10, 4, v10
	v_add_u32_e32 v9, 0x1000000, v7
	v_sub_u32_e32 v8, v10, v8
	v_ashrrev_i32_e32 v9, 8, v9
	v_add_u32_e32 v8, 0x3c000000, v8
	v_and_or_b32 v8, v9, s0, v8
	v_cmp_ne_u32_e32 vcc, 0, v7
	v_cndmask_b32_e32 v7, 0, v8, vcc
	s_brev_b32 s0, 1
	v_and_or_b32 v6, v6, s0, v7
	v_cvt_f16_f32_e32 v6, v6
.LBB47_463:
	s_mov_b64 s[0:1], 0
.LBB47_464:
	s_andn2_b64 vcc, exec, s[0:1]
	s_cbranch_vccnz .LBB47_466
; %bb.465:
	global_load_ubyte v6, v[0:1], off
	s_movk_i32 s0, 0x7f00
	s_brev_b32 s1, 16
	s_waitcnt vmcnt(0)
	v_lshlrev_b16_e32 v7, 8, v6
	v_lshlrev_b32_e32 v6, 25, v6
	v_lshrrev_b32_e32 v8, 4, v6
	v_and_or_b32 v9, v7, s0, 0.5
	v_or_b32_e32 v8, 0x70000000, v8
	v_add_f32_e32 v9, -0.5, v9
	v_mul_f32_e32 v8, 0x7800000, v8
	v_cmp_gt_u32_e32 vcc, s1, v6
	v_bfe_i32 v7, v7, 0, 16
	v_cndmask_b32_e32 v6, v8, v9, vcc
	s_brev_b32 s0, 1
	v_and_or_b32 v6, v7, s0, v6
	v_cvt_f16_f32_e32 v6, v6
.LBB47_466:
	s_mov_b64 s[26:27], 0
	s_mov_b64 s[0:1], -1
.LBB47_467:
	s_andn2_b64 vcc, exec, s[26:27]
	s_cbranch_vccnz .LBB47_480
; %bb.468:
	v_mov_b32_e32 v6, 14
	v_cmp_gt_i16_sdwa s[26:27], v5, v6 src0_sel:BYTE_0 src1_sel:DWORD
	s_and_b64 vcc, exec, s[26:27]
	s_cbranch_vccz .LBB47_471
; %bb.469:
	v_mov_b32_e32 v6, 15
	v_cmp_eq_u16_sdwa s[24:25], v5, v6 src0_sel:BYTE_0 src1_sel:DWORD
	s_and_b64 vcc, exec, s[24:25]
	s_cbranch_vccz .LBB47_474
; %bb.470:
	global_load_ushort v6, v[0:1], off
	s_mov_b64 s[0:1], -1
	s_mov_b64 s[24:25], 0
	s_waitcnt vmcnt(0)
	v_lshlrev_b32_e32 v6, 16, v6
	v_cvt_f16_f32_e32 v6, v6
	s_branch .LBB47_475
.LBB47_471:
	s_mov_b64 s[26:27], -1
                                        ; implicit-def: $vgpr6
	s_branch .LBB47_476
.LBB47_472:
	s_or_saveexec_b64 s[26:27], s[26:27]
	v_mov_b32_e32 v6, s15
	s_xor_b64 exec, exec, s[26:27]
	s_cbranch_execz .LBB47_453
.LBB47_473:
	v_cmp_ne_u16_e32 vcc, 0, v7
	s_andn2_b64 s[0:1], s[0:1], exec
	s_and_b64 s[28:29], vcc, exec
	s_or_b64 s[0:1], s[0:1], s[28:29]
	v_mov_b32_e32 v6, v7
	s_or_b64 exec, exec, s[26:27]
	s_and_saveexec_b64 s[26:27], s[0:1]
	s_cbranch_execnz .LBB47_454
	s_branch .LBB47_455
.LBB47_474:
	s_mov_b64 s[24:25], -1
                                        ; implicit-def: $vgpr6
.LBB47_475:
	s_mov_b64 s[26:27], 0
.LBB47_476:
	s_and_b64 vcc, exec, s[26:27]
	s_cbranch_vccz .LBB47_480
; %bb.477:
	v_mov_b32_e32 v6, 11
	v_cmp_eq_u16_sdwa s[24:25], v5, v6 src0_sel:BYTE_0 src1_sel:DWORD
	s_and_b64 vcc, exec, s[24:25]
	s_cbranch_vccz .LBB47_479
; %bb.478:
	global_load_ubyte v6, v[0:1], off
	v_mov_b32_e32 v7, 0x3c00
	s_mov_b64 s[0:1], -1
	s_mov_b64 s[24:25], 0
	s_waitcnt vmcnt(0)
	v_cmp_ne_u16_e32 vcc, 0, v6
	v_cndmask_b32_e32 v6, 0, v7, vcc
	s_branch .LBB47_480
.LBB47_479:
	s_mov_b64 s[24:25], -1
                                        ; implicit-def: $vgpr6
.LBB47_480:
	s_branch .LBB47_396
.LBB47_481:
	v_mov_b32_e32 v6, 5
	v_cmp_lt_i16_sdwa s[0:1], v5, v6 src0_sel:BYTE_0 src1_sel:DWORD
	s_and_b64 vcc, exec, s[0:1]
	s_cbranch_vccnz .LBB47_486
; %bb.482:
	v_mov_b32_e32 v6, 8
	v_cmp_lt_i16_sdwa s[0:1], v5, v6 src0_sel:BYTE_0 src1_sel:DWORD
	s_and_b64 vcc, exec, s[0:1]
	s_cbranch_vccnz .LBB47_487
; %bb.483:
	;; [unrolled: 5-line block ×3, first 2 shown]
	v_cmp_gt_i16_sdwa s[0:1], v5, v6 src0_sel:BYTE_0 src1_sel:DWORD
	s_and_b64 vcc, exec, s[0:1]
	s_cbranch_vccz .LBB47_489
; %bb.485:
	global_load_dwordx2 v[6:7], v[0:1], off
	s_mov_b64 s[0:1], 0
	s_waitcnt vmcnt(0)
	v_cvt_f32_f64_e32 v6, v[6:7]
	v_cvt_f16_f32_e32 v6, v6
	s_branch .LBB47_490
.LBB47_486:
	s_mov_b64 s[0:1], -1
                                        ; implicit-def: $vgpr6
	s_branch .LBB47_508
.LBB47_487:
	s_mov_b64 s[0:1], -1
                                        ; implicit-def: $vgpr6
	s_branch .LBB47_496
.LBB47_488:
	s_mov_b64 s[0:1], -1
                                        ; implicit-def: $vgpr6
	s_branch .LBB47_493
.LBB47_489:
	s_mov_b64 s[0:1], -1
                                        ; implicit-def: $vgpr6
.LBB47_490:
	s_andn2_b64 vcc, exec, s[0:1]
	s_cbranch_vccnz .LBB47_492
; %bb.491:
	global_load_dword v6, v[0:1], off
	s_waitcnt vmcnt(0)
	v_cvt_f16_f32_e32 v6, v6
.LBB47_492:
	s_mov_b64 s[0:1], 0
.LBB47_493:
	s_andn2_b64 vcc, exec, s[0:1]
	s_cbranch_vccnz .LBB47_495
; %bb.494:
	global_load_dword v6, v[0:1], off
.LBB47_495:
	s_mov_b64 s[0:1], 0
.LBB47_496:
	s_andn2_b64 vcc, exec, s[0:1]
	s_cbranch_vccnz .LBB47_507
; %bb.497:
	s_waitcnt vmcnt(0)
	v_mov_b32_e32 v6, 6
	v_cmp_lt_i16_sdwa s[0:1], v5, v6 src0_sel:BYTE_0 src1_sel:DWORD
	s_and_b64 vcc, exec, s[0:1]
	s_cbranch_vccnz .LBB47_500
; %bb.498:
	v_cmp_gt_i16_sdwa s[0:1], v5, v6 src0_sel:BYTE_0 src1_sel:DWORD
	s_and_b64 vcc, exec, s[0:1]
	s_cbranch_vccz .LBB47_501
; %bb.499:
	global_load_dwordx2 v[6:7], v[0:1], off
	s_mov_b64 s[0:1], 0
	s_waitcnt vmcnt(0)
	v_cvt_f32_f64_e32 v6, v[6:7]
	v_cvt_f16_f32_e32 v6, v6
	s_branch .LBB47_502
.LBB47_500:
	s_mov_b64 s[0:1], -1
                                        ; implicit-def: $vgpr6
	s_branch .LBB47_505
.LBB47_501:
	s_mov_b64 s[0:1], -1
                                        ; implicit-def: $vgpr6
.LBB47_502:
	s_andn2_b64 vcc, exec, s[0:1]
	s_cbranch_vccnz .LBB47_504
; %bb.503:
	global_load_dword v6, v[0:1], off
	s_waitcnt vmcnt(0)
	v_cvt_f16_f32_e32 v6, v6
.LBB47_504:
	s_mov_b64 s[0:1], 0
.LBB47_505:
	s_andn2_b64 vcc, exec, s[0:1]
	s_cbranch_vccnz .LBB47_507
; %bb.506:
	global_load_ushort v6, v[0:1], off
.LBB47_507:
	s_mov_b64 s[0:1], 0
.LBB47_508:
	s_andn2_b64 vcc, exec, s[0:1]
	s_cbranch_vccnz .LBB47_528
; %bb.509:
	s_waitcnt vmcnt(0)
	v_mov_b32_e32 v6, 2
	v_cmp_lt_i16_sdwa s[0:1], v5, v6 src0_sel:BYTE_0 src1_sel:DWORD
	s_and_b64 vcc, exec, s[0:1]
	s_cbranch_vccnz .LBB47_513
; %bb.510:
	v_mov_b32_e32 v6, 3
	v_cmp_lt_i16_sdwa s[0:1], v5, v6 src0_sel:BYTE_0 src1_sel:DWORD
	s_and_b64 vcc, exec, s[0:1]
	s_cbranch_vccnz .LBB47_514
; %bb.511:
	v_cmp_gt_i16_sdwa s[0:1], v5, v6 src0_sel:BYTE_0 src1_sel:DWORD
	s_and_b64 vcc, exec, s[0:1]
	s_cbranch_vccz .LBB47_515
; %bb.512:
	global_load_dwordx2 v[6:7], v[0:1], off
	s_mov_b64 s[0:1], 0
	s_waitcnt vmcnt(0)
	v_xor_b32_e32 v9, v6, v7
	v_ffbh_i32_e32 v8, v7
	v_ashrrev_i32_e32 v9, 31, v9
	v_add_u32_e32 v8, -1, v8
	v_add_u32_e32 v9, 32, v9
	v_min_u32_e32 v8, v8, v9
	v_lshlrev_b64 v[6:7], v8, v[6:7]
	v_min_u32_e32 v6, 1, v6
	v_or_b32_e32 v6, v7, v6
	v_cvt_f32_i32_e32 v6, v6
	v_sub_u32_e32 v7, 32, v8
	v_ldexp_f32 v6, v6, v7
	v_cvt_f16_f32_e32 v6, v6
	s_branch .LBB47_516
.LBB47_513:
	s_mov_b64 s[0:1], -1
                                        ; implicit-def: $vgpr6
	s_branch .LBB47_522
.LBB47_514:
	s_mov_b64 s[0:1], -1
                                        ; implicit-def: $vgpr6
	s_branch .LBB47_519
.LBB47_515:
	s_mov_b64 s[0:1], -1
                                        ; implicit-def: $vgpr6
.LBB47_516:
	s_andn2_b64 vcc, exec, s[0:1]
	s_cbranch_vccnz .LBB47_518
; %bb.517:
	global_load_dword v6, v[0:1], off
	s_waitcnt vmcnt(0)
	v_cvt_f32_i32_e32 v6, v6
	v_cvt_f16_f32_e32 v6, v6
.LBB47_518:
	s_mov_b64 s[0:1], 0
.LBB47_519:
	s_andn2_b64 vcc, exec, s[0:1]
	s_cbranch_vccnz .LBB47_521
; %bb.520:
	global_load_ushort v6, v[0:1], off
	s_waitcnt vmcnt(0)
	v_cvt_f16_i16_e32 v6, v6
.LBB47_521:
	s_mov_b64 s[0:1], 0
.LBB47_522:
	s_andn2_b64 vcc, exec, s[0:1]
	s_cbranch_vccnz .LBB47_528
; %bb.523:
	v_mov_b32_e32 v6, 0
	v_cmp_gt_i16_sdwa s[0:1], v5, v6 src0_sel:BYTE_0 src1_sel:DWORD
	s_and_b64 vcc, exec, s[0:1]
	s_cbranch_vccz .LBB47_525
; %bb.524:
	global_load_sbyte v6, v[0:1], off
	s_mov_b64 s[0:1], 0
	s_waitcnt vmcnt(0)
	v_cvt_f16_i16_e32 v6, v6
	s_branch .LBB47_526
.LBB47_525:
	s_mov_b64 s[0:1], -1
                                        ; implicit-def: $vgpr6
.LBB47_526:
	s_andn2_b64 vcc, exec, s[0:1]
	s_cbranch_vccnz .LBB47_528
; %bb.527:
	global_load_ubyte v0, v[0:1], off
	s_waitcnt vmcnt(0)
	v_cvt_f16_u16_e32 v6, v0
.LBB47_528:
	s_branch .LBB47_397
.LBB47_529:
	s_mov_b64 s[34:35], 0
	s_mov_b64 s[0:1], s[6:7]
	;; [unrolled: 1-line block ×3, first 2 shown]
.LBB47_530:
                                        ; implicit-def: $vgpr3
	s_branch .LBB47_772
.LBB47_531:
	s_or_saveexec_b64 s[28:29], s[28:29]
                                        ; implicit-def: $sgpr15
	s_xor_b64 exec, exec, s[28:29]
	s_cbranch_execz .LBB47_193
.LBB47_532:
	s_mov_b32 s15, 0x42800000
	v_add_f32_e64 v8, |v7|, s15
	v_and_b32_e32 v8, 0xff, v8
	v_cmp_ne_u32_e32 vcc, 0, v8
	s_andn2_b64 s[24:25], s[24:25], exec
	s_and_b64 s[30:31], vcc, exec
	s_mov_b32 s15, 0
	s_or_b64 s[24:25], s[24:25], s[30:31]
	s_or_b64 exec, exec, s[28:29]
	v_mov_b32_e32 v9, s15
	s_and_saveexec_b64 s[28:29], s[24:25]
	s_cbranch_execnz .LBB47_194
	s_branch .LBB47_195
.LBB47_533:
	s_mov_b64 s[26:27], -1
                                        ; implicit-def: $vgpr7
	s_mov_b64 s[0:1], 0
.LBB47_534:
	s_and_b64 vcc, exec, s[28:29]
	s_cbranch_vccz .LBB47_538
; %bb.535:
	v_mov_b32_e32 v7, 44
	v_cmp_eq_u16_sdwa s[26:27], v4, v7 src0_sel:BYTE_0 src1_sel:DWORD
	s_and_b64 vcc, exec, s[26:27]
	s_cbranch_vccz .LBB47_537
; %bb.536:
	global_load_ubyte v7, v[0:1], off
	s_movk_i32 s15, 0xff
	v_mov_b32_e32 v9, 0x7e00
	s_mov_b64 s[0:1], -1
	s_mov_b64 s[26:27], 0
	s_waitcnt vmcnt(0)
	v_lshlrev_b32_e32 v8, 23, v7
	v_cvt_f16_f32_e32 v8, v8
	v_cmp_ne_u32_e32 vcc, s15, v7
	v_cndmask_b32_e32 v8, v9, v8, vcc
	v_cmp_ne_u32_e32 vcc, 0, v7
	v_cndmask_b32_e32 v7, 0, v8, vcc
	s_branch .LBB47_538
.LBB47_537:
	s_mov_b64 s[26:27], -1
                                        ; implicit-def: $vgpr7
.LBB47_538:
	s_mov_b64 s[28:29], 0
.LBB47_539:
	s_and_b64 vcc, exec, s[28:29]
	s_cbranch_vccz .LBB47_543
; %bb.540:
	v_mov_b32_e32 v7, 29
	v_cmp_eq_u16_sdwa s[26:27], v4, v7 src0_sel:BYTE_0 src1_sel:DWORD
	s_and_b64 vcc, exec, s[26:27]
	s_cbranch_vccz .LBB47_542
; %bb.541:
	global_load_dwordx2 v[8:9], v[0:1], off
	s_mov_b64 s[0:1], -1
	s_mov_b64 s[26:27], 0
	s_mov_b64 s[28:29], 0
	s_waitcnt vmcnt(0)
	v_ffbh_u32_e32 v7, v9
	v_min_u32_e32 v7, 32, v7
	v_lshlrev_b64 v[8:9], v7, v[8:9]
	v_min_u32_e32 v8, 1, v8
	v_or_b32_e32 v8, v9, v8
	v_cvt_f32_u32_e32 v8, v8
	v_sub_u32_e32 v7, 32, v7
	v_ldexp_f32 v7, v8, v7
	v_cvt_f16_f32_e32 v7, v7
	s_branch .LBB47_544
.LBB47_542:
	s_mov_b64 s[26:27], -1
                                        ; implicit-def: $vgpr7
.LBB47_543:
	s_mov_b64 s[28:29], 0
.LBB47_544:
	s_and_b64 vcc, exec, s[28:29]
	s_cbranch_vccz .LBB47_562
; %bb.545:
	v_mov_b32_e32 v7, 27
	v_cmp_lt_i16_sdwa s[0:1], v4, v7 src0_sel:BYTE_0 src1_sel:DWORD
	s_and_b64 vcc, exec, s[0:1]
	s_cbranch_vccnz .LBB47_548
; %bb.546:
	v_cmp_gt_i16_sdwa s[0:1], v4, v7 src0_sel:BYTE_0 src1_sel:DWORD
	s_and_b64 vcc, exec, s[0:1]
	s_cbranch_vccz .LBB47_549
; %bb.547:
	global_load_dword v7, v[0:1], off
	s_mov_b64 s[0:1], 0
	s_waitcnt vmcnt(0)
	v_cvt_f32_u32_e32 v7, v7
	v_cvt_f16_f32_e32 v7, v7
	s_branch .LBB47_550
.LBB47_548:
	s_mov_b64 s[0:1], -1
                                        ; implicit-def: $vgpr7
	s_branch .LBB47_553
.LBB47_549:
	s_mov_b64 s[0:1], -1
                                        ; implicit-def: $vgpr7
.LBB47_550:
	s_andn2_b64 vcc, exec, s[0:1]
	s_cbranch_vccnz .LBB47_552
; %bb.551:
	global_load_ushort v7, v[0:1], off
	s_waitcnt vmcnt(0)
	v_cvt_f16_u16_e32 v7, v7
.LBB47_552:
	s_mov_b64 s[0:1], 0
.LBB47_553:
	s_andn2_b64 vcc, exec, s[0:1]
	s_cbranch_vccnz .LBB47_561
; %bb.554:
	global_load_ubyte v8, v[0:1], off
	s_movk_i32 s0, 0x7f
                                        ; implicit-def: $sgpr15
	s_waitcnt vmcnt(0)
	v_cmp_lt_i16_e32 vcc, s0, v8
	s_mov_b64 s[0:1], 0
	s_and_saveexec_b64 s[28:29], vcc
	s_xor_b64 s[28:29], exec, s[28:29]
	s_cbranch_execz .LBB47_575
; %bb.555:
	s_movk_i32 s0, 0x80
	v_cmp_eq_u16_e32 vcc, s0, v8
	s_mov_b64 s[0:1], -1
                                        ; implicit-def: $sgpr15
	s_and_saveexec_b64 s[34:35], vcc
; %bb.556:
	s_movk_i32 s15, 0x7e00
	s_xor_b64 s[0:1], exec, -1
; %bb.557:
	s_or_b64 exec, exec, s[34:35]
	s_and_b64 s[0:1], s[0:1], exec
	s_or_saveexec_b64 s[28:29], s[28:29]
	v_mov_b32_e32 v7, s15
	s_xor_b64 exec, exec, s[28:29]
	s_cbranch_execnz .LBB47_576
.LBB47_558:
	s_or_b64 exec, exec, s[28:29]
	s_and_saveexec_b64 s[28:29], s[0:1]
	s_cbranch_execz .LBB47_560
.LBB47_559:
	v_lshlrev_b32_e32 v7, 24, v8
	v_and_b32_e32 v8, 0xffff, v8
	v_and_b32_e32 v9, 7, v8
	v_ffbh_u32_e32 v11, v9
	v_min_u32_e32 v11, 32, v11
	v_subrev_u32_e32 v12, 28, v11
	v_bfe_u32 v10, v8, 3, 4
	v_lshlrev_b32_e32 v8, v12, v8
	v_sub_u32_e32 v11, 29, v11
	v_and_b32_e32 v8, 7, v8
	v_cmp_eq_u32_e32 vcc, 0, v10
	v_cndmask_b32_e32 v10, v10, v11, vcc
	v_cndmask_b32_e32 v8, v9, v8, vcc
	v_mov_b32_e32 v9, 0x3b800000
	v_lshlrev_b32_e32 v8, 20, v8
	v_and_b32_e32 v7, 0x80000000, v7
	v_lshl_add_u32 v9, v10, 23, v9
	v_or3_b32 v7, v7, v9, v8
	v_cvt_f16_f32_e32 v7, v7
.LBB47_560:
	s_or_b64 exec, exec, s[28:29]
.LBB47_561:
	s_mov_b64 s[0:1], -1
.LBB47_562:
	s_mov_b64 s[28:29], 0
.LBB47_563:
	s_and_b64 vcc, exec, s[28:29]
	s_cbranch_vccz .LBB47_598
; %bb.564:
	v_mov_b32_e32 v7, 22
	v_cmp_gt_i16_sdwa s[28:29], v4, v7 src0_sel:BYTE_0 src1_sel:DWORD
	s_and_b64 vcc, exec, s[28:29]
	s_cbranch_vccz .LBB47_574
; %bb.565:
	v_mov_b32_e32 v7, 24
	v_cmp_lt_i16_sdwa s[0:1], v4, v7 src0_sel:BYTE_0 src1_sel:DWORD
	s_and_b64 vcc, exec, s[0:1]
	s_cbranch_vccnz .LBB47_577
; %bb.566:
	v_cmp_gt_i16_sdwa s[0:1], v4, v7 src0_sel:BYTE_0 src1_sel:DWORD
	s_and_b64 vcc, exec, s[0:1]
	s_cbranch_vccz .LBB47_578
; %bb.567:
	global_load_ubyte v8, v[0:1], off
	s_movk_i32 s0, 0x7f
                                        ; implicit-def: $sgpr15
	s_waitcnt vmcnt(0)
	v_cmp_lt_i16_e32 vcc, s0, v8
	s_mov_b64 s[0:1], 0
	s_and_saveexec_b64 s[28:29], vcc
	s_xor_b64 s[28:29], exec, s[28:29]
	s_cbranch_execz .LBB47_590
; %bb.568:
	s_movk_i32 s0, 0x80
	v_cmp_eq_u16_e32 vcc, s0, v8
	s_mov_b64 s[0:1], -1
                                        ; implicit-def: $sgpr15
	s_and_saveexec_b64 s[34:35], vcc
; %bb.569:
	s_movk_i32 s15, 0x7e00
	s_xor_b64 s[0:1], exec, -1
; %bb.570:
	s_or_b64 exec, exec, s[34:35]
	s_and_b64 s[0:1], s[0:1], exec
	s_or_saveexec_b64 s[28:29], s[28:29]
	v_mov_b32_e32 v7, s15
	s_xor_b64 exec, exec, s[28:29]
	s_cbranch_execnz .LBB47_591
.LBB47_571:
	s_or_b64 exec, exec, s[28:29]
	s_and_saveexec_b64 s[28:29], s[0:1]
	s_cbranch_execz .LBB47_573
.LBB47_572:
	v_lshlrev_b32_e32 v7, 24, v8
	v_and_b32_e32 v8, 0xffff, v8
	v_and_b32_e32 v9, 3, v8
	v_ffbh_u32_e32 v11, v9
	v_min_u32_e32 v11, 32, v11
	v_subrev_u32_e32 v12, 29, v11
	v_bfe_u32 v10, v8, 2, 5
	v_lshlrev_b32_e32 v8, v12, v8
	v_sub_u32_e32 v11, 30, v11
	v_and_b32_e32 v8, 3, v8
	v_cmp_eq_u32_e32 vcc, 0, v10
	v_cndmask_b32_e32 v10, v10, v11, vcc
	v_cndmask_b32_e32 v8, v9, v8, vcc
	v_mov_b32_e32 v9, 0x37800000
	v_lshlrev_b32_e32 v8, 21, v8
	v_and_b32_e32 v7, 0x80000000, v7
	v_lshl_add_u32 v9, v10, 23, v9
	v_or3_b32 v7, v7, v9, v8
	v_cvt_f16_f32_e32 v7, v7
.LBB47_573:
	s_or_b64 exec, exec, s[28:29]
	s_mov_b64 s[0:1], 0
	s_branch .LBB47_579
.LBB47_574:
	s_mov_b64 s[28:29], -1
                                        ; implicit-def: $vgpr7
	s_branch .LBB47_585
.LBB47_575:
	s_or_saveexec_b64 s[28:29], s[28:29]
	v_mov_b32_e32 v7, s15
	s_xor_b64 exec, exec, s[28:29]
	s_cbranch_execz .LBB47_558
.LBB47_576:
	v_cmp_ne_u16_e32 vcc, 0, v8
	s_andn2_b64 s[0:1], s[0:1], exec
	s_and_b64 s[34:35], vcc, exec
	s_or_b64 s[0:1], s[0:1], s[34:35]
	v_mov_b32_e32 v7, v8
	s_or_b64 exec, exec, s[28:29]
	s_and_saveexec_b64 s[28:29], s[0:1]
	s_cbranch_execnz .LBB47_559
	s_branch .LBB47_560
.LBB47_577:
	s_mov_b64 s[0:1], -1
                                        ; implicit-def: $vgpr7
	s_branch .LBB47_582
.LBB47_578:
	s_mov_b64 s[0:1], -1
                                        ; implicit-def: $vgpr7
.LBB47_579:
	s_and_b64 vcc, exec, s[0:1]
	s_cbranch_vccz .LBB47_581
; %bb.580:
	global_load_ubyte v7, v[0:1], off
	s_mov_b32 s0, 0x7f800000
	s_waitcnt vmcnt(0)
	v_lshlrev_b32_e32 v7, 24, v7
	v_and_b32_e32 v8, 0x7f000000, v7
	v_ffbh_u32_e32 v9, v8
	v_min_u32_e32 v9, 32, v9
	v_sub_u32_e64 v9, v9, 4 clamp
	v_lshlrev_b32_e32 v11, v9, v8
	v_lshlrev_b32_e32 v9, 23, v9
	v_lshrrev_b32_e32 v11, 4, v11
	v_add_u32_e32 v10, 0x1000000, v8
	v_sub_u32_e32 v9, v11, v9
	v_ashrrev_i32_e32 v10, 8, v10
	v_add_u32_e32 v9, 0x3c000000, v9
	v_and_or_b32 v9, v10, s0, v9
	v_cmp_ne_u32_e32 vcc, 0, v8
	v_cndmask_b32_e32 v8, 0, v9, vcc
	s_brev_b32 s0, 1
	v_and_or_b32 v7, v7, s0, v8
	v_cvt_f16_f32_e32 v7, v7
.LBB47_581:
	s_mov_b64 s[0:1], 0
.LBB47_582:
	s_andn2_b64 vcc, exec, s[0:1]
	s_cbranch_vccnz .LBB47_584
; %bb.583:
	global_load_ubyte v7, v[0:1], off
	s_movk_i32 s0, 0x7f00
	s_brev_b32 s1, 16
	s_waitcnt vmcnt(0)
	v_lshlrev_b16_e32 v8, 8, v7
	v_lshlrev_b32_e32 v7, 25, v7
	v_lshrrev_b32_e32 v9, 4, v7
	v_and_or_b32 v10, v8, s0, 0.5
	v_or_b32_e32 v9, 0x70000000, v9
	v_add_f32_e32 v10, -0.5, v10
	v_mul_f32_e32 v9, 0x7800000, v9
	v_cmp_gt_u32_e32 vcc, s1, v7
	v_bfe_i32 v8, v8, 0, 16
	v_cndmask_b32_e32 v7, v9, v10, vcc
	s_brev_b32 s0, 1
	v_and_or_b32 v7, v8, s0, v7
	v_cvt_f16_f32_e32 v7, v7
.LBB47_584:
	s_mov_b64 s[28:29], 0
	s_mov_b64 s[0:1], -1
.LBB47_585:
	s_andn2_b64 vcc, exec, s[28:29]
	s_cbranch_vccnz .LBB47_598
; %bb.586:
	v_mov_b32_e32 v7, 14
	v_cmp_gt_i16_sdwa s[28:29], v4, v7 src0_sel:BYTE_0 src1_sel:DWORD
	s_and_b64 vcc, exec, s[28:29]
	s_cbranch_vccz .LBB47_589
; %bb.587:
	v_mov_b32_e32 v7, 15
	v_cmp_eq_u16_sdwa s[26:27], v4, v7 src0_sel:BYTE_0 src1_sel:DWORD
	s_and_b64 vcc, exec, s[26:27]
	s_cbranch_vccz .LBB47_592
; %bb.588:
	global_load_ushort v7, v[0:1], off
	s_mov_b64 s[0:1], -1
	s_mov_b64 s[26:27], 0
	s_waitcnt vmcnt(0)
	v_lshlrev_b32_e32 v7, 16, v7
	v_cvt_f16_f32_e32 v7, v7
	s_branch .LBB47_593
.LBB47_589:
	s_mov_b64 s[28:29], -1
                                        ; implicit-def: $vgpr7
	s_branch .LBB47_594
.LBB47_590:
	s_or_saveexec_b64 s[28:29], s[28:29]
	v_mov_b32_e32 v7, s15
	s_xor_b64 exec, exec, s[28:29]
	s_cbranch_execz .LBB47_571
.LBB47_591:
	v_cmp_ne_u16_e32 vcc, 0, v8
	s_andn2_b64 s[0:1], s[0:1], exec
	s_and_b64 s[34:35], vcc, exec
	s_or_b64 s[0:1], s[0:1], s[34:35]
	v_mov_b32_e32 v7, v8
	s_or_b64 exec, exec, s[28:29]
	s_and_saveexec_b64 s[28:29], s[0:1]
	s_cbranch_execnz .LBB47_572
	s_branch .LBB47_573
.LBB47_592:
	s_mov_b64 s[26:27], -1
                                        ; implicit-def: $vgpr7
.LBB47_593:
	s_mov_b64 s[28:29], 0
.LBB47_594:
	s_and_b64 vcc, exec, s[28:29]
	s_cbranch_vccz .LBB47_598
; %bb.595:
	v_mov_b32_e32 v7, 11
	v_cmp_eq_u16_sdwa s[26:27], v4, v7 src0_sel:BYTE_0 src1_sel:DWORD
	s_and_b64 vcc, exec, s[26:27]
	s_cbranch_vccz .LBB47_597
; %bb.596:
	global_load_ubyte v7, v[0:1], off
	v_mov_b32_e32 v8, 0x3c00
	s_mov_b64 s[0:1], -1
	s_mov_b64 s[26:27], 0
	s_waitcnt vmcnt(0)
	v_cmp_ne_u16_e32 vcc, 0, v7
	v_cndmask_b32_e32 v7, 0, v8, vcc
	s_branch .LBB47_598
.LBB47_597:
	s_mov_b64 s[26:27], -1
                                        ; implicit-def: $vgpr7
.LBB47_598:
	s_mov_b64 s[28:29], 0
.LBB47_599:
	s_and_b64 vcc, exec, s[28:29]
	s_cbranch_vccz .LBB47_648
; %bb.600:
	v_mov_b32_e32 v7, 5
	v_cmp_lt_i16_sdwa s[0:1], v4, v7 src0_sel:BYTE_0 src1_sel:DWORD
	s_and_b64 vcc, exec, s[0:1]
	s_cbranch_vccnz .LBB47_605
; %bb.601:
	v_mov_b32_e32 v7, 8
	v_cmp_lt_i16_sdwa s[0:1], v4, v7 src0_sel:BYTE_0 src1_sel:DWORD
	s_and_b64 vcc, exec, s[0:1]
	s_cbranch_vccnz .LBB47_606
	;; [unrolled: 5-line block ×3, first 2 shown]
; %bb.603:
	v_cmp_gt_i16_sdwa s[0:1], v4, v7 src0_sel:BYTE_0 src1_sel:DWORD
	s_and_b64 vcc, exec, s[0:1]
	s_cbranch_vccz .LBB47_608
; %bb.604:
	global_load_dwordx2 v[8:9], v[0:1], off
	s_mov_b64 s[0:1], 0
	s_waitcnt vmcnt(0)
	v_cvt_f32_f64_e32 v7, v[8:9]
	v_cvt_f16_f32_e32 v7, v7
	s_branch .LBB47_609
.LBB47_605:
	s_mov_b64 s[0:1], -1
                                        ; implicit-def: $vgpr7
	s_branch .LBB47_627
.LBB47_606:
	s_mov_b64 s[0:1], -1
                                        ; implicit-def: $vgpr7
	s_branch .LBB47_615
.LBB47_607:
	s_mov_b64 s[0:1], -1
                                        ; implicit-def: $vgpr7
	s_branch .LBB47_612
.LBB47_608:
	s_mov_b64 s[0:1], -1
                                        ; implicit-def: $vgpr7
.LBB47_609:
	s_andn2_b64 vcc, exec, s[0:1]
	s_cbranch_vccnz .LBB47_611
; %bb.610:
	global_load_dword v7, v[0:1], off
	s_waitcnt vmcnt(0)
	v_cvt_f16_f32_e32 v7, v7
.LBB47_611:
	s_mov_b64 s[0:1], 0
.LBB47_612:
	s_andn2_b64 vcc, exec, s[0:1]
	s_cbranch_vccnz .LBB47_614
; %bb.613:
	global_load_dword v7, v[0:1], off
.LBB47_614:
	s_mov_b64 s[0:1], 0
.LBB47_615:
	s_andn2_b64 vcc, exec, s[0:1]
	s_cbranch_vccnz .LBB47_626
; %bb.616:
	s_waitcnt vmcnt(0)
	v_mov_b32_e32 v7, 6
	v_cmp_lt_i16_sdwa s[0:1], v4, v7 src0_sel:BYTE_0 src1_sel:DWORD
	s_and_b64 vcc, exec, s[0:1]
	s_cbranch_vccnz .LBB47_619
; %bb.617:
	v_cmp_gt_i16_sdwa s[0:1], v4, v7 src0_sel:BYTE_0 src1_sel:DWORD
	s_and_b64 vcc, exec, s[0:1]
	s_cbranch_vccz .LBB47_620
; %bb.618:
	global_load_dwordx2 v[8:9], v[0:1], off
	s_mov_b64 s[0:1], 0
	s_waitcnt vmcnt(0)
	v_cvt_f32_f64_e32 v7, v[8:9]
	v_cvt_f16_f32_e32 v7, v7
	s_branch .LBB47_621
.LBB47_619:
	s_mov_b64 s[0:1], -1
                                        ; implicit-def: $vgpr7
	s_branch .LBB47_624
.LBB47_620:
	s_mov_b64 s[0:1], -1
                                        ; implicit-def: $vgpr7
.LBB47_621:
	s_andn2_b64 vcc, exec, s[0:1]
	s_cbranch_vccnz .LBB47_623
; %bb.622:
	global_load_dword v7, v[0:1], off
	s_waitcnt vmcnt(0)
	v_cvt_f16_f32_e32 v7, v7
.LBB47_623:
	s_mov_b64 s[0:1], 0
.LBB47_624:
	s_andn2_b64 vcc, exec, s[0:1]
	s_cbranch_vccnz .LBB47_626
; %bb.625:
	global_load_ushort v7, v[0:1], off
.LBB47_626:
	s_mov_b64 s[0:1], 0
.LBB47_627:
	s_andn2_b64 vcc, exec, s[0:1]
	s_cbranch_vccnz .LBB47_647
; %bb.628:
	s_waitcnt vmcnt(0)
	v_mov_b32_e32 v7, 2
	v_cmp_lt_i16_sdwa s[0:1], v4, v7 src0_sel:BYTE_0 src1_sel:DWORD
	s_and_b64 vcc, exec, s[0:1]
	s_cbranch_vccnz .LBB47_632
; %bb.629:
	v_mov_b32_e32 v7, 3
	v_cmp_lt_i16_sdwa s[0:1], v4, v7 src0_sel:BYTE_0 src1_sel:DWORD
	s_and_b64 vcc, exec, s[0:1]
	s_cbranch_vccnz .LBB47_633
; %bb.630:
	v_cmp_gt_i16_sdwa s[0:1], v4, v7 src0_sel:BYTE_0 src1_sel:DWORD
	s_and_b64 vcc, exec, s[0:1]
	s_cbranch_vccz .LBB47_634
; %bb.631:
	global_load_dwordx2 v[8:9], v[0:1], off
	s_mov_b64 s[0:1], 0
	s_waitcnt vmcnt(0)
	v_xor_b32_e32 v10, v8, v9
	v_ffbh_i32_e32 v7, v9
	v_ashrrev_i32_e32 v10, 31, v10
	v_add_u32_e32 v7, -1, v7
	v_add_u32_e32 v10, 32, v10
	v_min_u32_e32 v7, v7, v10
	v_lshlrev_b64 v[8:9], v7, v[8:9]
	v_min_u32_e32 v8, 1, v8
	v_or_b32_e32 v8, v9, v8
	v_cvt_f32_i32_e32 v8, v8
	v_sub_u32_e32 v7, 32, v7
	v_ldexp_f32 v7, v8, v7
	v_cvt_f16_f32_e32 v7, v7
	s_branch .LBB47_635
.LBB47_632:
	s_mov_b64 s[0:1], -1
                                        ; implicit-def: $vgpr7
	s_branch .LBB47_641
.LBB47_633:
	s_mov_b64 s[0:1], -1
                                        ; implicit-def: $vgpr7
	s_branch .LBB47_638
.LBB47_634:
	s_mov_b64 s[0:1], -1
                                        ; implicit-def: $vgpr7
.LBB47_635:
	s_andn2_b64 vcc, exec, s[0:1]
	s_cbranch_vccnz .LBB47_637
; %bb.636:
	global_load_dword v7, v[0:1], off
	s_waitcnt vmcnt(0)
	v_cvt_f32_i32_e32 v7, v7
	v_cvt_f16_f32_e32 v7, v7
.LBB47_637:
	s_mov_b64 s[0:1], 0
.LBB47_638:
	s_andn2_b64 vcc, exec, s[0:1]
	s_cbranch_vccnz .LBB47_640
; %bb.639:
	global_load_ushort v7, v[0:1], off
	s_waitcnt vmcnt(0)
	v_cvt_f16_i16_e32 v7, v7
.LBB47_640:
	s_mov_b64 s[0:1], 0
.LBB47_641:
	s_andn2_b64 vcc, exec, s[0:1]
	s_cbranch_vccnz .LBB47_647
; %bb.642:
	v_mov_b32_e32 v7, 0
	v_cmp_gt_i16_sdwa s[0:1], v4, v7 src0_sel:BYTE_0 src1_sel:DWORD
	s_and_b64 vcc, exec, s[0:1]
	s_cbranch_vccz .LBB47_644
; %bb.643:
	global_load_sbyte v7, v[0:1], off
	s_mov_b64 s[0:1], 0
	s_waitcnt vmcnt(0)
	v_cvt_f16_i16_e32 v7, v7
	s_branch .LBB47_645
.LBB47_644:
	s_mov_b64 s[0:1], -1
                                        ; implicit-def: $vgpr7
.LBB47_645:
	s_andn2_b64 vcc, exec, s[0:1]
	s_cbranch_vccnz .LBB47_647
; %bb.646:
	global_load_ubyte v0, v[0:1], off
	s_waitcnt vmcnt(0)
	v_cvt_f16_u16_e32 v7, v0
.LBB47_647:
	s_mov_b64 s[0:1], -1
.LBB47_648:
	s_andn2_b64 vcc, exec, s[0:1]
	s_cbranch_vccnz .LBB47_656
; %bb.649:
	s_waitcnt vmcnt(0)
	v_cvt_f32_f16_e32 v0, v7
	v_cvt_f32_f16_e32 v1, v6
	s_movk_i32 s0, 0x400
	v_mov_b32_e32 v9, 0x400
	v_rcp_f32_e32 v8, v0
	s_movk_i32 s1, 0x3bfe
	v_mul_f32_e32 v10, v1, v8
	v_mad_f32 v11, -v0, v10, v1
	v_mac_f32_e32 v10, v11, v8
	v_mad_f32 v0, -v0, v10, v1
	v_mul_f32_e32 v0, v0, v8
	v_and_b32_e32 v0, 0xff800000, v0
	v_add_f32_e32 v0, v0, v10
	v_cvt_f16_f32_e32 v0, v0
	v_mov_b32_e32 v1, 0x3bfe
	v_mul_lo_u32 v8, v3, s12
	v_ashrrev_i32_e32 v10, 31, v8
	v_div_fixup_f16 v0, v0, v7, v6
	v_cmp_ngt_f16_e32 vcc, s0, v0
	v_cndmask_b32_e32 v0, v9, v0, vcc
	v_cmp_nlt_f16_e32 vcc, s1, v0
	v_cndmask_b32_e32 v6, v1, v0, vcc
	v_mov_b32_e32 v1, s9
	v_add_co_u32_e32 v0, vcc, s8, v8
	v_mov_b32_e32 v7, 11
	v_addc_co_u32_e32 v1, vcc, v1, v10, vcc
	v_cmp_lt_i16_sdwa s[0:1], v2, v7 src0_sel:BYTE_0 src1_sel:DWORD
	s_and_b64 vcc, exec, s[0:1]
	s_cbranch_vccnz .LBB47_657
; %bb.650:
	v_mov_b32_e32 v7, 25
	v_cmp_gt_i16_sdwa s[0:1], v2, v7 src0_sel:BYTE_0 src1_sel:DWORD
	s_and_b64 vcc, exec, s[0:1]
	s_cbranch_vccz .LBB47_658
; %bb.651:
	v_mov_b32_e32 v7, 28
	v_cmp_gt_i16_sdwa s[0:1], v2, v7 src0_sel:BYTE_0 src1_sel:DWORD
	s_and_b64 vcc, exec, s[0:1]
	s_cbranch_vccz .LBB47_659
	;; [unrolled: 5-line block ×4, first 2 shown]
; %bb.654:
	v_mov_b32_e32 v7, 46
	v_cmp_eq_u16_sdwa s[28:29], v2, v7 src0_sel:BYTE_0 src1_sel:DWORD
	s_mov_b64 s[34:35], 0
	s_mov_b64 s[0:1], -1
	s_and_b64 vcc, exec, s[28:29]
	s_mov_b64 s[28:29], 0
	s_cbranch_vccz .LBB47_662
; %bb.655:
	v_cvt_f32_f16_e32 v7, v6
	s_movk_i32 s0, 0x7fff
	v_mov_b32_e32 v8, 0x7fc0
	v_cmp_o_f16_e32 vcc, v6, v6
	v_bfe_u32 v9, v7, 16, 1
	v_add3_u32 v7, v7, v9, s0
	v_lshrrev_b32_e32 v7, 16, v7
	v_cndmask_b32_e32 v7, v8, v7, vcc
	global_store_dword v[0:1], v7, off
	s_mov_b64 s[28:29], -1
	s_mov_b64 s[0:1], 0
	s_branch .LBB47_662
.LBB47_656:
	s_mov_b64 s[34:35], 0
                                        ; implicit-def: $vgpr3
	s_mov_b64 s[0:1], s[6:7]
	s_branch .LBB47_772
.LBB47_657:
	s_mov_b64 s[34:35], -1
	s_mov_b64 s[28:29], 0
	s_mov_b64 s[0:1], s[6:7]
	s_branch .LBB47_731
.LBB47_658:
	s_mov_b64 s[34:35], -1
	s_mov_b64 s[28:29], 0
	s_mov_b64 s[0:1], s[6:7]
	s_branch .LBB47_689
.LBB47_659:
	s_mov_b64 s[34:35], -1
	s_mov_b64 s[28:29], 0
	s_mov_b64 s[0:1], s[6:7]
	s_branch .LBB47_672
.LBB47_660:
	s_mov_b64 s[34:35], -1
	s_mov_b64 s[28:29], 0
	s_mov_b64 s[0:1], s[6:7]
	s_branch .LBB47_668
.LBB47_661:
	s_mov_b64 s[34:35], -1
	s_mov_b64 s[28:29], 0
	s_mov_b64 s[0:1], s[6:7]
.LBB47_662:
	s_and_b64 vcc, exec, s[34:35]
	s_cbranch_vccz .LBB47_667
; %bb.663:
	v_mov_b32_e32 v7, 44
	v_cmp_eq_u16_sdwa s[34:35], v2, v7 src0_sel:BYTE_0 src1_sel:DWORD
	s_mov_b64 s[0:1], -1
	s_and_b64 vcc, exec, s[34:35]
	s_cbranch_vccz .LBB47_667
; %bb.664:
	v_cvt_f32_f16_e32 v7, v6
	s_movk_i32 s0, 0xff
	v_mov_b32_e32 v9, 0xff
	v_bfe_u32 v8, v7, 23, 8
	v_cmp_ne_u32_e32 vcc, s0, v8
	s_and_saveexec_b64 s[28:29], vcc
; %bb.665:
	s_mov_b32 s0, 0x3fffff
	v_lshrrev_b32_e32 v9, 23, v7
	v_and_b32_e32 v10, 0x400000, v7
	v_and_or_b32 v7, v7, s0, v8
	v_cmp_ne_u32_e32 vcc, 0, v10
	v_cmp_ne_u32_e64 s[0:1], 0, v7
	s_and_b64 s[0:1], vcc, s[0:1]
	v_cndmask_b32_e64 v7, 0, 1, s[0:1]
	v_add_u32_e32 v9, v9, v7
; %bb.666:
	s_or_b64 exec, exec, s[28:29]
	s_mov_b64 s[28:29], -1
	s_mov_b64 s[0:1], 0
	global_store_byte v[0:1], v9, off
.LBB47_667:
	s_mov_b64 s[34:35], 0
.LBB47_668:
	s_and_b64 vcc, exec, s[34:35]
	s_cbranch_vccz .LBB47_671
; %bb.669:
	v_mov_b32_e32 v7, 29
	v_cmp_eq_u16_sdwa s[34:35], v2, v7 src0_sel:BYTE_0 src1_sel:DWORD
	s_mov_b64 s[0:1], -1
	s_and_b64 vcc, exec, s[34:35]
	s_cbranch_vccz .LBB47_671
; %bb.670:
	v_cvt_f32_f16_e32 v7, v6
	v_mov_b32_e32 v9, 0
	s_mov_b64 s[28:29], -1
	s_mov_b64 s[0:1], 0
	v_cvt_u32_f32_e32 v8, v7
	s_mov_b64 s[34:35], 0
	global_store_dwordx2 v[0:1], v[8:9], off
	s_branch .LBB47_672
.LBB47_671:
	s_mov_b64 s[34:35], 0
.LBB47_672:
	s_and_b64 vcc, exec, s[34:35]
	s_cbranch_vccz .LBB47_688
; %bb.673:
	v_mov_b32_e32 v7, 27
	v_cmp_lt_i16_sdwa s[34:35], v2, v7 src0_sel:BYTE_0 src1_sel:DWORD
	s_mov_b64 s[28:29], -1
	s_and_b64 vcc, exec, s[34:35]
	s_cbranch_vccnz .LBB47_679
; %bb.674:
	v_cmp_gt_i16_sdwa s[34:35], v2, v7 src0_sel:BYTE_0 src1_sel:DWORD
	s_and_b64 vcc, exec, s[34:35]
	s_cbranch_vccz .LBB47_676
; %bb.675:
	v_cvt_f32_f16_e32 v7, v6
	s_mov_b64 s[28:29], 0
	v_cvt_u32_f32_e32 v7, v7
	global_store_dword v[0:1], v7, off
.LBB47_676:
	s_andn2_b64 vcc, exec, s[28:29]
	s_cbranch_vccnz .LBB47_678
; %bb.677:
	v_cvt_u16_f16_e32 v7, v6
	global_store_short v[0:1], v7, off
.LBB47_678:
	s_mov_b64 s[28:29], 0
.LBB47_679:
	s_andn2_b64 vcc, exec, s[28:29]
	s_cbranch_vccnz .LBB47_687
; %bb.680:
	v_cvt_f32_f16_e32 v7, v6
	s_mov_b32 s15, 0x43800000
	v_mov_b32_e32 v9, 0x80
	v_and_b32_e32 v8, 0x7fffffff, v7
	v_cmp_gt_u32_e32 vcc, s15, v8
	s_and_saveexec_b64 s[28:29], vcc
	s_cbranch_execz .LBB47_686
; %bb.681:
	s_mov_b32 s15, 0x3bffffff
	v_cmp_lt_u32_e32 vcc, s15, v8
	s_mov_b64 s[34:35], 0
                                        ; implicit-def: $vgpr8
	s_and_saveexec_b64 s[36:37], vcc
	s_xor_b64 s[36:37], exec, s[36:37]
	s_cbranch_execz .LBB47_788
; %bb.682:
	v_bfe_u32 v8, v7, 20, 1
	s_mov_b32 s15, 0x487ffff
	v_add3_u32 v8, v7, v8, s15
	s_mov_b64 s[34:35], exec
	v_lshrrev_b32_e32 v8, 20, v8
	s_or_saveexec_b64 s[36:37], s[36:37]
                                        ; implicit-def: $sgpr15
	s_xor_b64 exec, exec, s[36:37]
	s_cbranch_execnz .LBB47_789
.LBB47_683:
	s_or_b64 exec, exec, s[36:37]
	v_mov_b32_e32 v9, s15
	s_and_saveexec_b64 s[36:37], s[34:35]
.LBB47_684:
	v_lshrrev_b32_e32 v7, 24, v7
	s_movk_i32 s15, 0x80
	v_and_or_b32 v9, v7, s15, v8
.LBB47_685:
	s_or_b64 exec, exec, s[36:37]
.LBB47_686:
	s_or_b64 exec, exec, s[28:29]
	global_store_byte v[0:1], v9, off
.LBB47_687:
	s_mov_b64 s[28:29], -1
.LBB47_688:
	s_mov_b64 s[34:35], 0
.LBB47_689:
	s_and_b64 vcc, exec, s[34:35]
	s_cbranch_vccz .LBB47_730
; %bb.690:
	v_mov_b32_e32 v7, 22
	v_cmp_gt_i16_sdwa s[36:37], v2, v7 src0_sel:BYTE_0 src1_sel:DWORD
	s_mov_b64 s[34:35], -1
	s_and_b64 vcc, exec, s[36:37]
	s_cbranch_vccz .LBB47_722
; %bb.691:
	v_mov_b32_e32 v7, 24
	v_cmp_lt_i16_sdwa s[34:35], v2, v7 src0_sel:BYTE_0 src1_sel:DWORD
	s_mov_b64 s[28:29], -1
	s_and_b64 vcc, exec, s[34:35]
	s_cbranch_vccnz .LBB47_711
; %bb.692:
	v_cmp_gt_i16_sdwa s[34:35], v2, v7 src0_sel:BYTE_0 src1_sel:DWORD
	s_and_b64 vcc, exec, s[34:35]
	s_cbranch_vccz .LBB47_700
; %bb.693:
	v_cvt_f32_f16_e32 v7, v6
	s_mov_b32 s15, 0x47800000
	v_mov_b32_e32 v9, 0x80
	v_and_b32_e32 v8, 0x7fffffff, v7
	v_cmp_gt_u32_e32 vcc, s15, v8
	s_and_saveexec_b64 s[28:29], vcc
	s_cbranch_execz .LBB47_699
; %bb.694:
	s_mov_b32 s15, 0x37ffffff
	v_cmp_lt_u32_e32 vcc, s15, v8
	s_mov_b64 s[34:35], 0
                                        ; implicit-def: $vgpr8
	s_and_saveexec_b64 s[36:37], vcc
	s_xor_b64 s[36:37], exec, s[36:37]
	s_cbranch_execz .LBB47_920
; %bb.695:
	v_bfe_u32 v8, v7, 21, 1
	s_mov_b32 s15, 0x88fffff
	v_add3_u32 v8, v7, v8, s15
	s_mov_b64 s[34:35], exec
	v_lshrrev_b32_e32 v8, 21, v8
	s_or_saveexec_b64 s[36:37], s[36:37]
                                        ; implicit-def: $sgpr15
	s_xor_b64 exec, exec, s[36:37]
	s_cbranch_execnz .LBB47_921
.LBB47_696:
	s_or_b64 exec, exec, s[36:37]
	v_mov_b32_e32 v9, s15
	s_and_saveexec_b64 s[36:37], s[34:35]
.LBB47_697:
	v_lshrrev_b32_e32 v7, 24, v7
	s_movk_i32 s15, 0x80
	v_and_or_b32 v9, v7, s15, v8
.LBB47_698:
	s_or_b64 exec, exec, s[36:37]
.LBB47_699:
	s_or_b64 exec, exec, s[28:29]
	s_mov_b64 s[28:29], 0
	global_store_byte v[0:1], v9, off
.LBB47_700:
	s_and_b64 vcc, exec, s[28:29]
	s_cbranch_vccz .LBB47_710
; %bb.701:
	v_cvt_f32_f16_e32 v7, v6
	s_mov_b32 s15, 0x43f00000
                                        ; implicit-def: $vgpr8
	v_and_b32_e32 v9, 0x7fffffff, v7
	v_cmp_gt_u32_e32 vcc, s15, v9
	s_and_saveexec_b64 s[28:29], vcc
	s_xor_b64 s[28:29], exec, s[28:29]
	s_cbranch_execz .LBB47_707
; %bb.702:
	s_mov_b32 s15, 0x3c7fffff
	v_cmp_lt_u32_e32 vcc, s15, v9
                                        ; implicit-def: $vgpr8
	s_and_saveexec_b64 s[34:35], vcc
	s_xor_b64 s[34:35], exec, s[34:35]
; %bb.703:
	v_bfe_u32 v8, v7, 20, 1
	s_mov_b32 s15, 0x407ffff
	v_add3_u32 v8, v7, v8, s15
	v_lshrrev_b32_e32 v9, 20, v8
	v_and_b32_e32 v8, 0xff00000, v8
	s_mov_b32 s15, 0x7f00000
	v_mov_b32_e32 v10, 0x7e
	v_cmp_ne_u32_e32 vcc, s15, v8
	v_cndmask_b32_e32 v8, v10, v9, vcc
; %bb.704:
	s_andn2_saveexec_b64 s[34:35], s[34:35]
; %bb.705:
	s_mov_b32 s15, 0x46800000
	v_add_f32_e64 v8, |v7|, s15
; %bb.706:
	s_or_b64 exec, exec, s[34:35]
                                        ; implicit-def: $vgpr9
.LBB47_707:
	s_andn2_saveexec_b64 s[28:29], s[28:29]
; %bb.708:
	s_mov_b32 s15, 0x7f800000
	v_mov_b32_e32 v8, 0x7e
	v_mov_b32_e32 v10, 0x7f
	v_cmp_lt_u32_e32 vcc, s15, v9
	v_cndmask_b32_e32 v8, v8, v10, vcc
; %bb.709:
	s_or_b64 exec, exec, s[28:29]
	v_lshrrev_b32_e32 v7, 24, v7
	s_movk_i32 s15, 0x80
	v_and_or_b32 v7, v7, s15, v8
	global_store_byte v[0:1], v7, off
.LBB47_710:
	s_mov_b64 s[28:29], 0
.LBB47_711:
	s_andn2_b64 vcc, exec, s[28:29]
	s_cbranch_vccnz .LBB47_721
; %bb.712:
	v_cvt_f32_f16_e32 v7, v6
	s_mov_b32 s15, 0x47800000
                                        ; implicit-def: $vgpr8
	v_and_b32_e32 v9, 0x7fffffff, v7
	v_cmp_gt_u32_e32 vcc, s15, v9
	s_and_saveexec_b64 s[28:29], vcc
	s_xor_b64 s[28:29], exec, s[28:29]
	s_cbranch_execz .LBB47_718
; %bb.713:
	s_mov_b32 s15, 0x387fffff
	v_cmp_lt_u32_e32 vcc, s15, v9
                                        ; implicit-def: $vgpr8
	s_and_saveexec_b64 s[34:35], vcc
	s_xor_b64 s[34:35], exec, s[34:35]
; %bb.714:
	v_bfe_u32 v8, v7, 21, 1
	s_mov_b32 s15, 0x80fffff
	v_add3_u32 v8, v7, v8, s15
	v_lshrrev_b32_e32 v8, 21, v8
; %bb.715:
	s_andn2_saveexec_b64 s[34:35], s[34:35]
; %bb.716:
	s_mov_b32 s15, 0x43000000
	v_add_f32_e64 v8, |v7|, s15
; %bb.717:
	s_or_b64 exec, exec, s[34:35]
                                        ; implicit-def: $vgpr9
.LBB47_718:
	s_andn2_saveexec_b64 s[28:29], s[28:29]
; %bb.719:
	s_mov_b32 s15, 0x7f800000
	v_mov_b32_e32 v8, 0x7c
	v_mov_b32_e32 v10, 0x7f
	v_cmp_lt_u32_e32 vcc, s15, v9
	v_cndmask_b32_e32 v8, v8, v10, vcc
; %bb.720:
	s_or_b64 exec, exec, s[28:29]
	v_lshrrev_b32_e32 v7, 24, v7
	s_movk_i32 s15, 0x80
	v_and_or_b32 v7, v7, s15, v8
	global_store_byte v[0:1], v7, off
.LBB47_721:
	s_mov_b64 s[34:35], 0
	s_mov_b64 s[28:29], -1
.LBB47_722:
	s_andn2_b64 vcc, exec, s[34:35]
	s_cbranch_vccnz .LBB47_730
; %bb.723:
	v_mov_b32_e32 v7, 14
	v_cmp_gt_i16_sdwa s[36:37], v2, v7 src0_sel:BYTE_0 src1_sel:DWORD
	s_mov_b64 s[34:35], -1
	s_and_b64 vcc, exec, s[36:37]
	s_cbranch_vccz .LBB47_727
; %bb.724:
	v_mov_b32_e32 v7, 15
	v_cmp_eq_u16_sdwa s[34:35], v2, v7 src0_sel:BYTE_0 src1_sel:DWORD
	s_mov_b64 s[0:1], -1
	s_and_b64 vcc, exec, s[34:35]
	s_cbranch_vccz .LBB47_726
; %bb.725:
	v_cvt_f32_f16_e32 v7, v6
	s_movk_i32 s0, 0x7fff
	v_mov_b32_e32 v8, 0x7fc0
	v_cmp_o_f16_e32 vcc, v6, v6
	v_bfe_u32 v9, v7, 16, 1
	v_add3_u32 v7, v7, v9, s0
	v_lshrrev_b32_e32 v7, 16, v7
	v_cndmask_b32_e32 v7, v8, v7, vcc
	global_store_short v[0:1], v7, off
	s_mov_b64 s[28:29], -1
	s_mov_b64 s[0:1], 0
.LBB47_726:
	s_mov_b64 s[34:35], 0
.LBB47_727:
	s_and_b64 vcc, exec, s[34:35]
	s_cbranch_vccz .LBB47_730
; %bb.728:
	v_mov_b32_e32 v7, 11
	v_cmp_eq_u16_sdwa s[34:35], v2, v7 src0_sel:BYTE_0 src1_sel:DWORD
	s_mov_b64 s[0:1], -1
	s_and_b64 vcc, exec, s[34:35]
	s_cbranch_vccz .LBB47_730
; %bb.729:
	v_and_b32_e32 v7, 0x7fff, v6
	v_cmp_ne_u16_e32 vcc, 0, v7
	v_cndmask_b32_e64 v7, 0, 1, vcc
	s_mov_b64 s[28:29], -1
	s_mov_b64 s[0:1], 0
	global_store_byte v[0:1], v7, off
.LBB47_730:
	s_mov_b64 s[34:35], 0
.LBB47_731:
	s_and_b64 vcc, exec, s[34:35]
	s_cbranch_vccz .LBB47_770
; %bb.732:
	v_mov_b32_e32 v7, 5
	v_cmp_lt_i16_sdwa s[34:35], v2, v7 src0_sel:BYTE_0 src1_sel:DWORD
	s_mov_b64 s[28:29], -1
	s_and_b64 vcc, exec, s[34:35]
	s_cbranch_vccnz .LBB47_753
; %bb.733:
	v_mov_b32_e32 v7, 8
	v_cmp_lt_i16_sdwa s[34:35], v2, v7 src0_sel:BYTE_0 src1_sel:DWORD
	s_and_b64 vcc, exec, s[34:35]
	s_cbranch_vccnz .LBB47_743
; %bb.734:
	v_mov_b32_e32 v7, 9
	v_cmp_lt_i16_sdwa s[34:35], v2, v7 src0_sel:BYTE_0 src1_sel:DWORD
	s_and_b64 vcc, exec, s[34:35]
	s_cbranch_vccnz .LBB47_740
; %bb.735:
	v_cmp_gt_i16_sdwa s[34:35], v2, v7 src0_sel:BYTE_0 src1_sel:DWORD
	s_and_b64 vcc, exec, s[34:35]
	s_cbranch_vccz .LBB47_737
; %bb.736:
	v_cvt_f32_f16_e32 v7, v6
	v_mov_b32_e32 v10, 0
	v_mov_b32_e32 v11, v10
	s_mov_b64 s[28:29], 0
	v_cvt_f64_f32_e32 v[8:9], v7
	global_store_dwordx4 v[0:1], v[8:11], off
.LBB47_737:
	s_andn2_b64 vcc, exec, s[28:29]
	s_cbranch_vccnz .LBB47_739
; %bb.738:
	v_cvt_f32_f16_e32 v8, v6
	v_mov_b32_e32 v9, 0
	global_store_dwordx2 v[0:1], v[8:9], off
.LBB47_739:
	s_mov_b64 s[28:29], 0
.LBB47_740:
	s_andn2_b64 vcc, exec, s[28:29]
	s_cbranch_vccnz .LBB47_742
; %bb.741:
	v_and_b32_e32 v7, 0xffff, v6
	global_store_dword v[0:1], v7, off
.LBB47_742:
	s_mov_b64 s[28:29], 0
.LBB47_743:
	s_andn2_b64 vcc, exec, s[28:29]
	s_cbranch_vccnz .LBB47_752
; %bb.744:
	v_mov_b32_e32 v7, 6
	v_cmp_lt_i16_sdwa s[34:35], v2, v7 src0_sel:BYTE_0 src1_sel:DWORD
	s_mov_b64 s[28:29], -1
	s_and_b64 vcc, exec, s[34:35]
	s_cbranch_vccnz .LBB47_750
; %bb.745:
	v_cmp_gt_i16_sdwa s[34:35], v2, v7 src0_sel:BYTE_0 src1_sel:DWORD
	s_and_b64 vcc, exec, s[34:35]
	s_cbranch_vccz .LBB47_747
; %bb.746:
	v_cvt_f32_f16_e32 v7, v6
	s_mov_b64 s[28:29], 0
	v_cvt_f64_f32_e32 v[8:9], v7
	global_store_dwordx2 v[0:1], v[8:9], off
.LBB47_747:
	s_andn2_b64 vcc, exec, s[28:29]
	s_cbranch_vccnz .LBB47_749
; %bb.748:
	v_cvt_f32_f16_e32 v7, v6
	global_store_dword v[0:1], v7, off
.LBB47_749:
	s_mov_b64 s[28:29], 0
.LBB47_750:
	s_andn2_b64 vcc, exec, s[28:29]
	s_cbranch_vccnz .LBB47_752
; %bb.751:
	global_store_short v[0:1], v6, off
.LBB47_752:
	s_mov_b64 s[28:29], 0
.LBB47_753:
	s_andn2_b64 vcc, exec, s[28:29]
	s_cbranch_vccnz .LBB47_769
; %bb.754:
	v_mov_b32_e32 v7, 2
	v_cmp_lt_i16_sdwa s[34:35], v2, v7 src0_sel:BYTE_0 src1_sel:DWORD
	s_mov_b64 s[28:29], -1
	s_and_b64 vcc, exec, s[34:35]
	s_cbranch_vccnz .LBB47_764
; %bb.755:
	v_mov_b32_e32 v7, 3
	v_cmp_lt_i16_sdwa s[34:35], v2, v7 src0_sel:BYTE_0 src1_sel:DWORD
	s_and_b64 vcc, exec, s[34:35]
	s_cbranch_vccnz .LBB47_761
; %bb.756:
	v_cmp_gt_i16_sdwa s[34:35], v2, v7 src0_sel:BYTE_0 src1_sel:DWORD
	s_and_b64 vcc, exec, s[34:35]
	s_cbranch_vccz .LBB47_758
; %bb.757:
	v_cvt_f32_f16_e32 v7, v6
	s_mov_b64 s[28:29], 0
	v_cvt_i32_f32_e32 v8, v7
	v_ashrrev_i32_e32 v9, 31, v8
	global_store_dwordx2 v[0:1], v[8:9], off
.LBB47_758:
	s_andn2_b64 vcc, exec, s[28:29]
	s_cbranch_vccnz .LBB47_760
; %bb.759:
	v_cvt_f32_f16_e32 v7, v6
	v_cvt_i32_f32_e32 v7, v7
	global_store_dword v[0:1], v7, off
.LBB47_760:
	s_mov_b64 s[28:29], 0
.LBB47_761:
	s_andn2_b64 vcc, exec, s[28:29]
	s_cbranch_vccnz .LBB47_763
; %bb.762:
	v_cvt_i16_f16_e32 v7, v6
	global_store_short v[0:1], v7, off
.LBB47_763:
	s_mov_b64 s[28:29], 0
.LBB47_764:
	s_andn2_b64 vcc, exec, s[28:29]
	s_cbranch_vccnz .LBB47_769
; %bb.765:
	v_mov_b32_e32 v7, 0
	v_cmp_gt_i16_sdwa s[34:35], v2, v7 src0_sel:BYTE_0 src1_sel:DWORD
	s_mov_b64 s[28:29], -1
	s_and_b64 vcc, exec, s[34:35]
	s_cbranch_vccz .LBB47_767
; %bb.766:
	v_cvt_i16_f16_e32 v7, v6
	s_mov_b64 s[28:29], 0
	global_store_byte v[0:1], v7, off
.LBB47_767:
	s_andn2_b64 vcc, exec, s[28:29]
	s_cbranch_vccnz .LBB47_769
; %bb.768:
	v_cvt_f32_f16_e32 v6, v6
	v_cvt_i32_f32_e32 v6, v6
	global_store_byte v[0:1], v6, off
.LBB47_769:
	s_mov_b64 s[28:29], -1
.LBB47_770:
	s_andn2_b64 vcc, exec, s[28:29]
	s_cbranch_vccnz .LBB47_783
; %bb.771:
	v_add_u32_e32 v3, 0x80, v3
	s_mov_b64 s[34:35], -1
.LBB47_772:
	s_andn2_b64 s[28:29], s[6:7], exec
	s_and_b64 s[0:1], s[0:1], exec
	s_or_b64 s[28:29], s[28:29], s[0:1]
	s_andn2_b64 s[0:1], s[18:19], exec
	s_and_b64 s[26:27], s[26:27], exec
	s_or_b64 s[26:27], s[0:1], s[26:27]
	;; [unrolled: 3-line block ×3, first 2 shown]
	s_orn2_b64 s[0:1], s[34:35], exec
.LBB47_773:
	s_or_b64 exec, exec, s[30:31]
	s_mov_b64 s[34:35], 0
	s_mov_b64 s[36:37], 0
	;; [unrolled: 1-line block ×3, first 2 shown]
                                        ; implicit-def: $vgpr7
                                        ; implicit-def: $vgpr0_vgpr1
                                        ; implicit-def: $vgpr6
	s_and_saveexec_b64 s[30:31], s[0:1]
	s_cbranch_execz .LBB47_1247
; %bb.774:
	v_cmp_gt_i32_e32 vcc, s33, v3
	s_mov_b64 s[46:47], -1
	s_mov_b64 s[0:1], s[24:25]
	s_mov_b64 s[38:39], s[26:27]
	;; [unrolled: 1-line block ×3, first 2 shown]
	s_and_saveexec_b64 s[34:35], vcc
	s_cbranch_execz .LBB47_1162
; %bb.775:
	v_mul_lo_u32 v0, v3, s13
	v_ashrrev_i32_e32 v1, 31, v0
	s_waitcnt vmcnt(0)
	v_mov_b32_e32 v6, s11
	v_add_co_u32_e32 v0, vcc, s10, v0
	v_addc_co_u32_e32 v1, vcc, v6, v1, vcc
	v_mov_b32_e32 v6, 11
	v_cmp_lt_i16_sdwa s[0:1], v5, v6 src0_sel:BYTE_0 src1_sel:DWORD
	s_and_b64 vcc, exec, s[0:1]
	s_cbranch_vccnz .LBB47_782
; %bb.776:
	v_mov_b32_e32 v6, 25
	v_cmp_gt_i16_sdwa s[0:1], v5, v6 src0_sel:BYTE_0 src1_sel:DWORD
	s_and_b64 vcc, exec, s[0:1]
	s_cbranch_vccz .LBB47_784
; %bb.777:
	v_mov_b32_e32 v6, 28
	v_cmp_gt_i16_sdwa s[0:1], v5, v6 src0_sel:BYTE_0 src1_sel:DWORD
	s_and_b64 vcc, exec, s[0:1]
	s_cbranch_vccz .LBB47_785
	;; [unrolled: 5-line block ×4, first 2 shown]
; %bb.780:
	v_mov_b32_e32 v6, 46
	v_cmp_eq_u16_sdwa s[0:1], v5, v6 src0_sel:BYTE_0 src1_sel:DWORD
	s_mov_b64 s[38:39], 0
	s_and_b64 vcc, exec, s[0:1]
	s_cbranch_vccz .LBB47_790
; %bb.781:
	global_load_dword v6, v[0:1], off
	s_mov_b64 s[0:1], -1
	s_waitcnt vmcnt(0)
	v_lshlrev_b32_e32 v6, 16, v6
	v_cvt_f16_f32_e32 v6, v6
	s_branch .LBB47_791
.LBB47_782:
	s_mov_b64 s[38:39], -1
	s_mov_b64 s[0:1], 0
                                        ; implicit-def: $vgpr6
	s_mov_b64 s[36:37], s[24:25]
	s_branch .LBB47_856
.LBB47_783:
	s_mov_b64 s[34:35], 0
	s_branch .LBB47_530
.LBB47_784:
	s_mov_b64 s[38:39], -1
	s_mov_b64 s[0:1], 0
	s_mov_b64 s[36:37], s[24:25]
                                        ; implicit-def: $vgpr6
	s_branch .LBB47_820
.LBB47_785:
	s_mov_b64 s[38:39], -1
	s_mov_b64 s[0:1], 0
	s_mov_b64 s[36:37], s[24:25]
                                        ; implicit-def: $vgpr6
	s_branch .LBB47_801
.LBB47_786:
	s_mov_b64 s[38:39], -1
	s_mov_b64 s[0:1], 0
	s_mov_b64 s[36:37], s[24:25]
                                        ; implicit-def: $vgpr6
	s_branch .LBB47_796
.LBB47_787:
	s_mov_b64 s[38:39], -1
	s_mov_b64 s[0:1], 0
	s_mov_b64 s[36:37], s[24:25]
                                        ; implicit-def: $vgpr6
	s_branch .LBB47_791
.LBB47_788:
	s_or_saveexec_b64 s[36:37], s[36:37]
                                        ; implicit-def: $sgpr15
	s_xor_b64 exec, exec, s[36:37]
	s_cbranch_execz .LBB47_683
.LBB47_789:
	s_mov_b32 s15, 0x46000000
	v_add_f32_e64 v8, |v7|, s15
	v_and_b32_e32 v8, 0xff, v8
	v_cmp_ne_u32_e32 vcc, 0, v8
	s_andn2_b64 s[34:35], s[34:35], exec
	s_and_b64 s[38:39], vcc, exec
	s_mov_b32 s15, 0
	s_or_b64 s[34:35], s[34:35], s[38:39]
	s_or_b64 exec, exec, s[36:37]
	v_mov_b32_e32 v9, s15
	s_and_saveexec_b64 s[36:37], s[34:35]
	s_cbranch_execnz .LBB47_684
	s_branch .LBB47_685
.LBB47_790:
	s_mov_b64 s[36:37], -1
                                        ; implicit-def: $vgpr6
	s_mov_b64 s[0:1], 0
.LBB47_791:
	s_and_b64 vcc, exec, s[38:39]
	s_cbranch_vccz .LBB47_795
; %bb.792:
	v_mov_b32_e32 v6, 44
	v_cmp_eq_u16_sdwa s[36:37], v5, v6 src0_sel:BYTE_0 src1_sel:DWORD
	s_and_b64 vcc, exec, s[36:37]
	s_cbranch_vccz .LBB47_794
; %bb.793:
	global_load_ubyte v6, v[0:1], off
	s_movk_i32 s15, 0xff
	v_mov_b32_e32 v8, 0x7e00
	s_mov_b64 s[0:1], -1
	s_mov_b64 s[36:37], 0
	s_waitcnt vmcnt(0)
	v_lshlrev_b32_e32 v7, 23, v6
	v_cvt_f16_f32_e32 v7, v7
	v_cmp_ne_u32_e32 vcc, s15, v6
	v_cndmask_b32_e32 v7, v8, v7, vcc
	v_cmp_ne_u32_e32 vcc, 0, v6
	v_cndmask_b32_e32 v6, 0, v7, vcc
	s_branch .LBB47_795
.LBB47_794:
	s_mov_b64 s[36:37], -1
                                        ; implicit-def: $vgpr6
.LBB47_795:
	s_mov_b64 s[38:39], 0
.LBB47_796:
	s_and_b64 vcc, exec, s[38:39]
	s_cbranch_vccz .LBB47_800
; %bb.797:
	v_mov_b32_e32 v6, 29
	v_cmp_eq_u16_sdwa s[36:37], v5, v6 src0_sel:BYTE_0 src1_sel:DWORD
	s_and_b64 vcc, exec, s[36:37]
	s_cbranch_vccz .LBB47_799
; %bb.798:
	global_load_dwordx2 v[6:7], v[0:1], off
	s_mov_b64 s[0:1], -1
	s_mov_b64 s[36:37], 0
	s_mov_b64 s[38:39], 0
	s_waitcnt vmcnt(0)
	v_ffbh_u32_e32 v8, v7
	v_min_u32_e32 v8, 32, v8
	v_lshlrev_b64 v[6:7], v8, v[6:7]
	v_min_u32_e32 v6, 1, v6
	v_or_b32_e32 v6, v7, v6
	v_cvt_f32_u32_e32 v6, v6
	v_sub_u32_e32 v7, 32, v8
	v_ldexp_f32 v6, v6, v7
	v_cvt_f16_f32_e32 v6, v6
	s_branch .LBB47_801
.LBB47_799:
	s_mov_b64 s[36:37], -1
                                        ; implicit-def: $vgpr6
.LBB47_800:
	s_mov_b64 s[38:39], 0
.LBB47_801:
	s_and_b64 vcc, exec, s[38:39]
	s_cbranch_vccz .LBB47_819
; %bb.802:
	v_mov_b32_e32 v6, 27
	v_cmp_lt_i16_sdwa s[0:1], v5, v6 src0_sel:BYTE_0 src1_sel:DWORD
	s_and_b64 vcc, exec, s[0:1]
	s_cbranch_vccnz .LBB47_805
; %bb.803:
	v_cmp_gt_i16_sdwa s[0:1], v5, v6 src0_sel:BYTE_0 src1_sel:DWORD
	s_and_b64 vcc, exec, s[0:1]
	s_cbranch_vccz .LBB47_806
; %bb.804:
	global_load_dword v6, v[0:1], off
	s_mov_b64 s[0:1], 0
	s_waitcnt vmcnt(0)
	v_cvt_f32_u32_e32 v6, v6
	v_cvt_f16_f32_e32 v6, v6
	s_branch .LBB47_807
.LBB47_805:
	s_mov_b64 s[0:1], -1
                                        ; implicit-def: $vgpr6
	s_branch .LBB47_810
.LBB47_806:
	s_mov_b64 s[0:1], -1
                                        ; implicit-def: $vgpr6
.LBB47_807:
	s_andn2_b64 vcc, exec, s[0:1]
	s_cbranch_vccnz .LBB47_809
; %bb.808:
	global_load_ushort v6, v[0:1], off
	s_waitcnt vmcnt(0)
	v_cvt_f16_u16_e32 v6, v6
.LBB47_809:
	s_mov_b64 s[0:1], 0
.LBB47_810:
	s_andn2_b64 vcc, exec, s[0:1]
	s_cbranch_vccnz .LBB47_818
; %bb.811:
	global_load_ubyte v7, v[0:1], off
	s_movk_i32 s0, 0x7f
                                        ; implicit-def: $sgpr15
	s_waitcnt vmcnt(0)
	v_cmp_lt_i16_e32 vcc, s0, v7
	s_mov_b64 s[0:1], 0
	s_and_saveexec_b64 s[38:39], vcc
	s_xor_b64 s[38:39], exec, s[38:39]
	s_cbranch_execz .LBB47_832
; %bb.812:
	s_movk_i32 s0, 0x80
	v_cmp_eq_u16_e32 vcc, s0, v7
	s_mov_b64 s[0:1], -1
                                        ; implicit-def: $sgpr15
	s_and_saveexec_b64 s[40:41], vcc
; %bb.813:
	s_movk_i32 s15, 0x7e00
	s_xor_b64 s[0:1], exec, -1
; %bb.814:
	s_or_b64 exec, exec, s[40:41]
	s_and_b64 s[0:1], s[0:1], exec
	s_or_saveexec_b64 s[38:39], s[38:39]
	v_mov_b32_e32 v6, s15
	s_xor_b64 exec, exec, s[38:39]
	s_cbranch_execnz .LBB47_833
.LBB47_815:
	s_or_b64 exec, exec, s[38:39]
	s_and_saveexec_b64 s[38:39], s[0:1]
	s_cbranch_execz .LBB47_817
.LBB47_816:
	v_lshlrev_b32_e32 v6, 24, v7
	v_and_b32_e32 v7, 0xffff, v7
	v_and_b32_e32 v8, 7, v7
	v_ffbh_u32_e32 v10, v8
	v_min_u32_e32 v10, 32, v10
	v_subrev_u32_e32 v11, 28, v10
	v_bfe_u32 v9, v7, 3, 4
	v_lshlrev_b32_e32 v7, v11, v7
	v_sub_u32_e32 v10, 29, v10
	v_and_b32_e32 v7, 7, v7
	v_cmp_eq_u32_e32 vcc, 0, v9
	v_cndmask_b32_e32 v9, v9, v10, vcc
	v_cndmask_b32_e32 v7, v8, v7, vcc
	v_mov_b32_e32 v8, 0x3b800000
	v_lshlrev_b32_e32 v7, 20, v7
	v_and_b32_e32 v6, 0x80000000, v6
	v_lshl_add_u32 v8, v9, 23, v8
	v_or3_b32 v6, v6, v8, v7
	v_cvt_f16_f32_e32 v6, v6
.LBB47_817:
	s_or_b64 exec, exec, s[38:39]
.LBB47_818:
	s_mov_b64 s[0:1], -1
.LBB47_819:
	s_mov_b64 s[38:39], 0
.LBB47_820:
	s_and_b64 vcc, exec, s[38:39]
	s_cbranch_vccz .LBB47_855
; %bb.821:
	v_mov_b32_e32 v6, 22
	v_cmp_gt_i16_sdwa s[38:39], v5, v6 src0_sel:BYTE_0 src1_sel:DWORD
	s_and_b64 vcc, exec, s[38:39]
	s_cbranch_vccz .LBB47_831
; %bb.822:
	v_mov_b32_e32 v6, 24
	v_cmp_lt_i16_sdwa s[0:1], v5, v6 src0_sel:BYTE_0 src1_sel:DWORD
	s_and_b64 vcc, exec, s[0:1]
	s_cbranch_vccnz .LBB47_834
; %bb.823:
	v_cmp_gt_i16_sdwa s[0:1], v5, v6 src0_sel:BYTE_0 src1_sel:DWORD
	s_and_b64 vcc, exec, s[0:1]
	s_cbranch_vccz .LBB47_835
; %bb.824:
	global_load_ubyte v7, v[0:1], off
	s_movk_i32 s0, 0x7f
                                        ; implicit-def: $sgpr15
	s_waitcnt vmcnt(0)
	v_cmp_lt_i16_e32 vcc, s0, v7
	s_mov_b64 s[0:1], 0
	s_and_saveexec_b64 s[38:39], vcc
	s_xor_b64 s[38:39], exec, s[38:39]
	s_cbranch_execz .LBB47_847
; %bb.825:
	s_movk_i32 s0, 0x80
	v_cmp_eq_u16_e32 vcc, s0, v7
	s_mov_b64 s[0:1], -1
                                        ; implicit-def: $sgpr15
	s_and_saveexec_b64 s[40:41], vcc
; %bb.826:
	s_movk_i32 s15, 0x7e00
	s_xor_b64 s[0:1], exec, -1
; %bb.827:
	s_or_b64 exec, exec, s[40:41]
	s_and_b64 s[0:1], s[0:1], exec
	s_or_saveexec_b64 s[38:39], s[38:39]
	v_mov_b32_e32 v6, s15
	s_xor_b64 exec, exec, s[38:39]
	s_cbranch_execnz .LBB47_848
.LBB47_828:
	s_or_b64 exec, exec, s[38:39]
	s_and_saveexec_b64 s[38:39], s[0:1]
	s_cbranch_execz .LBB47_830
.LBB47_829:
	v_lshlrev_b32_e32 v6, 24, v7
	v_and_b32_e32 v7, 0xffff, v7
	v_and_b32_e32 v8, 3, v7
	v_ffbh_u32_e32 v10, v8
	v_min_u32_e32 v10, 32, v10
	v_subrev_u32_e32 v11, 29, v10
	v_bfe_u32 v9, v7, 2, 5
	v_lshlrev_b32_e32 v7, v11, v7
	v_sub_u32_e32 v10, 30, v10
	v_and_b32_e32 v7, 3, v7
	v_cmp_eq_u32_e32 vcc, 0, v9
	v_cndmask_b32_e32 v9, v9, v10, vcc
	v_cndmask_b32_e32 v7, v8, v7, vcc
	v_mov_b32_e32 v8, 0x37800000
	v_lshlrev_b32_e32 v7, 21, v7
	v_and_b32_e32 v6, 0x80000000, v6
	v_lshl_add_u32 v8, v9, 23, v8
	v_or3_b32 v6, v6, v8, v7
	v_cvt_f16_f32_e32 v6, v6
.LBB47_830:
	s_or_b64 exec, exec, s[38:39]
	s_mov_b64 s[0:1], 0
	s_branch .LBB47_836
.LBB47_831:
	s_mov_b64 s[38:39], -1
                                        ; implicit-def: $vgpr6
	s_branch .LBB47_842
.LBB47_832:
	s_or_saveexec_b64 s[38:39], s[38:39]
	v_mov_b32_e32 v6, s15
	s_xor_b64 exec, exec, s[38:39]
	s_cbranch_execz .LBB47_815
.LBB47_833:
	v_cmp_ne_u16_e32 vcc, 0, v7
	s_andn2_b64 s[0:1], s[0:1], exec
	s_and_b64 s[40:41], vcc, exec
	s_or_b64 s[0:1], s[0:1], s[40:41]
	v_mov_b32_e32 v6, v7
	s_or_b64 exec, exec, s[38:39]
	s_and_saveexec_b64 s[38:39], s[0:1]
	s_cbranch_execnz .LBB47_816
	s_branch .LBB47_817
.LBB47_834:
	s_mov_b64 s[0:1], -1
                                        ; implicit-def: $vgpr6
	s_branch .LBB47_839
.LBB47_835:
	s_mov_b64 s[0:1], -1
                                        ; implicit-def: $vgpr6
.LBB47_836:
	s_and_b64 vcc, exec, s[0:1]
	s_cbranch_vccz .LBB47_838
; %bb.837:
	global_load_ubyte v6, v[0:1], off
	s_mov_b32 s0, 0x7f800000
	s_waitcnt vmcnt(0)
	v_lshlrev_b32_e32 v6, 24, v6
	v_and_b32_e32 v7, 0x7f000000, v6
	v_ffbh_u32_e32 v8, v7
	v_min_u32_e32 v8, 32, v8
	v_sub_u32_e64 v8, v8, 4 clamp
	v_lshlrev_b32_e32 v10, v8, v7
	v_lshlrev_b32_e32 v8, 23, v8
	v_lshrrev_b32_e32 v10, 4, v10
	v_add_u32_e32 v9, 0x1000000, v7
	v_sub_u32_e32 v8, v10, v8
	v_ashrrev_i32_e32 v9, 8, v9
	v_add_u32_e32 v8, 0x3c000000, v8
	v_and_or_b32 v8, v9, s0, v8
	v_cmp_ne_u32_e32 vcc, 0, v7
	v_cndmask_b32_e32 v7, 0, v8, vcc
	s_brev_b32 s0, 1
	v_and_or_b32 v6, v6, s0, v7
	v_cvt_f16_f32_e32 v6, v6
.LBB47_838:
	s_mov_b64 s[0:1], 0
.LBB47_839:
	s_andn2_b64 vcc, exec, s[0:1]
	s_cbranch_vccnz .LBB47_841
; %bb.840:
	global_load_ubyte v6, v[0:1], off
	s_movk_i32 s0, 0x7f00
	s_brev_b32 s1, 16
	s_waitcnt vmcnt(0)
	v_lshlrev_b16_e32 v7, 8, v6
	v_lshlrev_b32_e32 v6, 25, v6
	v_lshrrev_b32_e32 v8, 4, v6
	v_and_or_b32 v9, v7, s0, 0.5
	v_or_b32_e32 v8, 0x70000000, v8
	v_add_f32_e32 v9, -0.5, v9
	v_mul_f32_e32 v8, 0x7800000, v8
	v_cmp_gt_u32_e32 vcc, s1, v6
	v_bfe_i32 v7, v7, 0, 16
	v_cndmask_b32_e32 v6, v8, v9, vcc
	s_brev_b32 s0, 1
	v_and_or_b32 v6, v7, s0, v6
	v_cvt_f16_f32_e32 v6, v6
.LBB47_841:
	s_mov_b64 s[38:39], 0
	s_mov_b64 s[0:1], -1
.LBB47_842:
	s_andn2_b64 vcc, exec, s[38:39]
	s_cbranch_vccnz .LBB47_855
; %bb.843:
	v_mov_b32_e32 v6, 14
	v_cmp_gt_i16_sdwa s[38:39], v5, v6 src0_sel:BYTE_0 src1_sel:DWORD
	s_and_b64 vcc, exec, s[38:39]
	s_cbranch_vccz .LBB47_846
; %bb.844:
	v_mov_b32_e32 v6, 15
	v_cmp_eq_u16_sdwa s[36:37], v5, v6 src0_sel:BYTE_0 src1_sel:DWORD
	s_and_b64 vcc, exec, s[36:37]
	s_cbranch_vccz .LBB47_849
; %bb.845:
	global_load_ushort v6, v[0:1], off
	s_mov_b64 s[0:1], -1
	s_mov_b64 s[36:37], 0
	s_waitcnt vmcnt(0)
	v_lshlrev_b32_e32 v6, 16, v6
	v_cvt_f16_f32_e32 v6, v6
	s_branch .LBB47_850
.LBB47_846:
	s_mov_b64 s[38:39], -1
                                        ; implicit-def: $vgpr6
	s_branch .LBB47_851
.LBB47_847:
	s_or_saveexec_b64 s[38:39], s[38:39]
	v_mov_b32_e32 v6, s15
	s_xor_b64 exec, exec, s[38:39]
	s_cbranch_execz .LBB47_828
.LBB47_848:
	v_cmp_ne_u16_e32 vcc, 0, v7
	s_andn2_b64 s[0:1], s[0:1], exec
	s_and_b64 s[40:41], vcc, exec
	s_or_b64 s[0:1], s[0:1], s[40:41]
	v_mov_b32_e32 v6, v7
	s_or_b64 exec, exec, s[38:39]
	s_and_saveexec_b64 s[38:39], s[0:1]
	s_cbranch_execnz .LBB47_829
	s_branch .LBB47_830
.LBB47_849:
	s_mov_b64 s[36:37], -1
                                        ; implicit-def: $vgpr6
.LBB47_850:
	s_mov_b64 s[38:39], 0
.LBB47_851:
	s_and_b64 vcc, exec, s[38:39]
	s_cbranch_vccz .LBB47_855
; %bb.852:
	v_mov_b32_e32 v6, 11
	v_cmp_eq_u16_sdwa s[36:37], v5, v6 src0_sel:BYTE_0 src1_sel:DWORD
	s_and_b64 vcc, exec, s[36:37]
	s_cbranch_vccz .LBB47_854
; %bb.853:
	global_load_ubyte v6, v[0:1], off
	v_mov_b32_e32 v7, 0x3c00
	s_mov_b64 s[0:1], -1
	s_mov_b64 s[36:37], 0
	s_waitcnt vmcnt(0)
	v_cmp_ne_u16_e32 vcc, 0, v6
	v_cndmask_b32_e32 v6, 0, v7, vcc
	s_branch .LBB47_855
.LBB47_854:
	s_mov_b64 s[36:37], -1
                                        ; implicit-def: $vgpr6
.LBB47_855:
	s_mov_b64 s[38:39], 0
.LBB47_856:
	s_and_b64 vcc, exec, s[38:39]
	s_cbranch_vccz .LBB47_905
; %bb.857:
	v_mov_b32_e32 v6, 5
	v_cmp_lt_i16_sdwa s[0:1], v5, v6 src0_sel:BYTE_0 src1_sel:DWORD
	s_and_b64 vcc, exec, s[0:1]
	s_cbranch_vccnz .LBB47_862
; %bb.858:
	v_mov_b32_e32 v6, 8
	v_cmp_lt_i16_sdwa s[0:1], v5, v6 src0_sel:BYTE_0 src1_sel:DWORD
	s_and_b64 vcc, exec, s[0:1]
	s_cbranch_vccnz .LBB47_863
	;; [unrolled: 5-line block ×3, first 2 shown]
; %bb.860:
	v_cmp_gt_i16_sdwa s[0:1], v5, v6 src0_sel:BYTE_0 src1_sel:DWORD
	s_and_b64 vcc, exec, s[0:1]
	s_cbranch_vccz .LBB47_865
; %bb.861:
	global_load_dwordx2 v[6:7], v[0:1], off
	s_mov_b64 s[0:1], 0
	s_waitcnt vmcnt(0)
	v_cvt_f32_f64_e32 v6, v[6:7]
	v_cvt_f16_f32_e32 v6, v6
	s_branch .LBB47_866
.LBB47_862:
	s_mov_b64 s[0:1], -1
                                        ; implicit-def: $vgpr6
	s_branch .LBB47_884
.LBB47_863:
	s_mov_b64 s[0:1], -1
                                        ; implicit-def: $vgpr6
	s_branch .LBB47_872
.LBB47_864:
	s_mov_b64 s[0:1], -1
                                        ; implicit-def: $vgpr6
	s_branch .LBB47_869
.LBB47_865:
	s_mov_b64 s[0:1], -1
                                        ; implicit-def: $vgpr6
.LBB47_866:
	s_andn2_b64 vcc, exec, s[0:1]
	s_cbranch_vccnz .LBB47_868
; %bb.867:
	global_load_dword v6, v[0:1], off
	s_waitcnt vmcnt(0)
	v_cvt_f16_f32_e32 v6, v6
.LBB47_868:
	s_mov_b64 s[0:1], 0
.LBB47_869:
	s_andn2_b64 vcc, exec, s[0:1]
	s_cbranch_vccnz .LBB47_871
; %bb.870:
	global_load_dword v6, v[0:1], off
.LBB47_871:
	s_mov_b64 s[0:1], 0
.LBB47_872:
	s_andn2_b64 vcc, exec, s[0:1]
	s_cbranch_vccnz .LBB47_883
; %bb.873:
	s_waitcnt vmcnt(0)
	v_mov_b32_e32 v6, 6
	v_cmp_lt_i16_sdwa s[0:1], v5, v6 src0_sel:BYTE_0 src1_sel:DWORD
	s_and_b64 vcc, exec, s[0:1]
	s_cbranch_vccnz .LBB47_876
; %bb.874:
	v_cmp_gt_i16_sdwa s[0:1], v5, v6 src0_sel:BYTE_0 src1_sel:DWORD
	s_and_b64 vcc, exec, s[0:1]
	s_cbranch_vccz .LBB47_877
; %bb.875:
	global_load_dwordx2 v[6:7], v[0:1], off
	s_mov_b64 s[0:1], 0
	s_waitcnt vmcnt(0)
	v_cvt_f32_f64_e32 v6, v[6:7]
	v_cvt_f16_f32_e32 v6, v6
	s_branch .LBB47_878
.LBB47_876:
	s_mov_b64 s[0:1], -1
                                        ; implicit-def: $vgpr6
	s_branch .LBB47_881
.LBB47_877:
	s_mov_b64 s[0:1], -1
                                        ; implicit-def: $vgpr6
.LBB47_878:
	s_andn2_b64 vcc, exec, s[0:1]
	s_cbranch_vccnz .LBB47_880
; %bb.879:
	global_load_dword v6, v[0:1], off
	s_waitcnt vmcnt(0)
	v_cvt_f16_f32_e32 v6, v6
.LBB47_880:
	s_mov_b64 s[0:1], 0
.LBB47_881:
	s_andn2_b64 vcc, exec, s[0:1]
	s_cbranch_vccnz .LBB47_883
; %bb.882:
	global_load_ushort v6, v[0:1], off
.LBB47_883:
	s_mov_b64 s[0:1], 0
.LBB47_884:
	s_andn2_b64 vcc, exec, s[0:1]
	s_cbranch_vccnz .LBB47_904
; %bb.885:
	s_waitcnt vmcnt(0)
	v_mov_b32_e32 v6, 2
	v_cmp_lt_i16_sdwa s[0:1], v5, v6 src0_sel:BYTE_0 src1_sel:DWORD
	s_and_b64 vcc, exec, s[0:1]
	s_cbranch_vccnz .LBB47_889
; %bb.886:
	v_mov_b32_e32 v6, 3
	v_cmp_lt_i16_sdwa s[0:1], v5, v6 src0_sel:BYTE_0 src1_sel:DWORD
	s_and_b64 vcc, exec, s[0:1]
	s_cbranch_vccnz .LBB47_890
; %bb.887:
	v_cmp_gt_i16_sdwa s[0:1], v5, v6 src0_sel:BYTE_0 src1_sel:DWORD
	s_and_b64 vcc, exec, s[0:1]
	s_cbranch_vccz .LBB47_891
; %bb.888:
	global_load_dwordx2 v[6:7], v[0:1], off
	s_mov_b64 s[0:1], 0
	s_waitcnt vmcnt(0)
	v_xor_b32_e32 v9, v6, v7
	v_ffbh_i32_e32 v8, v7
	v_ashrrev_i32_e32 v9, 31, v9
	v_add_u32_e32 v8, -1, v8
	v_add_u32_e32 v9, 32, v9
	v_min_u32_e32 v8, v8, v9
	v_lshlrev_b64 v[6:7], v8, v[6:7]
	v_min_u32_e32 v6, 1, v6
	v_or_b32_e32 v6, v7, v6
	v_cvt_f32_i32_e32 v6, v6
	v_sub_u32_e32 v7, 32, v8
	v_ldexp_f32 v6, v6, v7
	v_cvt_f16_f32_e32 v6, v6
	s_branch .LBB47_892
.LBB47_889:
	s_mov_b64 s[0:1], -1
                                        ; implicit-def: $vgpr6
	s_branch .LBB47_898
.LBB47_890:
	s_mov_b64 s[0:1], -1
                                        ; implicit-def: $vgpr6
	s_branch .LBB47_895
.LBB47_891:
	s_mov_b64 s[0:1], -1
                                        ; implicit-def: $vgpr6
.LBB47_892:
	s_andn2_b64 vcc, exec, s[0:1]
	s_cbranch_vccnz .LBB47_894
; %bb.893:
	global_load_dword v6, v[0:1], off
	s_waitcnt vmcnt(0)
	v_cvt_f32_i32_e32 v6, v6
	v_cvt_f16_f32_e32 v6, v6
.LBB47_894:
	s_mov_b64 s[0:1], 0
.LBB47_895:
	s_andn2_b64 vcc, exec, s[0:1]
	s_cbranch_vccnz .LBB47_897
; %bb.896:
	global_load_ushort v6, v[0:1], off
	s_waitcnt vmcnt(0)
	v_cvt_f16_i16_e32 v6, v6
.LBB47_897:
	s_mov_b64 s[0:1], 0
.LBB47_898:
	s_andn2_b64 vcc, exec, s[0:1]
	s_cbranch_vccnz .LBB47_904
; %bb.899:
	v_mov_b32_e32 v6, 0
	v_cmp_gt_i16_sdwa s[0:1], v5, v6 src0_sel:BYTE_0 src1_sel:DWORD
	s_and_b64 vcc, exec, s[0:1]
	s_cbranch_vccz .LBB47_901
; %bb.900:
	global_load_sbyte v6, v[0:1], off
	s_mov_b64 s[0:1], 0
	s_waitcnt vmcnt(0)
	v_cvt_f16_i16_e32 v6, v6
	s_branch .LBB47_902
.LBB47_901:
	s_mov_b64 s[0:1], -1
                                        ; implicit-def: $vgpr6
.LBB47_902:
	s_andn2_b64 vcc, exec, s[0:1]
	s_cbranch_vccnz .LBB47_904
; %bb.903:
	global_load_ubyte v0, v[0:1], off
	s_waitcnt vmcnt(0)
	v_cvt_f16_u16_e32 v6, v0
.LBB47_904:
	s_mov_b64 s[0:1], -1
.LBB47_905:
	s_andn2_b64 vcc, exec, s[0:1]
	s_cbranch_vccnz .LBB47_913
; %bb.906:
	v_mul_lo_u32 v0, v3, s14
	v_ashrrev_i32_e32 v1, 31, v0
	v_mov_b32_e32 v7, s3
	v_add_co_u32_e32 v0, vcc, s2, v0
	v_addc_co_u32_e32 v1, vcc, v7, v1, vcc
	v_mov_b32_e32 v7, 11
	v_cmp_lt_i16_sdwa s[0:1], v4, v7 src0_sel:BYTE_0 src1_sel:DWORD
	s_and_b64 vcc, exec, s[0:1]
	s_cbranch_vccnz .LBB47_915
; %bb.907:
	v_mov_b32_e32 v7, 25
	v_cmp_gt_i16_sdwa s[0:1], v4, v7 src0_sel:BYTE_0 src1_sel:DWORD
	s_and_b64 vcc, exec, s[0:1]
	s_cbranch_vccz .LBB47_916
; %bb.908:
	v_mov_b32_e32 v7, 28
	v_cmp_gt_i16_sdwa s[0:1], v4, v7 src0_sel:BYTE_0 src1_sel:DWORD
	s_and_b64 vcc, exec, s[0:1]
	s_cbranch_vccz .LBB47_917
	;; [unrolled: 5-line block ×4, first 2 shown]
; %bb.911:
	v_mov_b32_e32 v7, 46
	v_cmp_eq_u16_sdwa s[0:1], v4, v7 src0_sel:BYTE_0 src1_sel:DWORD
	s_mov_b64 s[40:41], 0
	s_and_b64 vcc, exec, s[0:1]
	s_cbranch_vccz .LBB47_922
; %bb.912:
	global_load_dword v7, v[0:1], off
	s_mov_b64 s[0:1], -1
	s_mov_b64 s[38:39], 0
	s_waitcnt vmcnt(0)
	v_lshlrev_b32_e32 v7, 16, v7
	v_cvt_f16_f32_e32 v7, v7
	s_branch .LBB47_923
.LBB47_913:
	s_mov_b64 s[42:43], 0
	s_mov_b64 s[0:1], s[28:29]
	;; [unrolled: 1-line block ×3, first 2 shown]
.LBB47_914:
                                        ; implicit-def: $vgpr3
	s_branch .LBB47_1161
.LBB47_915:
	s_mov_b64 s[40:41], -1
	s_mov_b64 s[0:1], 0
                                        ; implicit-def: $vgpr7
	s_mov_b64 s[38:39], s[26:27]
	s_branch .LBB47_988
.LBB47_916:
	s_mov_b64 s[40:41], -1
	s_mov_b64 s[0:1], 0
	s_mov_b64 s[38:39], s[26:27]
                                        ; implicit-def: $vgpr7
	s_branch .LBB47_952
.LBB47_917:
	s_mov_b64 s[40:41], -1
	s_mov_b64 s[0:1], 0
	s_mov_b64 s[38:39], s[26:27]
                                        ; implicit-def: $vgpr7
	s_branch .LBB47_933
.LBB47_918:
	s_mov_b64 s[40:41], -1
	s_mov_b64 s[0:1], 0
	s_mov_b64 s[38:39], s[26:27]
                                        ; implicit-def: $vgpr7
	s_branch .LBB47_928
.LBB47_919:
	s_mov_b64 s[40:41], -1
	s_mov_b64 s[0:1], 0
	s_mov_b64 s[38:39], s[26:27]
                                        ; implicit-def: $vgpr7
	s_branch .LBB47_923
.LBB47_920:
	s_or_saveexec_b64 s[36:37], s[36:37]
                                        ; implicit-def: $sgpr15
	s_xor_b64 exec, exec, s[36:37]
	s_cbranch_execz .LBB47_696
.LBB47_921:
	s_mov_b32 s15, 0x42800000
	v_add_f32_e64 v8, |v7|, s15
	v_and_b32_e32 v8, 0xff, v8
	v_cmp_ne_u32_e32 vcc, 0, v8
	s_andn2_b64 s[34:35], s[34:35], exec
	s_and_b64 s[38:39], vcc, exec
	s_mov_b32 s15, 0
	s_or_b64 s[34:35], s[34:35], s[38:39]
	s_or_b64 exec, exec, s[36:37]
	v_mov_b32_e32 v9, s15
	s_and_saveexec_b64 s[36:37], s[34:35]
	s_cbranch_execnz .LBB47_697
	s_branch .LBB47_698
.LBB47_922:
	s_mov_b64 s[38:39], -1
                                        ; implicit-def: $vgpr7
	s_mov_b64 s[0:1], 0
.LBB47_923:
	s_and_b64 vcc, exec, s[40:41]
	s_cbranch_vccz .LBB47_927
; %bb.924:
	v_mov_b32_e32 v7, 44
	v_cmp_eq_u16_sdwa s[38:39], v4, v7 src0_sel:BYTE_0 src1_sel:DWORD
	s_and_b64 vcc, exec, s[38:39]
	s_cbranch_vccz .LBB47_926
; %bb.925:
	global_load_ubyte v7, v[0:1], off
	s_movk_i32 s15, 0xff
	v_mov_b32_e32 v9, 0x7e00
	s_mov_b64 s[0:1], -1
	s_mov_b64 s[38:39], 0
	s_waitcnt vmcnt(0)
	v_lshlrev_b32_e32 v8, 23, v7
	v_cvt_f16_f32_e32 v8, v8
	v_cmp_ne_u32_e32 vcc, s15, v7
	v_cndmask_b32_e32 v8, v9, v8, vcc
	v_cmp_ne_u32_e32 vcc, 0, v7
	v_cndmask_b32_e32 v7, 0, v8, vcc
	s_branch .LBB47_927
.LBB47_926:
	s_mov_b64 s[38:39], -1
                                        ; implicit-def: $vgpr7
.LBB47_927:
	s_mov_b64 s[40:41], 0
.LBB47_928:
	s_and_b64 vcc, exec, s[40:41]
	s_cbranch_vccz .LBB47_932
; %bb.929:
	v_mov_b32_e32 v7, 29
	v_cmp_eq_u16_sdwa s[38:39], v4, v7 src0_sel:BYTE_0 src1_sel:DWORD
	s_and_b64 vcc, exec, s[38:39]
	s_cbranch_vccz .LBB47_931
; %bb.930:
	global_load_dwordx2 v[8:9], v[0:1], off
	s_mov_b64 s[0:1], -1
	s_mov_b64 s[38:39], 0
	s_mov_b64 s[40:41], 0
	s_waitcnt vmcnt(0)
	v_ffbh_u32_e32 v7, v9
	v_min_u32_e32 v7, 32, v7
	v_lshlrev_b64 v[8:9], v7, v[8:9]
	v_min_u32_e32 v8, 1, v8
	v_or_b32_e32 v8, v9, v8
	v_cvt_f32_u32_e32 v8, v8
	v_sub_u32_e32 v7, 32, v7
	v_ldexp_f32 v7, v8, v7
	v_cvt_f16_f32_e32 v7, v7
	s_branch .LBB47_933
.LBB47_931:
	s_mov_b64 s[38:39], -1
                                        ; implicit-def: $vgpr7
.LBB47_932:
	s_mov_b64 s[40:41], 0
.LBB47_933:
	s_and_b64 vcc, exec, s[40:41]
	s_cbranch_vccz .LBB47_951
; %bb.934:
	v_mov_b32_e32 v7, 27
	v_cmp_lt_i16_sdwa s[0:1], v4, v7 src0_sel:BYTE_0 src1_sel:DWORD
	s_and_b64 vcc, exec, s[0:1]
	s_cbranch_vccnz .LBB47_937
; %bb.935:
	v_cmp_gt_i16_sdwa s[0:1], v4, v7 src0_sel:BYTE_0 src1_sel:DWORD
	s_and_b64 vcc, exec, s[0:1]
	s_cbranch_vccz .LBB47_938
; %bb.936:
	global_load_dword v7, v[0:1], off
	s_mov_b64 s[0:1], 0
	s_waitcnt vmcnt(0)
	v_cvt_f32_u32_e32 v7, v7
	v_cvt_f16_f32_e32 v7, v7
	s_branch .LBB47_939
.LBB47_937:
	s_mov_b64 s[0:1], -1
                                        ; implicit-def: $vgpr7
	s_branch .LBB47_942
.LBB47_938:
	s_mov_b64 s[0:1], -1
                                        ; implicit-def: $vgpr7
.LBB47_939:
	s_andn2_b64 vcc, exec, s[0:1]
	s_cbranch_vccnz .LBB47_941
; %bb.940:
	global_load_ushort v7, v[0:1], off
	s_waitcnt vmcnt(0)
	v_cvt_f16_u16_e32 v7, v7
.LBB47_941:
	s_mov_b64 s[0:1], 0
.LBB47_942:
	s_andn2_b64 vcc, exec, s[0:1]
	s_cbranch_vccnz .LBB47_950
; %bb.943:
	global_load_ubyte v8, v[0:1], off
	s_movk_i32 s0, 0x7f
                                        ; implicit-def: $sgpr15
	s_waitcnt vmcnt(0)
	v_cmp_lt_i16_e32 vcc, s0, v8
	s_mov_b64 s[0:1], 0
	s_and_saveexec_b64 s[40:41], vcc
	s_xor_b64 s[40:41], exec, s[40:41]
	s_cbranch_execz .LBB47_964
; %bb.944:
	s_movk_i32 s0, 0x80
	v_cmp_eq_u16_e32 vcc, s0, v8
	s_mov_b64 s[0:1], -1
                                        ; implicit-def: $sgpr15
	s_and_saveexec_b64 s[42:43], vcc
; %bb.945:
	s_movk_i32 s15, 0x7e00
	s_xor_b64 s[0:1], exec, -1
; %bb.946:
	s_or_b64 exec, exec, s[42:43]
	s_and_b64 s[0:1], s[0:1], exec
	s_or_saveexec_b64 s[40:41], s[40:41]
	v_mov_b32_e32 v7, s15
	s_xor_b64 exec, exec, s[40:41]
	s_cbranch_execnz .LBB47_965
.LBB47_947:
	s_or_b64 exec, exec, s[40:41]
	s_and_saveexec_b64 s[40:41], s[0:1]
	s_cbranch_execz .LBB47_949
.LBB47_948:
	v_lshlrev_b32_e32 v7, 24, v8
	v_and_b32_e32 v8, 0xffff, v8
	v_and_b32_e32 v9, 7, v8
	v_ffbh_u32_e32 v11, v9
	v_min_u32_e32 v11, 32, v11
	v_subrev_u32_e32 v12, 28, v11
	v_bfe_u32 v10, v8, 3, 4
	v_lshlrev_b32_e32 v8, v12, v8
	v_sub_u32_e32 v11, 29, v11
	v_and_b32_e32 v8, 7, v8
	v_cmp_eq_u32_e32 vcc, 0, v10
	v_cndmask_b32_e32 v10, v10, v11, vcc
	v_cndmask_b32_e32 v8, v9, v8, vcc
	v_mov_b32_e32 v9, 0x3b800000
	v_lshlrev_b32_e32 v8, 20, v8
	v_and_b32_e32 v7, 0x80000000, v7
	v_lshl_add_u32 v9, v10, 23, v9
	v_or3_b32 v7, v7, v9, v8
	v_cvt_f16_f32_e32 v7, v7
.LBB47_949:
	s_or_b64 exec, exec, s[40:41]
.LBB47_950:
	s_mov_b64 s[0:1], -1
.LBB47_951:
	s_mov_b64 s[40:41], 0
.LBB47_952:
	s_and_b64 vcc, exec, s[40:41]
	s_cbranch_vccz .LBB47_987
; %bb.953:
	v_mov_b32_e32 v7, 22
	v_cmp_gt_i16_sdwa s[40:41], v4, v7 src0_sel:BYTE_0 src1_sel:DWORD
	s_and_b64 vcc, exec, s[40:41]
	s_cbranch_vccz .LBB47_963
; %bb.954:
	v_mov_b32_e32 v7, 24
	v_cmp_lt_i16_sdwa s[0:1], v4, v7 src0_sel:BYTE_0 src1_sel:DWORD
	s_and_b64 vcc, exec, s[0:1]
	s_cbranch_vccnz .LBB47_966
; %bb.955:
	v_cmp_gt_i16_sdwa s[0:1], v4, v7 src0_sel:BYTE_0 src1_sel:DWORD
	s_and_b64 vcc, exec, s[0:1]
	s_cbranch_vccz .LBB47_967
; %bb.956:
	global_load_ubyte v8, v[0:1], off
	s_movk_i32 s0, 0x7f
                                        ; implicit-def: $sgpr15
	s_waitcnt vmcnt(0)
	v_cmp_lt_i16_e32 vcc, s0, v8
	s_mov_b64 s[0:1], 0
	s_and_saveexec_b64 s[40:41], vcc
	s_xor_b64 s[40:41], exec, s[40:41]
	s_cbranch_execz .LBB47_979
; %bb.957:
	s_movk_i32 s0, 0x80
	v_cmp_eq_u16_e32 vcc, s0, v8
	s_mov_b64 s[0:1], -1
                                        ; implicit-def: $sgpr15
	s_and_saveexec_b64 s[42:43], vcc
; %bb.958:
	s_movk_i32 s15, 0x7e00
	s_xor_b64 s[0:1], exec, -1
; %bb.959:
	s_or_b64 exec, exec, s[42:43]
	s_and_b64 s[0:1], s[0:1], exec
	s_or_saveexec_b64 s[40:41], s[40:41]
	v_mov_b32_e32 v7, s15
	s_xor_b64 exec, exec, s[40:41]
	s_cbranch_execnz .LBB47_980
.LBB47_960:
	s_or_b64 exec, exec, s[40:41]
	s_and_saveexec_b64 s[40:41], s[0:1]
	s_cbranch_execz .LBB47_962
.LBB47_961:
	v_lshlrev_b32_e32 v7, 24, v8
	v_and_b32_e32 v8, 0xffff, v8
	v_and_b32_e32 v9, 3, v8
	v_ffbh_u32_e32 v11, v9
	v_min_u32_e32 v11, 32, v11
	v_subrev_u32_e32 v12, 29, v11
	v_bfe_u32 v10, v8, 2, 5
	v_lshlrev_b32_e32 v8, v12, v8
	v_sub_u32_e32 v11, 30, v11
	v_and_b32_e32 v8, 3, v8
	v_cmp_eq_u32_e32 vcc, 0, v10
	v_cndmask_b32_e32 v10, v10, v11, vcc
	v_cndmask_b32_e32 v8, v9, v8, vcc
	v_mov_b32_e32 v9, 0x37800000
	v_lshlrev_b32_e32 v8, 21, v8
	v_and_b32_e32 v7, 0x80000000, v7
	v_lshl_add_u32 v9, v10, 23, v9
	v_or3_b32 v7, v7, v9, v8
	v_cvt_f16_f32_e32 v7, v7
.LBB47_962:
	s_or_b64 exec, exec, s[40:41]
	s_mov_b64 s[0:1], 0
	s_branch .LBB47_968
.LBB47_963:
	s_mov_b64 s[40:41], -1
                                        ; implicit-def: $vgpr7
	s_branch .LBB47_974
.LBB47_964:
	s_or_saveexec_b64 s[40:41], s[40:41]
	v_mov_b32_e32 v7, s15
	s_xor_b64 exec, exec, s[40:41]
	s_cbranch_execz .LBB47_947
.LBB47_965:
	v_cmp_ne_u16_e32 vcc, 0, v8
	s_andn2_b64 s[0:1], s[0:1], exec
	s_and_b64 s[42:43], vcc, exec
	s_or_b64 s[0:1], s[0:1], s[42:43]
	v_mov_b32_e32 v7, v8
	s_or_b64 exec, exec, s[40:41]
	s_and_saveexec_b64 s[40:41], s[0:1]
	s_cbranch_execnz .LBB47_948
	s_branch .LBB47_949
.LBB47_966:
	s_mov_b64 s[0:1], -1
                                        ; implicit-def: $vgpr7
	s_branch .LBB47_971
.LBB47_967:
	s_mov_b64 s[0:1], -1
                                        ; implicit-def: $vgpr7
.LBB47_968:
	s_and_b64 vcc, exec, s[0:1]
	s_cbranch_vccz .LBB47_970
; %bb.969:
	global_load_ubyte v7, v[0:1], off
	s_mov_b32 s0, 0x7f800000
	s_waitcnt vmcnt(0)
	v_lshlrev_b32_e32 v7, 24, v7
	v_and_b32_e32 v8, 0x7f000000, v7
	v_ffbh_u32_e32 v9, v8
	v_min_u32_e32 v9, 32, v9
	v_sub_u32_e64 v9, v9, 4 clamp
	v_lshlrev_b32_e32 v11, v9, v8
	v_lshlrev_b32_e32 v9, 23, v9
	v_lshrrev_b32_e32 v11, 4, v11
	v_add_u32_e32 v10, 0x1000000, v8
	v_sub_u32_e32 v9, v11, v9
	v_ashrrev_i32_e32 v10, 8, v10
	v_add_u32_e32 v9, 0x3c000000, v9
	v_and_or_b32 v9, v10, s0, v9
	v_cmp_ne_u32_e32 vcc, 0, v8
	v_cndmask_b32_e32 v8, 0, v9, vcc
	s_brev_b32 s0, 1
	v_and_or_b32 v7, v7, s0, v8
	v_cvt_f16_f32_e32 v7, v7
.LBB47_970:
	s_mov_b64 s[0:1], 0
.LBB47_971:
	s_andn2_b64 vcc, exec, s[0:1]
	s_cbranch_vccnz .LBB47_973
; %bb.972:
	global_load_ubyte v7, v[0:1], off
	s_movk_i32 s0, 0x7f00
	s_brev_b32 s1, 16
	s_waitcnt vmcnt(0)
	v_lshlrev_b16_e32 v8, 8, v7
	v_lshlrev_b32_e32 v7, 25, v7
	v_lshrrev_b32_e32 v9, 4, v7
	v_and_or_b32 v10, v8, s0, 0.5
	v_or_b32_e32 v9, 0x70000000, v9
	v_add_f32_e32 v10, -0.5, v10
	v_mul_f32_e32 v9, 0x7800000, v9
	v_cmp_gt_u32_e32 vcc, s1, v7
	v_bfe_i32 v8, v8, 0, 16
	v_cndmask_b32_e32 v7, v9, v10, vcc
	s_brev_b32 s0, 1
	v_and_or_b32 v7, v8, s0, v7
	v_cvt_f16_f32_e32 v7, v7
.LBB47_973:
	s_mov_b64 s[40:41], 0
	s_mov_b64 s[0:1], -1
.LBB47_974:
	s_andn2_b64 vcc, exec, s[40:41]
	s_cbranch_vccnz .LBB47_987
; %bb.975:
	v_mov_b32_e32 v7, 14
	v_cmp_gt_i16_sdwa s[40:41], v4, v7 src0_sel:BYTE_0 src1_sel:DWORD
	s_and_b64 vcc, exec, s[40:41]
	s_cbranch_vccz .LBB47_978
; %bb.976:
	v_mov_b32_e32 v7, 15
	v_cmp_eq_u16_sdwa s[38:39], v4, v7 src0_sel:BYTE_0 src1_sel:DWORD
	s_and_b64 vcc, exec, s[38:39]
	s_cbranch_vccz .LBB47_981
; %bb.977:
	global_load_ushort v7, v[0:1], off
	s_mov_b64 s[0:1], -1
	s_mov_b64 s[38:39], 0
	s_waitcnt vmcnt(0)
	v_lshlrev_b32_e32 v7, 16, v7
	v_cvt_f16_f32_e32 v7, v7
	s_branch .LBB47_982
.LBB47_978:
	s_mov_b64 s[40:41], -1
                                        ; implicit-def: $vgpr7
	s_branch .LBB47_983
.LBB47_979:
	s_or_saveexec_b64 s[40:41], s[40:41]
	v_mov_b32_e32 v7, s15
	s_xor_b64 exec, exec, s[40:41]
	s_cbranch_execz .LBB47_960
.LBB47_980:
	v_cmp_ne_u16_e32 vcc, 0, v8
	s_andn2_b64 s[0:1], s[0:1], exec
	s_and_b64 s[42:43], vcc, exec
	s_or_b64 s[0:1], s[0:1], s[42:43]
	v_mov_b32_e32 v7, v8
	s_or_b64 exec, exec, s[40:41]
	s_and_saveexec_b64 s[40:41], s[0:1]
	s_cbranch_execnz .LBB47_961
	s_branch .LBB47_962
.LBB47_981:
	s_mov_b64 s[38:39], -1
                                        ; implicit-def: $vgpr7
.LBB47_982:
	s_mov_b64 s[40:41], 0
.LBB47_983:
	s_and_b64 vcc, exec, s[40:41]
	s_cbranch_vccz .LBB47_987
; %bb.984:
	v_mov_b32_e32 v7, 11
	v_cmp_eq_u16_sdwa s[38:39], v4, v7 src0_sel:BYTE_0 src1_sel:DWORD
	s_and_b64 vcc, exec, s[38:39]
	s_cbranch_vccz .LBB47_986
; %bb.985:
	global_load_ubyte v7, v[0:1], off
	v_mov_b32_e32 v8, 0x3c00
	s_mov_b64 s[0:1], -1
	s_mov_b64 s[38:39], 0
	s_waitcnt vmcnt(0)
	v_cmp_ne_u16_e32 vcc, 0, v7
	v_cndmask_b32_e32 v7, 0, v8, vcc
	s_branch .LBB47_987
.LBB47_986:
	s_mov_b64 s[38:39], -1
                                        ; implicit-def: $vgpr7
.LBB47_987:
	s_mov_b64 s[40:41], 0
.LBB47_988:
	s_and_b64 vcc, exec, s[40:41]
	s_cbranch_vccz .LBB47_1037
; %bb.989:
	v_mov_b32_e32 v7, 5
	v_cmp_lt_i16_sdwa s[0:1], v4, v7 src0_sel:BYTE_0 src1_sel:DWORD
	s_and_b64 vcc, exec, s[0:1]
	s_cbranch_vccnz .LBB47_994
; %bb.990:
	v_mov_b32_e32 v7, 8
	v_cmp_lt_i16_sdwa s[0:1], v4, v7 src0_sel:BYTE_0 src1_sel:DWORD
	s_and_b64 vcc, exec, s[0:1]
	s_cbranch_vccnz .LBB47_995
	;; [unrolled: 5-line block ×3, first 2 shown]
; %bb.992:
	v_cmp_gt_i16_sdwa s[0:1], v4, v7 src0_sel:BYTE_0 src1_sel:DWORD
	s_and_b64 vcc, exec, s[0:1]
	s_cbranch_vccz .LBB47_997
; %bb.993:
	global_load_dwordx2 v[8:9], v[0:1], off
	s_mov_b64 s[0:1], 0
	s_waitcnt vmcnt(0)
	v_cvt_f32_f64_e32 v7, v[8:9]
	v_cvt_f16_f32_e32 v7, v7
	s_branch .LBB47_998
.LBB47_994:
	s_mov_b64 s[0:1], -1
                                        ; implicit-def: $vgpr7
	s_branch .LBB47_1016
.LBB47_995:
	s_mov_b64 s[0:1], -1
                                        ; implicit-def: $vgpr7
	s_branch .LBB47_1004
.LBB47_996:
	s_mov_b64 s[0:1], -1
                                        ; implicit-def: $vgpr7
	s_branch .LBB47_1001
.LBB47_997:
	s_mov_b64 s[0:1], -1
                                        ; implicit-def: $vgpr7
.LBB47_998:
	s_andn2_b64 vcc, exec, s[0:1]
	s_cbranch_vccnz .LBB47_1000
; %bb.999:
	global_load_dword v7, v[0:1], off
	s_waitcnt vmcnt(0)
	v_cvt_f16_f32_e32 v7, v7
.LBB47_1000:
	s_mov_b64 s[0:1], 0
.LBB47_1001:
	s_andn2_b64 vcc, exec, s[0:1]
	s_cbranch_vccnz .LBB47_1003
; %bb.1002:
	global_load_dword v7, v[0:1], off
.LBB47_1003:
	s_mov_b64 s[0:1], 0
.LBB47_1004:
	s_andn2_b64 vcc, exec, s[0:1]
	s_cbranch_vccnz .LBB47_1015
; %bb.1005:
	s_waitcnt vmcnt(0)
	v_mov_b32_e32 v7, 6
	v_cmp_lt_i16_sdwa s[0:1], v4, v7 src0_sel:BYTE_0 src1_sel:DWORD
	s_and_b64 vcc, exec, s[0:1]
	s_cbranch_vccnz .LBB47_1008
; %bb.1006:
	v_cmp_gt_i16_sdwa s[0:1], v4, v7 src0_sel:BYTE_0 src1_sel:DWORD
	s_and_b64 vcc, exec, s[0:1]
	s_cbranch_vccz .LBB47_1009
; %bb.1007:
	global_load_dwordx2 v[8:9], v[0:1], off
	s_mov_b64 s[0:1], 0
	s_waitcnt vmcnt(0)
	v_cvt_f32_f64_e32 v7, v[8:9]
	v_cvt_f16_f32_e32 v7, v7
	s_branch .LBB47_1010
.LBB47_1008:
	s_mov_b64 s[0:1], -1
                                        ; implicit-def: $vgpr7
	s_branch .LBB47_1013
.LBB47_1009:
	s_mov_b64 s[0:1], -1
                                        ; implicit-def: $vgpr7
.LBB47_1010:
	s_andn2_b64 vcc, exec, s[0:1]
	s_cbranch_vccnz .LBB47_1012
; %bb.1011:
	global_load_dword v7, v[0:1], off
	s_waitcnt vmcnt(0)
	v_cvt_f16_f32_e32 v7, v7
.LBB47_1012:
	s_mov_b64 s[0:1], 0
.LBB47_1013:
	s_andn2_b64 vcc, exec, s[0:1]
	s_cbranch_vccnz .LBB47_1015
; %bb.1014:
	global_load_ushort v7, v[0:1], off
.LBB47_1015:
	s_mov_b64 s[0:1], 0
.LBB47_1016:
	s_andn2_b64 vcc, exec, s[0:1]
	s_cbranch_vccnz .LBB47_1036
; %bb.1017:
	s_waitcnt vmcnt(0)
	v_mov_b32_e32 v7, 2
	v_cmp_lt_i16_sdwa s[0:1], v4, v7 src0_sel:BYTE_0 src1_sel:DWORD
	s_and_b64 vcc, exec, s[0:1]
	s_cbranch_vccnz .LBB47_1021
; %bb.1018:
	v_mov_b32_e32 v7, 3
	v_cmp_lt_i16_sdwa s[0:1], v4, v7 src0_sel:BYTE_0 src1_sel:DWORD
	s_and_b64 vcc, exec, s[0:1]
	s_cbranch_vccnz .LBB47_1022
; %bb.1019:
	v_cmp_gt_i16_sdwa s[0:1], v4, v7 src0_sel:BYTE_0 src1_sel:DWORD
	s_and_b64 vcc, exec, s[0:1]
	s_cbranch_vccz .LBB47_1023
; %bb.1020:
	global_load_dwordx2 v[8:9], v[0:1], off
	s_mov_b64 s[0:1], 0
	s_waitcnt vmcnt(0)
	v_xor_b32_e32 v10, v8, v9
	v_ffbh_i32_e32 v7, v9
	v_ashrrev_i32_e32 v10, 31, v10
	v_add_u32_e32 v7, -1, v7
	v_add_u32_e32 v10, 32, v10
	v_min_u32_e32 v7, v7, v10
	v_lshlrev_b64 v[8:9], v7, v[8:9]
	v_min_u32_e32 v8, 1, v8
	v_or_b32_e32 v8, v9, v8
	v_cvt_f32_i32_e32 v8, v8
	v_sub_u32_e32 v7, 32, v7
	v_ldexp_f32 v7, v8, v7
	v_cvt_f16_f32_e32 v7, v7
	s_branch .LBB47_1024
.LBB47_1021:
	s_mov_b64 s[0:1], -1
                                        ; implicit-def: $vgpr7
	s_branch .LBB47_1030
.LBB47_1022:
	s_mov_b64 s[0:1], -1
                                        ; implicit-def: $vgpr7
	s_branch .LBB47_1027
.LBB47_1023:
	s_mov_b64 s[0:1], -1
                                        ; implicit-def: $vgpr7
.LBB47_1024:
	s_andn2_b64 vcc, exec, s[0:1]
	s_cbranch_vccnz .LBB47_1026
; %bb.1025:
	global_load_dword v7, v[0:1], off
	s_waitcnt vmcnt(0)
	v_cvt_f32_i32_e32 v7, v7
	v_cvt_f16_f32_e32 v7, v7
.LBB47_1026:
	s_mov_b64 s[0:1], 0
.LBB47_1027:
	s_andn2_b64 vcc, exec, s[0:1]
	s_cbranch_vccnz .LBB47_1029
; %bb.1028:
	global_load_ushort v7, v[0:1], off
	s_waitcnt vmcnt(0)
	v_cvt_f16_i16_e32 v7, v7
.LBB47_1029:
	s_mov_b64 s[0:1], 0
.LBB47_1030:
	s_andn2_b64 vcc, exec, s[0:1]
	s_cbranch_vccnz .LBB47_1036
; %bb.1031:
	v_mov_b32_e32 v7, 0
	v_cmp_gt_i16_sdwa s[0:1], v4, v7 src0_sel:BYTE_0 src1_sel:DWORD
	s_and_b64 vcc, exec, s[0:1]
	s_cbranch_vccz .LBB47_1033
; %bb.1032:
	global_load_sbyte v7, v[0:1], off
	s_mov_b64 s[0:1], 0
	s_waitcnt vmcnt(0)
	v_cvt_f16_i16_e32 v7, v7
	s_branch .LBB47_1034
.LBB47_1033:
	s_mov_b64 s[0:1], -1
                                        ; implicit-def: $vgpr7
.LBB47_1034:
	s_andn2_b64 vcc, exec, s[0:1]
	s_cbranch_vccnz .LBB47_1036
; %bb.1035:
	global_load_ubyte v0, v[0:1], off
	s_waitcnt vmcnt(0)
	v_cvt_f16_u16_e32 v7, v0
.LBB47_1036:
	s_mov_b64 s[0:1], -1
.LBB47_1037:
	s_andn2_b64 vcc, exec, s[0:1]
	s_cbranch_vccnz .LBB47_1045
; %bb.1038:
	s_waitcnt vmcnt(0)
	v_cvt_f32_f16_e32 v0, v7
	v_cvt_f32_f16_e32 v1, v6
	s_movk_i32 s0, 0x400
	v_mov_b32_e32 v9, 0x400
	v_rcp_f32_e32 v8, v0
	s_movk_i32 s1, 0x3bfe
	v_mul_f32_e32 v10, v1, v8
	v_mad_f32 v11, -v0, v10, v1
	v_mac_f32_e32 v10, v11, v8
	v_mad_f32 v0, -v0, v10, v1
	v_mul_f32_e32 v0, v0, v8
	v_and_b32_e32 v0, 0xff800000, v0
	v_add_f32_e32 v0, v0, v10
	v_cvt_f16_f32_e32 v0, v0
	v_mov_b32_e32 v1, 0x3bfe
	v_mul_lo_u32 v8, v3, s12
	v_ashrrev_i32_e32 v10, 31, v8
	v_div_fixup_f16 v0, v0, v7, v6
	v_cmp_ngt_f16_e32 vcc, s0, v0
	v_cndmask_b32_e32 v0, v9, v0, vcc
	v_cmp_nlt_f16_e32 vcc, s1, v0
	v_cndmask_b32_e32 v6, v1, v0, vcc
	v_mov_b32_e32 v1, s9
	v_add_co_u32_e32 v0, vcc, s8, v8
	v_mov_b32_e32 v7, 11
	v_addc_co_u32_e32 v1, vcc, v1, v10, vcc
	v_cmp_lt_i16_sdwa s[0:1], v2, v7 src0_sel:BYTE_0 src1_sel:DWORD
	s_and_b64 vcc, exec, s[0:1]
	s_cbranch_vccnz .LBB47_1046
; %bb.1039:
	v_mov_b32_e32 v7, 25
	v_cmp_gt_i16_sdwa s[0:1], v2, v7 src0_sel:BYTE_0 src1_sel:DWORD
	s_and_b64 vcc, exec, s[0:1]
	s_cbranch_vccz .LBB47_1047
; %bb.1040:
	v_mov_b32_e32 v7, 28
	v_cmp_gt_i16_sdwa s[0:1], v2, v7 src0_sel:BYTE_0 src1_sel:DWORD
	s_and_b64 vcc, exec, s[0:1]
	s_cbranch_vccz .LBB47_1048
	;; [unrolled: 5-line block ×4, first 2 shown]
; %bb.1043:
	v_mov_b32_e32 v7, 46
	v_cmp_eq_u16_sdwa s[40:41], v2, v7 src0_sel:BYTE_0 src1_sel:DWORD
	s_mov_b64 s[42:43], 0
	s_mov_b64 s[0:1], -1
	s_and_b64 vcc, exec, s[40:41]
	s_mov_b64 s[40:41], 0
	s_cbranch_vccz .LBB47_1051
; %bb.1044:
	v_cvt_f32_f16_e32 v7, v6
	s_movk_i32 s0, 0x7fff
	v_mov_b32_e32 v8, 0x7fc0
	v_cmp_o_f16_e32 vcc, v6, v6
	v_bfe_u32 v9, v7, 16, 1
	v_add3_u32 v7, v7, v9, s0
	v_lshrrev_b32_e32 v7, 16, v7
	v_cndmask_b32_e32 v7, v8, v7, vcc
	global_store_dword v[0:1], v7, off
	s_mov_b64 s[40:41], -1
	s_mov_b64 s[0:1], 0
	s_branch .LBB47_1051
.LBB47_1045:
	s_mov_b64 s[42:43], 0
                                        ; implicit-def: $vgpr3
	s_mov_b64 s[0:1], s[28:29]
	s_branch .LBB47_1161
.LBB47_1046:
	s_mov_b64 s[42:43], -1
	s_mov_b64 s[40:41], 0
	s_mov_b64 s[0:1], s[28:29]
	s_branch .LBB47_1120
.LBB47_1047:
	s_mov_b64 s[42:43], -1
	s_mov_b64 s[40:41], 0
	s_mov_b64 s[0:1], s[28:29]
	s_branch .LBB47_1078
.LBB47_1048:
	s_mov_b64 s[42:43], -1
	s_mov_b64 s[40:41], 0
	s_mov_b64 s[0:1], s[28:29]
	s_branch .LBB47_1061
.LBB47_1049:
	s_mov_b64 s[42:43], -1
	s_mov_b64 s[40:41], 0
	s_mov_b64 s[0:1], s[28:29]
	s_branch .LBB47_1057
.LBB47_1050:
	s_mov_b64 s[42:43], -1
	s_mov_b64 s[40:41], 0
	s_mov_b64 s[0:1], s[28:29]
.LBB47_1051:
	s_and_b64 vcc, exec, s[42:43]
	s_cbranch_vccz .LBB47_1056
; %bb.1052:
	v_mov_b32_e32 v7, 44
	v_cmp_eq_u16_sdwa s[42:43], v2, v7 src0_sel:BYTE_0 src1_sel:DWORD
	s_mov_b64 s[0:1], -1
	s_and_b64 vcc, exec, s[42:43]
	s_cbranch_vccz .LBB47_1056
; %bb.1053:
	v_cvt_f32_f16_e32 v7, v6
	s_movk_i32 s0, 0xff
	v_mov_b32_e32 v9, 0xff
	v_bfe_u32 v8, v7, 23, 8
	v_cmp_ne_u32_e32 vcc, s0, v8
	s_and_saveexec_b64 s[40:41], vcc
; %bb.1054:
	s_mov_b32 s0, 0x3fffff
	v_lshrrev_b32_e32 v9, 23, v7
	v_and_b32_e32 v10, 0x400000, v7
	v_and_or_b32 v7, v7, s0, v8
	v_cmp_ne_u32_e32 vcc, 0, v10
	v_cmp_ne_u32_e64 s[0:1], 0, v7
	s_and_b64 s[0:1], vcc, s[0:1]
	v_cndmask_b32_e64 v7, 0, 1, s[0:1]
	v_add_u32_e32 v9, v9, v7
; %bb.1055:
	s_or_b64 exec, exec, s[40:41]
	s_mov_b64 s[40:41], -1
	s_mov_b64 s[0:1], 0
	global_store_byte v[0:1], v9, off
.LBB47_1056:
	s_mov_b64 s[42:43], 0
.LBB47_1057:
	s_and_b64 vcc, exec, s[42:43]
	s_cbranch_vccz .LBB47_1060
; %bb.1058:
	v_mov_b32_e32 v7, 29
	v_cmp_eq_u16_sdwa s[42:43], v2, v7 src0_sel:BYTE_0 src1_sel:DWORD
	s_mov_b64 s[0:1], -1
	s_and_b64 vcc, exec, s[42:43]
	s_cbranch_vccz .LBB47_1060
; %bb.1059:
	v_cvt_f32_f16_e32 v7, v6
	v_mov_b32_e32 v9, 0
	s_mov_b64 s[40:41], -1
	s_mov_b64 s[0:1], 0
	v_cvt_u32_f32_e32 v8, v7
	s_mov_b64 s[42:43], 0
	global_store_dwordx2 v[0:1], v[8:9], off
	s_branch .LBB47_1061
.LBB47_1060:
	s_mov_b64 s[42:43], 0
.LBB47_1061:
	s_and_b64 vcc, exec, s[42:43]
	s_cbranch_vccz .LBB47_1077
; %bb.1062:
	v_mov_b32_e32 v7, 27
	v_cmp_lt_i16_sdwa s[42:43], v2, v7 src0_sel:BYTE_0 src1_sel:DWORD
	s_mov_b64 s[40:41], -1
	s_and_b64 vcc, exec, s[42:43]
	s_cbranch_vccnz .LBB47_1068
; %bb.1063:
	v_cmp_gt_i16_sdwa s[42:43], v2, v7 src0_sel:BYTE_0 src1_sel:DWORD
	s_and_b64 vcc, exec, s[42:43]
	s_cbranch_vccz .LBB47_1065
; %bb.1064:
	v_cvt_f32_f16_e32 v7, v6
	s_mov_b64 s[40:41], 0
	v_cvt_u32_f32_e32 v7, v7
	global_store_dword v[0:1], v7, off
.LBB47_1065:
	s_andn2_b64 vcc, exec, s[40:41]
	s_cbranch_vccnz .LBB47_1067
; %bb.1066:
	v_cvt_u16_f16_e32 v7, v6
	global_store_short v[0:1], v7, off
.LBB47_1067:
	s_mov_b64 s[40:41], 0
.LBB47_1068:
	s_andn2_b64 vcc, exec, s[40:41]
	s_cbranch_vccnz .LBB47_1076
; %bb.1069:
	v_cvt_f32_f16_e32 v7, v6
	s_mov_b32 s15, 0x43800000
	v_mov_b32_e32 v9, 0x80
	v_and_b32_e32 v8, 0x7fffffff, v7
	v_cmp_gt_u32_e32 vcc, s15, v8
	s_and_saveexec_b64 s[40:41], vcc
	s_cbranch_execz .LBB47_1075
; %bb.1070:
	s_mov_b32 s15, 0x3bffffff
	v_cmp_lt_u32_e32 vcc, s15, v8
	s_mov_b64 s[42:43], 0
                                        ; implicit-def: $vgpr8
	s_and_saveexec_b64 s[44:45], vcc
	s_xor_b64 s[44:45], exec, s[44:45]
	s_cbranch_execz .LBB47_1177
; %bb.1071:
	v_bfe_u32 v8, v7, 20, 1
	s_mov_b32 s15, 0x487ffff
	v_add3_u32 v8, v7, v8, s15
	s_mov_b64 s[42:43], exec
	v_lshrrev_b32_e32 v8, 20, v8
	s_or_saveexec_b64 s[44:45], s[44:45]
                                        ; implicit-def: $sgpr15
	s_xor_b64 exec, exec, s[44:45]
	s_cbranch_execnz .LBB47_1178
.LBB47_1072:
	s_or_b64 exec, exec, s[44:45]
	v_mov_b32_e32 v9, s15
	s_and_saveexec_b64 s[44:45], s[42:43]
.LBB47_1073:
	v_lshrrev_b32_e32 v7, 24, v7
	s_movk_i32 s15, 0x80
	v_and_or_b32 v9, v7, s15, v8
.LBB47_1074:
	s_or_b64 exec, exec, s[44:45]
.LBB47_1075:
	s_or_b64 exec, exec, s[40:41]
	global_store_byte v[0:1], v9, off
.LBB47_1076:
	s_mov_b64 s[40:41], -1
.LBB47_1077:
	s_mov_b64 s[42:43], 0
.LBB47_1078:
	s_and_b64 vcc, exec, s[42:43]
	s_cbranch_vccz .LBB47_1119
; %bb.1079:
	v_mov_b32_e32 v7, 22
	v_cmp_gt_i16_sdwa s[44:45], v2, v7 src0_sel:BYTE_0 src1_sel:DWORD
	s_mov_b64 s[42:43], -1
	s_and_b64 vcc, exec, s[44:45]
	s_cbranch_vccz .LBB47_1111
; %bb.1080:
	v_mov_b32_e32 v7, 24
	v_cmp_lt_i16_sdwa s[42:43], v2, v7 src0_sel:BYTE_0 src1_sel:DWORD
	s_mov_b64 s[40:41], -1
	s_and_b64 vcc, exec, s[42:43]
	s_cbranch_vccnz .LBB47_1100
; %bb.1081:
	v_cmp_gt_i16_sdwa s[42:43], v2, v7 src0_sel:BYTE_0 src1_sel:DWORD
	s_and_b64 vcc, exec, s[42:43]
	s_cbranch_vccz .LBB47_1089
; %bb.1082:
	v_cvt_f32_f16_e32 v7, v6
	s_mov_b32 s15, 0x47800000
	v_mov_b32_e32 v9, 0x80
	v_and_b32_e32 v8, 0x7fffffff, v7
	v_cmp_gt_u32_e32 vcc, s15, v8
	s_and_saveexec_b64 s[40:41], vcc
	s_cbranch_execz .LBB47_1088
; %bb.1083:
	s_mov_b32 s15, 0x37ffffff
	v_cmp_lt_u32_e32 vcc, s15, v8
	s_mov_b64 s[42:43], 0
                                        ; implicit-def: $vgpr8
	s_and_saveexec_b64 s[44:45], vcc
	s_xor_b64 s[44:45], exec, s[44:45]
	s_cbranch_execz .LBB47_2200
; %bb.1084:
	v_bfe_u32 v8, v7, 21, 1
	s_mov_b32 s15, 0x88fffff
	v_add3_u32 v8, v7, v8, s15
	s_mov_b64 s[42:43], exec
	v_lshrrev_b32_e32 v8, 21, v8
	s_or_saveexec_b64 s[44:45], s[44:45]
                                        ; implicit-def: $sgpr15
	s_xor_b64 exec, exec, s[44:45]
	s_cbranch_execnz .LBB47_2201
.LBB47_1085:
	s_or_b64 exec, exec, s[44:45]
	v_mov_b32_e32 v9, s15
	s_and_saveexec_b64 s[44:45], s[42:43]
.LBB47_1086:
	v_lshrrev_b32_e32 v7, 24, v7
	s_movk_i32 s15, 0x80
	v_and_or_b32 v9, v7, s15, v8
.LBB47_1087:
	s_or_b64 exec, exec, s[44:45]
.LBB47_1088:
	s_or_b64 exec, exec, s[40:41]
	s_mov_b64 s[40:41], 0
	global_store_byte v[0:1], v9, off
.LBB47_1089:
	s_and_b64 vcc, exec, s[40:41]
	s_cbranch_vccz .LBB47_1099
; %bb.1090:
	v_cvt_f32_f16_e32 v7, v6
	s_mov_b32 s15, 0x43f00000
                                        ; implicit-def: $vgpr8
	v_and_b32_e32 v9, 0x7fffffff, v7
	v_cmp_gt_u32_e32 vcc, s15, v9
	s_and_saveexec_b64 s[40:41], vcc
	s_xor_b64 s[40:41], exec, s[40:41]
	s_cbranch_execz .LBB47_1096
; %bb.1091:
	s_mov_b32 s15, 0x3c7fffff
	v_cmp_lt_u32_e32 vcc, s15, v9
                                        ; implicit-def: $vgpr8
	s_and_saveexec_b64 s[42:43], vcc
	s_xor_b64 s[42:43], exec, s[42:43]
; %bb.1092:
	v_bfe_u32 v8, v7, 20, 1
	s_mov_b32 s15, 0x407ffff
	v_add3_u32 v8, v7, v8, s15
	v_lshrrev_b32_e32 v9, 20, v8
	v_and_b32_e32 v8, 0xff00000, v8
	s_mov_b32 s15, 0x7f00000
	v_mov_b32_e32 v10, 0x7e
	v_cmp_ne_u32_e32 vcc, s15, v8
	v_cndmask_b32_e32 v8, v10, v9, vcc
; %bb.1093:
	s_andn2_saveexec_b64 s[42:43], s[42:43]
; %bb.1094:
	s_mov_b32 s15, 0x46800000
	v_add_f32_e64 v8, |v7|, s15
; %bb.1095:
	s_or_b64 exec, exec, s[42:43]
                                        ; implicit-def: $vgpr9
.LBB47_1096:
	s_andn2_saveexec_b64 s[40:41], s[40:41]
; %bb.1097:
	s_mov_b32 s15, 0x7f800000
	v_mov_b32_e32 v8, 0x7e
	v_mov_b32_e32 v10, 0x7f
	v_cmp_lt_u32_e32 vcc, s15, v9
	v_cndmask_b32_e32 v8, v8, v10, vcc
; %bb.1098:
	s_or_b64 exec, exec, s[40:41]
	v_lshrrev_b32_e32 v7, 24, v7
	s_movk_i32 s15, 0x80
	v_and_or_b32 v7, v7, s15, v8
	global_store_byte v[0:1], v7, off
.LBB47_1099:
	s_mov_b64 s[40:41], 0
.LBB47_1100:
	s_andn2_b64 vcc, exec, s[40:41]
	s_cbranch_vccnz .LBB47_1110
; %bb.1101:
	v_cvt_f32_f16_e32 v7, v6
	s_mov_b32 s15, 0x47800000
                                        ; implicit-def: $vgpr8
	v_and_b32_e32 v9, 0x7fffffff, v7
	v_cmp_gt_u32_e32 vcc, s15, v9
	s_and_saveexec_b64 s[40:41], vcc
	s_xor_b64 s[40:41], exec, s[40:41]
	s_cbranch_execz .LBB47_1107
; %bb.1102:
	s_mov_b32 s15, 0x387fffff
	v_cmp_lt_u32_e32 vcc, s15, v9
                                        ; implicit-def: $vgpr8
	s_and_saveexec_b64 s[42:43], vcc
	s_xor_b64 s[42:43], exec, s[42:43]
; %bb.1103:
	v_bfe_u32 v8, v7, 21, 1
	s_mov_b32 s15, 0x80fffff
	v_add3_u32 v8, v7, v8, s15
	v_lshrrev_b32_e32 v8, 21, v8
; %bb.1104:
	s_andn2_saveexec_b64 s[42:43], s[42:43]
; %bb.1105:
	s_mov_b32 s15, 0x43000000
	v_add_f32_e64 v8, |v7|, s15
; %bb.1106:
	s_or_b64 exec, exec, s[42:43]
                                        ; implicit-def: $vgpr9
.LBB47_1107:
	s_andn2_saveexec_b64 s[40:41], s[40:41]
; %bb.1108:
	s_mov_b32 s15, 0x7f800000
	v_mov_b32_e32 v8, 0x7c
	v_mov_b32_e32 v10, 0x7f
	v_cmp_lt_u32_e32 vcc, s15, v9
	v_cndmask_b32_e32 v8, v8, v10, vcc
; %bb.1109:
	s_or_b64 exec, exec, s[40:41]
	v_lshrrev_b32_e32 v7, 24, v7
	s_movk_i32 s15, 0x80
	v_and_or_b32 v7, v7, s15, v8
	global_store_byte v[0:1], v7, off
.LBB47_1110:
	s_mov_b64 s[42:43], 0
	s_mov_b64 s[40:41], -1
.LBB47_1111:
	s_andn2_b64 vcc, exec, s[42:43]
	s_cbranch_vccnz .LBB47_1119
; %bb.1112:
	v_mov_b32_e32 v7, 14
	v_cmp_gt_i16_sdwa s[44:45], v2, v7 src0_sel:BYTE_0 src1_sel:DWORD
	s_mov_b64 s[42:43], -1
	s_and_b64 vcc, exec, s[44:45]
	s_cbranch_vccz .LBB47_1116
; %bb.1113:
	v_mov_b32_e32 v7, 15
	v_cmp_eq_u16_sdwa s[42:43], v2, v7 src0_sel:BYTE_0 src1_sel:DWORD
	s_mov_b64 s[0:1], -1
	s_and_b64 vcc, exec, s[42:43]
	s_cbranch_vccz .LBB47_1115
; %bb.1114:
	v_cvt_f32_f16_e32 v7, v6
	s_movk_i32 s0, 0x7fff
	v_mov_b32_e32 v8, 0x7fc0
	v_cmp_o_f16_e32 vcc, v6, v6
	v_bfe_u32 v9, v7, 16, 1
	v_add3_u32 v7, v7, v9, s0
	v_lshrrev_b32_e32 v7, 16, v7
	v_cndmask_b32_e32 v7, v8, v7, vcc
	global_store_short v[0:1], v7, off
	s_mov_b64 s[40:41], -1
	s_mov_b64 s[0:1], 0
.LBB47_1115:
	s_mov_b64 s[42:43], 0
.LBB47_1116:
	s_and_b64 vcc, exec, s[42:43]
	s_cbranch_vccz .LBB47_1119
; %bb.1117:
	v_mov_b32_e32 v7, 11
	v_cmp_eq_u16_sdwa s[42:43], v2, v7 src0_sel:BYTE_0 src1_sel:DWORD
	s_mov_b64 s[0:1], -1
	s_and_b64 vcc, exec, s[42:43]
	s_cbranch_vccz .LBB47_1119
; %bb.1118:
	v_and_b32_e32 v7, 0x7fff, v6
	v_cmp_ne_u16_e32 vcc, 0, v7
	v_cndmask_b32_e64 v7, 0, 1, vcc
	s_mov_b64 s[40:41], -1
	s_mov_b64 s[0:1], 0
	global_store_byte v[0:1], v7, off
.LBB47_1119:
	s_mov_b64 s[42:43], 0
.LBB47_1120:
	s_and_b64 vcc, exec, s[42:43]
	s_cbranch_vccz .LBB47_1159
; %bb.1121:
	v_mov_b32_e32 v7, 5
	v_cmp_lt_i16_sdwa s[42:43], v2, v7 src0_sel:BYTE_0 src1_sel:DWORD
	s_mov_b64 s[40:41], -1
	s_and_b64 vcc, exec, s[42:43]
	s_cbranch_vccnz .LBB47_1142
; %bb.1122:
	v_mov_b32_e32 v7, 8
	v_cmp_lt_i16_sdwa s[42:43], v2, v7 src0_sel:BYTE_0 src1_sel:DWORD
	s_and_b64 vcc, exec, s[42:43]
	s_cbranch_vccnz .LBB47_1132
; %bb.1123:
	v_mov_b32_e32 v7, 9
	v_cmp_lt_i16_sdwa s[42:43], v2, v7 src0_sel:BYTE_0 src1_sel:DWORD
	s_and_b64 vcc, exec, s[42:43]
	s_cbranch_vccnz .LBB47_1129
; %bb.1124:
	v_cmp_gt_i16_sdwa s[42:43], v2, v7 src0_sel:BYTE_0 src1_sel:DWORD
	s_and_b64 vcc, exec, s[42:43]
	s_cbranch_vccz .LBB47_1126
; %bb.1125:
	v_cvt_f32_f16_e32 v7, v6
	v_mov_b32_e32 v10, 0
	v_mov_b32_e32 v11, v10
	s_mov_b64 s[40:41], 0
	v_cvt_f64_f32_e32 v[8:9], v7
	global_store_dwordx4 v[0:1], v[8:11], off
.LBB47_1126:
	s_andn2_b64 vcc, exec, s[40:41]
	s_cbranch_vccnz .LBB47_1128
; %bb.1127:
	v_cvt_f32_f16_e32 v8, v6
	v_mov_b32_e32 v9, 0
	global_store_dwordx2 v[0:1], v[8:9], off
.LBB47_1128:
	s_mov_b64 s[40:41], 0
.LBB47_1129:
	s_andn2_b64 vcc, exec, s[40:41]
	s_cbranch_vccnz .LBB47_1131
; %bb.1130:
	v_and_b32_e32 v7, 0xffff, v6
	global_store_dword v[0:1], v7, off
.LBB47_1131:
	s_mov_b64 s[40:41], 0
.LBB47_1132:
	s_andn2_b64 vcc, exec, s[40:41]
	s_cbranch_vccnz .LBB47_1141
; %bb.1133:
	v_mov_b32_e32 v7, 6
	v_cmp_lt_i16_sdwa s[42:43], v2, v7 src0_sel:BYTE_0 src1_sel:DWORD
	s_mov_b64 s[40:41], -1
	s_and_b64 vcc, exec, s[42:43]
	s_cbranch_vccnz .LBB47_1139
; %bb.1134:
	v_cmp_gt_i16_sdwa s[42:43], v2, v7 src0_sel:BYTE_0 src1_sel:DWORD
	s_and_b64 vcc, exec, s[42:43]
	s_cbranch_vccz .LBB47_1136
; %bb.1135:
	v_cvt_f32_f16_e32 v7, v6
	s_mov_b64 s[40:41], 0
	v_cvt_f64_f32_e32 v[8:9], v7
	global_store_dwordx2 v[0:1], v[8:9], off
.LBB47_1136:
	s_andn2_b64 vcc, exec, s[40:41]
	s_cbranch_vccnz .LBB47_1138
; %bb.1137:
	v_cvt_f32_f16_e32 v7, v6
	global_store_dword v[0:1], v7, off
.LBB47_1138:
	s_mov_b64 s[40:41], 0
.LBB47_1139:
	s_andn2_b64 vcc, exec, s[40:41]
	s_cbranch_vccnz .LBB47_1141
; %bb.1140:
	global_store_short v[0:1], v6, off
.LBB47_1141:
	s_mov_b64 s[40:41], 0
.LBB47_1142:
	s_andn2_b64 vcc, exec, s[40:41]
	s_cbranch_vccnz .LBB47_1158
; %bb.1143:
	v_mov_b32_e32 v7, 2
	v_cmp_lt_i16_sdwa s[42:43], v2, v7 src0_sel:BYTE_0 src1_sel:DWORD
	s_mov_b64 s[40:41], -1
	s_and_b64 vcc, exec, s[42:43]
	s_cbranch_vccnz .LBB47_1153
; %bb.1144:
	v_mov_b32_e32 v7, 3
	v_cmp_lt_i16_sdwa s[42:43], v2, v7 src0_sel:BYTE_0 src1_sel:DWORD
	s_and_b64 vcc, exec, s[42:43]
	s_cbranch_vccnz .LBB47_1150
; %bb.1145:
	v_cmp_gt_i16_sdwa s[42:43], v2, v7 src0_sel:BYTE_0 src1_sel:DWORD
	s_and_b64 vcc, exec, s[42:43]
	s_cbranch_vccz .LBB47_1147
; %bb.1146:
	v_cvt_f32_f16_e32 v7, v6
	s_mov_b64 s[40:41], 0
	v_cvt_i32_f32_e32 v8, v7
	v_ashrrev_i32_e32 v9, 31, v8
	global_store_dwordx2 v[0:1], v[8:9], off
.LBB47_1147:
	s_andn2_b64 vcc, exec, s[40:41]
	s_cbranch_vccnz .LBB47_1149
; %bb.1148:
	v_cvt_f32_f16_e32 v7, v6
	v_cvt_i32_f32_e32 v7, v7
	global_store_dword v[0:1], v7, off
.LBB47_1149:
	s_mov_b64 s[40:41], 0
.LBB47_1150:
	s_andn2_b64 vcc, exec, s[40:41]
	s_cbranch_vccnz .LBB47_1152
; %bb.1151:
	v_cvt_i16_f16_e32 v7, v6
	global_store_short v[0:1], v7, off
.LBB47_1152:
	s_mov_b64 s[40:41], 0
.LBB47_1153:
	s_andn2_b64 vcc, exec, s[40:41]
	s_cbranch_vccnz .LBB47_1158
; %bb.1154:
	v_mov_b32_e32 v7, 0
	v_cmp_gt_i16_sdwa s[42:43], v2, v7 src0_sel:BYTE_0 src1_sel:DWORD
	s_mov_b64 s[40:41], -1
	s_and_b64 vcc, exec, s[42:43]
	s_cbranch_vccz .LBB47_1156
; %bb.1155:
	v_cvt_i16_f16_e32 v7, v6
	s_mov_b64 s[40:41], 0
	global_store_byte v[0:1], v7, off
.LBB47_1156:
	s_andn2_b64 vcc, exec, s[40:41]
	s_cbranch_vccnz .LBB47_1158
; %bb.1157:
	v_cvt_f32_f16_e32 v6, v6
	v_cvt_i32_f32_e32 v6, v6
	global_store_byte v[0:1], v6, off
.LBB47_1158:
	s_mov_b64 s[40:41], -1
.LBB47_1159:
	s_andn2_b64 vcc, exec, s[40:41]
	s_cbranch_vccnz .LBB47_1172
; %bb.1160:
	v_add_u32_e32 v3, 0x80, v3
	s_mov_b64 s[42:43], -1
.LBB47_1161:
	s_andn2_b64 s[40:41], s[28:29], exec
	s_and_b64 s[0:1], s[0:1], exec
	s_or_b64 s[40:41], s[40:41], s[0:1]
	s_andn2_b64 s[0:1], s[26:27], exec
	s_and_b64 s[38:39], s[38:39], exec
	s_or_b64 s[38:39], s[0:1], s[38:39]
	;; [unrolled: 3-line block ×3, first 2 shown]
	s_orn2_b64 s[46:47], s[42:43], exec
.LBB47_1162:
	s_or_b64 exec, exec, s[34:35]
	s_mov_b64 s[42:43], 0
	s_mov_b64 s[36:37], 0
	;; [unrolled: 1-line block ×3, first 2 shown]
                                        ; implicit-def: $vgpr7
                                        ; implicit-def: $vgpr0_vgpr1
                                        ; implicit-def: $vgpr6
	s_and_saveexec_b64 s[34:35], s[46:47]
	s_cbranch_execz .LBB47_1246
; %bb.1163:
	v_cmp_gt_i32_e32 vcc, s33, v3
	s_mov_b64 s[46:47], 0
	s_mov_b64 s[48:49], s[0:1]
	;; [unrolled: 1-line block ×4, first 2 shown]
                                        ; implicit-def: $vgpr7
                                        ; implicit-def: $vgpr0_vgpr1
                                        ; implicit-def: $vgpr6
	s_and_saveexec_b64 s[36:37], vcc
	s_cbranch_execz .LBB47_1245
; %bb.1164:
	v_mul_lo_u32 v0, v3, s13
	v_ashrrev_i32_e32 v1, 31, v0
	s_waitcnt vmcnt(0)
	v_mov_b32_e32 v6, s11
	v_add_co_u32_e32 v0, vcc, s10, v0
	v_addc_co_u32_e32 v1, vcc, v6, v1, vcc
	v_and_b32_e32 v7, 0xff, v5
	v_cmp_gt_i16_e32 vcc, 11, v7
	s_cbranch_vccnz .LBB47_1171
; %bb.1165:
	v_cmp_lt_i16_e32 vcc, 25, v7
	s_cbranch_vccz .LBB47_1173
; %bb.1166:
	v_cmp_lt_i16_e32 vcc, 28, v7
	s_cbranch_vccz .LBB47_1174
	;; [unrolled: 3-line block ×4, first 2 shown]
; %bb.1169:
	v_cmp_eq_u16_e32 vcc, 46, v7
	s_mov_b64 s[48:49], 0
	s_cbranch_vccz .LBB47_1179
; %bb.1170:
	global_load_dword v5, v[0:1], off
	s_mov_b64 s[46:47], -1
	s_waitcnt vmcnt(0)
	v_lshlrev_b32_e32 v5, 16, v5
	v_cvt_f16_f32_e32 v6, v5
	s_branch .LBB47_1181
.LBB47_1171:
	s_mov_b64 s[48:49], -1
                                        ; implicit-def: $vgpr6
	s_mov_b64 s[42:43], s[0:1]
	s_branch .LBB47_1244
.LBB47_1172:
	s_mov_b64 s[42:43], 0
	s_branch .LBB47_914
.LBB47_1173:
	s_mov_b64 s[48:49], -1
	s_mov_b64 s[42:43], s[0:1]
                                        ; implicit-def: $vgpr6
	s_branch .LBB47_1210
.LBB47_1174:
	s_mov_b64 s[48:49], -1
	s_mov_b64 s[42:43], s[0:1]
                                        ; implicit-def: $vgpr6
	s_branch .LBB47_1191
.LBB47_1175:
	s_mov_b64 s[48:49], -1
	s_mov_b64 s[42:43], s[0:1]
                                        ; implicit-def: $vgpr6
	s_branch .LBB47_1186
.LBB47_1176:
	s_mov_b64 s[48:49], -1
	s_mov_b64 s[42:43], s[0:1]
	s_branch .LBB47_1180
.LBB47_1177:
	s_or_saveexec_b64 s[44:45], s[44:45]
                                        ; implicit-def: $sgpr15
	s_xor_b64 exec, exec, s[44:45]
	s_cbranch_execz .LBB47_1072
.LBB47_1178:
	s_mov_b32 s15, 0x46000000
	v_add_f32_e64 v8, |v7|, s15
	v_and_b32_e32 v8, 0xff, v8
	v_cmp_ne_u32_e32 vcc, 0, v8
	s_andn2_b64 s[42:43], s[42:43], exec
	s_and_b64 s[46:47], vcc, exec
	s_mov_b32 s15, 0
	s_or_b64 s[42:43], s[42:43], s[46:47]
	s_or_b64 exec, exec, s[44:45]
	v_mov_b32_e32 v9, s15
	s_and_saveexec_b64 s[44:45], s[42:43]
	s_cbranch_execnz .LBB47_1073
	s_branch .LBB47_1074
.LBB47_1179:
	s_mov_b64 s[42:43], -1
.LBB47_1180:
                                        ; implicit-def: $vgpr6
.LBB47_1181:
	s_and_b64 vcc, exec, s[48:49]
	s_cbranch_vccz .LBB47_1185
; %bb.1182:
	v_cmp_eq_u16_e32 vcc, 44, v7
	s_cbranch_vccz .LBB47_1184
; %bb.1183:
	global_load_ubyte v5, v[0:1], off
	s_movk_i32 s15, 0xff
	v_mov_b32_e32 v8, 0x7e00
	s_mov_b64 s[42:43], 0
	s_mov_b64 s[46:47], -1
	s_waitcnt vmcnt(0)
	v_lshlrev_b32_e32 v6, 23, v5
	v_cvt_f16_f32_e32 v6, v6
	v_cmp_ne_u32_e32 vcc, s15, v5
	v_cndmask_b32_e32 v6, v8, v6, vcc
	v_cmp_ne_u32_e32 vcc, 0, v5
	v_cndmask_b32_e32 v6, 0, v6, vcc
	s_branch .LBB47_1185
.LBB47_1184:
	s_mov_b64 s[42:43], -1
                                        ; implicit-def: $vgpr6
.LBB47_1185:
	s_mov_b64 s[48:49], 0
.LBB47_1186:
	s_and_b64 vcc, exec, s[48:49]
	s_cbranch_vccz .LBB47_1190
; %bb.1187:
	v_cmp_eq_u16_e32 vcc, 29, v7
	s_cbranch_vccz .LBB47_1189
; %bb.1188:
	global_load_dwordx2 v[8:9], v[0:1], off
	s_mov_b64 s[42:43], 0
	s_mov_b64 s[46:47], -1
	s_mov_b64 s[48:49], 0
	s_waitcnt vmcnt(0)
	v_ffbh_u32_e32 v5, v9
	v_min_u32_e32 v5, 32, v5
	v_lshlrev_b64 v[8:9], v5, v[8:9]
	v_min_u32_e32 v6, 1, v8
	v_or_b32_e32 v6, v9, v6
	v_cvt_f32_u32_e32 v6, v6
	v_sub_u32_e32 v5, 32, v5
	v_ldexp_f32 v5, v6, v5
	v_cvt_f16_f32_e32 v6, v5
	s_branch .LBB47_1191
.LBB47_1189:
	s_mov_b64 s[42:43], -1
                                        ; implicit-def: $vgpr6
.LBB47_1190:
	s_mov_b64 s[48:49], 0
.LBB47_1191:
	s_and_b64 vcc, exec, s[48:49]
	s_cbranch_vccz .LBB47_1209
; %bb.1192:
	v_cmp_gt_i16_e32 vcc, 27, v7
	s_cbranch_vccnz .LBB47_1195
; %bb.1193:
	v_cmp_lt_i16_e32 vcc, 27, v7
	s_cbranch_vccz .LBB47_1196
; %bb.1194:
	global_load_dword v5, v[0:1], off
	s_mov_b64 s[46:47], 0
	s_waitcnt vmcnt(0)
	v_cvt_f32_u32_e32 v5, v5
	v_cvt_f16_f32_e32 v6, v5
	s_branch .LBB47_1197
.LBB47_1195:
	s_mov_b64 s[46:47], -1
                                        ; implicit-def: $vgpr6
	s_branch .LBB47_1200
.LBB47_1196:
	s_mov_b64 s[46:47], -1
                                        ; implicit-def: $vgpr6
.LBB47_1197:
	s_andn2_b64 vcc, exec, s[46:47]
	s_cbranch_vccnz .LBB47_1199
; %bb.1198:
	global_load_ushort v5, v[0:1], off
	s_waitcnt vmcnt(0)
	v_cvt_f16_u16_e32 v6, v5
.LBB47_1199:
	s_mov_b64 s[46:47], 0
.LBB47_1200:
	s_andn2_b64 vcc, exec, s[46:47]
	s_cbranch_vccnz .LBB47_1208
; %bb.1201:
	global_load_ubyte v5, v[0:1], off
	s_movk_i32 s15, 0x7f
	s_mov_b64 s[46:47], 0
	s_waitcnt vmcnt(0)
	v_cmp_lt_i16_e32 vcc, s15, v5
                                        ; implicit-def: $sgpr15
	s_and_saveexec_b64 s[48:49], vcc
	s_xor_b64 s[48:49], exec, s[48:49]
	s_cbranch_execz .LBB47_1222
; %bb.1202:
	s_movk_i32 s15, 0x80
	v_cmp_eq_u16_e32 vcc, s15, v5
	s_mov_b64 s[46:47], -1
                                        ; implicit-def: $sgpr15
	s_and_saveexec_b64 s[50:51], vcc
; %bb.1203:
	s_movk_i32 s15, 0x7e00
	s_xor_b64 s[46:47], exec, -1
; %bb.1204:
	s_or_b64 exec, exec, s[50:51]
	s_and_b64 s[46:47], s[46:47], exec
	s_or_saveexec_b64 s[48:49], s[48:49]
	v_mov_b32_e32 v6, s15
	s_xor_b64 exec, exec, s[48:49]
	s_cbranch_execnz .LBB47_1223
.LBB47_1205:
	s_or_b64 exec, exec, s[48:49]
	s_and_saveexec_b64 s[48:49], s[46:47]
	s_cbranch_execz .LBB47_1207
.LBB47_1206:
	v_lshlrev_b32_e32 v6, 24, v5
	v_and_b32_e32 v5, 0xffff, v5
	v_and_b32_e32 v8, 7, v5
	v_ffbh_u32_e32 v10, v8
	v_min_u32_e32 v10, 32, v10
	v_subrev_u32_e32 v11, 28, v10
	v_bfe_u32 v9, v5, 3, 4
	v_lshlrev_b32_e32 v5, v11, v5
	v_sub_u32_e32 v10, 29, v10
	v_and_b32_e32 v5, 7, v5
	v_cmp_eq_u32_e32 vcc, 0, v9
	v_cndmask_b32_e32 v9, v9, v10, vcc
	v_cndmask_b32_e32 v5, v8, v5, vcc
	v_mov_b32_e32 v8, 0x3b800000
	v_lshlrev_b32_e32 v5, 20, v5
	v_and_b32_e32 v6, 0x80000000, v6
	v_lshl_add_u32 v8, v9, 23, v8
	v_or3_b32 v5, v6, v8, v5
	v_cvt_f16_f32_e32 v6, v5
.LBB47_1207:
	s_or_b64 exec, exec, s[48:49]
.LBB47_1208:
	s_mov_b64 s[46:47], -1
.LBB47_1209:
	s_mov_b64 s[48:49], 0
.LBB47_1210:
	s_and_b64 vcc, exec, s[48:49]
	s_cbranch_vccz .LBB47_1243
; %bb.1211:
	v_cmp_lt_i16_e32 vcc, 22, v7
	s_cbranch_vccz .LBB47_1221
; %bb.1212:
	v_cmp_gt_i16_e32 vcc, 24, v7
	s_cbranch_vccnz .LBB47_1224
; %bb.1213:
	v_cmp_lt_i16_e32 vcc, 24, v7
	s_cbranch_vccz .LBB47_1225
; %bb.1214:
	global_load_ubyte v5, v[0:1], off
	s_movk_i32 s15, 0x7f
	s_waitcnt vmcnt(0)
	v_cmp_lt_i16_e32 vcc, s15, v5
                                        ; implicit-def: $sgpr15
	s_and_saveexec_b64 s[46:47], vcc
	s_xor_b64 s[46:47], exec, s[46:47]
	s_cbranch_execz .LBB47_1237
; %bb.1215:
	s_movk_i32 s15, 0x80
	v_cmp_eq_u16_e32 vcc, s15, v5
	s_mov_b64 s[44:45], -1
                                        ; implicit-def: $sgpr15
	s_and_saveexec_b64 s[48:49], vcc
; %bb.1216:
	s_movk_i32 s15, 0x7e00
	s_xor_b64 s[44:45], exec, -1
; %bb.1217:
	s_or_b64 exec, exec, s[48:49]
	s_and_b64 s[44:45], s[44:45], exec
	s_or_saveexec_b64 s[46:47], s[46:47]
	v_mov_b32_e32 v6, s15
	s_xor_b64 exec, exec, s[46:47]
	s_cbranch_execnz .LBB47_1238
.LBB47_1218:
	s_or_b64 exec, exec, s[46:47]
	s_and_saveexec_b64 s[46:47], s[44:45]
	s_cbranch_execz .LBB47_1220
.LBB47_1219:
	v_lshlrev_b32_e32 v6, 24, v5
	v_and_b32_e32 v5, 0xffff, v5
	v_and_b32_e32 v8, 3, v5
	v_ffbh_u32_e32 v10, v8
	v_min_u32_e32 v10, 32, v10
	v_subrev_u32_e32 v11, 29, v10
	v_bfe_u32 v9, v5, 2, 5
	v_lshlrev_b32_e32 v5, v11, v5
	v_sub_u32_e32 v10, 30, v10
	v_and_b32_e32 v5, 3, v5
	v_cmp_eq_u32_e32 vcc, 0, v9
	v_cndmask_b32_e32 v9, v9, v10, vcc
	v_cndmask_b32_e32 v5, v8, v5, vcc
	v_mov_b32_e32 v8, 0x37800000
	v_lshlrev_b32_e32 v5, 21, v5
	v_and_b32_e32 v6, 0x80000000, v6
	v_lshl_add_u32 v8, v9, 23, v8
	v_or3_b32 v5, v6, v8, v5
	v_cvt_f16_f32_e32 v6, v5
.LBB47_1220:
	s_or_b64 exec, exec, s[46:47]
	s_mov_b64 s[44:45], 0
	s_branch .LBB47_1226
.LBB47_1221:
	s_mov_b64 s[44:45], -1
                                        ; implicit-def: $vgpr6
	s_branch .LBB47_1232
.LBB47_1222:
	s_or_saveexec_b64 s[48:49], s[48:49]
	v_mov_b32_e32 v6, s15
	s_xor_b64 exec, exec, s[48:49]
	s_cbranch_execz .LBB47_1205
.LBB47_1223:
	v_cmp_ne_u16_e32 vcc, 0, v5
	s_andn2_b64 s[46:47], s[46:47], exec
	s_and_b64 s[50:51], vcc, exec
	s_or_b64 s[46:47], s[46:47], s[50:51]
	v_mov_b32_e32 v6, v5
	s_or_b64 exec, exec, s[48:49]
	s_and_saveexec_b64 s[48:49], s[46:47]
	s_cbranch_execnz .LBB47_1206
	s_branch .LBB47_1207
.LBB47_1224:
	s_mov_b64 s[44:45], -1
                                        ; implicit-def: $vgpr6
	s_branch .LBB47_1229
.LBB47_1225:
	s_mov_b64 s[44:45], -1
                                        ; implicit-def: $vgpr6
.LBB47_1226:
	s_and_b64 vcc, exec, s[44:45]
	s_cbranch_vccz .LBB47_1228
; %bb.1227:
	global_load_ubyte v5, v[0:1], off
	s_mov_b32 s15, 0x7f800000
	s_waitcnt vmcnt(0)
	v_lshlrev_b32_e32 v5, 24, v5
	v_and_b32_e32 v6, 0x7f000000, v5
	v_ffbh_u32_e32 v8, v6
	v_min_u32_e32 v8, 32, v8
	v_sub_u32_e64 v8, v8, 4 clamp
	v_lshlrev_b32_e32 v10, v8, v6
	v_lshlrev_b32_e32 v8, 23, v8
	v_lshrrev_b32_e32 v10, 4, v10
	v_add_u32_e32 v9, 0x1000000, v6
	v_sub_u32_e32 v8, v10, v8
	v_ashrrev_i32_e32 v9, 8, v9
	v_add_u32_e32 v8, 0x3c000000, v8
	v_and_or_b32 v8, v9, s15, v8
	v_cmp_ne_u32_e32 vcc, 0, v6
	v_cndmask_b32_e32 v6, 0, v8, vcc
	s_brev_b32 s15, 1
	v_and_or_b32 v5, v5, s15, v6
	v_cvt_f16_f32_e32 v6, v5
.LBB47_1228:
	s_mov_b64 s[44:45], 0
.LBB47_1229:
	s_andn2_b64 vcc, exec, s[44:45]
	s_cbranch_vccnz .LBB47_1231
; %bb.1230:
	global_load_ubyte v5, v[0:1], off
	s_movk_i32 s15, 0x7f00
	s_brev_b32 s33, 16
	s_waitcnt vmcnt(0)
	v_lshlrev_b16_e32 v6, 8, v5
	v_lshlrev_b32_e32 v5, 25, v5
	v_lshrrev_b32_e32 v8, 4, v5
	v_and_or_b32 v9, v6, s15, 0.5
	v_or_b32_e32 v8, 0x70000000, v8
	v_add_f32_e32 v9, -0.5, v9
	v_mul_f32_e32 v8, 0x7800000, v8
	v_cmp_gt_u32_e32 vcc, s33, v5
	v_bfe_i32 v6, v6, 0, 16
	v_cndmask_b32_e32 v5, v8, v9, vcc
	s_brev_b32 s15, 1
	v_and_or_b32 v5, v6, s15, v5
	v_cvt_f16_f32_e32 v6, v5
.LBB47_1231:
	s_mov_b64 s[44:45], 0
	s_mov_b64 s[46:47], -1
.LBB47_1232:
	s_andn2_b64 vcc, exec, s[44:45]
	s_mov_b64 s[44:45], 0
	s_cbranch_vccnz .LBB47_1243
; %bb.1233:
	v_cmp_lt_i16_e32 vcc, 14, v7
	s_cbranch_vccz .LBB47_1236
; %bb.1234:
	v_cmp_eq_u16_e32 vcc, 15, v7
	s_cbranch_vccz .LBB47_1239
; %bb.1235:
	global_load_ushort v5, v[0:1], off
	s_mov_b64 s[42:43], 0
	s_mov_b64 s[46:47], -1
	s_waitcnt vmcnt(0)
	v_lshlrev_b32_e32 v5, 16, v5
	v_cvt_f16_f32_e32 v6, v5
	s_branch .LBB47_1240
.LBB47_1236:
	s_mov_b64 s[48:49], -1
                                        ; implicit-def: $vgpr6
	s_branch .LBB47_1241
.LBB47_1237:
	s_or_saveexec_b64 s[46:47], s[46:47]
	v_mov_b32_e32 v6, s15
	s_xor_b64 exec, exec, s[46:47]
	s_cbranch_execz .LBB47_1218
.LBB47_1238:
	v_cmp_ne_u16_e32 vcc, 0, v5
	s_andn2_b64 s[44:45], s[44:45], exec
	s_and_b64 s[48:49], vcc, exec
	s_or_b64 s[44:45], s[44:45], s[48:49]
	v_mov_b32_e32 v6, v5
	s_or_b64 exec, exec, s[46:47]
	s_and_saveexec_b64 s[46:47], s[44:45]
	s_cbranch_execnz .LBB47_1219
	s_branch .LBB47_1220
.LBB47_1239:
	s_mov_b64 s[42:43], -1
                                        ; implicit-def: $vgpr6
.LBB47_1240:
	s_mov_b64 s[48:49], 0
.LBB47_1241:
	s_and_b64 vcc, exec, s[48:49]
	s_cbranch_vccz .LBB47_1243
; %bb.1242:
	v_cmp_ne_u16_e32 vcc, 11, v7
	s_andn2_b64 s[42:43], s[42:43], exec
	s_and_b64 s[48:49], vcc, exec
	s_mov_b64 s[44:45], -1
	s_or_b64 s[42:43], s[42:43], s[48:49]
                                        ; implicit-def: $vgpr6
.LBB47_1243:
	s_mov_b64 s[48:49], 0
.LBB47_1244:
	s_and_b64 s[52:53], s[46:47], exec
	s_and_b64 s[46:47], s[44:45], exec
	s_andn2_b64 s[44:45], s[0:1], exec
	s_and_b64 s[42:43], s[42:43], exec
	s_and_b64 s[50:51], s[48:49], exec
	s_or_b64 s[48:49], s[44:45], s[42:43]
.LBB47_1245:
	s_or_b64 exec, exec, s[36:37]
	s_and_b64 s[42:43], s[46:47], exec
	s_andn2_b64 s[0:1], s[0:1], exec
	s_and_b64 s[46:47], s[48:49], exec
	s_and_b64 s[44:45], s[52:53], exec
	;; [unrolled: 1-line block ×3, first 2 shown]
	s_or_b64 s[0:1], s[0:1], s[46:47]
.LBB47_1246:
	s_or_b64 exec, exec, s[34:35]
	s_andn2_b64 s[28:29], s[28:29], exec
	s_and_b64 s[34:35], s[40:41], exec
	s_or_b64 s[28:29], s[28:29], s[34:35]
	s_andn2_b64 s[26:27], s[26:27], exec
	s_and_b64 s[34:35], s[38:39], exec
	s_andn2_b64 s[24:25], s[24:25], exec
	s_and_b64 s[0:1], s[0:1], exec
	s_or_b64 s[26:27], s[26:27], s[34:35]
	s_and_b64 s[38:39], s[44:45], exec
	s_and_b64 s[36:37], s[36:37], exec
	;; [unrolled: 1-line block ×3, first 2 shown]
	s_or_b64 s[24:25], s[24:25], s[0:1]
.LBB47_1247:
	s_or_b64 exec, exec, s[30:31]
	s_andn2_b64 s[0:1], s[6:7], exec
	s_and_b64 s[6:7], s[28:29], exec
	s_or_b64 s[6:7], s[0:1], s[6:7]
	s_andn2_b64 s[0:1], s[18:19], exec
	s_and_b64 s[18:19], s[26:27], exec
	s_or_b64 s[18:19], s[0:1], s[18:19]
	s_andn2_b64 s[0:1], s[20:21], exec
	s_and_b64 s[20:21], s[24:25], exec
	s_and_b64 s[28:29], s[38:39], exec
	;; [unrolled: 1-line block ×4, first 2 shown]
	s_or_b64 s[20:21], s[0:1], s[20:21]
	s_or_b64 exec, exec, s[22:23]
	s_mov_b64 s[22:23], 0
	s_and_saveexec_b64 s[0:1], s[20:21]
	s_cbranch_execz .LBB47_393
.LBB47_1248:
	s_mov_b64 s[22:23], exec
	s_andn2_b64 s[26:27], s[26:27], exec
	s_trap 2
                                        ; implicit-def: $vgpr6
	s_or_b64 exec, exec, s[0:1]
	s_and_saveexec_b64 s[0:1], s[26:27]
	s_xor_b64 s[0:1], exec, s[0:1]
	s_cbranch_execnz .LBB47_394
.LBB47_1249:
	s_or_b64 exec, exec, s[0:1]
	s_and_saveexec_b64 s[0:1], s[30:31]
	s_cbranch_execz .LBB47_1295
.LBB47_1250:
	s_waitcnt vmcnt(0)
	v_cmp_gt_i16_e32 vcc, 5, v7
	s_cbranch_vccnz .LBB47_1255
; %bb.1251:
	v_cmp_gt_i16_e32 vcc, 8, v7
	s_cbranch_vccnz .LBB47_1256
; %bb.1252:
	;; [unrolled: 3-line block ×3, first 2 shown]
	v_cmp_lt_i16_e32 vcc, 9, v7
	s_cbranch_vccz .LBB47_1258
; %bb.1254:
	global_load_dwordx2 v[8:9], v[0:1], off
	s_mov_b64 s[20:21], 0
	s_waitcnt vmcnt(0)
	v_cvt_f32_f64_e32 v5, v[8:9]
	v_cvt_f16_f32_e32 v6, v5
	s_branch .LBB47_1259
.LBB47_1255:
                                        ; implicit-def: $vgpr6
	s_branch .LBB47_1276
.LBB47_1256:
                                        ; implicit-def: $vgpr6
	s_branch .LBB47_1265
.LBB47_1257:
	s_mov_b64 s[20:21], -1
                                        ; implicit-def: $vgpr6
	s_branch .LBB47_1262
.LBB47_1258:
	s_mov_b64 s[20:21], -1
                                        ; implicit-def: $vgpr6
.LBB47_1259:
	s_andn2_b64 vcc, exec, s[20:21]
	s_cbranch_vccnz .LBB47_1261
; %bb.1260:
	global_load_dword v5, v[0:1], off
	s_waitcnt vmcnt(0)
	v_cvt_f16_f32_e32 v6, v5
.LBB47_1261:
	s_mov_b64 s[20:21], 0
.LBB47_1262:
	s_andn2_b64 vcc, exec, s[20:21]
	s_cbranch_vccnz .LBB47_1264
; %bb.1263:
	global_load_dword v6, v[0:1], off
.LBB47_1264:
	s_cbranch_execnz .LBB47_1275
.LBB47_1265:
	v_cmp_gt_i16_e32 vcc, 6, v7
	s_cbranch_vccnz .LBB47_1268
; %bb.1266:
	v_cmp_lt_i16_e32 vcc, 6, v7
	s_cbranch_vccz .LBB47_1269
; %bb.1267:
	global_load_dwordx2 v[8:9], v[0:1], off
	s_mov_b64 s[20:21], 0
	s_waitcnt vmcnt(0)
	v_cvt_f32_f64_e32 v5, v[8:9]
	v_cvt_f16_f32_e32 v6, v5
	s_branch .LBB47_1270
.LBB47_1268:
	s_mov_b64 s[20:21], -1
                                        ; implicit-def: $vgpr6
	s_branch .LBB47_1273
.LBB47_1269:
	s_mov_b64 s[20:21], -1
                                        ; implicit-def: $vgpr6
.LBB47_1270:
	s_andn2_b64 vcc, exec, s[20:21]
	s_cbranch_vccnz .LBB47_1272
; %bb.1271:
	global_load_dword v5, v[0:1], off
	s_waitcnt vmcnt(0)
	v_cvt_f16_f32_e32 v6, v5
.LBB47_1272:
	s_mov_b64 s[20:21], 0
.LBB47_1273:
	s_andn2_b64 vcc, exec, s[20:21]
	s_cbranch_vccnz .LBB47_1275
; %bb.1274:
	global_load_ushort v6, v[0:1], off
.LBB47_1275:
	s_cbranch_execnz .LBB47_1294
.LBB47_1276:
	v_cmp_gt_i16_e32 vcc, 2, v7
	s_cbranch_vccnz .LBB47_1280
; %bb.1277:
	v_cmp_gt_i16_e32 vcc, 3, v7
	s_cbranch_vccnz .LBB47_1281
; %bb.1278:
	v_cmp_lt_i16_e32 vcc, 3, v7
	s_cbranch_vccz .LBB47_1282
; %bb.1279:
	global_load_dwordx2 v[8:9], v[0:1], off
	s_mov_b64 s[20:21], 0
	s_waitcnt vmcnt(0)
	v_xor_b32_e32 v6, v8, v9
	v_ffbh_i32_e32 v5, v9
	v_ashrrev_i32_e32 v6, 31, v6
	v_add_u32_e32 v5, -1, v5
	v_add_u32_e32 v6, 32, v6
	v_min_u32_e32 v5, v5, v6
	v_lshlrev_b64 v[8:9], v5, v[8:9]
	v_min_u32_e32 v6, 1, v8
	v_or_b32_e32 v6, v9, v6
	v_cvt_f32_i32_e32 v6, v6
	v_sub_u32_e32 v5, 32, v5
	v_ldexp_f32 v5, v6, v5
	v_cvt_f16_f32_e32 v6, v5
	s_branch .LBB47_1283
.LBB47_1280:
                                        ; implicit-def: $vgpr6
	s_branch .LBB47_1289
.LBB47_1281:
	s_mov_b64 s[20:21], -1
                                        ; implicit-def: $vgpr6
	s_branch .LBB47_1286
.LBB47_1282:
	s_mov_b64 s[20:21], -1
                                        ; implicit-def: $vgpr6
.LBB47_1283:
	s_andn2_b64 vcc, exec, s[20:21]
	s_cbranch_vccnz .LBB47_1285
; %bb.1284:
	global_load_dword v5, v[0:1], off
	s_waitcnt vmcnt(0)
	v_cvt_f32_i32_e32 v5, v5
	v_cvt_f16_f32_e32 v6, v5
.LBB47_1285:
	s_mov_b64 s[20:21], 0
.LBB47_1286:
	s_andn2_b64 vcc, exec, s[20:21]
	s_cbranch_vccnz .LBB47_1288
; %bb.1287:
	global_load_ushort v5, v[0:1], off
	s_waitcnt vmcnt(0)
	v_cvt_f16_i16_e32 v6, v5
.LBB47_1288:
	s_cbranch_execnz .LBB47_1294
.LBB47_1289:
	v_cmp_lt_i16_e32 vcc, 0, v7
	s_cbranch_vccz .LBB47_1291
; %bb.1290:
	global_load_sbyte v5, v[0:1], off
	s_mov_b64 s[20:21], 0
	s_waitcnt vmcnt(0)
	v_cvt_f16_i16_e32 v6, v5
	s_branch .LBB47_1292
.LBB47_1291:
	s_mov_b64 s[20:21], -1
                                        ; implicit-def: $vgpr6
.LBB47_1292:
	s_andn2_b64 vcc, exec, s[20:21]
	s_cbranch_vccnz .LBB47_1294
; %bb.1293:
	global_load_ubyte v0, v[0:1], off
	s_waitcnt vmcnt(0)
	v_cvt_f16_u16_e32 v6, v0
.LBB47_1294:
	s_or_b64 s[28:29], s[28:29], exec
.LBB47_1295:
	s_or_b64 exec, exec, s[0:1]
	s_mov_b64 s[24:25], 0
	s_mov_b64 s[30:31], 0
	;; [unrolled: 1-line block ×3, first 2 shown]
                                        ; implicit-def: $vgpr5
                                        ; implicit-def: $vgpr0_vgpr1
                                        ; implicit-def: $vgpr7
	s_and_saveexec_b64 s[0:1], s[28:29]
	s_cbranch_execz .LBB47_1303
; %bb.1296:
	v_mul_lo_u32 v0, v3, s14
	v_ashrrev_i32_e32 v1, 31, v0
	v_mov_b32_e32 v5, s3
	v_add_co_u32_e32 v0, vcc, s2, v0
	v_addc_co_u32_e32 v1, vcc, v5, v1, vcc
	s_waitcnt vmcnt(0)
	v_and_b32_e32 v5, 0xff, v4
	v_cmp_gt_i16_e32 vcc, 11, v5
	s_cbranch_vccnz .LBB47_1306
; %bb.1297:
	v_cmp_lt_i16_e32 vcc, 25, v5
	s_cbranch_vccz .LBB47_1307
; %bb.1298:
	v_cmp_lt_i16_e32 vcc, 28, v5
	s_cbranch_vccz .LBB47_1308
	;; [unrolled: 3-line block ×4, first 2 shown]
; %bb.1301:
	v_cmp_eq_u16_e32 vcc, 46, v5
	s_mov_b64 s[28:29], 0
	s_cbranch_vccz .LBB47_1311
; %bb.1302:
	global_load_dword v4, v[0:1], off
	s_mov_b64 s[20:21], 0
	s_mov_b64 s[26:27], -1
	s_waitcnt vmcnt(0)
	v_lshlrev_b32_e32 v4, 16, v4
	v_cvt_f16_f32_e32 v7, v4
	s_branch .LBB47_1313
.LBB47_1303:
	s_or_b64 exec, exec, s[0:1]
	s_and_saveexec_b64 s[0:1], s[18:19]
	s_cbranch_execnz .LBB47_1376
.LBB47_1304:
	s_or_b64 exec, exec, s[0:1]
	s_and_saveexec_b64 s[0:1], s[24:25]
	s_xor_b64 s[0:1], exec, s[0:1]
	s_cbranch_execz .LBB47_1377
.LBB47_1305:
	global_load_ubyte v4, v[0:1], off
	s_waitcnt vmcnt(1)
	v_mov_b32_e32 v7, 0x3c00
	s_or_b64 s[26:27], s[26:27], exec
	s_waitcnt vmcnt(0)
	v_cmp_ne_u16_e32 vcc, 0, v4
	v_cndmask_b32_e32 v7, 0, v7, vcc
	s_or_b64 exec, exec, s[0:1]
	s_and_saveexec_b64 s[0:1], s[30:31]
	s_cbranch_execz .LBB47_1423
	s_branch .LBB47_1378
.LBB47_1306:
	s_mov_b64 s[28:29], -1
                                        ; implicit-def: $vgpr7
	s_mov_b64 s[20:21], s[18:19]
	s_branch .LBB47_1375
.LBB47_1307:
	s_mov_b64 s[20:21], s[18:19]
                                        ; implicit-def: $vgpr7
	s_cbranch_execnz .LBB47_1342
	s_branch .LBB47_1374
.LBB47_1308:
	s_mov_b64 s[28:29], -1
	s_mov_b64 s[20:21], s[18:19]
                                        ; implicit-def: $vgpr7
	s_branch .LBB47_1323
.LBB47_1309:
	s_mov_b64 s[28:29], -1
	s_mov_b64 s[20:21], s[18:19]
                                        ; implicit-def: $vgpr7
	s_branch .LBB47_1318
.LBB47_1310:
	s_mov_b64 s[28:29], -1
	s_mov_b64 s[20:21], s[18:19]
	s_branch .LBB47_1312
.LBB47_1311:
	s_mov_b64 s[20:21], -1
.LBB47_1312:
                                        ; implicit-def: $vgpr7
.LBB47_1313:
	s_and_b64 vcc, exec, s[28:29]
	s_cbranch_vccz .LBB47_1317
; %bb.1314:
	v_cmp_eq_u16_e32 vcc, 44, v5
	s_cbranch_vccz .LBB47_1316
; %bb.1315:
	global_load_ubyte v4, v[0:1], off
	s_movk_i32 s15, 0xff
	v_mov_b32_e32 v8, 0x7e00
	s_mov_b64 s[20:21], 0
	s_mov_b64 s[26:27], -1
	s_waitcnt vmcnt(0)
	v_lshlrev_b32_e32 v7, 23, v4
	v_cvt_f16_f32_e32 v7, v7
	v_cmp_ne_u32_e32 vcc, s15, v4
	v_cndmask_b32_e32 v7, v8, v7, vcc
	v_cmp_ne_u32_e32 vcc, 0, v4
	v_cndmask_b32_e32 v7, 0, v7, vcc
	s_branch .LBB47_1317
.LBB47_1316:
	s_mov_b64 s[20:21], -1
                                        ; implicit-def: $vgpr7
.LBB47_1317:
	s_mov_b64 s[28:29], 0
.LBB47_1318:
	s_and_b64 vcc, exec, s[28:29]
	s_cbranch_vccz .LBB47_1322
; %bb.1319:
	v_cmp_eq_u16_e32 vcc, 29, v5
	s_cbranch_vccz .LBB47_1321
; %bb.1320:
	global_load_dwordx2 v[8:9], v[0:1], off
	s_mov_b64 s[20:21], 0
	s_mov_b64 s[26:27], -1
	s_mov_b64 s[28:29], 0
	s_waitcnt vmcnt(0)
	v_ffbh_u32_e32 v4, v9
	v_min_u32_e32 v4, 32, v4
	v_lshlrev_b64 v[8:9], v4, v[8:9]
	v_min_u32_e32 v7, 1, v8
	v_or_b32_e32 v7, v9, v7
	v_cvt_f32_u32_e32 v7, v7
	v_sub_u32_e32 v4, 32, v4
	v_ldexp_f32 v4, v7, v4
	v_cvt_f16_f32_e32 v7, v4
	s_branch .LBB47_1323
.LBB47_1321:
	s_mov_b64 s[20:21], -1
                                        ; implicit-def: $vgpr7
.LBB47_1322:
	s_mov_b64 s[28:29], 0
.LBB47_1323:
	s_and_b64 vcc, exec, s[28:29]
	s_cbranch_vccz .LBB47_1341
; %bb.1324:
	v_cmp_gt_i16_e32 vcc, 27, v5
	s_cbranch_vccnz .LBB47_1327
; %bb.1325:
	v_cmp_lt_i16_e32 vcc, 27, v5
	s_cbranch_vccz .LBB47_1328
; %bb.1326:
	global_load_dword v4, v[0:1], off
	s_mov_b64 s[26:27], 0
	s_waitcnt vmcnt(0)
	v_cvt_f32_u32_e32 v4, v4
	v_cvt_f16_f32_e32 v7, v4
	s_branch .LBB47_1329
.LBB47_1327:
	s_mov_b64 s[26:27], -1
                                        ; implicit-def: $vgpr7
	s_branch .LBB47_1332
.LBB47_1328:
	s_mov_b64 s[26:27], -1
                                        ; implicit-def: $vgpr7
.LBB47_1329:
	s_andn2_b64 vcc, exec, s[26:27]
	s_cbranch_vccnz .LBB47_1331
; %bb.1330:
	global_load_ushort v4, v[0:1], off
	s_waitcnt vmcnt(0)
	v_cvt_f16_u16_e32 v7, v4
.LBB47_1331:
	s_mov_b64 s[26:27], 0
.LBB47_1332:
	s_andn2_b64 vcc, exec, s[26:27]
	s_cbranch_vccnz .LBB47_1340
; %bb.1333:
	global_load_ubyte v4, v[0:1], off
	s_movk_i32 s15, 0x7f
	s_mov_b64 s[26:27], 0
	s_waitcnt vmcnt(0)
	v_cmp_lt_i16_e32 vcc, s15, v4
                                        ; implicit-def: $sgpr15
	s_and_saveexec_b64 s[28:29], vcc
	s_xor_b64 s[28:29], exec, s[28:29]
	s_cbranch_execz .LBB47_1353
; %bb.1334:
	s_movk_i32 s15, 0x80
	v_cmp_eq_u16_e32 vcc, s15, v4
	s_mov_b64 s[26:27], -1
                                        ; implicit-def: $sgpr15
	s_and_saveexec_b64 s[30:31], vcc
; %bb.1335:
	s_movk_i32 s15, 0x7e00
	s_xor_b64 s[26:27], exec, -1
; %bb.1336:
	s_or_b64 exec, exec, s[30:31]
	s_and_b64 s[26:27], s[26:27], exec
	s_or_saveexec_b64 s[28:29], s[28:29]
	v_mov_b32_e32 v7, s15
	s_xor_b64 exec, exec, s[28:29]
	s_cbranch_execnz .LBB47_1354
.LBB47_1337:
	s_or_b64 exec, exec, s[28:29]
	s_and_saveexec_b64 s[28:29], s[26:27]
	s_cbranch_execz .LBB47_1339
.LBB47_1338:
	v_lshlrev_b32_e32 v7, 24, v4
	v_and_b32_e32 v4, 0xffff, v4
	v_and_b32_e32 v8, 7, v4
	v_ffbh_u32_e32 v10, v8
	v_min_u32_e32 v10, 32, v10
	v_subrev_u32_e32 v11, 28, v10
	v_bfe_u32 v9, v4, 3, 4
	v_lshlrev_b32_e32 v4, v11, v4
	v_sub_u32_e32 v10, 29, v10
	v_and_b32_e32 v4, 7, v4
	v_cmp_eq_u32_e32 vcc, 0, v9
	v_cndmask_b32_e32 v9, v9, v10, vcc
	v_cndmask_b32_e32 v4, v8, v4, vcc
	v_mov_b32_e32 v8, 0x3b800000
	v_lshlrev_b32_e32 v4, 20, v4
	v_and_b32_e32 v7, 0x80000000, v7
	v_lshl_add_u32 v8, v9, 23, v8
	v_or3_b32 v4, v7, v8, v4
	v_cvt_f16_f32_e32 v7, v4
.LBB47_1339:
	s_or_b64 exec, exec, s[28:29]
.LBB47_1340:
	s_mov_b64 s[26:27], -1
.LBB47_1341:
	s_branch .LBB47_1374
.LBB47_1342:
	v_cmp_lt_i16_e32 vcc, 22, v5
	s_cbranch_vccz .LBB47_1352
; %bb.1343:
	v_cmp_gt_i16_e32 vcc, 24, v5
	s_cbranch_vccnz .LBB47_1355
; %bb.1344:
	v_cmp_lt_i16_e32 vcc, 24, v5
	s_cbranch_vccz .LBB47_1356
; %bb.1345:
	global_load_ubyte v4, v[0:1], off
	s_movk_i32 s15, 0x7f
	s_waitcnt vmcnt(0)
	v_cmp_lt_i16_e32 vcc, s15, v4
                                        ; implicit-def: $sgpr15
	s_and_saveexec_b64 s[26:27], vcc
	s_xor_b64 s[26:27], exec, s[26:27]
	s_cbranch_execz .LBB47_1368
; %bb.1346:
	s_movk_i32 s15, 0x80
	v_cmp_eq_u16_e32 vcc, s15, v4
	s_mov_b64 s[24:25], -1
                                        ; implicit-def: $sgpr15
	s_and_saveexec_b64 s[28:29], vcc
; %bb.1347:
	s_movk_i32 s15, 0x7e00
	s_xor_b64 s[24:25], exec, -1
; %bb.1348:
	s_or_b64 exec, exec, s[28:29]
	s_and_b64 s[24:25], s[24:25], exec
	s_or_saveexec_b64 s[26:27], s[26:27]
	v_mov_b32_e32 v7, s15
	s_xor_b64 exec, exec, s[26:27]
	s_cbranch_execnz .LBB47_1369
.LBB47_1349:
	s_or_b64 exec, exec, s[26:27]
	s_and_saveexec_b64 s[26:27], s[24:25]
	s_cbranch_execz .LBB47_1351
.LBB47_1350:
	v_lshlrev_b32_e32 v7, 24, v4
	v_and_b32_e32 v4, 0xffff, v4
	v_and_b32_e32 v8, 3, v4
	v_ffbh_u32_e32 v10, v8
	v_min_u32_e32 v10, 32, v10
	v_subrev_u32_e32 v11, 29, v10
	v_bfe_u32 v9, v4, 2, 5
	v_lshlrev_b32_e32 v4, v11, v4
	v_sub_u32_e32 v10, 30, v10
	v_and_b32_e32 v4, 3, v4
	v_cmp_eq_u32_e32 vcc, 0, v9
	v_cndmask_b32_e32 v9, v9, v10, vcc
	v_cndmask_b32_e32 v4, v8, v4, vcc
	v_mov_b32_e32 v8, 0x37800000
	v_lshlrev_b32_e32 v4, 21, v4
	v_and_b32_e32 v7, 0x80000000, v7
	v_lshl_add_u32 v8, v9, 23, v8
	v_or3_b32 v4, v7, v8, v4
	v_cvt_f16_f32_e32 v7, v4
.LBB47_1351:
	s_or_b64 exec, exec, s[26:27]
	s_mov_b64 s[24:25], 0
	s_branch .LBB47_1357
.LBB47_1352:
	s_mov_b64 s[24:25], -1
                                        ; implicit-def: $vgpr7
	s_branch .LBB47_1363
.LBB47_1353:
	s_or_saveexec_b64 s[28:29], s[28:29]
	v_mov_b32_e32 v7, s15
	s_xor_b64 exec, exec, s[28:29]
	s_cbranch_execz .LBB47_1337
.LBB47_1354:
	v_cmp_ne_u16_e32 vcc, 0, v4
	s_andn2_b64 s[26:27], s[26:27], exec
	s_and_b64 s[30:31], vcc, exec
	s_or_b64 s[26:27], s[26:27], s[30:31]
	v_mov_b32_e32 v7, v4
	s_or_b64 exec, exec, s[28:29]
	s_and_saveexec_b64 s[28:29], s[26:27]
	s_cbranch_execnz .LBB47_1338
	s_branch .LBB47_1339
.LBB47_1355:
	s_mov_b64 s[24:25], -1
                                        ; implicit-def: $vgpr7
	s_branch .LBB47_1360
.LBB47_1356:
	s_mov_b64 s[24:25], -1
                                        ; implicit-def: $vgpr7
.LBB47_1357:
	s_and_b64 vcc, exec, s[24:25]
	s_cbranch_vccz .LBB47_1359
; %bb.1358:
	global_load_ubyte v4, v[0:1], off
	s_mov_b32 s15, 0x7f800000
	s_waitcnt vmcnt(0)
	v_lshlrev_b32_e32 v4, 24, v4
	v_and_b32_e32 v7, 0x7f000000, v4
	v_ffbh_u32_e32 v8, v7
	v_min_u32_e32 v8, 32, v8
	v_sub_u32_e64 v8, v8, 4 clamp
	v_lshlrev_b32_e32 v10, v8, v7
	v_lshlrev_b32_e32 v8, 23, v8
	v_lshrrev_b32_e32 v10, 4, v10
	v_add_u32_e32 v9, 0x1000000, v7
	v_sub_u32_e32 v8, v10, v8
	v_ashrrev_i32_e32 v9, 8, v9
	v_add_u32_e32 v8, 0x3c000000, v8
	v_and_or_b32 v8, v9, s15, v8
	v_cmp_ne_u32_e32 vcc, 0, v7
	v_cndmask_b32_e32 v7, 0, v8, vcc
	s_brev_b32 s15, 1
	v_and_or_b32 v4, v4, s15, v7
	v_cvt_f16_f32_e32 v7, v4
.LBB47_1359:
	s_mov_b64 s[24:25], 0
.LBB47_1360:
	s_andn2_b64 vcc, exec, s[24:25]
	s_cbranch_vccnz .LBB47_1362
; %bb.1361:
	global_load_ubyte v4, v[0:1], off
	s_movk_i32 s15, 0x7f00
	s_brev_b32 s24, 16
	s_waitcnt vmcnt(0)
	v_lshlrev_b16_e32 v7, 8, v4
	v_lshlrev_b32_e32 v4, 25, v4
	v_lshrrev_b32_e32 v8, 4, v4
	v_and_or_b32 v9, v7, s15, 0.5
	v_or_b32_e32 v8, 0x70000000, v8
	v_add_f32_e32 v9, -0.5, v9
	v_mul_f32_e32 v8, 0x7800000, v8
	v_cmp_gt_u32_e32 vcc, s24, v4
	v_bfe_i32 v7, v7, 0, 16
	v_cndmask_b32_e32 v4, v8, v9, vcc
	s_brev_b32 s15, 1
	v_and_or_b32 v4, v7, s15, v4
	v_cvt_f16_f32_e32 v7, v4
.LBB47_1362:
	s_mov_b64 s[24:25], 0
	s_mov_b64 s[26:27], -1
.LBB47_1363:
	s_andn2_b64 vcc, exec, s[24:25]
	s_mov_b64 s[24:25], 0
	s_cbranch_vccnz .LBB47_1374
; %bb.1364:
	v_cmp_lt_i16_e32 vcc, 14, v5
	s_cbranch_vccz .LBB47_1367
; %bb.1365:
	v_cmp_eq_u16_e32 vcc, 15, v5
	s_cbranch_vccz .LBB47_1370
; %bb.1366:
	global_load_ushort v4, v[0:1], off
	s_mov_b64 s[20:21], 0
	s_mov_b64 s[26:27], -1
	s_waitcnt vmcnt(0)
	v_lshlrev_b32_e32 v4, 16, v4
	v_cvt_f16_f32_e32 v7, v4
	s_branch .LBB47_1371
.LBB47_1367:
	s_mov_b64 s[28:29], -1
                                        ; implicit-def: $vgpr7
	s_branch .LBB47_1372
.LBB47_1368:
	s_or_saveexec_b64 s[26:27], s[26:27]
	v_mov_b32_e32 v7, s15
	s_xor_b64 exec, exec, s[26:27]
	s_cbranch_execz .LBB47_1349
.LBB47_1369:
	v_cmp_ne_u16_e32 vcc, 0, v4
	s_andn2_b64 s[24:25], s[24:25], exec
	s_and_b64 s[28:29], vcc, exec
	s_or_b64 s[24:25], s[24:25], s[28:29]
	v_mov_b32_e32 v7, v4
	s_or_b64 exec, exec, s[26:27]
	s_and_saveexec_b64 s[26:27], s[24:25]
	s_cbranch_execnz .LBB47_1350
	s_branch .LBB47_1351
.LBB47_1370:
	s_mov_b64 s[20:21], -1
                                        ; implicit-def: $vgpr7
.LBB47_1371:
	s_mov_b64 s[28:29], 0
.LBB47_1372:
	s_and_b64 vcc, exec, s[28:29]
	s_cbranch_vccz .LBB47_1374
; %bb.1373:
	v_cmp_ne_u16_e32 vcc, 11, v5
	s_andn2_b64 s[20:21], s[20:21], exec
	s_and_b64 s[28:29], vcc, exec
	s_mov_b64 s[24:25], -1
	s_or_b64 s[20:21], s[20:21], s[28:29]
                                        ; implicit-def: $vgpr7
.LBB47_1374:
	s_mov_b64 s[28:29], 0
.LBB47_1375:
	s_andn2_b64 s[18:19], s[18:19], exec
	s_and_b64 s[20:21], s[20:21], exec
	s_and_b64 s[26:27], s[26:27], exec
	;; [unrolled: 1-line block ×4, first 2 shown]
	s_or_b64 s[18:19], s[18:19], s[20:21]
	s_or_b64 exec, exec, s[0:1]
	s_and_saveexec_b64 s[0:1], s[18:19]
	s_cbranch_execz .LBB47_1304
.LBB47_1376:
	s_or_b64 s[22:23], s[22:23], exec
	s_andn2_b64 s[24:25], s[24:25], exec
	s_trap 2
                                        ; implicit-def: $vgpr7
	s_or_b64 exec, exec, s[0:1]
	s_and_saveexec_b64 s[0:1], s[24:25]
	s_xor_b64 s[0:1], exec, s[0:1]
	s_cbranch_execnz .LBB47_1305
.LBB47_1377:
	s_or_b64 exec, exec, s[0:1]
	s_and_saveexec_b64 s[0:1], s[30:31]
	s_cbranch_execz .LBB47_1423
.LBB47_1378:
	v_cmp_gt_i16_e32 vcc, 5, v5
	s_cbranch_vccnz .LBB47_1383
; %bb.1379:
	v_cmp_gt_i16_e32 vcc, 8, v5
	s_cbranch_vccnz .LBB47_1384
; %bb.1380:
	;; [unrolled: 3-line block ×3, first 2 shown]
	v_cmp_lt_i16_e32 vcc, 9, v5
	s_cbranch_vccz .LBB47_1386
; %bb.1382:
	global_load_dwordx2 v[8:9], v[0:1], off
	s_mov_b64 s[18:19], 0
	s_waitcnt vmcnt(0)
	v_cvt_f32_f64_e32 v4, v[8:9]
	v_cvt_f16_f32_e32 v7, v4
	s_branch .LBB47_1387
.LBB47_1383:
                                        ; implicit-def: $vgpr7
	s_branch .LBB47_1404
.LBB47_1384:
                                        ; implicit-def: $vgpr7
	s_branch .LBB47_1393
.LBB47_1385:
	s_mov_b64 s[18:19], -1
                                        ; implicit-def: $vgpr7
	s_branch .LBB47_1390
.LBB47_1386:
	s_mov_b64 s[18:19], -1
                                        ; implicit-def: $vgpr7
.LBB47_1387:
	s_andn2_b64 vcc, exec, s[18:19]
	s_cbranch_vccnz .LBB47_1389
; %bb.1388:
	global_load_dword v4, v[0:1], off
	s_waitcnt vmcnt(0)
	v_cvt_f16_f32_e32 v7, v4
.LBB47_1389:
	s_mov_b64 s[18:19], 0
.LBB47_1390:
	s_andn2_b64 vcc, exec, s[18:19]
	s_cbranch_vccnz .LBB47_1392
; %bb.1391:
	global_load_dword v7, v[0:1], off
.LBB47_1392:
	s_cbranch_execnz .LBB47_1403
.LBB47_1393:
	v_cmp_gt_i16_e32 vcc, 6, v5
	s_cbranch_vccnz .LBB47_1396
; %bb.1394:
	v_cmp_lt_i16_e32 vcc, 6, v5
	s_cbranch_vccz .LBB47_1397
; %bb.1395:
	global_load_dwordx2 v[8:9], v[0:1], off
	s_mov_b64 s[18:19], 0
	s_waitcnt vmcnt(0)
	v_cvt_f32_f64_e32 v4, v[8:9]
	v_cvt_f16_f32_e32 v7, v4
	s_branch .LBB47_1398
.LBB47_1396:
	s_mov_b64 s[18:19], -1
                                        ; implicit-def: $vgpr7
	s_branch .LBB47_1401
.LBB47_1397:
	s_mov_b64 s[18:19], -1
                                        ; implicit-def: $vgpr7
.LBB47_1398:
	s_andn2_b64 vcc, exec, s[18:19]
	s_cbranch_vccnz .LBB47_1400
; %bb.1399:
	global_load_dword v4, v[0:1], off
	s_waitcnt vmcnt(0)
	v_cvt_f16_f32_e32 v7, v4
.LBB47_1400:
	s_mov_b64 s[18:19], 0
.LBB47_1401:
	s_andn2_b64 vcc, exec, s[18:19]
	s_cbranch_vccnz .LBB47_1403
; %bb.1402:
	global_load_ushort v7, v[0:1], off
.LBB47_1403:
	s_cbranch_execnz .LBB47_1422
.LBB47_1404:
	v_cmp_gt_i16_e32 vcc, 2, v5
	s_cbranch_vccnz .LBB47_1408
; %bb.1405:
	v_cmp_gt_i16_e32 vcc, 3, v5
	s_cbranch_vccnz .LBB47_1409
; %bb.1406:
	v_cmp_lt_i16_e32 vcc, 3, v5
	s_cbranch_vccz .LBB47_1410
; %bb.1407:
	global_load_dwordx2 v[8:9], v[0:1], off
	s_mov_b64 s[18:19], 0
	s_waitcnt vmcnt(0)
	v_xor_b32_e32 v7, v8, v9
	v_ffbh_i32_e32 v4, v9
	v_ashrrev_i32_e32 v7, 31, v7
	v_add_u32_e32 v4, -1, v4
	v_add_u32_e32 v7, 32, v7
	v_min_u32_e32 v4, v4, v7
	v_lshlrev_b64 v[8:9], v4, v[8:9]
	v_min_u32_e32 v7, 1, v8
	v_or_b32_e32 v7, v9, v7
	v_cvt_f32_i32_e32 v7, v7
	v_sub_u32_e32 v4, 32, v4
	v_ldexp_f32 v4, v7, v4
	v_cvt_f16_f32_e32 v7, v4
	s_branch .LBB47_1411
.LBB47_1408:
                                        ; implicit-def: $vgpr7
	s_branch .LBB47_1417
.LBB47_1409:
	s_mov_b64 s[18:19], -1
                                        ; implicit-def: $vgpr7
	s_branch .LBB47_1414
.LBB47_1410:
	s_mov_b64 s[18:19], -1
                                        ; implicit-def: $vgpr7
.LBB47_1411:
	s_andn2_b64 vcc, exec, s[18:19]
	s_cbranch_vccnz .LBB47_1413
; %bb.1412:
	global_load_dword v4, v[0:1], off
	s_waitcnt vmcnt(0)
	v_cvt_f32_i32_e32 v4, v4
	v_cvt_f16_f32_e32 v7, v4
.LBB47_1413:
	s_mov_b64 s[18:19], 0
.LBB47_1414:
	s_andn2_b64 vcc, exec, s[18:19]
	s_cbranch_vccnz .LBB47_1416
; %bb.1415:
	global_load_ushort v4, v[0:1], off
	s_waitcnt vmcnt(0)
	v_cvt_f16_i16_e32 v7, v4
.LBB47_1416:
	s_cbranch_execnz .LBB47_1422
.LBB47_1417:
	v_cmp_lt_i16_e32 vcc, 0, v5
	s_cbranch_vccz .LBB47_1419
; %bb.1418:
	global_load_sbyte v4, v[0:1], off
	s_mov_b64 s[18:19], 0
	s_waitcnt vmcnt(0)
	v_cvt_f16_i16_e32 v7, v4
	s_branch .LBB47_1420
.LBB47_1419:
	s_mov_b64 s[18:19], -1
                                        ; implicit-def: $vgpr7
.LBB47_1420:
	s_andn2_b64 vcc, exec, s[18:19]
	s_cbranch_vccnz .LBB47_1422
; %bb.1421:
	global_load_ubyte v0, v[0:1], off
	s_waitcnt vmcnt(0)
	v_cvt_f16_u16_e32 v7, v0
.LBB47_1422:
	s_or_b64 s[26:27], s[26:27], exec
.LBB47_1423:
	s_or_b64 exec, exec, s[0:1]
	s_mov_b64 s[24:25], 0
	s_mov_b64 s[20:21], 0
                                        ; implicit-def: $vgpr5
                                        ; implicit-def: $vgpr0_vgpr1
                                        ; implicit-def: $vgpr4
	s_and_saveexec_b64 s[18:19], s[26:27]
	s_cbranch_execz .LBB47_1441
; %bb.1424:
	s_waitcnt vmcnt(0)
	v_cvt_f32_f16_e32 v0, v7
	v_cvt_f32_f16_e32 v1, v6
	s_movk_i32 s0, 0x400
	v_mov_b32_e32 v5, 0x400
	v_rcp_f32_e32 v4, v0
	s_movk_i32 s1, 0x3bfe
	v_mul_lo_u32 v3, v3, s12
	v_mul_f32_e32 v8, v1, v4
	v_mad_f32 v9, -v0, v8, v1
	v_mac_f32_e32 v8, v9, v4
	v_mad_f32 v0, -v0, v8, v1
	v_mul_f32_e32 v0, v0, v4
	v_and_b32_e32 v0, 0xff800000, v0
	v_add_f32_e32 v0, v0, v8
	v_cvt_f16_f32_e32 v0, v0
	v_mov_b32_e32 v1, 0x3bfe
	v_ashrrev_i32_e32 v8, 31, v3
	v_div_fixup_f16 v0, v0, v7, v6
	v_cmp_ngt_f16_e32 vcc, s0, v0
	v_cndmask_b32_e32 v0, v5, v0, vcc
	v_cmp_nlt_f16_e32 vcc, s1, v0
	v_cndmask_b32_e32 v4, v1, v0, vcc
	v_mov_b32_e32 v1, s9
	v_add_co_u32_e32 v0, vcc, s8, v3
	v_addc_co_u32_e32 v1, vcc, v1, v8, vcc
	v_and_b32_e32 v5, 0xff, v2
	v_cmp_gt_i16_e32 vcc, 11, v5
	s_cbranch_vccnz .LBB47_1444
; %bb.1425:
	v_cmp_lt_i16_e32 vcc, 25, v5
	s_mov_b64 s[24:25], -1
	s_mov_b64 s[0:1], s[6:7]
	s_cbranch_vccz .LBB47_1462
; %bb.1426:
	v_cmp_lt_i16_e32 vcc, 28, v5
	s_mov_b64 s[20:21], -1
	s_mov_b64 s[0:1], s[6:7]
	s_cbranch_vccz .LBB47_1446
; %bb.1427:
	v_cmp_lt_i16_e32 vcc, 43, v5
	s_mov_b64 s[0:1], s[6:7]
	s_cbranch_vccz .LBB47_1438
; %bb.1428:
	v_cmp_lt_i16_e32 vcc, 45, v5
	s_mov_b64 s[0:1], s[6:7]
	s_cbranch_vccz .LBB47_1432
; %bb.1429:
	v_cmp_eq_u16_e32 vcc, 46, v5
	s_mov_b64 s[0:1], -1
	s_cbranch_vccz .LBB47_1431
; %bb.1430:
	v_cvt_f32_f16_e32 v2, v4
	s_movk_i32 s0, 0x7fff
	v_mov_b32_e32 v3, 0x7fc0
	v_cmp_o_f16_e32 vcc, v4, v4
	v_bfe_u32 v6, v2, 16, 1
	v_add3_u32 v2, v2, v6, s0
	v_lshrrev_b32_e32 v2, 16, v2
	v_cndmask_b32_e32 v2, v3, v2, vcc
	global_store_dword v[0:1], v2, off
	s_mov_b64 s[0:1], 0
.LBB47_1431:
	s_mov_b64 s[20:21], 0
.LBB47_1432:
	s_and_b64 vcc, exec, s[20:21]
	s_cbranch_vccz .LBB47_1437
; %bb.1433:
	v_cmp_eq_u16_e32 vcc, 44, v5
	s_mov_b64 s[0:1], -1
	s_cbranch_vccz .LBB47_1437
; %bb.1434:
	v_cvt_f32_f16_e32 v2, v4
	s_movk_i32 s0, 0xff
	v_mov_b32_e32 v6, 0xff
	v_bfe_u32 v3, v2, 23, 8
	v_cmp_ne_u32_e32 vcc, s0, v3
	s_and_saveexec_b64 s[20:21], vcc
; %bb.1435:
	s_mov_b32 s0, 0x3fffff
	v_lshrrev_b32_e32 v6, 23, v2
	v_and_b32_e32 v7, 0x400000, v2
	v_and_or_b32 v2, v2, s0, v3
	v_cmp_ne_u32_e32 vcc, 0, v7
	v_cmp_ne_u32_e64 s[0:1], 0, v2
	s_and_b64 s[0:1], vcc, s[0:1]
	v_cndmask_b32_e64 v2, 0, 1, s[0:1]
	v_add_u32_e32 v6, v6, v2
; %bb.1436:
	s_or_b64 exec, exec, s[20:21]
	s_mov_b64 s[0:1], 0
	global_store_byte v[0:1], v6, off
.LBB47_1437:
	s_mov_b64 s[20:21], 0
.LBB47_1438:
	s_and_b64 vcc, exec, s[20:21]
	s_cbranch_vccz .LBB47_1445
; %bb.1439:
	v_cmp_eq_u16_e32 vcc, 29, v5
	s_mov_b64 s[0:1], -1
	s_cbranch_vccz .LBB47_1445
; %bb.1440:
	v_cvt_f32_f16_e32 v2, v4
	v_mov_b32_e32 v3, 0
	s_mov_b64 s[0:1], 0
	s_mov_b64 s[20:21], 0
	v_cvt_u32_f32_e32 v2, v2
	global_store_dwordx2 v[0:1], v[2:3], off
	s_branch .LBB47_1446
.LBB47_1441:
	s_or_b64 exec, exec, s[18:19]
	s_and_saveexec_b64 s[0:1], s[6:7]
	s_cbranch_execnz .LBB47_1504
.LBB47_1442:
	s_or_b64 exec, exec, s[0:1]
	s_and_saveexec_b64 s[0:1], s[24:25]
	s_xor_b64 s[0:1], exec, s[0:1]
	s_cbranch_execz .LBB47_1505
.LBB47_1443:
	s_waitcnt vmcnt(0)
	v_and_b32_e32 v2, 0x7fff, v4
	v_cmp_ne_u16_e32 vcc, 0, v2
	v_cndmask_b32_e64 v2, 0, 1, vcc
	global_store_byte v[0:1], v2, off
	s_or_b64 exec, exec, s[0:1]
	s_and_saveexec_b64 s[0:1], s[20:21]
	s_xor_b64 s[0:1], exec, s[0:1]
	s_cbranch_execz .LBB47_1543
	s_branch .LBB47_1506
.LBB47_1444:
	s_mov_b64 s[20:21], -1
	s_mov_b64 s[0:1], s[6:7]
	s_branch .LBB47_1503
.LBB47_1445:
	s_mov_b64 s[20:21], 0
.LBB47_1446:
	s_and_b64 vcc, exec, s[20:21]
	s_cbranch_vccz .LBB47_1461
; %bb.1447:
	v_cmp_gt_i16_e32 vcc, 27, v5
	s_mov_b64 s[20:21], -1
	s_cbranch_vccnz .LBB47_1453
; %bb.1448:
	v_cmp_lt_i16_e32 vcc, 27, v5
	s_cbranch_vccz .LBB47_1450
; %bb.1449:
	v_cvt_f32_f16_e32 v2, v4
	s_mov_b64 s[20:21], 0
	v_cvt_u32_f32_e32 v2, v2
	global_store_dword v[0:1], v2, off
.LBB47_1450:
	s_andn2_b64 vcc, exec, s[20:21]
	s_cbranch_vccnz .LBB47_1452
; %bb.1451:
	v_cvt_u16_f16_e32 v2, v4
	global_store_short v[0:1], v2, off
.LBB47_1452:
	s_mov_b64 s[20:21], 0
.LBB47_1453:
	s_andn2_b64 vcc, exec, s[20:21]
	s_cbranch_vccnz .LBB47_1461
; %bb.1454:
	v_cvt_f32_f16_e32 v2, v4
	s_mov_b32 s15, 0x43800000
	v_mov_b32_e32 v6, 0x80
	v_and_b32_e32 v3, 0x7fffffff, v2
	v_cmp_gt_u32_e32 vcc, s15, v3
	s_and_saveexec_b64 s[20:21], vcc
	s_cbranch_execz .LBB47_1460
; %bb.1455:
	s_mov_b32 s15, 0x3bffffff
	v_cmp_lt_u32_e32 vcc, s15, v3
	s_mov_b64 s[24:25], 0
                                        ; implicit-def: $vgpr3
	s_and_saveexec_b64 s[26:27], vcc
	s_xor_b64 s[26:27], exec, s[26:27]
	s_cbranch_execz .LBB47_1558
; %bb.1456:
	v_bfe_u32 v3, v2, 20, 1
	s_mov_b32 s15, 0x487ffff
	v_add3_u32 v3, v2, v3, s15
	s_mov_b64 s[24:25], exec
	v_lshrrev_b32_e32 v3, 20, v3
	s_or_saveexec_b64 s[26:27], s[26:27]
                                        ; implicit-def: $sgpr15
	s_xor_b64 exec, exec, s[26:27]
	s_cbranch_execnz .LBB47_1559
.LBB47_1457:
	s_or_b64 exec, exec, s[26:27]
	v_mov_b32_e32 v6, s15
	s_and_saveexec_b64 s[26:27], s[24:25]
.LBB47_1458:
	v_lshrrev_b32_e32 v2, 24, v2
	s_movk_i32 s15, 0x80
	v_and_or_b32 v6, v2, s15, v3
.LBB47_1459:
	s_or_b64 exec, exec, s[26:27]
.LBB47_1460:
	s_or_b64 exec, exec, s[20:21]
	global_store_byte v[0:1], v6, off
.LBB47_1461:
	s_mov_b64 s[24:25], 0
.LBB47_1462:
	s_mov_b64 s[20:21], 0
	s_and_b64 vcc, exec, s[24:25]
	s_cbranch_vccz .LBB47_1502
; %bb.1463:
	v_cmp_lt_i16_e32 vcc, 22, v5
	s_mov_b64 s[24:25], -1
	s_cbranch_vccz .LBB47_1495
; %bb.1464:
	v_cmp_gt_i16_e32 vcc, 24, v5
	s_cbranch_vccnz .LBB47_1484
; %bb.1465:
	v_cmp_lt_i16_e32 vcc, 24, v5
	s_cbranch_vccz .LBB47_1473
; %bb.1466:
	v_cvt_f32_f16_e32 v2, v4
	s_mov_b32 s15, 0x47800000
	v_mov_b32_e32 v6, 0x80
	v_and_b32_e32 v3, 0x7fffffff, v2
	v_cmp_gt_u32_e32 vcc, s15, v3
	s_and_saveexec_b64 s[24:25], vcc
	s_cbranch_execz .LBB47_1472
; %bb.1467:
	s_mov_b32 s15, 0x37ffffff
	v_cmp_lt_u32_e32 vcc, s15, v3
	s_mov_b64 s[26:27], 0
                                        ; implicit-def: $vgpr3
	s_and_saveexec_b64 s[28:29], vcc
	s_xor_b64 s[28:29], exec, s[28:29]
	s_cbranch_execz .LBB47_1683
; %bb.1468:
	v_bfe_u32 v3, v2, 21, 1
	s_mov_b32 s15, 0x88fffff
	v_add3_u32 v3, v2, v3, s15
	s_mov_b64 s[26:27], exec
	v_lshrrev_b32_e32 v3, 21, v3
	s_or_saveexec_b64 s[28:29], s[28:29]
                                        ; implicit-def: $sgpr15
	s_xor_b64 exec, exec, s[28:29]
	s_cbranch_execnz .LBB47_1684
.LBB47_1469:
	s_or_b64 exec, exec, s[28:29]
	v_mov_b32_e32 v6, s15
	s_and_saveexec_b64 s[28:29], s[26:27]
.LBB47_1470:
	v_lshrrev_b32_e32 v2, 24, v2
	s_movk_i32 s15, 0x80
	v_and_or_b32 v6, v2, s15, v3
.LBB47_1471:
	s_or_b64 exec, exec, s[28:29]
.LBB47_1472:
	s_or_b64 exec, exec, s[24:25]
	s_mov_b64 s[24:25], 0
	global_store_byte v[0:1], v6, off
.LBB47_1473:
	s_and_b64 vcc, exec, s[24:25]
	s_cbranch_vccz .LBB47_1483
; %bb.1474:
	v_cvt_f32_f16_e32 v2, v4
	s_mov_b32 s15, 0x43f00000
                                        ; implicit-def: $vgpr3
	v_and_b32_e32 v6, 0x7fffffff, v2
	v_cmp_gt_u32_e32 vcc, s15, v6
	s_and_saveexec_b64 s[24:25], vcc
	s_xor_b64 s[24:25], exec, s[24:25]
	s_cbranch_execz .LBB47_1480
; %bb.1475:
	s_mov_b32 s15, 0x3c7fffff
	v_cmp_lt_u32_e32 vcc, s15, v6
                                        ; implicit-def: $vgpr3
	s_and_saveexec_b64 s[26:27], vcc
	s_xor_b64 s[26:27], exec, s[26:27]
; %bb.1476:
	v_bfe_u32 v3, v2, 20, 1
	s_mov_b32 s15, 0x407ffff
	v_add3_u32 v3, v2, v3, s15
	v_lshrrev_b32_e32 v6, 20, v3
	v_and_b32_e32 v3, 0xff00000, v3
	s_mov_b32 s15, 0x7f00000
	v_mov_b32_e32 v7, 0x7e
	v_cmp_ne_u32_e32 vcc, s15, v3
	v_cndmask_b32_e32 v3, v7, v6, vcc
; %bb.1477:
	s_andn2_saveexec_b64 s[26:27], s[26:27]
; %bb.1478:
	s_mov_b32 s15, 0x46800000
	v_add_f32_e64 v3, |v2|, s15
; %bb.1479:
	s_or_b64 exec, exec, s[26:27]
                                        ; implicit-def: $vgpr6
.LBB47_1480:
	s_andn2_saveexec_b64 s[24:25], s[24:25]
; %bb.1481:
	s_mov_b32 s15, 0x7f800000
	v_mov_b32_e32 v3, 0x7e
	v_mov_b32_e32 v7, 0x7f
	v_cmp_lt_u32_e32 vcc, s15, v6
	v_cndmask_b32_e32 v3, v3, v7, vcc
; %bb.1482:
	s_or_b64 exec, exec, s[24:25]
	v_lshrrev_b32_e32 v2, 24, v2
	s_movk_i32 s15, 0x80
	v_and_or_b32 v2, v2, s15, v3
	global_store_byte v[0:1], v2, off
.LBB47_1483:
	s_mov_b64 s[24:25], 0
.LBB47_1484:
	s_andn2_b64 vcc, exec, s[24:25]
	s_cbranch_vccnz .LBB47_1494
; %bb.1485:
	v_cvt_f32_f16_e32 v2, v4
	s_mov_b32 s15, 0x47800000
                                        ; implicit-def: $vgpr3
	v_and_b32_e32 v6, 0x7fffffff, v2
	v_cmp_gt_u32_e32 vcc, s15, v6
	s_and_saveexec_b64 s[24:25], vcc
	s_xor_b64 s[24:25], exec, s[24:25]
	s_cbranch_execz .LBB47_1491
; %bb.1486:
	s_mov_b32 s15, 0x387fffff
	v_cmp_lt_u32_e32 vcc, s15, v6
                                        ; implicit-def: $vgpr3
	s_and_saveexec_b64 s[26:27], vcc
	s_xor_b64 s[26:27], exec, s[26:27]
; %bb.1487:
	v_bfe_u32 v3, v2, 21, 1
	s_mov_b32 s15, 0x80fffff
	v_add3_u32 v3, v2, v3, s15
	v_lshrrev_b32_e32 v3, 21, v3
; %bb.1488:
	s_andn2_saveexec_b64 s[26:27], s[26:27]
; %bb.1489:
	s_mov_b32 s15, 0x43000000
	v_add_f32_e64 v3, |v2|, s15
; %bb.1490:
	s_or_b64 exec, exec, s[26:27]
                                        ; implicit-def: $vgpr6
.LBB47_1491:
	s_andn2_saveexec_b64 s[24:25], s[24:25]
; %bb.1492:
	s_mov_b32 s15, 0x7f800000
	v_mov_b32_e32 v3, 0x7c
	v_mov_b32_e32 v7, 0x7f
	v_cmp_lt_u32_e32 vcc, s15, v6
	v_cndmask_b32_e32 v3, v3, v7, vcc
; %bb.1493:
	s_or_b64 exec, exec, s[24:25]
	v_lshrrev_b32_e32 v2, 24, v2
	s_movk_i32 s15, 0x80
	v_and_or_b32 v2, v2, s15, v3
	global_store_byte v[0:1], v2, off
.LBB47_1494:
	s_mov_b64 s[24:25], 0
.LBB47_1495:
	s_andn2_b64 vcc, exec, s[24:25]
	s_mov_b64 s[24:25], 0
	s_cbranch_vccnz .LBB47_1503
; %bb.1496:
	v_cmp_lt_i16_e32 vcc, 14, v5
	s_mov_b64 s[26:27], -1
	s_cbranch_vccz .LBB47_1500
; %bb.1497:
	v_cmp_eq_u16_e32 vcc, 15, v5
	s_mov_b64 s[0:1], -1
	s_cbranch_vccz .LBB47_1499
; %bb.1498:
	v_cvt_f32_f16_e32 v2, v4
	s_movk_i32 s0, 0x7fff
	v_mov_b32_e32 v3, 0x7fc0
	v_cmp_o_f16_e32 vcc, v4, v4
	v_bfe_u32 v6, v2, 16, 1
	v_add3_u32 v2, v2, v6, s0
	v_lshrrev_b32_e32 v2, 16, v2
	v_cndmask_b32_e32 v2, v3, v2, vcc
	global_store_short v[0:1], v2, off
	s_mov_b64 s[0:1], 0
.LBB47_1499:
	s_mov_b64 s[26:27], 0
.LBB47_1500:
	s_and_b64 vcc, exec, s[26:27]
	s_cbranch_vccz .LBB47_1503
; %bb.1501:
	v_cmp_ne_u16_e32 vcc, 11, v5
	s_andn2_b64 s[0:1], s[0:1], exec
	s_and_b64 s[26:27], vcc, exec
	s_mov_b64 s[24:25], -1
	s_or_b64 s[0:1], s[0:1], s[26:27]
	s_branch .LBB47_1503
.LBB47_1502:
	s_mov_b64 s[24:25], 0
.LBB47_1503:
	s_andn2_b64 s[6:7], s[6:7], exec
	s_and_b64 s[0:1], s[0:1], exec
	s_and_b64 s[20:21], s[20:21], exec
	;; [unrolled: 1-line block ×3, first 2 shown]
	s_or_b64 s[6:7], s[6:7], s[0:1]
	s_or_b64 exec, exec, s[18:19]
	s_and_saveexec_b64 s[0:1], s[6:7]
	s_cbranch_execz .LBB47_1442
.LBB47_1504:
	s_or_b64 s[22:23], s[22:23], exec
	s_andn2_b64 s[24:25], s[24:25], exec
	s_trap 2
	s_or_b64 exec, exec, s[0:1]
	s_and_saveexec_b64 s[0:1], s[24:25]
	s_xor_b64 s[0:1], exec, s[0:1]
	s_cbranch_execnz .LBB47_1443
.LBB47_1505:
	s_or_b64 exec, exec, s[0:1]
	s_and_saveexec_b64 s[0:1], s[20:21]
	s_xor_b64 s[0:1], exec, s[0:1]
	s_cbranch_execz .LBB47_1543
.LBB47_1506:
	v_cmp_gt_i16_e32 vcc, 5, v5
	s_mov_b64 s[6:7], -1
	s_cbranch_vccnz .LBB47_1527
; %bb.1507:
	v_cmp_gt_i16_e32 vcc, 8, v5
	s_cbranch_vccnz .LBB47_1517
; %bb.1508:
	v_cmp_gt_i16_e32 vcc, 9, v5
	s_cbranch_vccnz .LBB47_1514
; %bb.1509:
	v_cmp_lt_i16_e32 vcc, 9, v5
	s_cbranch_vccz .LBB47_1511
; %bb.1510:
	s_waitcnt vmcnt(0)
	v_cvt_f32_f16_e32 v2, v4
	v_mov_b32_e32 v8, 0
	v_mov_b32_e32 v9, v8
	s_mov_b64 s[6:7], 0
	v_cvt_f64_f32_e32 v[6:7], v2
	global_store_dwordx4 v[0:1], v[6:9], off
.LBB47_1511:
	s_andn2_b64 vcc, exec, s[6:7]
	s_cbranch_vccnz .LBB47_1513
; %bb.1512:
	s_waitcnt vmcnt(0)
	v_cvt_f32_f16_e32 v2, v4
	v_mov_b32_e32 v3, 0
	global_store_dwordx2 v[0:1], v[2:3], off
.LBB47_1513:
	s_mov_b64 s[6:7], 0
.LBB47_1514:
	s_andn2_b64 vcc, exec, s[6:7]
	s_cbranch_vccnz .LBB47_1516
; %bb.1515:
	s_waitcnt vmcnt(0)
	v_and_b32_e32 v2, 0xffff, v4
	global_store_dword v[0:1], v2, off
.LBB47_1516:
	s_mov_b64 s[6:7], 0
.LBB47_1517:
	s_andn2_b64 vcc, exec, s[6:7]
	s_cbranch_vccnz .LBB47_1526
; %bb.1518:
	v_cmp_gt_i16_e32 vcc, 6, v5
	s_mov_b64 s[6:7], -1
	s_cbranch_vccnz .LBB47_1524
; %bb.1519:
	v_cmp_lt_i16_e32 vcc, 6, v5
	s_cbranch_vccz .LBB47_1521
; %bb.1520:
	s_waitcnt vmcnt(0)
	v_cvt_f32_f16_e32 v2, v4
	s_mov_b64 s[6:7], 0
	v_cvt_f64_f32_e32 v[2:3], v2
	global_store_dwordx2 v[0:1], v[2:3], off
.LBB47_1521:
	s_andn2_b64 vcc, exec, s[6:7]
	s_cbranch_vccnz .LBB47_1523
; %bb.1522:
	s_waitcnt vmcnt(0)
	v_cvt_f32_f16_e32 v2, v4
	global_store_dword v[0:1], v2, off
.LBB47_1523:
	s_mov_b64 s[6:7], 0
.LBB47_1524:
	s_andn2_b64 vcc, exec, s[6:7]
	s_cbranch_vccnz .LBB47_1526
; %bb.1525:
	s_waitcnt vmcnt(0)
	global_store_short v[0:1], v4, off
.LBB47_1526:
	s_mov_b64 s[6:7], 0
.LBB47_1527:
	s_andn2_b64 vcc, exec, s[6:7]
	s_cbranch_vccnz .LBB47_1543
; %bb.1528:
	v_cmp_gt_i16_e32 vcc, 2, v5
	s_mov_b64 s[6:7], -1
	s_cbranch_vccnz .LBB47_1538
; %bb.1529:
	v_cmp_gt_i16_e32 vcc, 3, v5
	s_cbranch_vccnz .LBB47_1535
; %bb.1530:
	v_cmp_lt_i16_e32 vcc, 3, v5
	s_cbranch_vccz .LBB47_1532
; %bb.1531:
	s_waitcnt vmcnt(0)
	v_cvt_f32_f16_e32 v2, v4
	s_mov_b64 s[6:7], 0
	v_cvt_i32_f32_e32 v2, v2
	v_ashrrev_i32_e32 v3, 31, v2
	global_store_dwordx2 v[0:1], v[2:3], off
.LBB47_1532:
	s_andn2_b64 vcc, exec, s[6:7]
	s_cbranch_vccnz .LBB47_1534
; %bb.1533:
	s_waitcnt vmcnt(0)
	v_cvt_f32_f16_e32 v2, v4
	v_cvt_i32_f32_e32 v2, v2
	global_store_dword v[0:1], v2, off
.LBB47_1534:
	s_mov_b64 s[6:7], 0
.LBB47_1535:
	s_andn2_b64 vcc, exec, s[6:7]
	s_cbranch_vccnz .LBB47_1537
; %bb.1536:
	s_waitcnt vmcnt(0)
	v_cvt_i16_f16_e32 v2, v4
	global_store_short v[0:1], v2, off
.LBB47_1537:
	s_mov_b64 s[6:7], 0
.LBB47_1538:
	s_andn2_b64 vcc, exec, s[6:7]
	s_cbranch_vccnz .LBB47_1543
; %bb.1539:
	v_cmp_lt_i16_e32 vcc, 0, v5
	s_mov_b64 s[6:7], -1
	s_cbranch_vccz .LBB47_1541
; %bb.1540:
	s_waitcnt vmcnt(0)
	v_cvt_i16_f16_e32 v2, v4
	s_mov_b64 s[6:7], 0
	global_store_byte v[0:1], v2, off
.LBB47_1541:
	s_andn2_b64 vcc, exec, s[6:7]
	s_cbranch_vccnz .LBB47_1543
; %bb.1542:
	s_waitcnt vmcnt(0)
	v_cvt_f32_f16_e32 v2, v4
	v_cvt_i32_f32_e32 v2, v2
	global_store_byte v[0:1], v2, off
.LBB47_1543:
	s_or_b64 exec, exec, s[0:1]
	s_and_b64 s[6:7], s[22:23], exec
                                        ; implicit-def: $vgpr3
                                        ; implicit-def: $vgpr5
                                        ; implicit-def: $vgpr4
                                        ; implicit-def: $vgpr2
.LBB47_1544:
	s_or_saveexec_b64 s[4:5], s[4:5]
	s_mov_b64 s[0:1], 0
                                        ; implicit-def: $vgpr7
                                        ; implicit-def: $vgpr0_vgpr1
                                        ; implicit-def: $vgpr6
	s_xor_b64 exec, exec, s[4:5]
	s_cbranch_execz .LBB47_3034
; %bb.1545:
	v_mul_lo_u32 v8, s13, v3
	v_ashrrev_i32_e32 v1, 31, v8
	s_waitcnt vmcnt(0)
	v_mov_b32_e32 v6, s11
	v_add_co_u32_e32 v0, vcc, s10, v8
	v_addc_co_u32_e32 v1, vcc, v6, v1, vcc
	v_mov_b32_e32 v6, 11
	v_cmp_lt_i16_sdwa s[0:1], v5, v6 src0_sel:BYTE_0 src1_sel:DWORD
	s_and_b64 vcc, exec, s[0:1]
	s_cbranch_vccnz .LBB47_1552
; %bb.1546:
	v_mov_b32_e32 v6, 25
	v_cmp_gt_i16_sdwa s[0:1], v5, v6 src0_sel:BYTE_0 src1_sel:DWORD
	s_and_b64 vcc, exec, s[0:1]
	s_cbranch_vccz .LBB47_1554
; %bb.1547:
	v_mov_b32_e32 v6, 28
	v_cmp_gt_i16_sdwa s[0:1], v5, v6 src0_sel:BYTE_0 src1_sel:DWORD
	s_and_b64 vcc, exec, s[0:1]
	s_cbranch_vccz .LBB47_1555
; %bb.1548:
	v_mov_b32_e32 v6, 43
	v_cmp_gt_i16_sdwa s[0:1], v5, v6 src0_sel:BYTE_0 src1_sel:DWORD
	s_and_b64 vcc, exec, s[0:1]
	s_cbranch_vccz .LBB47_1556
; %bb.1549:
	v_mov_b32_e32 v6, 45
	v_cmp_gt_i16_sdwa s[0:1], v5, v6 src0_sel:BYTE_0 src1_sel:DWORD
	s_and_b64 vcc, exec, s[0:1]
	s_cbranch_vccz .LBB47_1557
; %bb.1550:
	v_mov_b32_e32 v6, 46
	v_cmp_eq_u16_sdwa s[0:1], v5, v6 src0_sel:BYTE_0 src1_sel:DWORD
	s_mov_b64 s[18:19], 0
	s_and_b64 vcc, exec, s[0:1]
	s_cbranch_vccz .LBB47_1560
; %bb.1551:
	global_load_dword v6, v[0:1], off
	s_mov_b64 s[0:1], 0
	s_mov_b64 s[20:21], -1
	s_waitcnt vmcnt(0)
	v_lshlrev_b32_e32 v6, 16, v6
	v_cvt_f16_f32_e32 v6, v6
	s_branch .LBB47_1561
.LBB47_1552:
	s_mov_b64 s[20:21], 0
                                        ; implicit-def: $vgpr6
	s_mov_b64 s[18:19], s[6:7]
	s_cbranch_execnz .LBB47_1624
.LBB47_1553:
	s_andn2_b64 vcc, exec, s[20:21]
	s_cbranch_vccz .LBB47_1669
	s_branch .LBB47_3032
.LBB47_1554:
	s_mov_b64 s[20:21], 0
	s_mov_b64 s[0:1], 0
                                        ; implicit-def: $vgpr6
	s_cbranch_execnz .LBB47_1589
	s_branch .LBB47_1620
.LBB47_1555:
	s_mov_b64 s[18:19], -1
	s_mov_b64 s[20:21], 0
	s_mov_b64 s[0:1], 0
                                        ; implicit-def: $vgpr6
	s_branch .LBB47_1570
.LBB47_1556:
	s_mov_b64 s[20:21], 0
	s_mov_b64 s[0:1], 0
                                        ; implicit-def: $vgpr6
	s_cbranch_execnz .LBB47_1566
	s_branch .LBB47_1569
.LBB47_1557:
	s_mov_b64 s[18:19], -1
	s_mov_b64 s[20:21], 0
	s_mov_b64 s[0:1], 0
                                        ; implicit-def: $vgpr6
	s_branch .LBB47_1561
.LBB47_1558:
	s_or_saveexec_b64 s[26:27], s[26:27]
                                        ; implicit-def: $sgpr15
	s_xor_b64 exec, exec, s[26:27]
	s_cbranch_execz .LBB47_1457
.LBB47_1559:
	s_mov_b32 s15, 0x46000000
	v_add_f32_e64 v3, |v2|, s15
	v_and_b32_e32 v3, 0xff, v3
	v_cmp_ne_u32_e32 vcc, 0, v3
	s_andn2_b64 s[24:25], s[24:25], exec
	s_and_b64 s[28:29], vcc, exec
	s_mov_b32 s15, 0
	s_or_b64 s[24:25], s[24:25], s[28:29]
	s_or_b64 exec, exec, s[26:27]
	v_mov_b32_e32 v6, s15
	s_and_saveexec_b64 s[26:27], s[24:25]
	s_cbranch_execnz .LBB47_1458
	s_branch .LBB47_1459
.LBB47_1560:
	s_mov_b64 s[0:1], -1
                                        ; implicit-def: $vgpr6
	s_mov_b64 s[20:21], 0
.LBB47_1561:
	s_and_b64 vcc, exec, s[18:19]
	s_cbranch_vccz .LBB47_1564
; %bb.1562:
	v_mov_b32_e32 v6, 44
	v_cmp_eq_u16_sdwa s[0:1], v5, v6 src0_sel:BYTE_0 src1_sel:DWORD
	s_and_b64 vcc, exec, s[0:1]
	s_cbranch_vccz .LBB47_1565
; %bb.1563:
	global_load_ubyte v6, v[0:1], off
	s_movk_i32 s15, 0xff
	v_mov_b32_e32 v9, 0x7e00
	s_mov_b64 s[0:1], 0
	s_mov_b64 s[20:21], -1
	s_waitcnt vmcnt(0)
	v_lshlrev_b32_e32 v7, 23, v6
	v_cvt_f16_f32_e32 v7, v7
	v_cmp_ne_u32_e32 vcc, s15, v6
	v_cndmask_b32_e32 v7, v9, v7, vcc
	v_cmp_ne_u32_e32 vcc, 0, v6
	v_cndmask_b32_e32 v6, 0, v7, vcc
.LBB47_1564:
	s_branch .LBB47_1569
.LBB47_1565:
	s_mov_b64 s[0:1], -1
                                        ; implicit-def: $vgpr6
	s_branch .LBB47_1569
.LBB47_1566:
	v_mov_b32_e32 v6, 29
	v_cmp_eq_u16_sdwa s[0:1], v5, v6 src0_sel:BYTE_0 src1_sel:DWORD
	s_and_b64 vcc, exec, s[0:1]
	s_cbranch_vccz .LBB47_1568
; %bb.1567:
	global_load_dwordx2 v[6:7], v[0:1], off
	s_mov_b64 s[0:1], 0
	s_mov_b64 s[20:21], -1
	s_mov_b64 s[18:19], 0
	s_waitcnt vmcnt(0)
	v_ffbh_u32_e32 v9, v7
	v_min_u32_e32 v9, 32, v9
	v_lshlrev_b64 v[6:7], v9, v[6:7]
	v_min_u32_e32 v6, 1, v6
	v_or_b32_e32 v6, v7, v6
	v_cvt_f32_u32_e32 v6, v6
	v_sub_u32_e32 v7, 32, v9
	v_ldexp_f32 v6, v6, v7
	v_cvt_f16_f32_e32 v6, v6
	s_branch .LBB47_1570
.LBB47_1568:
	s_mov_b64 s[0:1], -1
                                        ; implicit-def: $vgpr6
.LBB47_1569:
	s_mov_b64 s[18:19], 0
.LBB47_1570:
	s_and_b64 vcc, exec, s[18:19]
	s_cbranch_vccz .LBB47_1588
; %bb.1571:
	v_mov_b32_e32 v6, 27
	v_cmp_lt_i16_sdwa s[18:19], v5, v6 src0_sel:BYTE_0 src1_sel:DWORD
	s_and_b64 vcc, exec, s[18:19]
	s_cbranch_vccnz .LBB47_1574
; %bb.1572:
	v_cmp_gt_i16_sdwa s[18:19], v5, v6 src0_sel:BYTE_0 src1_sel:DWORD
	s_and_b64 vcc, exec, s[18:19]
	s_cbranch_vccz .LBB47_1575
; %bb.1573:
	global_load_dword v6, v[0:1], off
	s_mov_b64 s[18:19], 0
	s_waitcnt vmcnt(0)
	v_cvt_f32_u32_e32 v6, v6
	v_cvt_f16_f32_e32 v6, v6
	s_branch .LBB47_1576
.LBB47_1574:
	s_mov_b64 s[18:19], -1
                                        ; implicit-def: $vgpr6
	s_branch .LBB47_1579
.LBB47_1575:
	s_mov_b64 s[18:19], -1
                                        ; implicit-def: $vgpr6
.LBB47_1576:
	s_andn2_b64 vcc, exec, s[18:19]
	s_cbranch_vccnz .LBB47_1578
; %bb.1577:
	global_load_ushort v6, v[0:1], off
	s_waitcnt vmcnt(0)
	v_cvt_f16_u16_e32 v6, v6
.LBB47_1578:
	s_mov_b64 s[18:19], 0
.LBB47_1579:
	s_andn2_b64 vcc, exec, s[18:19]
	s_cbranch_vccnz .LBB47_1587
; %bb.1580:
	global_load_ubyte v7, v[0:1], off
	s_movk_i32 s15, 0x7f
	s_mov_b64 s[18:19], 0
	s_waitcnt vmcnt(0)
	v_cmp_lt_i16_e32 vcc, s15, v7
                                        ; implicit-def: $sgpr15
	s_and_saveexec_b64 s[20:21], vcc
	s_xor_b64 s[20:21], exec, s[20:21]
	s_cbranch_execz .LBB47_1600
; %bb.1581:
	s_movk_i32 s15, 0x80
	v_cmp_eq_u16_e32 vcc, s15, v7
	s_mov_b64 s[18:19], -1
                                        ; implicit-def: $sgpr15
	s_and_saveexec_b64 s[22:23], vcc
; %bb.1582:
	s_movk_i32 s15, 0x7e00
	s_xor_b64 s[18:19], exec, -1
; %bb.1583:
	s_or_b64 exec, exec, s[22:23]
	s_and_b64 s[18:19], s[18:19], exec
	s_or_saveexec_b64 s[20:21], s[20:21]
	v_mov_b32_e32 v6, s15
	s_xor_b64 exec, exec, s[20:21]
	s_cbranch_execnz .LBB47_1601
.LBB47_1584:
	s_or_b64 exec, exec, s[20:21]
	s_and_saveexec_b64 s[20:21], s[18:19]
	s_cbranch_execz .LBB47_1586
.LBB47_1585:
	v_lshlrev_b32_e32 v6, 24, v7
	v_and_b32_e32 v7, 0xffff, v7
	v_and_b32_e32 v9, 7, v7
	v_ffbh_u32_e32 v11, v9
	v_min_u32_e32 v11, 32, v11
	v_subrev_u32_e32 v12, 28, v11
	v_bfe_u32 v10, v7, 3, 4
	v_lshlrev_b32_e32 v7, v12, v7
	v_sub_u32_e32 v11, 29, v11
	v_and_b32_e32 v7, 7, v7
	v_cmp_eq_u32_e32 vcc, 0, v10
	v_cndmask_b32_e32 v10, v10, v11, vcc
	v_cndmask_b32_e32 v7, v9, v7, vcc
	v_mov_b32_e32 v9, 0x3b800000
	v_lshlrev_b32_e32 v7, 20, v7
	v_and_b32_e32 v6, 0x80000000, v6
	v_lshl_add_u32 v9, v10, 23, v9
	v_or3_b32 v6, v6, v9, v7
	v_cvt_f16_f32_e32 v6, v6
.LBB47_1586:
	s_or_b64 exec, exec, s[20:21]
.LBB47_1587:
	s_mov_b64 s[20:21], -1
.LBB47_1588:
	s_branch .LBB47_1620
.LBB47_1589:
	v_mov_b32_e32 v6, 22
	v_cmp_gt_i16_sdwa s[16:17], v5, v6 src0_sel:BYTE_0 src1_sel:DWORD
	s_and_b64 vcc, exec, s[16:17]
	s_cbranch_vccz .LBB47_1599
; %bb.1590:
	v_mov_b32_e32 v6, 24
	v_cmp_lt_i16_sdwa s[16:17], v5, v6 src0_sel:BYTE_0 src1_sel:DWORD
	s_and_b64 vcc, exec, s[16:17]
	s_cbranch_vccnz .LBB47_1602
; %bb.1591:
	v_cmp_gt_i16_sdwa s[16:17], v5, v6 src0_sel:BYTE_0 src1_sel:DWORD
	s_and_b64 vcc, exec, s[16:17]
	s_cbranch_vccz .LBB47_1603
; %bb.1592:
	global_load_ubyte v7, v[0:1], off
	s_movk_i32 s15, 0x7f
	s_mov_b64 s[16:17], 0
	s_waitcnt vmcnt(0)
	v_cmp_lt_i16_e32 vcc, s15, v7
                                        ; implicit-def: $sgpr15
	s_and_saveexec_b64 s[18:19], vcc
	s_xor_b64 s[18:19], exec, s[18:19]
	s_cbranch_execz .LBB47_1614
; %bb.1593:
	s_movk_i32 s15, 0x80
	v_cmp_eq_u16_e32 vcc, s15, v7
	s_mov_b64 s[16:17], -1
                                        ; implicit-def: $sgpr15
	s_and_saveexec_b64 s[20:21], vcc
; %bb.1594:
	s_movk_i32 s15, 0x7e00
	s_xor_b64 s[16:17], exec, -1
; %bb.1595:
	s_or_b64 exec, exec, s[20:21]
	s_and_b64 s[16:17], s[16:17], exec
	s_or_saveexec_b64 s[18:19], s[18:19]
	v_mov_b32_e32 v6, s15
	s_xor_b64 exec, exec, s[18:19]
	s_cbranch_execnz .LBB47_1615
.LBB47_1596:
	s_or_b64 exec, exec, s[18:19]
	s_and_saveexec_b64 s[18:19], s[16:17]
	s_cbranch_execz .LBB47_1598
.LBB47_1597:
	v_lshlrev_b32_e32 v6, 24, v7
	v_and_b32_e32 v7, 0xffff, v7
	v_and_b32_e32 v9, 3, v7
	v_ffbh_u32_e32 v11, v9
	v_min_u32_e32 v11, 32, v11
	v_subrev_u32_e32 v12, 29, v11
	v_bfe_u32 v10, v7, 2, 5
	v_lshlrev_b32_e32 v7, v12, v7
	v_sub_u32_e32 v11, 30, v11
	v_and_b32_e32 v7, 3, v7
	v_cmp_eq_u32_e32 vcc, 0, v10
	v_cndmask_b32_e32 v10, v10, v11, vcc
	v_cndmask_b32_e32 v7, v9, v7, vcc
	v_mov_b32_e32 v9, 0x37800000
	v_lshlrev_b32_e32 v7, 21, v7
	v_and_b32_e32 v6, 0x80000000, v6
	v_lshl_add_u32 v9, v10, 23, v9
	v_or3_b32 v6, v6, v9, v7
	v_cvt_f16_f32_e32 v6, v6
.LBB47_1598:
	s_or_b64 exec, exec, s[18:19]
	s_mov_b64 s[16:17], 0
	s_branch .LBB47_1604
.LBB47_1599:
                                        ; implicit-def: $vgpr6
	s_mov_b64 s[16:17], 0
	s_branch .LBB47_1610
.LBB47_1600:
	s_or_saveexec_b64 s[20:21], s[20:21]
	v_mov_b32_e32 v6, s15
	s_xor_b64 exec, exec, s[20:21]
	s_cbranch_execz .LBB47_1584
.LBB47_1601:
	v_cmp_ne_u16_e32 vcc, 0, v7
	s_andn2_b64 s[18:19], s[18:19], exec
	s_and_b64 s[22:23], vcc, exec
	s_or_b64 s[18:19], s[18:19], s[22:23]
	v_mov_b32_e32 v6, v7
	s_or_b64 exec, exec, s[20:21]
	s_and_saveexec_b64 s[20:21], s[18:19]
	s_cbranch_execnz .LBB47_1585
	s_branch .LBB47_1586
.LBB47_1602:
	s_mov_b64 s[16:17], -1
                                        ; implicit-def: $vgpr6
	s_branch .LBB47_1607
.LBB47_1603:
	s_mov_b64 s[16:17], -1
                                        ; implicit-def: $vgpr6
.LBB47_1604:
	s_and_b64 vcc, exec, s[16:17]
	s_cbranch_vccz .LBB47_1606
; %bb.1605:
	global_load_ubyte v6, v[0:1], off
	s_mov_b32 s15, 0x7f800000
	s_waitcnt vmcnt(0)
	v_lshlrev_b32_e32 v6, 24, v6
	v_and_b32_e32 v7, 0x7f000000, v6
	v_ffbh_u32_e32 v9, v7
	v_min_u32_e32 v9, 32, v9
	v_sub_u32_e64 v9, v9, 4 clamp
	v_lshlrev_b32_e32 v11, v9, v7
	v_lshlrev_b32_e32 v9, 23, v9
	v_lshrrev_b32_e32 v11, 4, v11
	v_add_u32_e32 v10, 0x1000000, v7
	v_sub_u32_e32 v9, v11, v9
	v_ashrrev_i32_e32 v10, 8, v10
	v_add_u32_e32 v9, 0x3c000000, v9
	v_and_or_b32 v9, v10, s15, v9
	v_cmp_ne_u32_e32 vcc, 0, v7
	v_cndmask_b32_e32 v7, 0, v9, vcc
	s_brev_b32 s15, 1
	v_and_or_b32 v6, v6, s15, v7
	v_cvt_f16_f32_e32 v6, v6
.LBB47_1606:
	s_mov_b64 s[16:17], 0
.LBB47_1607:
	s_andn2_b64 vcc, exec, s[16:17]
	s_cbranch_vccnz .LBB47_1609
; %bb.1608:
	global_load_ubyte v6, v[0:1], off
	s_movk_i32 s15, 0x7f00
	s_brev_b32 s16, 16
	s_waitcnt vmcnt(0)
	v_lshlrev_b16_e32 v7, 8, v6
	v_lshlrev_b32_e32 v6, 25, v6
	v_lshrrev_b32_e32 v9, 4, v6
	v_and_or_b32 v10, v7, s15, 0.5
	v_or_b32_e32 v9, 0x70000000, v9
	v_add_f32_e32 v10, -0.5, v10
	v_mul_f32_e32 v9, 0x7800000, v9
	v_cmp_gt_u32_e32 vcc, s16, v6
	v_bfe_i32 v7, v7, 0, 16
	v_cndmask_b32_e32 v6, v9, v10, vcc
	s_brev_b32 s15, 1
	v_and_or_b32 v6, v7, s15, v6
	v_cvt_f16_f32_e32 v6, v6
.LBB47_1609:
	s_mov_b64 s[20:21], -1
	s_mov_b64 s[16:17], 0
	s_cbranch_execnz .LBB47_1620
.LBB47_1610:
	v_mov_b32_e32 v6, 14
	v_cmp_gt_i16_sdwa s[16:17], v5, v6 src0_sel:BYTE_0 src1_sel:DWORD
	s_and_b64 vcc, exec, s[16:17]
	s_cbranch_vccz .LBB47_1613
; %bb.1611:
	v_mov_b32_e32 v6, 15
	v_cmp_eq_u16_sdwa s[0:1], v5, v6 src0_sel:BYTE_0 src1_sel:DWORD
	s_and_b64 vcc, exec, s[0:1]
	s_cbranch_vccz .LBB47_1616
; %bb.1612:
	global_load_ushort v6, v[0:1], off
	s_mov_b64 s[0:1], 0
	s_mov_b64 s[20:21], -1
	s_waitcnt vmcnt(0)
	v_lshlrev_b32_e32 v6, 16, v6
	v_cvt_f16_f32_e32 v6, v6
	s_branch .LBB47_1617
.LBB47_1613:
	s_mov_b64 s[18:19], -1
                                        ; implicit-def: $vgpr6
	s_branch .LBB47_1618
.LBB47_1614:
	s_or_saveexec_b64 s[18:19], s[18:19]
	v_mov_b32_e32 v6, s15
	s_xor_b64 exec, exec, s[18:19]
	s_cbranch_execz .LBB47_1596
.LBB47_1615:
	v_cmp_ne_u16_e32 vcc, 0, v7
	s_andn2_b64 s[16:17], s[16:17], exec
	s_and_b64 s[20:21], vcc, exec
	s_or_b64 s[16:17], s[16:17], s[20:21]
	v_mov_b32_e32 v6, v7
	s_or_b64 exec, exec, s[18:19]
	s_and_saveexec_b64 s[18:19], s[16:17]
	s_cbranch_execnz .LBB47_1597
	s_branch .LBB47_1598
.LBB47_1616:
	s_mov_b64 s[0:1], -1
                                        ; implicit-def: $vgpr6
.LBB47_1617:
	s_mov_b64 s[18:19], 0
.LBB47_1618:
	s_mov_b64 s[16:17], 0
	s_and_b64 vcc, exec, s[18:19]
	s_cbranch_vccz .LBB47_1620
; %bb.1619:
	v_mov_b32_e32 v6, 11
	v_cmp_ne_u16_sdwa s[0:1], v5, v6 src0_sel:BYTE_0 src1_sel:DWORD
	s_mov_b64 s[16:17], -1
                                        ; implicit-def: $vgpr6
.LBB47_1620:
	s_and_b64 vcc, exec, s[0:1]
	s_mov_b64 s[18:19], s[6:7]
	s_cbranch_vccnz .LBB47_1681
; %bb.1621:
	s_andn2_b64 vcc, exec, s[16:17]
	s_cbranch_vccnz .LBB47_1623
.LBB47_1622:
	global_load_ubyte v6, v[0:1], off
	v_mov_b32_e32 v7, 0x3c00
	s_mov_b64 s[20:21], -1
	s_waitcnt vmcnt(0)
	v_cmp_ne_u16_e32 vcc, 0, v6
	v_cndmask_b32_e32 v6, 0, v7, vcc
.LBB47_1623:
	s_branch .LBB47_1553
.LBB47_1624:
	v_mov_b32_e32 v6, 5
	v_cmp_lt_i16_sdwa s[0:1], v5, v6 src0_sel:BYTE_0 src1_sel:DWORD
	s_and_b64 vcc, exec, s[0:1]
	s_cbranch_vccnz .LBB47_1629
; %bb.1625:
	v_mov_b32_e32 v6, 8
	v_cmp_lt_i16_sdwa s[0:1], v5, v6 src0_sel:BYTE_0 src1_sel:DWORD
	s_and_b64 vcc, exec, s[0:1]
	s_cbranch_vccnz .LBB47_1630
; %bb.1626:
	;; [unrolled: 5-line block ×3, first 2 shown]
	v_cmp_gt_i16_sdwa s[0:1], v5, v6 src0_sel:BYTE_0 src1_sel:DWORD
	s_and_b64 vcc, exec, s[0:1]
	s_cbranch_vccz .LBB47_1632
; %bb.1628:
	global_load_dwordx2 v[6:7], v[0:1], off
	s_mov_b64 s[0:1], 0
	s_waitcnt vmcnt(0)
	v_cvt_f32_f64_e32 v6, v[6:7]
	v_cvt_f16_f32_e32 v6, v6
	s_branch .LBB47_1633
.LBB47_1629:
                                        ; implicit-def: $vgpr6
	s_branch .LBB47_1650
.LBB47_1630:
                                        ; implicit-def: $vgpr6
	s_branch .LBB47_1639
.LBB47_1631:
	s_mov_b64 s[0:1], -1
                                        ; implicit-def: $vgpr6
	s_branch .LBB47_1636
.LBB47_1632:
	s_mov_b64 s[0:1], -1
                                        ; implicit-def: $vgpr6
.LBB47_1633:
	s_andn2_b64 vcc, exec, s[0:1]
	s_cbranch_vccnz .LBB47_1635
; %bb.1634:
	global_load_dword v6, v[0:1], off
	s_waitcnt vmcnt(0)
	v_cvt_f16_f32_e32 v6, v6
.LBB47_1635:
	s_mov_b64 s[0:1], 0
.LBB47_1636:
	s_andn2_b64 vcc, exec, s[0:1]
	s_cbranch_vccnz .LBB47_1638
; %bb.1637:
	global_load_dword v6, v[0:1], off
.LBB47_1638:
	s_cbranch_execnz .LBB47_1649
.LBB47_1639:
	s_waitcnt vmcnt(0)
	v_mov_b32_e32 v6, 6
	v_cmp_lt_i16_sdwa s[0:1], v5, v6 src0_sel:BYTE_0 src1_sel:DWORD
	s_and_b64 vcc, exec, s[0:1]
	s_cbranch_vccnz .LBB47_1642
; %bb.1640:
	v_cmp_gt_i16_sdwa s[0:1], v5, v6 src0_sel:BYTE_0 src1_sel:DWORD
	s_and_b64 vcc, exec, s[0:1]
	s_cbranch_vccz .LBB47_1643
; %bb.1641:
	global_load_dwordx2 v[6:7], v[0:1], off
	s_mov_b64 s[0:1], 0
	s_waitcnt vmcnt(0)
	v_cvt_f32_f64_e32 v6, v[6:7]
	v_cvt_f16_f32_e32 v6, v6
	s_branch .LBB47_1644
.LBB47_1642:
	s_mov_b64 s[0:1], -1
                                        ; implicit-def: $vgpr6
	s_branch .LBB47_1647
.LBB47_1643:
	s_mov_b64 s[0:1], -1
                                        ; implicit-def: $vgpr6
.LBB47_1644:
	s_andn2_b64 vcc, exec, s[0:1]
	s_cbranch_vccnz .LBB47_1646
; %bb.1645:
	global_load_dword v6, v[0:1], off
	s_waitcnt vmcnt(0)
	v_cvt_f16_f32_e32 v6, v6
.LBB47_1646:
	s_mov_b64 s[0:1], 0
.LBB47_1647:
	s_andn2_b64 vcc, exec, s[0:1]
	s_cbranch_vccnz .LBB47_1649
; %bb.1648:
	global_load_ushort v6, v[0:1], off
.LBB47_1649:
	s_cbranch_execnz .LBB47_1668
.LBB47_1650:
	s_waitcnt vmcnt(0)
	v_mov_b32_e32 v6, 2
	v_cmp_lt_i16_sdwa s[0:1], v5, v6 src0_sel:BYTE_0 src1_sel:DWORD
	s_and_b64 vcc, exec, s[0:1]
	s_cbranch_vccnz .LBB47_1654
; %bb.1651:
	v_mov_b32_e32 v6, 3
	v_cmp_lt_i16_sdwa s[0:1], v5, v6 src0_sel:BYTE_0 src1_sel:DWORD
	s_and_b64 vcc, exec, s[0:1]
	s_cbranch_vccnz .LBB47_1655
; %bb.1652:
	v_cmp_gt_i16_sdwa s[0:1], v5, v6 src0_sel:BYTE_0 src1_sel:DWORD
	s_and_b64 vcc, exec, s[0:1]
	s_cbranch_vccz .LBB47_1656
; %bb.1653:
	global_load_dwordx2 v[6:7], v[0:1], off
	s_mov_b64 s[0:1], 0
	s_waitcnt vmcnt(0)
	v_xor_b32_e32 v10, v6, v7
	v_ffbh_i32_e32 v9, v7
	v_ashrrev_i32_e32 v10, 31, v10
	v_add_u32_e32 v9, -1, v9
	v_add_u32_e32 v10, 32, v10
	v_min_u32_e32 v9, v9, v10
	v_lshlrev_b64 v[6:7], v9, v[6:7]
	v_min_u32_e32 v6, 1, v6
	v_or_b32_e32 v6, v7, v6
	v_cvt_f32_i32_e32 v6, v6
	v_sub_u32_e32 v7, 32, v9
	v_ldexp_f32 v6, v6, v7
	v_cvt_f16_f32_e32 v6, v6
	s_branch .LBB47_1657
.LBB47_1654:
                                        ; implicit-def: $vgpr6
	s_branch .LBB47_1663
.LBB47_1655:
	s_mov_b64 s[0:1], -1
                                        ; implicit-def: $vgpr6
	s_branch .LBB47_1660
.LBB47_1656:
	s_mov_b64 s[0:1], -1
                                        ; implicit-def: $vgpr6
.LBB47_1657:
	s_andn2_b64 vcc, exec, s[0:1]
	s_cbranch_vccnz .LBB47_1659
; %bb.1658:
	global_load_dword v6, v[0:1], off
	s_waitcnt vmcnt(0)
	v_cvt_f32_i32_e32 v6, v6
	v_cvt_f16_f32_e32 v6, v6
.LBB47_1659:
	s_mov_b64 s[0:1], 0
.LBB47_1660:
	s_andn2_b64 vcc, exec, s[0:1]
	s_cbranch_vccnz .LBB47_1662
; %bb.1661:
	global_load_ushort v6, v[0:1], off
	s_waitcnt vmcnt(0)
	v_cvt_f16_i16_e32 v6, v6
.LBB47_1662:
	s_cbranch_execnz .LBB47_1668
.LBB47_1663:
	v_mov_b32_e32 v6, 0
	v_cmp_gt_i16_sdwa s[0:1], v5, v6 src0_sel:BYTE_0 src1_sel:DWORD
	s_and_b64 vcc, exec, s[0:1]
	s_cbranch_vccz .LBB47_1665
; %bb.1664:
	global_load_sbyte v6, v[0:1], off
	s_mov_b64 s[0:1], 0
	s_waitcnt vmcnt(0)
	v_cvt_f16_i16_e32 v6, v6
	s_branch .LBB47_1666
.LBB47_1665:
	s_mov_b64 s[0:1], -1
                                        ; implicit-def: $vgpr6
.LBB47_1666:
	s_andn2_b64 vcc, exec, s[0:1]
	s_cbranch_vccnz .LBB47_1668
; %bb.1667:
	global_load_ubyte v0, v[0:1], off
	s_waitcnt vmcnt(0)
	v_cvt_f16_u16_e32 v6, v0
.LBB47_1668:
.LBB47_1669:
	v_mul_lo_u32 v9, s14, v3
	v_ashrrev_i32_e32 v1, 31, v9
	v_mov_b32_e32 v7, s3
	v_add_co_u32_e32 v0, vcc, s2, v9
	v_addc_co_u32_e32 v1, vcc, v7, v1, vcc
	v_mov_b32_e32 v7, 11
	v_cmp_lt_i16_sdwa s[0:1], v4, v7 src0_sel:BYTE_0 src1_sel:DWORD
	s_and_b64 vcc, exec, s[0:1]
	s_cbranch_vccnz .LBB47_1676
; %bb.1670:
	v_mov_b32_e32 v7, 25
	v_cmp_gt_i16_sdwa s[0:1], v4, v7 src0_sel:BYTE_0 src1_sel:DWORD
	s_mov_b64 s[16:17], 0
	s_and_b64 vcc, exec, s[0:1]
	s_cbranch_vccz .LBB47_1678
; %bb.1671:
	v_mov_b32_e32 v7, 28
	v_cmp_gt_i16_sdwa s[0:1], v4, v7 src0_sel:BYTE_0 src1_sel:DWORD
	s_and_b64 vcc, exec, s[0:1]
	s_cbranch_vccz .LBB47_1679
; %bb.1672:
	v_mov_b32_e32 v7, 43
	v_cmp_gt_i16_sdwa s[0:1], v4, v7 src0_sel:BYTE_0 src1_sel:DWORD
	;; [unrolled: 5-line block ×3, first 2 shown]
	s_and_b64 vcc, exec, s[0:1]
	s_cbranch_vccz .LBB47_1682
; %bb.1674:
	v_mov_b32_e32 v7, 46
	v_cmp_eq_u16_sdwa s[0:1], v4, v7 src0_sel:BYTE_0 src1_sel:DWORD
	s_mov_b64 s[22:23], 0
	s_and_b64 vcc, exec, s[0:1]
	s_cbranch_vccz .LBB47_1685
; %bb.1675:
	global_load_dword v7, v[0:1], off
	s_mov_b64 s[0:1], 0
	s_mov_b64 s[20:21], -1
	s_waitcnt vmcnt(0)
	v_lshlrev_b32_e32 v7, 16, v7
	v_cvt_f16_f32_e32 v7, v7
	s_branch .LBB47_1686
.LBB47_1676:
	s_mov_b64 s[20:21], 0
                                        ; implicit-def: $vgpr7
	s_cbranch_execnz .LBB47_1751
.LBB47_1677:
	s_andn2_b64 vcc, exec, s[20:21]
	s_cbranch_vccnz .LBB47_3032
	s_branch .LBB47_1798
.LBB47_1678:
	s_mov_b64 s[20:21], 0
	s_mov_b64 s[0:1], 0
                                        ; implicit-def: $vgpr7
	s_cbranch_execnz .LBB47_1715
	s_branch .LBB47_1747
.LBB47_1679:
	s_mov_b64 s[22:23], -1
	s_mov_b64 s[20:21], 0
	s_mov_b64 s[0:1], 0
                                        ; implicit-def: $vgpr7
	s_branch .LBB47_1696
.LBB47_1680:
	s_mov_b64 s[22:23], -1
	s_mov_b64 s[20:21], 0
	s_mov_b64 s[0:1], 0
                                        ; implicit-def: $vgpr7
	s_branch .LBB47_1691
.LBB47_1681:
	s_or_b64 s[18:19], s[6:7], exec
	s_trap 2
                                        ; implicit-def: $vgpr6
	s_cbranch_execz .LBB47_1622
	s_branch .LBB47_1623
.LBB47_1682:
	s_mov_b64 s[22:23], -1
	s_mov_b64 s[20:21], 0
	s_mov_b64 s[0:1], 0
                                        ; implicit-def: $vgpr7
	s_branch .LBB47_1686
.LBB47_1683:
	s_or_saveexec_b64 s[28:29], s[28:29]
                                        ; implicit-def: $sgpr15
	s_xor_b64 exec, exec, s[28:29]
	s_cbranch_execz .LBB47_1469
.LBB47_1684:
	s_mov_b32 s15, 0x42800000
	v_add_f32_e64 v3, |v2|, s15
	v_and_b32_e32 v3, 0xff, v3
	v_cmp_ne_u32_e32 vcc, 0, v3
	s_andn2_b64 s[26:27], s[26:27], exec
	s_and_b64 s[30:31], vcc, exec
	s_mov_b32 s15, 0
	s_or_b64 s[26:27], s[26:27], s[30:31]
	s_or_b64 exec, exec, s[28:29]
	v_mov_b32_e32 v6, s15
	s_and_saveexec_b64 s[28:29], s[26:27]
	s_cbranch_execnz .LBB47_1470
	s_branch .LBB47_1471
.LBB47_1685:
	s_mov_b64 s[0:1], -1
                                        ; implicit-def: $vgpr7
	s_mov_b64 s[20:21], 0
.LBB47_1686:
	s_and_b64 vcc, exec, s[22:23]
	s_cbranch_vccz .LBB47_1690
; %bb.1687:
	v_mov_b32_e32 v7, 44
	v_cmp_eq_u16_sdwa s[0:1], v4, v7 src0_sel:BYTE_0 src1_sel:DWORD
	s_and_b64 vcc, exec, s[0:1]
	s_cbranch_vccz .LBB47_1689
; %bb.1688:
	global_load_ubyte v7, v[0:1], off
	s_movk_i32 s15, 0xff
	v_mov_b32_e32 v11, 0x7e00
	s_mov_b64 s[0:1], 0
	s_mov_b64 s[20:21], -1
	s_waitcnt vmcnt(0)
	v_lshlrev_b32_e32 v10, 23, v7
	v_cvt_f16_f32_e32 v10, v10
	v_cmp_ne_u32_e32 vcc, s15, v7
	v_cndmask_b32_e32 v10, v11, v10, vcc
	v_cmp_ne_u32_e32 vcc, 0, v7
	v_cndmask_b32_e32 v7, 0, v10, vcc
	s_branch .LBB47_1690
.LBB47_1689:
	s_mov_b64 s[0:1], -1
                                        ; implicit-def: $vgpr7
.LBB47_1690:
	s_mov_b64 s[22:23], 0
.LBB47_1691:
	s_and_b64 vcc, exec, s[22:23]
	s_cbranch_vccz .LBB47_1695
; %bb.1692:
	v_mov_b32_e32 v7, 29
	v_cmp_eq_u16_sdwa s[0:1], v4, v7 src0_sel:BYTE_0 src1_sel:DWORD
	s_and_b64 vcc, exec, s[0:1]
	s_cbranch_vccz .LBB47_1694
; %bb.1693:
	global_load_dwordx2 v[10:11], v[0:1], off
	s_mov_b64 s[0:1], 0
	s_mov_b64 s[20:21], -1
	s_mov_b64 s[22:23], 0
	s_waitcnt vmcnt(0)
	v_ffbh_u32_e32 v7, v11
	v_min_u32_e32 v7, 32, v7
	v_lshlrev_b64 v[10:11], v7, v[10:11]
	v_min_u32_e32 v10, 1, v10
	v_or_b32_e32 v10, v11, v10
	v_cvt_f32_u32_e32 v10, v10
	v_sub_u32_e32 v7, 32, v7
	v_ldexp_f32 v7, v10, v7
	v_cvt_f16_f32_e32 v7, v7
	s_branch .LBB47_1696
.LBB47_1694:
	s_mov_b64 s[0:1], -1
                                        ; implicit-def: $vgpr7
.LBB47_1695:
	s_mov_b64 s[22:23], 0
.LBB47_1696:
	s_and_b64 vcc, exec, s[22:23]
	s_cbranch_vccz .LBB47_1714
; %bb.1697:
	v_mov_b32_e32 v7, 27
	v_cmp_lt_i16_sdwa s[20:21], v4, v7 src0_sel:BYTE_0 src1_sel:DWORD
	s_and_b64 vcc, exec, s[20:21]
	s_cbranch_vccnz .LBB47_1700
; %bb.1698:
	v_cmp_gt_i16_sdwa s[20:21], v4, v7 src0_sel:BYTE_0 src1_sel:DWORD
	s_and_b64 vcc, exec, s[20:21]
	s_cbranch_vccz .LBB47_1701
; %bb.1699:
	global_load_dword v7, v[0:1], off
	s_mov_b64 s[20:21], 0
	s_waitcnt vmcnt(0)
	v_cvt_f32_u32_e32 v7, v7
	v_cvt_f16_f32_e32 v7, v7
	s_branch .LBB47_1702
.LBB47_1700:
	s_mov_b64 s[20:21], -1
                                        ; implicit-def: $vgpr7
	s_branch .LBB47_1705
.LBB47_1701:
	s_mov_b64 s[20:21], -1
                                        ; implicit-def: $vgpr7
.LBB47_1702:
	s_andn2_b64 vcc, exec, s[20:21]
	s_cbranch_vccnz .LBB47_1704
; %bb.1703:
	global_load_ushort v7, v[0:1], off
	s_waitcnt vmcnt(0)
	v_cvt_f16_u16_e32 v7, v7
.LBB47_1704:
	s_mov_b64 s[20:21], 0
.LBB47_1705:
	s_andn2_b64 vcc, exec, s[20:21]
	s_cbranch_vccnz .LBB47_1713
; %bb.1706:
	global_load_ubyte v10, v[0:1], off
	s_movk_i32 s15, 0x7f
	s_mov_b64 s[20:21], 0
	s_waitcnt vmcnt(0)
	v_cmp_lt_i16_e32 vcc, s15, v10
                                        ; implicit-def: $sgpr15
	s_and_saveexec_b64 s[22:23], vcc
	s_xor_b64 s[22:23], exec, s[22:23]
	s_cbranch_execz .LBB47_1726
; %bb.1707:
	s_movk_i32 s15, 0x80
	v_cmp_eq_u16_e32 vcc, s15, v10
	s_mov_b64 s[20:21], -1
                                        ; implicit-def: $sgpr15
	s_and_saveexec_b64 s[24:25], vcc
; %bb.1708:
	s_movk_i32 s15, 0x7e00
	s_xor_b64 s[20:21], exec, -1
; %bb.1709:
	s_or_b64 exec, exec, s[24:25]
	s_and_b64 s[20:21], s[20:21], exec
	s_or_saveexec_b64 s[22:23], s[22:23]
	v_mov_b32_e32 v7, s15
	s_xor_b64 exec, exec, s[22:23]
	s_cbranch_execnz .LBB47_1727
.LBB47_1710:
	s_or_b64 exec, exec, s[22:23]
	s_and_saveexec_b64 s[22:23], s[20:21]
	s_cbranch_execz .LBB47_1712
.LBB47_1711:
	v_lshlrev_b32_e32 v7, 24, v10
	v_and_b32_e32 v10, 0xffff, v10
	v_and_b32_e32 v11, 7, v10
	v_ffbh_u32_e32 v13, v11
	v_min_u32_e32 v13, 32, v13
	v_subrev_u32_e32 v14, 28, v13
	v_bfe_u32 v12, v10, 3, 4
	v_lshlrev_b32_e32 v10, v14, v10
	v_sub_u32_e32 v13, 29, v13
	v_and_b32_e32 v10, 7, v10
	v_cmp_eq_u32_e32 vcc, 0, v12
	v_cndmask_b32_e32 v12, v12, v13, vcc
	v_cndmask_b32_e32 v10, v11, v10, vcc
	v_mov_b32_e32 v11, 0x3b800000
	v_lshlrev_b32_e32 v10, 20, v10
	v_and_b32_e32 v7, 0x80000000, v7
	v_lshl_add_u32 v11, v12, 23, v11
	v_or3_b32 v7, v7, v11, v10
	v_cvt_f16_f32_e32 v7, v7
.LBB47_1712:
	s_or_b64 exec, exec, s[22:23]
.LBB47_1713:
	s_mov_b64 s[20:21], -1
.LBB47_1714:
	s_branch .LBB47_1747
.LBB47_1715:
	v_mov_b32_e32 v7, 22
	v_cmp_gt_i16_sdwa s[16:17], v4, v7 src0_sel:BYTE_0 src1_sel:DWORD
	s_and_b64 vcc, exec, s[16:17]
	s_cbranch_vccz .LBB47_1725
; %bb.1716:
	v_mov_b32_e32 v7, 24
	v_cmp_lt_i16_sdwa s[16:17], v4, v7 src0_sel:BYTE_0 src1_sel:DWORD
	s_and_b64 vcc, exec, s[16:17]
	s_cbranch_vccnz .LBB47_1728
; %bb.1717:
	v_cmp_gt_i16_sdwa s[16:17], v4, v7 src0_sel:BYTE_0 src1_sel:DWORD
	s_and_b64 vcc, exec, s[16:17]
	s_cbranch_vccz .LBB47_1729
; %bb.1718:
	global_load_ubyte v10, v[0:1], off
	s_movk_i32 s15, 0x7f
	s_mov_b64 s[16:17], 0
	s_waitcnt vmcnt(0)
	v_cmp_lt_i16_e32 vcc, s15, v10
                                        ; implicit-def: $sgpr15
	s_and_saveexec_b64 s[20:21], vcc
	s_xor_b64 s[20:21], exec, s[20:21]
	s_cbranch_execz .LBB47_1741
; %bb.1719:
	s_movk_i32 s15, 0x80
	v_cmp_eq_u16_e32 vcc, s15, v10
	s_mov_b64 s[16:17], -1
                                        ; implicit-def: $sgpr15
	s_and_saveexec_b64 s[22:23], vcc
; %bb.1720:
	s_movk_i32 s15, 0x7e00
	s_xor_b64 s[16:17], exec, -1
; %bb.1721:
	s_or_b64 exec, exec, s[22:23]
	s_and_b64 s[16:17], s[16:17], exec
	s_or_saveexec_b64 s[20:21], s[20:21]
	v_mov_b32_e32 v7, s15
	s_xor_b64 exec, exec, s[20:21]
	s_cbranch_execnz .LBB47_1742
.LBB47_1722:
	s_or_b64 exec, exec, s[20:21]
	s_and_saveexec_b64 s[20:21], s[16:17]
	s_cbranch_execz .LBB47_1724
.LBB47_1723:
	v_lshlrev_b32_e32 v7, 24, v10
	v_and_b32_e32 v10, 0xffff, v10
	v_and_b32_e32 v11, 3, v10
	v_ffbh_u32_e32 v13, v11
	v_min_u32_e32 v13, 32, v13
	v_subrev_u32_e32 v14, 29, v13
	v_bfe_u32 v12, v10, 2, 5
	v_lshlrev_b32_e32 v10, v14, v10
	v_sub_u32_e32 v13, 30, v13
	v_and_b32_e32 v10, 3, v10
	v_cmp_eq_u32_e32 vcc, 0, v12
	v_cndmask_b32_e32 v12, v12, v13, vcc
	v_cndmask_b32_e32 v10, v11, v10, vcc
	v_mov_b32_e32 v11, 0x37800000
	v_lshlrev_b32_e32 v10, 21, v10
	v_and_b32_e32 v7, 0x80000000, v7
	v_lshl_add_u32 v11, v12, 23, v11
	v_or3_b32 v7, v7, v11, v10
	v_cvt_f16_f32_e32 v7, v7
.LBB47_1724:
	s_or_b64 exec, exec, s[20:21]
	s_mov_b64 s[16:17], 0
	s_branch .LBB47_1730
.LBB47_1725:
	s_mov_b64 s[16:17], -1
                                        ; implicit-def: $vgpr7
	s_branch .LBB47_1736
.LBB47_1726:
	s_or_saveexec_b64 s[22:23], s[22:23]
	v_mov_b32_e32 v7, s15
	s_xor_b64 exec, exec, s[22:23]
	s_cbranch_execz .LBB47_1710
.LBB47_1727:
	v_cmp_ne_u16_e32 vcc, 0, v10
	s_andn2_b64 s[20:21], s[20:21], exec
	s_and_b64 s[24:25], vcc, exec
	s_or_b64 s[20:21], s[20:21], s[24:25]
	v_mov_b32_e32 v7, v10
	s_or_b64 exec, exec, s[22:23]
	s_and_saveexec_b64 s[22:23], s[20:21]
	s_cbranch_execnz .LBB47_1711
	s_branch .LBB47_1712
.LBB47_1728:
	s_mov_b64 s[16:17], -1
                                        ; implicit-def: $vgpr7
	s_branch .LBB47_1733
.LBB47_1729:
	s_mov_b64 s[16:17], -1
                                        ; implicit-def: $vgpr7
.LBB47_1730:
	s_and_b64 vcc, exec, s[16:17]
	s_cbranch_vccz .LBB47_1732
; %bb.1731:
	global_load_ubyte v7, v[0:1], off
	s_mov_b32 s15, 0x7f800000
	s_waitcnt vmcnt(0)
	v_lshlrev_b32_e32 v7, 24, v7
	v_and_b32_e32 v10, 0x7f000000, v7
	v_ffbh_u32_e32 v11, v10
	v_min_u32_e32 v11, 32, v11
	v_sub_u32_e64 v11, v11, 4 clamp
	v_lshlrev_b32_e32 v13, v11, v10
	v_lshlrev_b32_e32 v11, 23, v11
	v_lshrrev_b32_e32 v13, 4, v13
	v_add_u32_e32 v12, 0x1000000, v10
	v_sub_u32_e32 v11, v13, v11
	v_ashrrev_i32_e32 v12, 8, v12
	v_add_u32_e32 v11, 0x3c000000, v11
	v_and_or_b32 v11, v12, s15, v11
	v_cmp_ne_u32_e32 vcc, 0, v10
	v_cndmask_b32_e32 v10, 0, v11, vcc
	s_brev_b32 s15, 1
	v_and_or_b32 v7, v7, s15, v10
	v_cvt_f16_f32_e32 v7, v7
.LBB47_1732:
	s_mov_b64 s[16:17], 0
.LBB47_1733:
	s_andn2_b64 vcc, exec, s[16:17]
	s_cbranch_vccnz .LBB47_1735
; %bb.1734:
	global_load_ubyte v7, v[0:1], off
	s_movk_i32 s15, 0x7f00
	s_brev_b32 s16, 16
	s_waitcnt vmcnt(0)
	v_lshlrev_b16_e32 v10, 8, v7
	v_lshlrev_b32_e32 v7, 25, v7
	v_lshrrev_b32_e32 v11, 4, v7
	v_and_or_b32 v12, v10, s15, 0.5
	v_or_b32_e32 v11, 0x70000000, v11
	v_add_f32_e32 v12, -0.5, v12
	v_mul_f32_e32 v11, 0x7800000, v11
	v_cmp_gt_u32_e32 vcc, s16, v7
	v_bfe_i32 v10, v10, 0, 16
	v_cndmask_b32_e32 v7, v11, v12, vcc
	s_brev_b32 s15, 1
	v_and_or_b32 v7, v10, s15, v7
	v_cvt_f16_f32_e32 v7, v7
.LBB47_1735:
	s_mov_b64 s[16:17], 0
	s_mov_b64 s[20:21], -1
.LBB47_1736:
	s_andn2_b64 vcc, exec, s[16:17]
	s_mov_b64 s[16:17], 0
	s_cbranch_vccnz .LBB47_1747
; %bb.1737:
	v_mov_b32_e32 v7, 14
	v_cmp_gt_i16_sdwa s[16:17], v4, v7 src0_sel:BYTE_0 src1_sel:DWORD
	s_and_b64 vcc, exec, s[16:17]
	s_cbranch_vccz .LBB47_1740
; %bb.1738:
	v_mov_b32_e32 v7, 15
	v_cmp_eq_u16_sdwa s[0:1], v4, v7 src0_sel:BYTE_0 src1_sel:DWORD
	s_and_b64 vcc, exec, s[0:1]
	s_cbranch_vccz .LBB47_1743
; %bb.1739:
	global_load_ushort v7, v[0:1], off
	s_mov_b64 s[0:1], 0
	s_mov_b64 s[20:21], -1
	s_waitcnt vmcnt(0)
	v_lshlrev_b32_e32 v7, 16, v7
	v_cvt_f16_f32_e32 v7, v7
	s_branch .LBB47_1744
.LBB47_1740:
	s_mov_b64 s[22:23], -1
                                        ; implicit-def: $vgpr7
	s_branch .LBB47_1745
.LBB47_1741:
	s_or_saveexec_b64 s[20:21], s[20:21]
	v_mov_b32_e32 v7, s15
	s_xor_b64 exec, exec, s[20:21]
	s_cbranch_execz .LBB47_1722
.LBB47_1742:
	v_cmp_ne_u16_e32 vcc, 0, v10
	s_andn2_b64 s[16:17], s[16:17], exec
	s_and_b64 s[22:23], vcc, exec
	s_or_b64 s[16:17], s[16:17], s[22:23]
	v_mov_b32_e32 v7, v10
	s_or_b64 exec, exec, s[20:21]
	s_and_saveexec_b64 s[20:21], s[16:17]
	s_cbranch_execnz .LBB47_1723
	s_branch .LBB47_1724
.LBB47_1743:
	s_mov_b64 s[0:1], -1
                                        ; implicit-def: $vgpr7
.LBB47_1744:
	s_mov_b64 s[22:23], 0
.LBB47_1745:
	s_mov_b64 s[16:17], 0
	s_and_b64 vcc, exec, s[22:23]
	s_cbranch_vccz .LBB47_1747
; %bb.1746:
	v_mov_b32_e32 v7, 11
	v_cmp_ne_u16_sdwa s[0:1], v4, v7 src0_sel:BYTE_0 src1_sel:DWORD
	s_mov_b64 s[16:17], -1
                                        ; implicit-def: $vgpr7
.LBB47_1747:
	s_and_b64 vcc, exec, s[0:1]
	s_cbranch_vccnz .LBB47_1810
; %bb.1748:
	s_andn2_b64 vcc, exec, s[16:17]
	s_cbranch_vccnz .LBB47_1750
.LBB47_1749:
	global_load_ubyte v7, v[0:1], off
	v_mov_b32_e32 v10, 0x3c00
	s_mov_b64 s[20:21], -1
	s_waitcnt vmcnt(0)
	v_cmp_ne_u16_e32 vcc, 0, v7
	v_cndmask_b32_e32 v7, 0, v10, vcc
.LBB47_1750:
	s_branch .LBB47_1677
.LBB47_1751:
	v_mov_b32_e32 v7, 5
	v_cmp_lt_i16_sdwa s[0:1], v4, v7 src0_sel:BYTE_0 src1_sel:DWORD
	s_and_b64 vcc, exec, s[0:1]
	s_cbranch_vccnz .LBB47_1756
; %bb.1752:
	v_mov_b32_e32 v7, 8
	v_cmp_lt_i16_sdwa s[0:1], v4, v7 src0_sel:BYTE_0 src1_sel:DWORD
	s_and_b64 vcc, exec, s[0:1]
	s_cbranch_vccnz .LBB47_1757
; %bb.1753:
	;; [unrolled: 5-line block ×3, first 2 shown]
	v_cmp_gt_i16_sdwa s[0:1], v4, v7 src0_sel:BYTE_0 src1_sel:DWORD
	s_and_b64 vcc, exec, s[0:1]
	s_cbranch_vccz .LBB47_1759
; %bb.1755:
	global_load_dwordx2 v[10:11], v[0:1], off
	s_mov_b64 s[0:1], 0
	s_waitcnt vmcnt(0)
	v_cvt_f32_f64_e32 v7, v[10:11]
	v_cvt_f16_f32_e32 v7, v7
	s_branch .LBB47_1760
.LBB47_1756:
                                        ; implicit-def: $vgpr7
	s_branch .LBB47_1778
.LBB47_1757:
	s_mov_b64 s[0:1], -1
                                        ; implicit-def: $vgpr7
	s_branch .LBB47_1766
.LBB47_1758:
	s_mov_b64 s[0:1], -1
                                        ; implicit-def: $vgpr7
	s_branch .LBB47_1763
.LBB47_1759:
	s_mov_b64 s[0:1], -1
                                        ; implicit-def: $vgpr7
.LBB47_1760:
	s_andn2_b64 vcc, exec, s[0:1]
	s_cbranch_vccnz .LBB47_1762
; %bb.1761:
	global_load_dword v7, v[0:1], off
	s_waitcnt vmcnt(0)
	v_cvt_f16_f32_e32 v7, v7
.LBB47_1762:
	s_mov_b64 s[0:1], 0
.LBB47_1763:
	s_andn2_b64 vcc, exec, s[0:1]
	s_cbranch_vccnz .LBB47_1765
; %bb.1764:
	global_load_dword v7, v[0:1], off
.LBB47_1765:
	s_mov_b64 s[0:1], 0
.LBB47_1766:
	s_andn2_b64 vcc, exec, s[0:1]
	s_cbranch_vccnz .LBB47_1777
; %bb.1767:
	s_waitcnt vmcnt(0)
	v_mov_b32_e32 v7, 6
	v_cmp_lt_i16_sdwa s[0:1], v4, v7 src0_sel:BYTE_0 src1_sel:DWORD
	s_and_b64 vcc, exec, s[0:1]
	s_cbranch_vccnz .LBB47_1770
; %bb.1768:
	v_cmp_gt_i16_sdwa s[0:1], v4, v7 src0_sel:BYTE_0 src1_sel:DWORD
	s_and_b64 vcc, exec, s[0:1]
	s_cbranch_vccz .LBB47_1771
; %bb.1769:
	global_load_dwordx2 v[10:11], v[0:1], off
	s_mov_b64 s[0:1], 0
	s_waitcnt vmcnt(0)
	v_cvt_f32_f64_e32 v7, v[10:11]
	v_cvt_f16_f32_e32 v7, v7
	s_branch .LBB47_1772
.LBB47_1770:
	s_mov_b64 s[0:1], -1
                                        ; implicit-def: $vgpr7
	s_branch .LBB47_1775
.LBB47_1771:
	s_mov_b64 s[0:1], -1
                                        ; implicit-def: $vgpr7
.LBB47_1772:
	s_andn2_b64 vcc, exec, s[0:1]
	s_cbranch_vccnz .LBB47_1774
; %bb.1773:
	global_load_dword v7, v[0:1], off
	s_waitcnt vmcnt(0)
	v_cvt_f16_f32_e32 v7, v7
.LBB47_1774:
	s_mov_b64 s[0:1], 0
.LBB47_1775:
	s_andn2_b64 vcc, exec, s[0:1]
	s_cbranch_vccnz .LBB47_1777
; %bb.1776:
	global_load_ushort v7, v[0:1], off
.LBB47_1777:
	s_cbranch_execnz .LBB47_1797
.LBB47_1778:
	s_waitcnt vmcnt(0)
	v_mov_b32_e32 v7, 2
	v_cmp_lt_i16_sdwa s[0:1], v4, v7 src0_sel:BYTE_0 src1_sel:DWORD
	s_and_b64 vcc, exec, s[0:1]
	s_cbranch_vccnz .LBB47_1782
; %bb.1779:
	v_mov_b32_e32 v7, 3
	v_cmp_lt_i16_sdwa s[0:1], v4, v7 src0_sel:BYTE_0 src1_sel:DWORD
	s_and_b64 vcc, exec, s[0:1]
	s_cbranch_vccnz .LBB47_1783
; %bb.1780:
	v_cmp_gt_i16_sdwa s[0:1], v4, v7 src0_sel:BYTE_0 src1_sel:DWORD
	s_and_b64 vcc, exec, s[0:1]
	s_cbranch_vccz .LBB47_1784
; %bb.1781:
	global_load_dwordx2 v[10:11], v[0:1], off
	s_mov_b64 s[0:1], 0
	s_waitcnt vmcnt(0)
	v_xor_b32_e32 v12, v10, v11
	v_ffbh_i32_e32 v7, v11
	v_ashrrev_i32_e32 v12, 31, v12
	v_add_u32_e32 v7, -1, v7
	v_add_u32_e32 v12, 32, v12
	v_min_u32_e32 v7, v7, v12
	v_lshlrev_b64 v[10:11], v7, v[10:11]
	v_min_u32_e32 v10, 1, v10
	v_or_b32_e32 v10, v11, v10
	v_cvt_f32_i32_e32 v10, v10
	v_sub_u32_e32 v7, 32, v7
	v_ldexp_f32 v7, v10, v7
	v_cvt_f16_f32_e32 v7, v7
	s_branch .LBB47_1785
.LBB47_1782:
	s_mov_b64 s[0:1], -1
                                        ; implicit-def: $vgpr7
	s_branch .LBB47_1791
.LBB47_1783:
	s_mov_b64 s[0:1], -1
                                        ; implicit-def: $vgpr7
	s_branch .LBB47_1788
.LBB47_1784:
	s_mov_b64 s[0:1], -1
                                        ; implicit-def: $vgpr7
.LBB47_1785:
	s_andn2_b64 vcc, exec, s[0:1]
	s_cbranch_vccnz .LBB47_1787
; %bb.1786:
	global_load_dword v7, v[0:1], off
	s_waitcnt vmcnt(0)
	v_cvt_f32_i32_e32 v7, v7
	v_cvt_f16_f32_e32 v7, v7
.LBB47_1787:
	s_mov_b64 s[0:1], 0
.LBB47_1788:
	s_andn2_b64 vcc, exec, s[0:1]
	s_cbranch_vccnz .LBB47_1790
; %bb.1789:
	global_load_ushort v7, v[0:1], off
	s_waitcnt vmcnt(0)
	v_cvt_f16_i16_e32 v7, v7
.LBB47_1790:
	s_mov_b64 s[0:1], 0
.LBB47_1791:
	s_andn2_b64 vcc, exec, s[0:1]
	s_cbranch_vccnz .LBB47_1797
; %bb.1792:
	v_mov_b32_e32 v7, 0
	v_cmp_gt_i16_sdwa s[0:1], v4, v7 src0_sel:BYTE_0 src1_sel:DWORD
	s_and_b64 vcc, exec, s[0:1]
	s_cbranch_vccz .LBB47_1794
; %bb.1793:
	global_load_sbyte v7, v[0:1], off
	s_mov_b64 s[0:1], 0
	s_waitcnt vmcnt(0)
	v_cvt_f16_i16_e32 v7, v7
	s_branch .LBB47_1795
.LBB47_1794:
	s_mov_b64 s[0:1], -1
                                        ; implicit-def: $vgpr7
.LBB47_1795:
	s_andn2_b64 vcc, exec, s[0:1]
	s_cbranch_vccnz .LBB47_1797
; %bb.1796:
	global_load_ubyte v0, v[0:1], off
	s_waitcnt vmcnt(0)
	v_cvt_f16_u16_e32 v7, v0
.LBB47_1797:
.LBB47_1798:
	s_lshl_b32 s13, s13, 7
	v_add_u32_e32 v10, s13, v8
	v_ashrrev_i32_e32 v1, 31, v10
	v_mov_b32_e32 v8, s11
	v_add_co_u32_e32 v0, vcc, s10, v10
	v_addc_co_u32_e32 v1, vcc, v8, v1, vcc
	v_mov_b32_e32 v8, 11
	v_cmp_lt_i16_sdwa s[0:1], v5, v8 src0_sel:BYTE_0 src1_sel:DWORD
	s_and_b64 vcc, exec, s[0:1]
	s_cbranch_vccnz .LBB47_1805
; %bb.1799:
	v_mov_b32_e32 v8, 25
	v_cmp_gt_i16_sdwa s[0:1], v5, v8 src0_sel:BYTE_0 src1_sel:DWORD
	s_mov_b64 s[16:17], 0
	s_and_b64 vcc, exec, s[0:1]
	s_cbranch_vccz .LBB47_1807
; %bb.1800:
	v_mov_b32_e32 v8, 28
	v_cmp_gt_i16_sdwa s[0:1], v5, v8 src0_sel:BYTE_0 src1_sel:DWORD
	s_and_b64 vcc, exec, s[0:1]
	s_cbranch_vccz .LBB47_1808
; %bb.1801:
	v_mov_b32_e32 v8, 43
	v_cmp_gt_i16_sdwa s[0:1], v5, v8 src0_sel:BYTE_0 src1_sel:DWORD
	;; [unrolled: 5-line block ×3, first 2 shown]
	s_and_b64 vcc, exec, s[0:1]
	s_cbranch_vccz .LBB47_1811
; %bb.1803:
	v_mov_b32_e32 v8, 46
	v_cmp_eq_u16_sdwa s[0:1], v5, v8 src0_sel:BYTE_0 src1_sel:DWORD
	s_mov_b64 s[22:23], 0
	s_and_b64 vcc, exec, s[0:1]
	s_cbranch_vccz .LBB47_1812
; %bb.1804:
	global_load_dword v8, v[0:1], off
	s_mov_b64 s[0:1], 0
	s_mov_b64 s[20:21], -1
	s_waitcnt vmcnt(0)
	v_lshlrev_b32_e32 v8, 16, v8
	v_cvt_f16_f32_e32 v8, v8
	s_branch .LBB47_1813
.LBB47_1805:
	s_mov_b64 s[20:21], 0
                                        ; implicit-def: $vgpr8
	s_cbranch_execnz .LBB47_1879
.LBB47_1806:
	s_andn2_b64 vcc, exec, s[20:21]
	s_cbranch_vccnz .LBB47_3032
	s_branch .LBB47_1927
.LBB47_1807:
	s_mov_b64 s[22:23], -1
	s_mov_b64 s[20:21], 0
	s_mov_b64 s[0:1], 0
                                        ; implicit-def: $vgpr8
	s_branch .LBB47_1842
.LBB47_1808:
	s_mov_b64 s[22:23], -1
	s_mov_b64 s[20:21], 0
	s_mov_b64 s[0:1], 0
                                        ; implicit-def: $vgpr8
	s_branch .LBB47_1823
.LBB47_1809:
	s_mov_b64 s[22:23], -1
	s_mov_b64 s[20:21], 0
	s_mov_b64 s[0:1], 0
                                        ; implicit-def: $vgpr8
	s_branch .LBB47_1818
.LBB47_1810:
	s_trap 2
	s_or_b64 s[18:19], s[18:19], exec
                                        ; implicit-def: $vgpr7
	s_cbranch_execz .LBB47_1749
	s_branch .LBB47_1750
.LBB47_1811:
	s_mov_b64 s[22:23], -1
	s_mov_b64 s[20:21], 0
	s_mov_b64 s[0:1], 0
                                        ; implicit-def: $vgpr8
	s_branch .LBB47_1813
.LBB47_1812:
	s_mov_b64 s[0:1], -1
                                        ; implicit-def: $vgpr8
	s_mov_b64 s[20:21], 0
.LBB47_1813:
	s_and_b64 vcc, exec, s[22:23]
	s_cbranch_vccz .LBB47_1817
; %bb.1814:
	v_mov_b32_e32 v8, 44
	v_cmp_eq_u16_sdwa s[0:1], v5, v8 src0_sel:BYTE_0 src1_sel:DWORD
	s_and_b64 vcc, exec, s[0:1]
	s_cbranch_vccz .LBB47_1816
; %bb.1815:
	global_load_ubyte v8, v[0:1], off
	s_movk_i32 s15, 0xff
	v_mov_b32_e32 v12, 0x7e00
	s_mov_b64 s[0:1], 0
	s_mov_b64 s[20:21], -1
	s_waitcnt vmcnt(0)
	v_lshlrev_b32_e32 v11, 23, v8
	v_cvt_f16_f32_e32 v11, v11
	v_cmp_ne_u32_e32 vcc, s15, v8
	v_cndmask_b32_e32 v11, v12, v11, vcc
	v_cmp_ne_u32_e32 vcc, 0, v8
	v_cndmask_b32_e32 v8, 0, v11, vcc
	s_branch .LBB47_1817
.LBB47_1816:
	s_mov_b64 s[0:1], -1
                                        ; implicit-def: $vgpr8
.LBB47_1817:
	s_mov_b64 s[22:23], 0
.LBB47_1818:
	s_and_b64 vcc, exec, s[22:23]
	s_cbranch_vccz .LBB47_1822
; %bb.1819:
	v_mov_b32_e32 v8, 29
	v_cmp_eq_u16_sdwa s[0:1], v5, v8 src0_sel:BYTE_0 src1_sel:DWORD
	s_and_b64 vcc, exec, s[0:1]
	s_cbranch_vccz .LBB47_1821
; %bb.1820:
	global_load_dwordx2 v[12:13], v[0:1], off
	s_mov_b64 s[0:1], 0
	s_mov_b64 s[20:21], -1
	s_mov_b64 s[22:23], 0
	s_waitcnt vmcnt(0)
	v_ffbh_u32_e32 v8, v13
	v_min_u32_e32 v8, 32, v8
	v_lshlrev_b64 v[12:13], v8, v[12:13]
	v_min_u32_e32 v11, 1, v12
	v_or_b32_e32 v11, v13, v11
	v_cvt_f32_u32_e32 v11, v11
	v_sub_u32_e32 v8, 32, v8
	v_ldexp_f32 v8, v11, v8
	v_cvt_f16_f32_e32 v8, v8
	s_branch .LBB47_1823
.LBB47_1821:
	s_mov_b64 s[0:1], -1
                                        ; implicit-def: $vgpr8
.LBB47_1822:
	s_mov_b64 s[22:23], 0
.LBB47_1823:
	s_and_b64 vcc, exec, s[22:23]
	s_cbranch_vccz .LBB47_1841
; %bb.1824:
	v_mov_b32_e32 v8, 27
	v_cmp_lt_i16_sdwa s[20:21], v5, v8 src0_sel:BYTE_0 src1_sel:DWORD
	s_and_b64 vcc, exec, s[20:21]
	s_cbranch_vccnz .LBB47_1827
; %bb.1825:
	v_cmp_gt_i16_sdwa s[20:21], v5, v8 src0_sel:BYTE_0 src1_sel:DWORD
	s_and_b64 vcc, exec, s[20:21]
	s_cbranch_vccz .LBB47_1828
; %bb.1826:
	global_load_dword v8, v[0:1], off
	s_mov_b64 s[20:21], 0
	s_waitcnt vmcnt(0)
	v_cvt_f32_u32_e32 v8, v8
	v_cvt_f16_f32_e32 v8, v8
	s_branch .LBB47_1829
.LBB47_1827:
	s_mov_b64 s[20:21], -1
                                        ; implicit-def: $vgpr8
	s_branch .LBB47_1832
.LBB47_1828:
	s_mov_b64 s[20:21], -1
                                        ; implicit-def: $vgpr8
.LBB47_1829:
	s_andn2_b64 vcc, exec, s[20:21]
	s_cbranch_vccnz .LBB47_1831
; %bb.1830:
	global_load_ushort v8, v[0:1], off
	s_waitcnt vmcnt(0)
	v_cvt_f16_u16_e32 v8, v8
.LBB47_1831:
	s_mov_b64 s[20:21], 0
.LBB47_1832:
	s_andn2_b64 vcc, exec, s[20:21]
	s_cbranch_vccnz .LBB47_1840
; %bb.1833:
	global_load_ubyte v11, v[0:1], off
	s_movk_i32 s15, 0x7f
	s_mov_b64 s[20:21], 0
	s_waitcnt vmcnt(0)
	v_cmp_lt_i16_e32 vcc, s15, v11
                                        ; implicit-def: $sgpr15
	s_and_saveexec_b64 s[22:23], vcc
	s_xor_b64 s[22:23], exec, s[22:23]
	s_cbranch_execz .LBB47_1854
; %bb.1834:
	s_movk_i32 s15, 0x80
	v_cmp_eq_u16_e32 vcc, s15, v11
	s_mov_b64 s[20:21], -1
                                        ; implicit-def: $sgpr15
	s_and_saveexec_b64 s[24:25], vcc
; %bb.1835:
	s_movk_i32 s15, 0x7e00
	s_xor_b64 s[20:21], exec, -1
; %bb.1836:
	s_or_b64 exec, exec, s[24:25]
	s_and_b64 s[20:21], s[20:21], exec
	s_or_saveexec_b64 s[22:23], s[22:23]
	v_mov_b32_e32 v8, s15
	s_xor_b64 exec, exec, s[22:23]
	s_cbranch_execnz .LBB47_1855
.LBB47_1837:
	s_or_b64 exec, exec, s[22:23]
	s_and_saveexec_b64 s[22:23], s[20:21]
	s_cbranch_execz .LBB47_1839
.LBB47_1838:
	v_lshlrev_b32_e32 v8, 24, v11
	v_and_b32_e32 v11, 0xffff, v11
	v_and_b32_e32 v12, 7, v11
	v_ffbh_u32_e32 v14, v12
	v_min_u32_e32 v14, 32, v14
	v_subrev_u32_e32 v15, 28, v14
	v_bfe_u32 v13, v11, 3, 4
	v_lshlrev_b32_e32 v11, v15, v11
	v_sub_u32_e32 v14, 29, v14
	v_and_b32_e32 v11, 7, v11
	v_cmp_eq_u32_e32 vcc, 0, v13
	v_cndmask_b32_e32 v13, v13, v14, vcc
	v_cndmask_b32_e32 v11, v12, v11, vcc
	v_mov_b32_e32 v12, 0x3b800000
	v_lshlrev_b32_e32 v11, 20, v11
	v_and_b32_e32 v8, 0x80000000, v8
	v_lshl_add_u32 v12, v13, 23, v12
	v_or3_b32 v8, v8, v12, v11
	v_cvt_f16_f32_e32 v8, v8
.LBB47_1839:
	s_or_b64 exec, exec, s[22:23]
.LBB47_1840:
	s_mov_b64 s[20:21], -1
.LBB47_1841:
	s_mov_b64 s[22:23], 0
.LBB47_1842:
	s_and_b64 vcc, exec, s[22:23]
	s_cbranch_vccz .LBB47_1875
; %bb.1843:
	v_mov_b32_e32 v8, 22
	v_cmp_gt_i16_sdwa s[16:17], v5, v8 src0_sel:BYTE_0 src1_sel:DWORD
	s_and_b64 vcc, exec, s[16:17]
	s_cbranch_vccz .LBB47_1853
; %bb.1844:
	v_mov_b32_e32 v8, 24
	v_cmp_lt_i16_sdwa s[16:17], v5, v8 src0_sel:BYTE_0 src1_sel:DWORD
	s_and_b64 vcc, exec, s[16:17]
	s_cbranch_vccnz .LBB47_1856
; %bb.1845:
	v_cmp_gt_i16_sdwa s[16:17], v5, v8 src0_sel:BYTE_0 src1_sel:DWORD
	s_and_b64 vcc, exec, s[16:17]
	s_cbranch_vccz .LBB47_1857
; %bb.1846:
	global_load_ubyte v11, v[0:1], off
	s_movk_i32 s15, 0x7f
	s_mov_b64 s[16:17], 0
	s_waitcnt vmcnt(0)
	v_cmp_lt_i16_e32 vcc, s15, v11
                                        ; implicit-def: $sgpr15
	s_and_saveexec_b64 s[20:21], vcc
	s_xor_b64 s[20:21], exec, s[20:21]
	s_cbranch_execz .LBB47_1869
; %bb.1847:
	s_movk_i32 s15, 0x80
	v_cmp_eq_u16_e32 vcc, s15, v11
	s_mov_b64 s[16:17], -1
                                        ; implicit-def: $sgpr15
	s_and_saveexec_b64 s[22:23], vcc
; %bb.1848:
	s_movk_i32 s15, 0x7e00
	s_xor_b64 s[16:17], exec, -1
; %bb.1849:
	s_or_b64 exec, exec, s[22:23]
	s_and_b64 s[16:17], s[16:17], exec
	s_or_saveexec_b64 s[20:21], s[20:21]
	v_mov_b32_e32 v8, s15
	s_xor_b64 exec, exec, s[20:21]
	s_cbranch_execnz .LBB47_1870
.LBB47_1850:
	s_or_b64 exec, exec, s[20:21]
	s_and_saveexec_b64 s[20:21], s[16:17]
	s_cbranch_execz .LBB47_1852
.LBB47_1851:
	v_lshlrev_b32_e32 v8, 24, v11
	v_and_b32_e32 v11, 0xffff, v11
	v_and_b32_e32 v12, 3, v11
	v_ffbh_u32_e32 v14, v12
	v_min_u32_e32 v14, 32, v14
	v_subrev_u32_e32 v15, 29, v14
	v_bfe_u32 v13, v11, 2, 5
	v_lshlrev_b32_e32 v11, v15, v11
	v_sub_u32_e32 v14, 30, v14
	v_and_b32_e32 v11, 3, v11
	v_cmp_eq_u32_e32 vcc, 0, v13
	v_cndmask_b32_e32 v13, v13, v14, vcc
	v_cndmask_b32_e32 v11, v12, v11, vcc
	v_mov_b32_e32 v12, 0x37800000
	v_lshlrev_b32_e32 v11, 21, v11
	v_and_b32_e32 v8, 0x80000000, v8
	v_lshl_add_u32 v12, v13, 23, v12
	v_or3_b32 v8, v8, v12, v11
	v_cvt_f16_f32_e32 v8, v8
.LBB47_1852:
	s_or_b64 exec, exec, s[20:21]
	s_mov_b64 s[16:17], 0
	s_branch .LBB47_1858
.LBB47_1853:
	s_mov_b64 s[16:17], -1
                                        ; implicit-def: $vgpr8
	s_branch .LBB47_1864
.LBB47_1854:
	s_or_saveexec_b64 s[22:23], s[22:23]
	v_mov_b32_e32 v8, s15
	s_xor_b64 exec, exec, s[22:23]
	s_cbranch_execz .LBB47_1837
.LBB47_1855:
	v_cmp_ne_u16_e32 vcc, 0, v11
	s_andn2_b64 s[20:21], s[20:21], exec
	s_and_b64 s[24:25], vcc, exec
	s_or_b64 s[20:21], s[20:21], s[24:25]
	v_mov_b32_e32 v8, v11
	s_or_b64 exec, exec, s[22:23]
	s_and_saveexec_b64 s[22:23], s[20:21]
	s_cbranch_execnz .LBB47_1838
	s_branch .LBB47_1839
.LBB47_1856:
	s_mov_b64 s[16:17], -1
                                        ; implicit-def: $vgpr8
	s_branch .LBB47_1861
.LBB47_1857:
	s_mov_b64 s[16:17], -1
                                        ; implicit-def: $vgpr8
.LBB47_1858:
	s_and_b64 vcc, exec, s[16:17]
	s_cbranch_vccz .LBB47_1860
; %bb.1859:
	global_load_ubyte v8, v[0:1], off
	s_mov_b32 s15, 0x7f800000
	s_waitcnt vmcnt(0)
	v_lshlrev_b32_e32 v8, 24, v8
	v_and_b32_e32 v11, 0x7f000000, v8
	v_ffbh_u32_e32 v12, v11
	v_min_u32_e32 v12, 32, v12
	v_sub_u32_e64 v12, v12, 4 clamp
	v_lshlrev_b32_e32 v14, v12, v11
	v_lshlrev_b32_e32 v12, 23, v12
	v_lshrrev_b32_e32 v14, 4, v14
	v_add_u32_e32 v13, 0x1000000, v11
	v_sub_u32_e32 v12, v14, v12
	v_ashrrev_i32_e32 v13, 8, v13
	v_add_u32_e32 v12, 0x3c000000, v12
	v_and_or_b32 v12, v13, s15, v12
	v_cmp_ne_u32_e32 vcc, 0, v11
	v_cndmask_b32_e32 v11, 0, v12, vcc
	s_brev_b32 s15, 1
	v_and_or_b32 v8, v8, s15, v11
	v_cvt_f16_f32_e32 v8, v8
.LBB47_1860:
	s_mov_b64 s[16:17], 0
.LBB47_1861:
	s_andn2_b64 vcc, exec, s[16:17]
	s_cbranch_vccnz .LBB47_1863
; %bb.1862:
	global_load_ubyte v8, v[0:1], off
	s_movk_i32 s15, 0x7f00
	s_brev_b32 s16, 16
	s_waitcnt vmcnt(0)
	v_lshlrev_b16_e32 v11, 8, v8
	v_lshlrev_b32_e32 v8, 25, v8
	v_lshrrev_b32_e32 v12, 4, v8
	v_and_or_b32 v13, v11, s15, 0.5
	v_or_b32_e32 v12, 0x70000000, v12
	v_add_f32_e32 v13, -0.5, v13
	v_mul_f32_e32 v12, 0x7800000, v12
	v_cmp_gt_u32_e32 vcc, s16, v8
	v_bfe_i32 v11, v11, 0, 16
	v_cndmask_b32_e32 v8, v12, v13, vcc
	s_brev_b32 s15, 1
	v_and_or_b32 v8, v11, s15, v8
	v_cvt_f16_f32_e32 v8, v8
.LBB47_1863:
	s_mov_b64 s[16:17], 0
	s_mov_b64 s[20:21], -1
.LBB47_1864:
	s_andn2_b64 vcc, exec, s[16:17]
	s_mov_b64 s[16:17], 0
	s_cbranch_vccnz .LBB47_1875
; %bb.1865:
	v_mov_b32_e32 v8, 14
	v_cmp_gt_i16_sdwa s[16:17], v5, v8 src0_sel:BYTE_0 src1_sel:DWORD
	s_and_b64 vcc, exec, s[16:17]
	s_cbranch_vccz .LBB47_1868
; %bb.1866:
	v_mov_b32_e32 v8, 15
	v_cmp_eq_u16_sdwa s[0:1], v5, v8 src0_sel:BYTE_0 src1_sel:DWORD
	s_and_b64 vcc, exec, s[0:1]
	s_cbranch_vccz .LBB47_1871
; %bb.1867:
	global_load_ushort v8, v[0:1], off
	s_mov_b64 s[0:1], 0
	s_mov_b64 s[20:21], -1
	s_waitcnt vmcnt(0)
	v_lshlrev_b32_e32 v8, 16, v8
	v_cvt_f16_f32_e32 v8, v8
	s_branch .LBB47_1872
.LBB47_1868:
	s_mov_b64 s[22:23], -1
                                        ; implicit-def: $vgpr8
	s_branch .LBB47_1873
.LBB47_1869:
	s_or_saveexec_b64 s[20:21], s[20:21]
	v_mov_b32_e32 v8, s15
	s_xor_b64 exec, exec, s[20:21]
	s_cbranch_execz .LBB47_1850
.LBB47_1870:
	v_cmp_ne_u16_e32 vcc, 0, v11
	s_andn2_b64 s[16:17], s[16:17], exec
	s_and_b64 s[22:23], vcc, exec
	s_or_b64 s[16:17], s[16:17], s[22:23]
	v_mov_b32_e32 v8, v11
	s_or_b64 exec, exec, s[20:21]
	s_and_saveexec_b64 s[20:21], s[16:17]
	s_cbranch_execnz .LBB47_1851
	s_branch .LBB47_1852
.LBB47_1871:
	s_mov_b64 s[0:1], -1
                                        ; implicit-def: $vgpr8
.LBB47_1872:
	s_mov_b64 s[22:23], 0
.LBB47_1873:
	s_mov_b64 s[16:17], 0
	s_and_b64 vcc, exec, s[22:23]
	s_cbranch_vccz .LBB47_1875
; %bb.1874:
	v_mov_b32_e32 v8, 11
	v_cmp_ne_u16_sdwa s[0:1], v5, v8 src0_sel:BYTE_0 src1_sel:DWORD
	s_mov_b64 s[16:17], -1
                                        ; implicit-def: $vgpr8
.LBB47_1875:
	s_and_b64 vcc, exec, s[0:1]
	s_cbranch_vccnz .LBB47_1938
; %bb.1876:
	s_andn2_b64 vcc, exec, s[16:17]
	s_cbranch_vccnz .LBB47_1878
.LBB47_1877:
	global_load_ubyte v8, v[0:1], off
	v_mov_b32_e32 v11, 0x3c00
	s_mov_b64 s[20:21], -1
	s_waitcnt vmcnt(0)
	v_cmp_ne_u16_e32 vcc, 0, v8
	v_cndmask_b32_e32 v8, 0, v11, vcc
.LBB47_1878:
	s_branch .LBB47_1806
.LBB47_1879:
	v_mov_b32_e32 v8, 5
	v_cmp_lt_i16_sdwa s[0:1], v5, v8 src0_sel:BYTE_0 src1_sel:DWORD
	s_and_b64 vcc, exec, s[0:1]
	s_cbranch_vccnz .LBB47_1884
; %bb.1880:
	v_mov_b32_e32 v8, 8
	v_cmp_lt_i16_sdwa s[0:1], v5, v8 src0_sel:BYTE_0 src1_sel:DWORD
	s_and_b64 vcc, exec, s[0:1]
	s_cbranch_vccnz .LBB47_1885
; %bb.1881:
	;; [unrolled: 5-line block ×3, first 2 shown]
	v_cmp_gt_i16_sdwa s[0:1], v5, v8 src0_sel:BYTE_0 src1_sel:DWORD
	s_and_b64 vcc, exec, s[0:1]
	s_cbranch_vccz .LBB47_1887
; %bb.1883:
	global_load_dwordx2 v[12:13], v[0:1], off
	s_mov_b64 s[0:1], 0
	s_waitcnt vmcnt(0)
	v_cvt_f32_f64_e32 v8, v[12:13]
	v_cvt_f16_f32_e32 v8, v8
	s_branch .LBB47_1888
.LBB47_1884:
	s_mov_b64 s[0:1], -1
                                        ; implicit-def: $vgpr8
	s_branch .LBB47_1906
.LBB47_1885:
	s_mov_b64 s[0:1], -1
                                        ; implicit-def: $vgpr8
	s_branch .LBB47_1894
.LBB47_1886:
	s_mov_b64 s[0:1], -1
                                        ; implicit-def: $vgpr8
	s_branch .LBB47_1891
.LBB47_1887:
	s_mov_b64 s[0:1], -1
                                        ; implicit-def: $vgpr8
.LBB47_1888:
	s_andn2_b64 vcc, exec, s[0:1]
	s_cbranch_vccnz .LBB47_1890
; %bb.1889:
	global_load_dword v8, v[0:1], off
	s_waitcnt vmcnt(0)
	v_cvt_f16_f32_e32 v8, v8
.LBB47_1890:
	s_mov_b64 s[0:1], 0
.LBB47_1891:
	s_andn2_b64 vcc, exec, s[0:1]
	s_cbranch_vccnz .LBB47_1893
; %bb.1892:
	global_load_dword v8, v[0:1], off
.LBB47_1893:
	s_mov_b64 s[0:1], 0
.LBB47_1894:
	s_andn2_b64 vcc, exec, s[0:1]
	s_cbranch_vccnz .LBB47_1905
; %bb.1895:
	s_waitcnt vmcnt(0)
	v_mov_b32_e32 v8, 6
	v_cmp_lt_i16_sdwa s[0:1], v5, v8 src0_sel:BYTE_0 src1_sel:DWORD
	s_and_b64 vcc, exec, s[0:1]
	s_cbranch_vccnz .LBB47_1898
; %bb.1896:
	v_cmp_gt_i16_sdwa s[0:1], v5, v8 src0_sel:BYTE_0 src1_sel:DWORD
	s_and_b64 vcc, exec, s[0:1]
	s_cbranch_vccz .LBB47_1899
; %bb.1897:
	global_load_dwordx2 v[12:13], v[0:1], off
	s_mov_b64 s[0:1], 0
	s_waitcnt vmcnt(0)
	v_cvt_f32_f64_e32 v8, v[12:13]
	v_cvt_f16_f32_e32 v8, v8
	s_branch .LBB47_1900
.LBB47_1898:
	s_mov_b64 s[0:1], -1
                                        ; implicit-def: $vgpr8
	s_branch .LBB47_1903
.LBB47_1899:
	s_mov_b64 s[0:1], -1
                                        ; implicit-def: $vgpr8
.LBB47_1900:
	s_andn2_b64 vcc, exec, s[0:1]
	s_cbranch_vccnz .LBB47_1902
; %bb.1901:
	global_load_dword v8, v[0:1], off
	s_waitcnt vmcnt(0)
	v_cvt_f16_f32_e32 v8, v8
.LBB47_1902:
	s_mov_b64 s[0:1], 0
.LBB47_1903:
	s_andn2_b64 vcc, exec, s[0:1]
	s_cbranch_vccnz .LBB47_1905
; %bb.1904:
	global_load_ushort v8, v[0:1], off
.LBB47_1905:
	s_mov_b64 s[0:1], 0
.LBB47_1906:
	s_andn2_b64 vcc, exec, s[0:1]
	s_cbranch_vccnz .LBB47_1926
; %bb.1907:
	s_waitcnt vmcnt(0)
	v_mov_b32_e32 v8, 2
	v_cmp_lt_i16_sdwa s[0:1], v5, v8 src0_sel:BYTE_0 src1_sel:DWORD
	s_and_b64 vcc, exec, s[0:1]
	s_cbranch_vccnz .LBB47_1911
; %bb.1908:
	v_mov_b32_e32 v8, 3
	v_cmp_lt_i16_sdwa s[0:1], v5, v8 src0_sel:BYTE_0 src1_sel:DWORD
	s_and_b64 vcc, exec, s[0:1]
	s_cbranch_vccnz .LBB47_1912
; %bb.1909:
	v_cmp_gt_i16_sdwa s[0:1], v5, v8 src0_sel:BYTE_0 src1_sel:DWORD
	s_and_b64 vcc, exec, s[0:1]
	s_cbranch_vccz .LBB47_1913
; %bb.1910:
	global_load_dwordx2 v[12:13], v[0:1], off
	s_mov_b64 s[0:1], 0
	s_waitcnt vmcnt(0)
	v_xor_b32_e32 v11, v12, v13
	v_ffbh_i32_e32 v8, v13
	v_ashrrev_i32_e32 v11, 31, v11
	v_add_u32_e32 v8, -1, v8
	v_add_u32_e32 v11, 32, v11
	v_min_u32_e32 v8, v8, v11
	v_lshlrev_b64 v[12:13], v8, v[12:13]
	v_min_u32_e32 v11, 1, v12
	v_or_b32_e32 v11, v13, v11
	v_cvt_f32_i32_e32 v11, v11
	v_sub_u32_e32 v8, 32, v8
	v_ldexp_f32 v8, v11, v8
	v_cvt_f16_f32_e32 v8, v8
	s_branch .LBB47_1914
.LBB47_1911:
	s_mov_b64 s[0:1], -1
                                        ; implicit-def: $vgpr8
	s_branch .LBB47_1920
.LBB47_1912:
	s_mov_b64 s[0:1], -1
                                        ; implicit-def: $vgpr8
	s_branch .LBB47_1917
.LBB47_1913:
	s_mov_b64 s[0:1], -1
                                        ; implicit-def: $vgpr8
.LBB47_1914:
	s_andn2_b64 vcc, exec, s[0:1]
	s_cbranch_vccnz .LBB47_1916
; %bb.1915:
	global_load_dword v8, v[0:1], off
	s_waitcnt vmcnt(0)
	v_cvt_f32_i32_e32 v8, v8
	v_cvt_f16_f32_e32 v8, v8
.LBB47_1916:
	s_mov_b64 s[0:1], 0
.LBB47_1917:
	s_andn2_b64 vcc, exec, s[0:1]
	s_cbranch_vccnz .LBB47_1919
; %bb.1918:
	global_load_ushort v8, v[0:1], off
	s_waitcnt vmcnt(0)
	v_cvt_f16_i16_e32 v8, v8
.LBB47_1919:
	s_mov_b64 s[0:1], 0
.LBB47_1920:
	s_andn2_b64 vcc, exec, s[0:1]
	s_cbranch_vccnz .LBB47_1926
; %bb.1921:
	v_mov_b32_e32 v8, 0
	v_cmp_gt_i16_sdwa s[0:1], v5, v8 src0_sel:BYTE_0 src1_sel:DWORD
	s_and_b64 vcc, exec, s[0:1]
	s_cbranch_vccz .LBB47_1923
; %bb.1922:
	global_load_sbyte v8, v[0:1], off
	s_mov_b64 s[0:1], 0
	s_waitcnt vmcnt(0)
	v_cvt_f16_i16_e32 v8, v8
	s_branch .LBB47_1924
.LBB47_1923:
	s_mov_b64 s[0:1], -1
                                        ; implicit-def: $vgpr8
.LBB47_1924:
	s_andn2_b64 vcc, exec, s[0:1]
	s_cbranch_vccnz .LBB47_1926
; %bb.1925:
	global_load_ubyte v0, v[0:1], off
	s_waitcnt vmcnt(0)
	v_cvt_f16_u16_e32 v8, v0
.LBB47_1926:
.LBB47_1927:
	s_lshl_b32 s24, s14, 7
	v_add_u32_e32 v11, s24, v9
	v_ashrrev_i32_e32 v1, 31, v11
	v_mov_b32_e32 v9, s3
	v_add_co_u32_e32 v0, vcc, s2, v11
	v_addc_co_u32_e32 v1, vcc, v9, v1, vcc
	v_mov_b32_e32 v9, 11
	v_cmp_lt_i16_sdwa s[0:1], v4, v9 src0_sel:BYTE_0 src1_sel:DWORD
	s_and_b64 vcc, exec, s[0:1]
	s_cbranch_vccnz .LBB47_1934
; %bb.1928:
	v_mov_b32_e32 v9, 25
	v_cmp_gt_i16_sdwa s[0:1], v4, v9 src0_sel:BYTE_0 src1_sel:DWORD
	s_mov_b64 s[14:15], 0
	s_and_b64 vcc, exec, s[0:1]
	s_cbranch_vccz .LBB47_1935
; %bb.1929:
	v_mov_b32_e32 v9, 28
	v_cmp_gt_i16_sdwa s[0:1], v4, v9 src0_sel:BYTE_0 src1_sel:DWORD
	s_and_b64 vcc, exec, s[0:1]
	s_cbranch_vccz .LBB47_1936
; %bb.1930:
	v_mov_b32_e32 v9, 43
	v_cmp_gt_i16_sdwa s[0:1], v4, v9 src0_sel:BYTE_0 src1_sel:DWORD
	;; [unrolled: 5-line block ×3, first 2 shown]
	s_and_b64 vcc, exec, s[0:1]
	s_cbranch_vccz .LBB47_1939
; %bb.1932:
	v_mov_b32_e32 v9, 46
	v_cmp_eq_u16_sdwa s[0:1], v4, v9 src0_sel:BYTE_0 src1_sel:DWORD
	s_mov_b64 s[20:21], 0
	s_and_b64 vcc, exec, s[0:1]
	s_cbranch_vccz .LBB47_1940
; %bb.1933:
	global_load_dword v9, v[0:1], off
	s_mov_b64 s[0:1], 0
	s_mov_b64 s[16:17], -1
	s_waitcnt vmcnt(0)
	v_lshlrev_b32_e32 v9, 16, v9
	v_cvt_f16_f32_e32 v9, v9
	s_branch .LBB47_1941
.LBB47_1934:
	s_mov_b64 s[0:1], -1
	s_mov_b64 s[16:17], 0
                                        ; implicit-def: $vgpr9
	s_branch .LBB47_2007
.LBB47_1935:
	s_mov_b64 s[20:21], -1
	s_mov_b64 s[16:17], 0
	s_mov_b64 s[0:1], 0
                                        ; implicit-def: $vgpr9
	s_branch .LBB47_1970
.LBB47_1936:
	s_mov_b64 s[20:21], -1
	s_mov_b64 s[16:17], 0
	s_mov_b64 s[0:1], 0
                                        ; implicit-def: $vgpr9
	s_branch .LBB47_1951
.LBB47_1937:
	s_mov_b64 s[20:21], -1
	s_mov_b64 s[16:17], 0
	s_mov_b64 s[0:1], 0
                                        ; implicit-def: $vgpr9
	s_branch .LBB47_1946
.LBB47_1938:
	s_trap 2
	s_or_b64 s[18:19], s[18:19], exec
                                        ; implicit-def: $vgpr8
	s_cbranch_execz .LBB47_1877
	s_branch .LBB47_1878
.LBB47_1939:
	s_mov_b64 s[20:21], -1
	s_mov_b64 s[16:17], 0
	s_mov_b64 s[0:1], 0
                                        ; implicit-def: $vgpr9
	s_branch .LBB47_1941
.LBB47_1940:
	s_mov_b64 s[0:1], -1
                                        ; implicit-def: $vgpr9
	s_mov_b64 s[16:17], 0
.LBB47_1941:
	s_and_b64 vcc, exec, s[20:21]
	s_cbranch_vccz .LBB47_1945
; %bb.1942:
	v_mov_b32_e32 v9, 44
	v_cmp_eq_u16_sdwa s[0:1], v4, v9 src0_sel:BYTE_0 src1_sel:DWORD
	s_and_b64 vcc, exec, s[0:1]
	s_cbranch_vccz .LBB47_1944
; %bb.1943:
	global_load_ubyte v9, v[0:1], off
	s_movk_i32 s16, 0xff
	v_mov_b32_e32 v13, 0x7e00
	s_mov_b64 s[0:1], 0
	s_waitcnt vmcnt(0)
	v_lshlrev_b32_e32 v12, 23, v9
	v_cvt_f16_f32_e32 v12, v12
	v_cmp_ne_u32_e32 vcc, s16, v9
	s_mov_b64 s[16:17], -1
	v_cndmask_b32_e32 v12, v13, v12, vcc
	v_cmp_ne_u32_e32 vcc, 0, v9
	v_cndmask_b32_e32 v9, 0, v12, vcc
	s_branch .LBB47_1945
.LBB47_1944:
	s_mov_b64 s[0:1], -1
                                        ; implicit-def: $vgpr9
.LBB47_1945:
	s_mov_b64 s[20:21], 0
.LBB47_1946:
	s_and_b64 vcc, exec, s[20:21]
	s_cbranch_vccz .LBB47_1950
; %bb.1947:
	v_mov_b32_e32 v9, 29
	v_cmp_eq_u16_sdwa s[0:1], v4, v9 src0_sel:BYTE_0 src1_sel:DWORD
	s_and_b64 vcc, exec, s[0:1]
	s_cbranch_vccz .LBB47_1949
; %bb.1948:
	global_load_dwordx2 v[12:13], v[0:1], off
	s_mov_b64 s[0:1], 0
	s_mov_b64 s[16:17], -1
	s_mov_b64 s[20:21], 0
	s_waitcnt vmcnt(0)
	v_ffbh_u32_e32 v9, v13
	v_min_u32_e32 v9, 32, v9
	v_lshlrev_b64 v[12:13], v9, v[12:13]
	v_min_u32_e32 v12, 1, v12
	v_or_b32_e32 v12, v13, v12
	v_cvt_f32_u32_e32 v12, v12
	v_sub_u32_e32 v9, 32, v9
	v_ldexp_f32 v9, v12, v9
	v_cvt_f16_f32_e32 v9, v9
	s_branch .LBB47_1951
.LBB47_1949:
	s_mov_b64 s[0:1], -1
                                        ; implicit-def: $vgpr9
.LBB47_1950:
	s_mov_b64 s[20:21], 0
.LBB47_1951:
	s_and_b64 vcc, exec, s[20:21]
	s_cbranch_vccz .LBB47_1969
; %bb.1952:
	v_mov_b32_e32 v9, 27
	v_cmp_lt_i16_sdwa s[16:17], v4, v9 src0_sel:BYTE_0 src1_sel:DWORD
	s_and_b64 vcc, exec, s[16:17]
	s_cbranch_vccnz .LBB47_1955
; %bb.1953:
	v_cmp_gt_i16_sdwa s[16:17], v4, v9 src0_sel:BYTE_0 src1_sel:DWORD
	s_and_b64 vcc, exec, s[16:17]
	s_cbranch_vccz .LBB47_1956
; %bb.1954:
	global_load_dword v9, v[0:1], off
	s_mov_b64 s[16:17], 0
	s_waitcnt vmcnt(0)
	v_cvt_f32_u32_e32 v9, v9
	v_cvt_f16_f32_e32 v9, v9
	s_branch .LBB47_1957
.LBB47_1955:
	s_mov_b64 s[16:17], -1
                                        ; implicit-def: $vgpr9
	s_branch .LBB47_1960
.LBB47_1956:
	s_mov_b64 s[16:17], -1
                                        ; implicit-def: $vgpr9
.LBB47_1957:
	s_andn2_b64 vcc, exec, s[16:17]
	s_cbranch_vccnz .LBB47_1959
; %bb.1958:
	global_load_ushort v9, v[0:1], off
	s_waitcnt vmcnt(0)
	v_cvt_f16_u16_e32 v9, v9
.LBB47_1959:
	s_mov_b64 s[16:17], 0
.LBB47_1960:
	s_andn2_b64 vcc, exec, s[16:17]
	s_cbranch_vccnz .LBB47_1968
; %bb.1961:
	global_load_ubyte v12, v[0:1], off
	s_movk_i32 s16, 0x7f
                                        ; implicit-def: $sgpr25
	s_waitcnt vmcnt(0)
	v_cmp_lt_i16_e32 vcc, s16, v12
	s_mov_b64 s[16:17], 0
	s_and_saveexec_b64 s[20:21], vcc
	s_xor_b64 s[20:21], exec, s[20:21]
	s_cbranch_execz .LBB47_1982
; %bb.1962:
	s_movk_i32 s16, 0x80
	v_cmp_eq_u16_e32 vcc, s16, v12
	s_mov_b64 s[16:17], -1
                                        ; implicit-def: $sgpr25
	s_and_saveexec_b64 s[22:23], vcc
; %bb.1963:
	s_movk_i32 s25, 0x7e00
	s_xor_b64 s[16:17], exec, -1
; %bb.1964:
	s_or_b64 exec, exec, s[22:23]
	s_and_b64 s[16:17], s[16:17], exec
	s_or_saveexec_b64 s[20:21], s[20:21]
	v_mov_b32_e32 v9, s25
	s_xor_b64 exec, exec, s[20:21]
	s_cbranch_execnz .LBB47_1983
.LBB47_1965:
	s_or_b64 exec, exec, s[20:21]
	s_and_saveexec_b64 s[20:21], s[16:17]
	s_cbranch_execz .LBB47_1967
.LBB47_1966:
	v_lshlrev_b32_e32 v9, 24, v12
	v_and_b32_e32 v12, 0xffff, v12
	v_and_b32_e32 v13, 7, v12
	v_ffbh_u32_e32 v15, v13
	v_min_u32_e32 v15, 32, v15
	v_subrev_u32_e32 v16, 28, v15
	v_bfe_u32 v14, v12, 3, 4
	v_lshlrev_b32_e32 v12, v16, v12
	v_sub_u32_e32 v15, 29, v15
	v_and_b32_e32 v12, 7, v12
	v_cmp_eq_u32_e32 vcc, 0, v14
	v_cndmask_b32_e32 v14, v14, v15, vcc
	v_cndmask_b32_e32 v12, v13, v12, vcc
	v_mov_b32_e32 v13, 0x3b800000
	v_lshlrev_b32_e32 v12, 20, v12
	v_and_b32_e32 v9, 0x80000000, v9
	v_lshl_add_u32 v13, v14, 23, v13
	v_or3_b32 v9, v9, v13, v12
	v_cvt_f16_f32_e32 v9, v9
.LBB47_1967:
	s_or_b64 exec, exec, s[20:21]
.LBB47_1968:
	s_mov_b64 s[16:17], -1
.LBB47_1969:
	s_mov_b64 s[20:21], 0
.LBB47_1970:
	s_and_b64 vcc, exec, s[20:21]
	s_cbranch_vccz .LBB47_2003
; %bb.1971:
	v_mov_b32_e32 v9, 22
	v_cmp_gt_i16_sdwa s[14:15], v4, v9 src0_sel:BYTE_0 src1_sel:DWORD
	s_and_b64 vcc, exec, s[14:15]
	s_cbranch_vccz .LBB47_1981
; %bb.1972:
	v_mov_b32_e32 v9, 24
	v_cmp_lt_i16_sdwa s[14:15], v4, v9 src0_sel:BYTE_0 src1_sel:DWORD
	s_and_b64 vcc, exec, s[14:15]
	s_cbranch_vccnz .LBB47_1984
; %bb.1973:
	v_cmp_gt_i16_sdwa s[14:15], v4, v9 src0_sel:BYTE_0 src1_sel:DWORD
	s_and_b64 vcc, exec, s[14:15]
	s_cbranch_vccz .LBB47_1985
; %bb.1974:
	global_load_ubyte v12, v[0:1], off
	s_movk_i32 s14, 0x7f
                                        ; implicit-def: $sgpr22
	s_waitcnt vmcnt(0)
	v_cmp_lt_i16_e32 vcc, s14, v12
	s_mov_b64 s[14:15], 0
	s_and_saveexec_b64 s[16:17], vcc
	s_xor_b64 s[16:17], exec, s[16:17]
	s_cbranch_execz .LBB47_1997
; %bb.1975:
	s_movk_i32 s14, 0x80
	v_cmp_eq_u16_e32 vcc, s14, v12
	s_mov_b64 s[14:15], -1
                                        ; implicit-def: $sgpr22
	s_and_saveexec_b64 s[20:21], vcc
; %bb.1976:
	s_movk_i32 s22, 0x7e00
	s_xor_b64 s[14:15], exec, -1
; %bb.1977:
	s_or_b64 exec, exec, s[20:21]
	s_and_b64 s[14:15], s[14:15], exec
	s_or_saveexec_b64 s[16:17], s[16:17]
	v_mov_b32_e32 v9, s22
	s_xor_b64 exec, exec, s[16:17]
	s_cbranch_execnz .LBB47_1998
.LBB47_1978:
	s_or_b64 exec, exec, s[16:17]
	s_and_saveexec_b64 s[16:17], s[14:15]
	s_cbranch_execz .LBB47_1980
.LBB47_1979:
	v_lshlrev_b32_e32 v9, 24, v12
	v_and_b32_e32 v12, 0xffff, v12
	v_and_b32_e32 v13, 3, v12
	v_ffbh_u32_e32 v15, v13
	v_min_u32_e32 v15, 32, v15
	v_subrev_u32_e32 v16, 29, v15
	v_bfe_u32 v14, v12, 2, 5
	v_lshlrev_b32_e32 v12, v16, v12
	v_sub_u32_e32 v15, 30, v15
	v_and_b32_e32 v12, 3, v12
	v_cmp_eq_u32_e32 vcc, 0, v14
	v_cndmask_b32_e32 v14, v14, v15, vcc
	v_cndmask_b32_e32 v12, v13, v12, vcc
	v_mov_b32_e32 v13, 0x37800000
	v_lshlrev_b32_e32 v12, 21, v12
	v_and_b32_e32 v9, 0x80000000, v9
	v_lshl_add_u32 v13, v14, 23, v13
	v_or3_b32 v9, v9, v13, v12
	v_cvt_f16_f32_e32 v9, v9
.LBB47_1980:
	s_or_b64 exec, exec, s[16:17]
	s_mov_b64 s[14:15], 0
	s_branch .LBB47_1986
.LBB47_1981:
	s_mov_b64 s[14:15], -1
                                        ; implicit-def: $vgpr9
	s_branch .LBB47_1992
.LBB47_1982:
	s_or_saveexec_b64 s[20:21], s[20:21]
	v_mov_b32_e32 v9, s25
	s_xor_b64 exec, exec, s[20:21]
	s_cbranch_execz .LBB47_1965
.LBB47_1983:
	v_cmp_ne_u16_e32 vcc, 0, v12
	s_andn2_b64 s[16:17], s[16:17], exec
	s_and_b64 s[22:23], vcc, exec
	s_or_b64 s[16:17], s[16:17], s[22:23]
	v_mov_b32_e32 v9, v12
	s_or_b64 exec, exec, s[20:21]
	s_and_saveexec_b64 s[20:21], s[16:17]
	s_cbranch_execnz .LBB47_1966
	s_branch .LBB47_1967
.LBB47_1984:
	s_mov_b64 s[14:15], -1
                                        ; implicit-def: $vgpr9
	s_branch .LBB47_1989
.LBB47_1985:
	s_mov_b64 s[14:15], -1
                                        ; implicit-def: $vgpr9
.LBB47_1986:
	s_and_b64 vcc, exec, s[14:15]
	s_cbranch_vccz .LBB47_1988
; %bb.1987:
	global_load_ubyte v9, v[0:1], off
	s_mov_b32 s14, 0x7f800000
	s_waitcnt vmcnt(0)
	v_lshlrev_b32_e32 v9, 24, v9
	v_and_b32_e32 v12, 0x7f000000, v9
	v_ffbh_u32_e32 v13, v12
	v_min_u32_e32 v13, 32, v13
	v_sub_u32_e64 v13, v13, 4 clamp
	v_lshlrev_b32_e32 v15, v13, v12
	v_lshlrev_b32_e32 v13, 23, v13
	v_lshrrev_b32_e32 v15, 4, v15
	v_add_u32_e32 v14, 0x1000000, v12
	v_sub_u32_e32 v13, v15, v13
	v_ashrrev_i32_e32 v14, 8, v14
	v_add_u32_e32 v13, 0x3c000000, v13
	v_and_or_b32 v13, v14, s14, v13
	v_cmp_ne_u32_e32 vcc, 0, v12
	v_cndmask_b32_e32 v12, 0, v13, vcc
	s_brev_b32 s14, 1
	v_and_or_b32 v9, v9, s14, v12
	v_cvt_f16_f32_e32 v9, v9
.LBB47_1988:
	s_mov_b64 s[14:15], 0
.LBB47_1989:
	s_andn2_b64 vcc, exec, s[14:15]
	s_cbranch_vccnz .LBB47_1991
; %bb.1990:
	global_load_ubyte v9, v[0:1], off
	s_movk_i32 s14, 0x7f00
	s_brev_b32 s15, 16
	s_waitcnt vmcnt(0)
	v_lshlrev_b16_e32 v12, 8, v9
	v_lshlrev_b32_e32 v9, 25, v9
	v_lshrrev_b32_e32 v13, 4, v9
	v_and_or_b32 v14, v12, s14, 0.5
	v_or_b32_e32 v13, 0x70000000, v13
	v_add_f32_e32 v14, -0.5, v14
	v_mul_f32_e32 v13, 0x7800000, v13
	v_cmp_gt_u32_e32 vcc, s15, v9
	v_bfe_i32 v12, v12, 0, 16
	v_cndmask_b32_e32 v9, v13, v14, vcc
	s_brev_b32 s14, 1
	v_and_or_b32 v9, v12, s14, v9
	v_cvt_f16_f32_e32 v9, v9
.LBB47_1991:
	s_mov_b64 s[14:15], 0
	s_mov_b64 s[16:17], -1
.LBB47_1992:
	s_andn2_b64 vcc, exec, s[14:15]
	s_mov_b64 s[14:15], 0
	s_cbranch_vccnz .LBB47_2003
; %bb.1993:
	v_mov_b32_e32 v9, 14
	v_cmp_gt_i16_sdwa s[14:15], v4, v9 src0_sel:BYTE_0 src1_sel:DWORD
	s_and_b64 vcc, exec, s[14:15]
	s_cbranch_vccz .LBB47_1996
; %bb.1994:
	v_mov_b32_e32 v9, 15
	v_cmp_eq_u16_sdwa s[0:1], v4, v9 src0_sel:BYTE_0 src1_sel:DWORD
	s_and_b64 vcc, exec, s[0:1]
	s_cbranch_vccz .LBB47_1999
; %bb.1995:
	global_load_ushort v9, v[0:1], off
	s_mov_b64 s[0:1], 0
	s_mov_b64 s[16:17], -1
	s_waitcnt vmcnt(0)
	v_lshlrev_b32_e32 v9, 16, v9
	v_cvt_f16_f32_e32 v9, v9
	s_branch .LBB47_2000
.LBB47_1996:
	s_mov_b64 s[20:21], -1
                                        ; implicit-def: $vgpr9
	s_branch .LBB47_2001
.LBB47_1997:
	s_or_saveexec_b64 s[16:17], s[16:17]
	v_mov_b32_e32 v9, s22
	s_xor_b64 exec, exec, s[16:17]
	s_cbranch_execz .LBB47_1978
.LBB47_1998:
	v_cmp_ne_u16_e32 vcc, 0, v12
	s_andn2_b64 s[14:15], s[14:15], exec
	s_and_b64 s[20:21], vcc, exec
	s_or_b64 s[14:15], s[14:15], s[20:21]
	v_mov_b32_e32 v9, v12
	s_or_b64 exec, exec, s[16:17]
	s_and_saveexec_b64 s[16:17], s[14:15]
	s_cbranch_execnz .LBB47_1979
	s_branch .LBB47_1980
.LBB47_1999:
	s_mov_b64 s[0:1], -1
                                        ; implicit-def: $vgpr9
.LBB47_2000:
	s_mov_b64 s[20:21], 0
.LBB47_2001:
	s_mov_b64 s[14:15], 0
	s_and_b64 vcc, exec, s[20:21]
	s_cbranch_vccz .LBB47_2003
; %bb.2002:
	v_mov_b32_e32 v9, 11
	v_cmp_ne_u16_sdwa s[0:1], v4, v9 src0_sel:BYTE_0 src1_sel:DWORD
	s_mov_b64 s[14:15], -1
                                        ; implicit-def: $vgpr9
.LBB47_2003:
	s_and_b64 vcc, exec, s[0:1]
	s_cbranch_vccnz .LBB47_2068
; %bb.2004:
	s_andn2_b64 vcc, exec, s[14:15]
	s_cbranch_vccnz .LBB47_2006
.LBB47_2005:
	global_load_ubyte v9, v[0:1], off
	v_mov_b32_e32 v12, 0x3c00
	s_mov_b64 s[16:17], -1
	s_waitcnt vmcnt(0)
	v_cmp_ne_u16_e32 vcc, 0, v9
	v_cndmask_b32_e32 v9, 0, v12, vcc
.LBB47_2006:
	s_mov_b64 s[0:1], 0
.LBB47_2007:
	s_and_b64 vcc, exec, s[0:1]
	s_cbranch_vccz .LBB47_2056
; %bb.2008:
	v_mov_b32_e32 v9, 5
	v_cmp_lt_i16_sdwa s[0:1], v4, v9 src0_sel:BYTE_0 src1_sel:DWORD
	s_and_b64 vcc, exec, s[0:1]
	s_cbranch_vccnz .LBB47_2013
; %bb.2009:
	v_mov_b32_e32 v9, 8
	v_cmp_lt_i16_sdwa s[0:1], v4, v9 src0_sel:BYTE_0 src1_sel:DWORD
	s_and_b64 vcc, exec, s[0:1]
	s_cbranch_vccnz .LBB47_2014
	;; [unrolled: 5-line block ×3, first 2 shown]
; %bb.2011:
	v_cmp_gt_i16_sdwa s[0:1], v4, v9 src0_sel:BYTE_0 src1_sel:DWORD
	s_and_b64 vcc, exec, s[0:1]
	s_cbranch_vccz .LBB47_2016
; %bb.2012:
	global_load_dwordx2 v[12:13], v[0:1], off
	s_mov_b64 s[0:1], 0
	s_waitcnt vmcnt(0)
	v_cvt_f32_f64_e32 v9, v[12:13]
	v_cvt_f16_f32_e32 v9, v9
	s_branch .LBB47_2017
.LBB47_2013:
	s_mov_b64 s[0:1], -1
                                        ; implicit-def: $vgpr9
	s_branch .LBB47_2035
.LBB47_2014:
	s_mov_b64 s[0:1], -1
                                        ; implicit-def: $vgpr9
	s_branch .LBB47_2023
.LBB47_2015:
	s_mov_b64 s[0:1], -1
                                        ; implicit-def: $vgpr9
	s_branch .LBB47_2020
.LBB47_2016:
	s_mov_b64 s[0:1], -1
                                        ; implicit-def: $vgpr9
.LBB47_2017:
	s_andn2_b64 vcc, exec, s[0:1]
	s_cbranch_vccnz .LBB47_2019
; %bb.2018:
	global_load_dword v9, v[0:1], off
	s_waitcnt vmcnt(0)
	v_cvt_f16_f32_e32 v9, v9
.LBB47_2019:
	s_mov_b64 s[0:1], 0
.LBB47_2020:
	s_andn2_b64 vcc, exec, s[0:1]
	s_cbranch_vccnz .LBB47_2022
; %bb.2021:
	global_load_dword v9, v[0:1], off
.LBB47_2022:
	s_mov_b64 s[0:1], 0
.LBB47_2023:
	s_andn2_b64 vcc, exec, s[0:1]
	s_cbranch_vccnz .LBB47_2034
; %bb.2024:
	s_waitcnt vmcnt(0)
	v_mov_b32_e32 v9, 6
	v_cmp_lt_i16_sdwa s[0:1], v4, v9 src0_sel:BYTE_0 src1_sel:DWORD
	s_and_b64 vcc, exec, s[0:1]
	s_cbranch_vccnz .LBB47_2027
; %bb.2025:
	v_cmp_gt_i16_sdwa s[0:1], v4, v9 src0_sel:BYTE_0 src1_sel:DWORD
	s_and_b64 vcc, exec, s[0:1]
	s_cbranch_vccz .LBB47_2028
; %bb.2026:
	global_load_dwordx2 v[12:13], v[0:1], off
	s_mov_b64 s[0:1], 0
	s_waitcnt vmcnt(0)
	v_cvt_f32_f64_e32 v9, v[12:13]
	v_cvt_f16_f32_e32 v9, v9
	s_branch .LBB47_2029
.LBB47_2027:
	s_mov_b64 s[0:1], -1
                                        ; implicit-def: $vgpr9
	s_branch .LBB47_2032
.LBB47_2028:
	s_mov_b64 s[0:1], -1
                                        ; implicit-def: $vgpr9
.LBB47_2029:
	s_andn2_b64 vcc, exec, s[0:1]
	s_cbranch_vccnz .LBB47_2031
; %bb.2030:
	global_load_dword v9, v[0:1], off
	s_waitcnt vmcnt(0)
	v_cvt_f16_f32_e32 v9, v9
.LBB47_2031:
	s_mov_b64 s[0:1], 0
.LBB47_2032:
	s_andn2_b64 vcc, exec, s[0:1]
	s_cbranch_vccnz .LBB47_2034
; %bb.2033:
	global_load_ushort v9, v[0:1], off
.LBB47_2034:
	s_mov_b64 s[0:1], 0
.LBB47_2035:
	s_andn2_b64 vcc, exec, s[0:1]
	s_cbranch_vccnz .LBB47_2055
; %bb.2036:
	s_waitcnt vmcnt(0)
	v_mov_b32_e32 v9, 2
	v_cmp_lt_i16_sdwa s[0:1], v4, v9 src0_sel:BYTE_0 src1_sel:DWORD
	s_and_b64 vcc, exec, s[0:1]
	s_cbranch_vccnz .LBB47_2040
; %bb.2037:
	v_mov_b32_e32 v9, 3
	v_cmp_lt_i16_sdwa s[0:1], v4, v9 src0_sel:BYTE_0 src1_sel:DWORD
	s_and_b64 vcc, exec, s[0:1]
	s_cbranch_vccnz .LBB47_2041
; %bb.2038:
	v_cmp_gt_i16_sdwa s[0:1], v4, v9 src0_sel:BYTE_0 src1_sel:DWORD
	s_and_b64 vcc, exec, s[0:1]
	s_cbranch_vccz .LBB47_2042
; %bb.2039:
	global_load_dwordx2 v[12:13], v[0:1], off
	s_mov_b64 s[0:1], 0
	s_waitcnt vmcnt(0)
	v_xor_b32_e32 v14, v12, v13
	v_ffbh_i32_e32 v9, v13
	v_ashrrev_i32_e32 v14, 31, v14
	v_add_u32_e32 v9, -1, v9
	v_add_u32_e32 v14, 32, v14
	v_min_u32_e32 v9, v9, v14
	v_lshlrev_b64 v[12:13], v9, v[12:13]
	v_min_u32_e32 v12, 1, v12
	v_or_b32_e32 v12, v13, v12
	v_cvt_f32_i32_e32 v12, v12
	v_sub_u32_e32 v9, 32, v9
	v_ldexp_f32 v9, v12, v9
	v_cvt_f16_f32_e32 v9, v9
	s_branch .LBB47_2043
.LBB47_2040:
	s_mov_b64 s[0:1], -1
                                        ; implicit-def: $vgpr9
	s_branch .LBB47_2049
.LBB47_2041:
	s_mov_b64 s[0:1], -1
                                        ; implicit-def: $vgpr9
	s_branch .LBB47_2046
.LBB47_2042:
	s_mov_b64 s[0:1], -1
                                        ; implicit-def: $vgpr9
.LBB47_2043:
	s_andn2_b64 vcc, exec, s[0:1]
	s_cbranch_vccnz .LBB47_2045
; %bb.2044:
	global_load_dword v9, v[0:1], off
	s_waitcnt vmcnt(0)
	v_cvt_f32_i32_e32 v9, v9
	v_cvt_f16_f32_e32 v9, v9
.LBB47_2045:
	s_mov_b64 s[0:1], 0
.LBB47_2046:
	s_andn2_b64 vcc, exec, s[0:1]
	s_cbranch_vccnz .LBB47_2048
; %bb.2047:
	global_load_ushort v9, v[0:1], off
	s_waitcnt vmcnt(0)
	v_cvt_f16_i16_e32 v9, v9
.LBB47_2048:
	s_mov_b64 s[0:1], 0
.LBB47_2049:
	s_andn2_b64 vcc, exec, s[0:1]
	s_cbranch_vccnz .LBB47_2055
; %bb.2050:
	v_mov_b32_e32 v9, 0
	v_cmp_gt_i16_sdwa s[0:1], v4, v9 src0_sel:BYTE_0 src1_sel:DWORD
	s_and_b64 vcc, exec, s[0:1]
	s_cbranch_vccz .LBB47_2052
; %bb.2051:
	global_load_sbyte v9, v[0:1], off
	s_mov_b64 s[0:1], 0
	s_waitcnt vmcnt(0)
	v_cvt_f16_i16_e32 v9, v9
	s_branch .LBB47_2053
.LBB47_2052:
	s_mov_b64 s[0:1], -1
                                        ; implicit-def: $vgpr9
.LBB47_2053:
	s_andn2_b64 vcc, exec, s[0:1]
	s_cbranch_vccnz .LBB47_2055
; %bb.2054:
	global_load_ubyte v0, v[0:1], off
	s_waitcnt vmcnt(0)
	v_cvt_f16_u16_e32 v9, v0
.LBB47_2055:
	s_mov_b64 s[16:17], -1
.LBB47_2056:
	s_andn2_b64 vcc, exec, s[16:17]
	s_cbranch_vccnz .LBB47_3032
; %bb.2057:
	v_add_u32_e32 v12, s13, v10
	v_ashrrev_i32_e32 v1, 31, v12
	v_mov_b32_e32 v10, s11
	v_add_co_u32_e32 v0, vcc, s10, v12
	v_addc_co_u32_e32 v1, vcc, v10, v1, vcc
	v_mov_b32_e32 v10, 11
	v_cmp_lt_i16_sdwa s[0:1], v5, v10 src0_sel:BYTE_0 src1_sel:DWORD
	s_and_b64 vcc, exec, s[0:1]
	s_cbranch_vccnz .LBB47_2064
; %bb.2058:
	v_mov_b32_e32 v10, 25
	v_cmp_gt_i16_sdwa s[0:1], v5, v10 src0_sel:BYTE_0 src1_sel:DWORD
	s_mov_b64 s[14:15], 0
	s_and_b64 vcc, exec, s[0:1]
	s_cbranch_vccz .LBB47_2065
; %bb.2059:
	v_mov_b32_e32 v10, 28
	v_cmp_gt_i16_sdwa s[0:1], v5, v10 src0_sel:BYTE_0 src1_sel:DWORD
	s_and_b64 vcc, exec, s[0:1]
	s_cbranch_vccz .LBB47_2066
; %bb.2060:
	v_mov_b32_e32 v10, 43
	v_cmp_gt_i16_sdwa s[0:1], v5, v10 src0_sel:BYTE_0 src1_sel:DWORD
	;; [unrolled: 5-line block ×3, first 2 shown]
	s_and_b64 vcc, exec, s[0:1]
	s_cbranch_vccz .LBB47_2069
; %bb.2062:
	v_mov_b32_e32 v10, 46
	v_cmp_eq_u16_sdwa s[0:1], v5, v10 src0_sel:BYTE_0 src1_sel:DWORD
	s_mov_b64 s[20:21], 0
	s_and_b64 vcc, exec, s[0:1]
	s_cbranch_vccz .LBB47_2070
; %bb.2063:
	global_load_dword v10, v[0:1], off
	s_mov_b64 s[0:1], 0
	s_mov_b64 s[16:17], -1
	s_waitcnt vmcnt(0)
	v_lshlrev_b32_e32 v10, 16, v10
	v_cvt_f16_f32_e32 v10, v10
	s_branch .LBB47_2071
.LBB47_2064:
	s_mov_b64 s[0:1], -1
	s_mov_b64 s[16:17], 0
                                        ; implicit-def: $vgpr10
	s_branch .LBB47_2137
.LBB47_2065:
	s_mov_b64 s[20:21], -1
	s_mov_b64 s[16:17], 0
	s_mov_b64 s[0:1], 0
                                        ; implicit-def: $vgpr10
	s_branch .LBB47_2100
.LBB47_2066:
	s_mov_b64 s[20:21], -1
	s_mov_b64 s[16:17], 0
	s_mov_b64 s[0:1], 0
                                        ; implicit-def: $vgpr10
	s_branch .LBB47_2081
.LBB47_2067:
	s_mov_b64 s[20:21], -1
	s_mov_b64 s[16:17], 0
	s_mov_b64 s[0:1], 0
                                        ; implicit-def: $vgpr10
	s_branch .LBB47_2076
.LBB47_2068:
	s_trap 2
	s_or_b64 s[18:19], s[18:19], exec
                                        ; implicit-def: $vgpr9
	s_cbranch_execz .LBB47_2005
	s_branch .LBB47_2006
.LBB47_2069:
	s_mov_b64 s[20:21], -1
	s_mov_b64 s[16:17], 0
	s_mov_b64 s[0:1], 0
                                        ; implicit-def: $vgpr10
	s_branch .LBB47_2071
.LBB47_2070:
	s_mov_b64 s[0:1], -1
                                        ; implicit-def: $vgpr10
	s_mov_b64 s[16:17], 0
.LBB47_2071:
	s_and_b64 vcc, exec, s[20:21]
	s_cbranch_vccz .LBB47_2075
; %bb.2072:
	v_mov_b32_e32 v10, 44
	v_cmp_eq_u16_sdwa s[0:1], v5, v10 src0_sel:BYTE_0 src1_sel:DWORD
	s_and_b64 vcc, exec, s[0:1]
	s_cbranch_vccz .LBB47_2074
; %bb.2073:
	global_load_ubyte v10, v[0:1], off
	s_movk_i32 s16, 0xff
	v_mov_b32_e32 v14, 0x7e00
	s_mov_b64 s[0:1], 0
	s_waitcnt vmcnt(0)
	v_lshlrev_b32_e32 v13, 23, v10
	v_cvt_f16_f32_e32 v13, v13
	v_cmp_ne_u32_e32 vcc, s16, v10
	s_mov_b64 s[16:17], -1
	v_cndmask_b32_e32 v13, v14, v13, vcc
	v_cmp_ne_u32_e32 vcc, 0, v10
	v_cndmask_b32_e32 v10, 0, v13, vcc
	s_branch .LBB47_2075
.LBB47_2074:
	s_mov_b64 s[0:1], -1
                                        ; implicit-def: $vgpr10
.LBB47_2075:
	s_mov_b64 s[20:21], 0
.LBB47_2076:
	s_and_b64 vcc, exec, s[20:21]
	s_cbranch_vccz .LBB47_2080
; %bb.2077:
	v_mov_b32_e32 v10, 29
	v_cmp_eq_u16_sdwa s[0:1], v5, v10 src0_sel:BYTE_0 src1_sel:DWORD
	s_and_b64 vcc, exec, s[0:1]
	s_cbranch_vccz .LBB47_2079
; %bb.2078:
	global_load_dwordx2 v[14:15], v[0:1], off
	s_mov_b64 s[0:1], 0
	s_mov_b64 s[16:17], -1
	s_mov_b64 s[20:21], 0
	s_waitcnt vmcnt(0)
	v_ffbh_u32_e32 v10, v15
	v_min_u32_e32 v10, 32, v10
	v_lshlrev_b64 v[14:15], v10, v[14:15]
	v_min_u32_e32 v13, 1, v14
	v_or_b32_e32 v13, v15, v13
	v_cvt_f32_u32_e32 v13, v13
	v_sub_u32_e32 v10, 32, v10
	v_ldexp_f32 v10, v13, v10
	v_cvt_f16_f32_e32 v10, v10
	s_branch .LBB47_2081
.LBB47_2079:
	s_mov_b64 s[0:1], -1
                                        ; implicit-def: $vgpr10
.LBB47_2080:
	s_mov_b64 s[20:21], 0
.LBB47_2081:
	s_and_b64 vcc, exec, s[20:21]
	s_cbranch_vccz .LBB47_2099
; %bb.2082:
	v_mov_b32_e32 v10, 27
	v_cmp_lt_i16_sdwa s[16:17], v5, v10 src0_sel:BYTE_0 src1_sel:DWORD
	s_and_b64 vcc, exec, s[16:17]
	s_cbranch_vccnz .LBB47_2085
; %bb.2083:
	v_cmp_gt_i16_sdwa s[16:17], v5, v10 src0_sel:BYTE_0 src1_sel:DWORD
	s_and_b64 vcc, exec, s[16:17]
	s_cbranch_vccz .LBB47_2086
; %bb.2084:
	global_load_dword v10, v[0:1], off
	s_mov_b64 s[16:17], 0
	s_waitcnt vmcnt(0)
	v_cvt_f32_u32_e32 v10, v10
	v_cvt_f16_f32_e32 v10, v10
	s_branch .LBB47_2087
.LBB47_2085:
	s_mov_b64 s[16:17], -1
                                        ; implicit-def: $vgpr10
	s_branch .LBB47_2090
.LBB47_2086:
	s_mov_b64 s[16:17], -1
                                        ; implicit-def: $vgpr10
.LBB47_2087:
	s_andn2_b64 vcc, exec, s[16:17]
	s_cbranch_vccnz .LBB47_2089
; %bb.2088:
	global_load_ushort v10, v[0:1], off
	s_waitcnt vmcnt(0)
	v_cvt_f16_u16_e32 v10, v10
.LBB47_2089:
	s_mov_b64 s[16:17], 0
.LBB47_2090:
	s_andn2_b64 vcc, exec, s[16:17]
	s_cbranch_vccnz .LBB47_2098
; %bb.2091:
	global_load_ubyte v13, v[0:1], off
	s_movk_i32 s16, 0x7f
                                        ; implicit-def: $sgpr25
	s_waitcnt vmcnt(0)
	v_cmp_lt_i16_e32 vcc, s16, v13
	s_mov_b64 s[16:17], 0
	s_and_saveexec_b64 s[20:21], vcc
	s_xor_b64 s[20:21], exec, s[20:21]
	s_cbranch_execz .LBB47_2112
; %bb.2092:
	s_movk_i32 s16, 0x80
	v_cmp_eq_u16_e32 vcc, s16, v13
	s_mov_b64 s[16:17], -1
                                        ; implicit-def: $sgpr25
	s_and_saveexec_b64 s[22:23], vcc
; %bb.2093:
	s_movk_i32 s25, 0x7e00
	s_xor_b64 s[16:17], exec, -1
; %bb.2094:
	s_or_b64 exec, exec, s[22:23]
	s_and_b64 s[16:17], s[16:17], exec
	s_or_saveexec_b64 s[20:21], s[20:21]
	v_mov_b32_e32 v10, s25
	s_xor_b64 exec, exec, s[20:21]
	s_cbranch_execnz .LBB47_2113
.LBB47_2095:
	s_or_b64 exec, exec, s[20:21]
	s_and_saveexec_b64 s[20:21], s[16:17]
	s_cbranch_execz .LBB47_2097
.LBB47_2096:
	v_lshlrev_b32_e32 v10, 24, v13
	v_and_b32_e32 v13, 0xffff, v13
	v_and_b32_e32 v14, 7, v13
	v_ffbh_u32_e32 v16, v14
	v_min_u32_e32 v16, 32, v16
	v_subrev_u32_e32 v17, 28, v16
	v_bfe_u32 v15, v13, 3, 4
	v_lshlrev_b32_e32 v13, v17, v13
	v_sub_u32_e32 v16, 29, v16
	v_and_b32_e32 v13, 7, v13
	v_cmp_eq_u32_e32 vcc, 0, v15
	v_cndmask_b32_e32 v15, v15, v16, vcc
	v_cndmask_b32_e32 v13, v14, v13, vcc
	v_mov_b32_e32 v14, 0x3b800000
	v_lshlrev_b32_e32 v13, 20, v13
	v_and_b32_e32 v10, 0x80000000, v10
	v_lshl_add_u32 v14, v15, 23, v14
	v_or3_b32 v10, v10, v14, v13
	v_cvt_f16_f32_e32 v10, v10
.LBB47_2097:
	s_or_b64 exec, exec, s[20:21]
.LBB47_2098:
	s_mov_b64 s[16:17], -1
.LBB47_2099:
	s_mov_b64 s[20:21], 0
.LBB47_2100:
	s_and_b64 vcc, exec, s[20:21]
	s_cbranch_vccz .LBB47_2133
; %bb.2101:
	v_mov_b32_e32 v10, 22
	v_cmp_gt_i16_sdwa s[14:15], v5, v10 src0_sel:BYTE_0 src1_sel:DWORD
	s_and_b64 vcc, exec, s[14:15]
	s_cbranch_vccz .LBB47_2111
; %bb.2102:
	v_mov_b32_e32 v10, 24
	v_cmp_lt_i16_sdwa s[14:15], v5, v10 src0_sel:BYTE_0 src1_sel:DWORD
	s_and_b64 vcc, exec, s[14:15]
	s_cbranch_vccnz .LBB47_2114
; %bb.2103:
	v_cmp_gt_i16_sdwa s[14:15], v5, v10 src0_sel:BYTE_0 src1_sel:DWORD
	s_and_b64 vcc, exec, s[14:15]
	s_cbranch_vccz .LBB47_2115
; %bb.2104:
	global_load_ubyte v13, v[0:1], off
	s_movk_i32 s14, 0x7f
                                        ; implicit-def: $sgpr22
	s_waitcnt vmcnt(0)
	v_cmp_lt_i16_e32 vcc, s14, v13
	s_mov_b64 s[14:15], 0
	s_and_saveexec_b64 s[16:17], vcc
	s_xor_b64 s[16:17], exec, s[16:17]
	s_cbranch_execz .LBB47_2127
; %bb.2105:
	s_movk_i32 s14, 0x80
	v_cmp_eq_u16_e32 vcc, s14, v13
	s_mov_b64 s[14:15], -1
                                        ; implicit-def: $sgpr22
	s_and_saveexec_b64 s[20:21], vcc
; %bb.2106:
	s_movk_i32 s22, 0x7e00
	s_xor_b64 s[14:15], exec, -1
; %bb.2107:
	s_or_b64 exec, exec, s[20:21]
	s_and_b64 s[14:15], s[14:15], exec
	s_or_saveexec_b64 s[16:17], s[16:17]
	v_mov_b32_e32 v10, s22
	s_xor_b64 exec, exec, s[16:17]
	s_cbranch_execnz .LBB47_2128
.LBB47_2108:
	s_or_b64 exec, exec, s[16:17]
	s_and_saveexec_b64 s[16:17], s[14:15]
	s_cbranch_execz .LBB47_2110
.LBB47_2109:
	v_lshlrev_b32_e32 v10, 24, v13
	v_and_b32_e32 v13, 0xffff, v13
	v_and_b32_e32 v14, 3, v13
	v_ffbh_u32_e32 v16, v14
	v_min_u32_e32 v16, 32, v16
	v_subrev_u32_e32 v17, 29, v16
	v_bfe_u32 v15, v13, 2, 5
	v_lshlrev_b32_e32 v13, v17, v13
	v_sub_u32_e32 v16, 30, v16
	v_and_b32_e32 v13, 3, v13
	v_cmp_eq_u32_e32 vcc, 0, v15
	v_cndmask_b32_e32 v15, v15, v16, vcc
	v_cndmask_b32_e32 v13, v14, v13, vcc
	v_mov_b32_e32 v14, 0x37800000
	v_lshlrev_b32_e32 v13, 21, v13
	v_and_b32_e32 v10, 0x80000000, v10
	v_lshl_add_u32 v14, v15, 23, v14
	v_or3_b32 v10, v10, v14, v13
	v_cvt_f16_f32_e32 v10, v10
.LBB47_2110:
	s_or_b64 exec, exec, s[16:17]
	s_mov_b64 s[14:15], 0
	s_branch .LBB47_2116
.LBB47_2111:
	s_mov_b64 s[14:15], -1
                                        ; implicit-def: $vgpr10
	s_branch .LBB47_2122
.LBB47_2112:
	s_or_saveexec_b64 s[20:21], s[20:21]
	v_mov_b32_e32 v10, s25
	s_xor_b64 exec, exec, s[20:21]
	s_cbranch_execz .LBB47_2095
.LBB47_2113:
	v_cmp_ne_u16_e32 vcc, 0, v13
	s_andn2_b64 s[16:17], s[16:17], exec
	s_and_b64 s[22:23], vcc, exec
	s_or_b64 s[16:17], s[16:17], s[22:23]
	v_mov_b32_e32 v10, v13
	s_or_b64 exec, exec, s[20:21]
	s_and_saveexec_b64 s[20:21], s[16:17]
	s_cbranch_execnz .LBB47_2096
	s_branch .LBB47_2097
.LBB47_2114:
	s_mov_b64 s[14:15], -1
                                        ; implicit-def: $vgpr10
	s_branch .LBB47_2119
.LBB47_2115:
	s_mov_b64 s[14:15], -1
                                        ; implicit-def: $vgpr10
.LBB47_2116:
	s_and_b64 vcc, exec, s[14:15]
	s_cbranch_vccz .LBB47_2118
; %bb.2117:
	global_load_ubyte v10, v[0:1], off
	s_mov_b32 s14, 0x7f800000
	s_waitcnt vmcnt(0)
	v_lshlrev_b32_e32 v10, 24, v10
	v_and_b32_e32 v13, 0x7f000000, v10
	v_ffbh_u32_e32 v14, v13
	v_min_u32_e32 v14, 32, v14
	v_sub_u32_e64 v14, v14, 4 clamp
	v_lshlrev_b32_e32 v16, v14, v13
	v_lshlrev_b32_e32 v14, 23, v14
	v_lshrrev_b32_e32 v16, 4, v16
	v_add_u32_e32 v15, 0x1000000, v13
	v_sub_u32_e32 v14, v16, v14
	v_ashrrev_i32_e32 v15, 8, v15
	v_add_u32_e32 v14, 0x3c000000, v14
	v_and_or_b32 v14, v15, s14, v14
	v_cmp_ne_u32_e32 vcc, 0, v13
	v_cndmask_b32_e32 v13, 0, v14, vcc
	s_brev_b32 s14, 1
	v_and_or_b32 v10, v10, s14, v13
	v_cvt_f16_f32_e32 v10, v10
.LBB47_2118:
	s_mov_b64 s[14:15], 0
.LBB47_2119:
	s_andn2_b64 vcc, exec, s[14:15]
	s_cbranch_vccnz .LBB47_2121
; %bb.2120:
	global_load_ubyte v10, v[0:1], off
	s_movk_i32 s14, 0x7f00
	s_brev_b32 s15, 16
	s_waitcnt vmcnt(0)
	v_lshlrev_b16_e32 v13, 8, v10
	v_lshlrev_b32_e32 v10, 25, v10
	v_lshrrev_b32_e32 v14, 4, v10
	v_and_or_b32 v15, v13, s14, 0.5
	v_or_b32_e32 v14, 0x70000000, v14
	v_add_f32_e32 v15, -0.5, v15
	v_mul_f32_e32 v14, 0x7800000, v14
	v_cmp_gt_u32_e32 vcc, s15, v10
	v_bfe_i32 v13, v13, 0, 16
	v_cndmask_b32_e32 v10, v14, v15, vcc
	s_brev_b32 s14, 1
	v_and_or_b32 v10, v13, s14, v10
	v_cvt_f16_f32_e32 v10, v10
.LBB47_2121:
	s_mov_b64 s[14:15], 0
	s_mov_b64 s[16:17], -1
.LBB47_2122:
	s_andn2_b64 vcc, exec, s[14:15]
	s_mov_b64 s[14:15], 0
	s_cbranch_vccnz .LBB47_2133
; %bb.2123:
	v_mov_b32_e32 v10, 14
	v_cmp_gt_i16_sdwa s[14:15], v5, v10 src0_sel:BYTE_0 src1_sel:DWORD
	s_and_b64 vcc, exec, s[14:15]
	s_cbranch_vccz .LBB47_2126
; %bb.2124:
	v_mov_b32_e32 v10, 15
	v_cmp_eq_u16_sdwa s[0:1], v5, v10 src0_sel:BYTE_0 src1_sel:DWORD
	s_and_b64 vcc, exec, s[0:1]
	s_cbranch_vccz .LBB47_2129
; %bb.2125:
	global_load_ushort v10, v[0:1], off
	s_mov_b64 s[0:1], 0
	s_mov_b64 s[16:17], -1
	s_waitcnt vmcnt(0)
	v_lshlrev_b32_e32 v10, 16, v10
	v_cvt_f16_f32_e32 v10, v10
	s_branch .LBB47_2130
.LBB47_2126:
	s_mov_b64 s[20:21], -1
                                        ; implicit-def: $vgpr10
	s_branch .LBB47_2131
.LBB47_2127:
	s_or_saveexec_b64 s[16:17], s[16:17]
	v_mov_b32_e32 v10, s22
	s_xor_b64 exec, exec, s[16:17]
	s_cbranch_execz .LBB47_2108
.LBB47_2128:
	v_cmp_ne_u16_e32 vcc, 0, v13
	s_andn2_b64 s[14:15], s[14:15], exec
	s_and_b64 s[20:21], vcc, exec
	s_or_b64 s[14:15], s[14:15], s[20:21]
	v_mov_b32_e32 v10, v13
	s_or_b64 exec, exec, s[16:17]
	s_and_saveexec_b64 s[16:17], s[14:15]
	s_cbranch_execnz .LBB47_2109
	s_branch .LBB47_2110
.LBB47_2129:
	s_mov_b64 s[0:1], -1
                                        ; implicit-def: $vgpr10
.LBB47_2130:
	s_mov_b64 s[20:21], 0
.LBB47_2131:
	s_mov_b64 s[14:15], 0
	s_and_b64 vcc, exec, s[20:21]
	s_cbranch_vccz .LBB47_2133
; %bb.2132:
	v_mov_b32_e32 v10, 11
	v_cmp_ne_u16_sdwa s[0:1], v5, v10 src0_sel:BYTE_0 src1_sel:DWORD
	s_mov_b64 s[14:15], -1
                                        ; implicit-def: $vgpr10
.LBB47_2133:
	s_and_b64 vcc, exec, s[0:1]
	s_cbranch_vccnz .LBB47_2198
; %bb.2134:
	s_andn2_b64 vcc, exec, s[14:15]
	s_cbranch_vccnz .LBB47_2136
.LBB47_2135:
	global_load_ubyte v10, v[0:1], off
	v_mov_b32_e32 v13, 0x3c00
	s_mov_b64 s[16:17], -1
	s_waitcnt vmcnt(0)
	v_cmp_ne_u16_e32 vcc, 0, v10
	v_cndmask_b32_e32 v10, 0, v13, vcc
.LBB47_2136:
	s_mov_b64 s[0:1], 0
.LBB47_2137:
	s_and_b64 vcc, exec, s[0:1]
	s_cbranch_vccz .LBB47_2186
; %bb.2138:
	v_mov_b32_e32 v10, 5
	v_cmp_lt_i16_sdwa s[0:1], v5, v10 src0_sel:BYTE_0 src1_sel:DWORD
	s_and_b64 vcc, exec, s[0:1]
	s_cbranch_vccnz .LBB47_2143
; %bb.2139:
	v_mov_b32_e32 v10, 8
	v_cmp_lt_i16_sdwa s[0:1], v5, v10 src0_sel:BYTE_0 src1_sel:DWORD
	s_and_b64 vcc, exec, s[0:1]
	s_cbranch_vccnz .LBB47_2144
	;; [unrolled: 5-line block ×3, first 2 shown]
; %bb.2141:
	v_cmp_gt_i16_sdwa s[0:1], v5, v10 src0_sel:BYTE_0 src1_sel:DWORD
	s_and_b64 vcc, exec, s[0:1]
	s_cbranch_vccz .LBB47_2146
; %bb.2142:
	global_load_dwordx2 v[14:15], v[0:1], off
	s_mov_b64 s[0:1], 0
	s_waitcnt vmcnt(0)
	v_cvt_f32_f64_e32 v10, v[14:15]
	v_cvt_f16_f32_e32 v10, v10
	s_branch .LBB47_2147
.LBB47_2143:
	s_mov_b64 s[0:1], -1
                                        ; implicit-def: $vgpr10
	s_branch .LBB47_2165
.LBB47_2144:
	s_mov_b64 s[0:1], -1
                                        ; implicit-def: $vgpr10
	s_branch .LBB47_2153
.LBB47_2145:
	s_mov_b64 s[0:1], -1
                                        ; implicit-def: $vgpr10
	s_branch .LBB47_2150
.LBB47_2146:
	s_mov_b64 s[0:1], -1
                                        ; implicit-def: $vgpr10
.LBB47_2147:
	s_andn2_b64 vcc, exec, s[0:1]
	s_cbranch_vccnz .LBB47_2149
; %bb.2148:
	global_load_dword v10, v[0:1], off
	s_waitcnt vmcnt(0)
	v_cvt_f16_f32_e32 v10, v10
.LBB47_2149:
	s_mov_b64 s[0:1], 0
.LBB47_2150:
	s_andn2_b64 vcc, exec, s[0:1]
	s_cbranch_vccnz .LBB47_2152
; %bb.2151:
	global_load_dword v10, v[0:1], off
.LBB47_2152:
	s_mov_b64 s[0:1], 0
.LBB47_2153:
	s_andn2_b64 vcc, exec, s[0:1]
	s_cbranch_vccnz .LBB47_2164
; %bb.2154:
	s_waitcnt vmcnt(0)
	v_mov_b32_e32 v10, 6
	v_cmp_lt_i16_sdwa s[0:1], v5, v10 src0_sel:BYTE_0 src1_sel:DWORD
	s_and_b64 vcc, exec, s[0:1]
	s_cbranch_vccnz .LBB47_2157
; %bb.2155:
	v_cmp_gt_i16_sdwa s[0:1], v5, v10 src0_sel:BYTE_0 src1_sel:DWORD
	s_and_b64 vcc, exec, s[0:1]
	s_cbranch_vccz .LBB47_2158
; %bb.2156:
	global_load_dwordx2 v[14:15], v[0:1], off
	s_mov_b64 s[0:1], 0
	s_waitcnt vmcnt(0)
	v_cvt_f32_f64_e32 v10, v[14:15]
	v_cvt_f16_f32_e32 v10, v10
	s_branch .LBB47_2159
.LBB47_2157:
	s_mov_b64 s[0:1], -1
                                        ; implicit-def: $vgpr10
	s_branch .LBB47_2162
.LBB47_2158:
	s_mov_b64 s[0:1], -1
                                        ; implicit-def: $vgpr10
.LBB47_2159:
	s_andn2_b64 vcc, exec, s[0:1]
	s_cbranch_vccnz .LBB47_2161
; %bb.2160:
	global_load_dword v10, v[0:1], off
	s_waitcnt vmcnt(0)
	v_cvt_f16_f32_e32 v10, v10
.LBB47_2161:
	s_mov_b64 s[0:1], 0
.LBB47_2162:
	s_andn2_b64 vcc, exec, s[0:1]
	s_cbranch_vccnz .LBB47_2164
; %bb.2163:
	global_load_ushort v10, v[0:1], off
.LBB47_2164:
	s_mov_b64 s[0:1], 0
.LBB47_2165:
	s_andn2_b64 vcc, exec, s[0:1]
	s_cbranch_vccnz .LBB47_2185
; %bb.2166:
	s_waitcnt vmcnt(0)
	v_mov_b32_e32 v10, 2
	v_cmp_lt_i16_sdwa s[0:1], v5, v10 src0_sel:BYTE_0 src1_sel:DWORD
	s_and_b64 vcc, exec, s[0:1]
	s_cbranch_vccnz .LBB47_2170
; %bb.2167:
	v_mov_b32_e32 v10, 3
	v_cmp_lt_i16_sdwa s[0:1], v5, v10 src0_sel:BYTE_0 src1_sel:DWORD
	s_and_b64 vcc, exec, s[0:1]
	s_cbranch_vccnz .LBB47_2171
; %bb.2168:
	v_cmp_gt_i16_sdwa s[0:1], v5, v10 src0_sel:BYTE_0 src1_sel:DWORD
	s_and_b64 vcc, exec, s[0:1]
	s_cbranch_vccz .LBB47_2172
; %bb.2169:
	global_load_dwordx2 v[14:15], v[0:1], off
	s_mov_b64 s[0:1], 0
	s_waitcnt vmcnt(0)
	v_xor_b32_e32 v13, v14, v15
	v_ffbh_i32_e32 v10, v15
	v_ashrrev_i32_e32 v13, 31, v13
	v_add_u32_e32 v10, -1, v10
	v_add_u32_e32 v13, 32, v13
	v_min_u32_e32 v10, v10, v13
	v_lshlrev_b64 v[14:15], v10, v[14:15]
	v_min_u32_e32 v13, 1, v14
	v_or_b32_e32 v13, v15, v13
	v_cvt_f32_i32_e32 v13, v13
	v_sub_u32_e32 v10, 32, v10
	v_ldexp_f32 v10, v13, v10
	v_cvt_f16_f32_e32 v10, v10
	s_branch .LBB47_2173
.LBB47_2170:
	s_mov_b64 s[0:1], -1
                                        ; implicit-def: $vgpr10
	s_branch .LBB47_2179
.LBB47_2171:
	s_mov_b64 s[0:1], -1
                                        ; implicit-def: $vgpr10
	s_branch .LBB47_2176
.LBB47_2172:
	s_mov_b64 s[0:1], -1
                                        ; implicit-def: $vgpr10
.LBB47_2173:
	s_andn2_b64 vcc, exec, s[0:1]
	s_cbranch_vccnz .LBB47_2175
; %bb.2174:
	global_load_dword v10, v[0:1], off
	s_waitcnt vmcnt(0)
	v_cvt_f32_i32_e32 v10, v10
	v_cvt_f16_f32_e32 v10, v10
.LBB47_2175:
	s_mov_b64 s[0:1], 0
.LBB47_2176:
	s_andn2_b64 vcc, exec, s[0:1]
	s_cbranch_vccnz .LBB47_2178
; %bb.2177:
	global_load_ushort v10, v[0:1], off
	s_waitcnt vmcnt(0)
	v_cvt_f16_i16_e32 v10, v10
.LBB47_2178:
	s_mov_b64 s[0:1], 0
.LBB47_2179:
	s_andn2_b64 vcc, exec, s[0:1]
	s_cbranch_vccnz .LBB47_2185
; %bb.2180:
	v_mov_b32_e32 v10, 0
	v_cmp_gt_i16_sdwa s[0:1], v5, v10 src0_sel:BYTE_0 src1_sel:DWORD
	s_and_b64 vcc, exec, s[0:1]
	s_cbranch_vccz .LBB47_2182
; %bb.2181:
	global_load_sbyte v10, v[0:1], off
	s_mov_b64 s[0:1], 0
	s_waitcnt vmcnt(0)
	v_cvt_f16_i16_e32 v10, v10
	s_branch .LBB47_2183
.LBB47_2182:
	s_mov_b64 s[0:1], -1
                                        ; implicit-def: $vgpr10
.LBB47_2183:
	s_andn2_b64 vcc, exec, s[0:1]
	s_cbranch_vccnz .LBB47_2185
; %bb.2184:
	global_load_ubyte v0, v[0:1], off
	s_waitcnt vmcnt(0)
	v_cvt_f16_u16_e32 v10, v0
.LBB47_2185:
	s_mov_b64 s[16:17], -1
.LBB47_2186:
	s_andn2_b64 vcc, exec, s[16:17]
	s_cbranch_vccnz .LBB47_3032
; %bb.2187:
	v_add_u32_e32 v13, s24, v11
	v_ashrrev_i32_e32 v1, 31, v13
	v_mov_b32_e32 v11, s3
	v_add_co_u32_e32 v0, vcc, s2, v13
	v_addc_co_u32_e32 v1, vcc, v11, v1, vcc
	v_mov_b32_e32 v11, 11
	v_cmp_lt_i16_sdwa s[0:1], v4, v11 src0_sel:BYTE_0 src1_sel:DWORD
	s_and_b64 vcc, exec, s[0:1]
	s_cbranch_vccnz .LBB47_2194
; %bb.2188:
	v_mov_b32_e32 v11, 25
	v_cmp_gt_i16_sdwa s[0:1], v4, v11 src0_sel:BYTE_0 src1_sel:DWORD
	s_mov_b64 s[14:15], 0
	s_and_b64 vcc, exec, s[0:1]
	s_cbranch_vccz .LBB47_2195
; %bb.2189:
	v_mov_b32_e32 v11, 28
	v_cmp_gt_i16_sdwa s[0:1], v4, v11 src0_sel:BYTE_0 src1_sel:DWORD
	s_and_b64 vcc, exec, s[0:1]
	s_cbranch_vccz .LBB47_2196
; %bb.2190:
	v_mov_b32_e32 v11, 43
	v_cmp_gt_i16_sdwa s[0:1], v4, v11 src0_sel:BYTE_0 src1_sel:DWORD
	;; [unrolled: 5-line block ×3, first 2 shown]
	s_and_b64 vcc, exec, s[0:1]
	s_cbranch_vccz .LBB47_2199
; %bb.2192:
	v_mov_b32_e32 v11, 46
	v_cmp_eq_u16_sdwa s[0:1], v4, v11 src0_sel:BYTE_0 src1_sel:DWORD
	s_mov_b64 s[20:21], 0
	s_and_b64 vcc, exec, s[0:1]
	s_cbranch_vccz .LBB47_2202
; %bb.2193:
	global_load_dword v11, v[0:1], off
	s_mov_b64 s[0:1], 0
	s_mov_b64 s[16:17], -1
	s_waitcnt vmcnt(0)
	v_lshlrev_b32_e32 v11, 16, v11
	v_cvt_f16_f32_e32 v11, v11
	s_branch .LBB47_2203
.LBB47_2194:
	s_mov_b64 s[0:1], -1
	s_mov_b64 s[16:17], 0
                                        ; implicit-def: $vgpr11
	s_branch .LBB47_2269
.LBB47_2195:
	s_mov_b64 s[20:21], -1
	s_mov_b64 s[16:17], 0
	s_mov_b64 s[0:1], 0
                                        ; implicit-def: $vgpr11
	s_branch .LBB47_2232
.LBB47_2196:
	s_mov_b64 s[20:21], -1
	s_mov_b64 s[16:17], 0
	s_mov_b64 s[0:1], 0
                                        ; implicit-def: $vgpr11
	s_branch .LBB47_2213
.LBB47_2197:
	s_mov_b64 s[20:21], -1
	s_mov_b64 s[16:17], 0
	s_mov_b64 s[0:1], 0
                                        ; implicit-def: $vgpr11
	s_branch .LBB47_2208
.LBB47_2198:
	s_trap 2
	s_or_b64 s[18:19], s[18:19], exec
                                        ; implicit-def: $vgpr10
	s_cbranch_execz .LBB47_2135
	s_branch .LBB47_2136
.LBB47_2199:
	s_mov_b64 s[20:21], -1
	s_mov_b64 s[16:17], 0
	s_mov_b64 s[0:1], 0
                                        ; implicit-def: $vgpr11
	s_branch .LBB47_2203
.LBB47_2200:
	s_or_saveexec_b64 s[44:45], s[44:45]
                                        ; implicit-def: $sgpr15
	s_xor_b64 exec, exec, s[44:45]
	s_cbranch_execz .LBB47_1085
.LBB47_2201:
	s_mov_b32 s15, 0x42800000
	v_add_f32_e64 v8, |v7|, s15
	v_and_b32_e32 v8, 0xff, v8
	v_cmp_ne_u32_e32 vcc, 0, v8
	s_andn2_b64 s[42:43], s[42:43], exec
	s_and_b64 s[46:47], vcc, exec
	s_mov_b32 s15, 0
	s_or_b64 s[42:43], s[42:43], s[46:47]
	s_or_b64 exec, exec, s[44:45]
	v_mov_b32_e32 v9, s15
	s_and_saveexec_b64 s[44:45], s[42:43]
	s_cbranch_execnz .LBB47_1086
	s_branch .LBB47_1087
.LBB47_2202:
	s_mov_b64 s[0:1], -1
                                        ; implicit-def: $vgpr11
	s_mov_b64 s[16:17], 0
.LBB47_2203:
	s_and_b64 vcc, exec, s[20:21]
	s_cbranch_vccz .LBB47_2207
; %bb.2204:
	v_mov_b32_e32 v11, 44
	v_cmp_eq_u16_sdwa s[0:1], v4, v11 src0_sel:BYTE_0 src1_sel:DWORD
	s_and_b64 vcc, exec, s[0:1]
	s_cbranch_vccz .LBB47_2206
; %bb.2205:
	global_load_ubyte v11, v[0:1], off
	s_movk_i32 s16, 0xff
	v_mov_b32_e32 v15, 0x7e00
	s_mov_b64 s[0:1], 0
	s_waitcnt vmcnt(0)
	v_lshlrev_b32_e32 v14, 23, v11
	v_cvt_f16_f32_e32 v14, v14
	v_cmp_ne_u32_e32 vcc, s16, v11
	s_mov_b64 s[16:17], -1
	v_cndmask_b32_e32 v14, v15, v14, vcc
	v_cmp_ne_u32_e32 vcc, 0, v11
	v_cndmask_b32_e32 v11, 0, v14, vcc
	s_branch .LBB47_2207
.LBB47_2206:
	s_mov_b64 s[0:1], -1
                                        ; implicit-def: $vgpr11
.LBB47_2207:
	s_mov_b64 s[20:21], 0
.LBB47_2208:
	s_and_b64 vcc, exec, s[20:21]
	s_cbranch_vccz .LBB47_2212
; %bb.2209:
	v_mov_b32_e32 v11, 29
	v_cmp_eq_u16_sdwa s[0:1], v4, v11 src0_sel:BYTE_0 src1_sel:DWORD
	s_and_b64 vcc, exec, s[0:1]
	s_cbranch_vccz .LBB47_2211
; %bb.2210:
	global_load_dwordx2 v[14:15], v[0:1], off
	s_mov_b64 s[0:1], 0
	s_mov_b64 s[16:17], -1
	s_mov_b64 s[20:21], 0
	s_waitcnt vmcnt(0)
	v_ffbh_u32_e32 v11, v15
	v_min_u32_e32 v11, 32, v11
	v_lshlrev_b64 v[14:15], v11, v[14:15]
	v_min_u32_e32 v14, 1, v14
	v_or_b32_e32 v14, v15, v14
	v_cvt_f32_u32_e32 v14, v14
	v_sub_u32_e32 v11, 32, v11
	v_ldexp_f32 v11, v14, v11
	v_cvt_f16_f32_e32 v11, v11
	s_branch .LBB47_2213
.LBB47_2211:
	s_mov_b64 s[0:1], -1
                                        ; implicit-def: $vgpr11
.LBB47_2212:
	s_mov_b64 s[20:21], 0
.LBB47_2213:
	s_and_b64 vcc, exec, s[20:21]
	s_cbranch_vccz .LBB47_2231
; %bb.2214:
	v_mov_b32_e32 v11, 27
	v_cmp_lt_i16_sdwa s[16:17], v4, v11 src0_sel:BYTE_0 src1_sel:DWORD
	s_and_b64 vcc, exec, s[16:17]
	s_cbranch_vccnz .LBB47_2217
; %bb.2215:
	v_cmp_gt_i16_sdwa s[16:17], v4, v11 src0_sel:BYTE_0 src1_sel:DWORD
	s_and_b64 vcc, exec, s[16:17]
	s_cbranch_vccz .LBB47_2218
; %bb.2216:
	global_load_dword v11, v[0:1], off
	s_mov_b64 s[16:17], 0
	s_waitcnt vmcnt(0)
	v_cvt_f32_u32_e32 v11, v11
	v_cvt_f16_f32_e32 v11, v11
	s_branch .LBB47_2219
.LBB47_2217:
	s_mov_b64 s[16:17], -1
                                        ; implicit-def: $vgpr11
	s_branch .LBB47_2222
.LBB47_2218:
	s_mov_b64 s[16:17], -1
                                        ; implicit-def: $vgpr11
.LBB47_2219:
	s_andn2_b64 vcc, exec, s[16:17]
	s_cbranch_vccnz .LBB47_2221
; %bb.2220:
	global_load_ushort v11, v[0:1], off
	s_waitcnt vmcnt(0)
	v_cvt_f16_u16_e32 v11, v11
.LBB47_2221:
	s_mov_b64 s[16:17], 0
.LBB47_2222:
	s_andn2_b64 vcc, exec, s[16:17]
	s_cbranch_vccnz .LBB47_2230
; %bb.2223:
	global_load_ubyte v14, v[0:1], off
	s_movk_i32 s16, 0x7f
                                        ; implicit-def: $sgpr25
	s_waitcnt vmcnt(0)
	v_cmp_lt_i16_e32 vcc, s16, v14
	s_mov_b64 s[16:17], 0
	s_and_saveexec_b64 s[20:21], vcc
	s_xor_b64 s[20:21], exec, s[20:21]
	s_cbranch_execz .LBB47_2244
; %bb.2224:
	s_movk_i32 s16, 0x80
	v_cmp_eq_u16_e32 vcc, s16, v14
	s_mov_b64 s[16:17], -1
                                        ; implicit-def: $sgpr25
	s_and_saveexec_b64 s[22:23], vcc
; %bb.2225:
	s_movk_i32 s25, 0x7e00
	s_xor_b64 s[16:17], exec, -1
; %bb.2226:
	s_or_b64 exec, exec, s[22:23]
	s_and_b64 s[16:17], s[16:17], exec
	s_or_saveexec_b64 s[20:21], s[20:21]
	v_mov_b32_e32 v11, s25
	s_xor_b64 exec, exec, s[20:21]
	s_cbranch_execnz .LBB47_2245
.LBB47_2227:
	s_or_b64 exec, exec, s[20:21]
	s_and_saveexec_b64 s[20:21], s[16:17]
	s_cbranch_execz .LBB47_2229
.LBB47_2228:
	v_lshlrev_b32_e32 v11, 24, v14
	v_and_b32_e32 v14, 0xffff, v14
	v_and_b32_e32 v15, 7, v14
	v_ffbh_u32_e32 v17, v15
	v_min_u32_e32 v17, 32, v17
	v_subrev_u32_e32 v18, 28, v17
	v_bfe_u32 v16, v14, 3, 4
	v_lshlrev_b32_e32 v14, v18, v14
	v_sub_u32_e32 v17, 29, v17
	v_and_b32_e32 v14, 7, v14
	v_cmp_eq_u32_e32 vcc, 0, v16
	v_cndmask_b32_e32 v16, v16, v17, vcc
	v_cndmask_b32_e32 v14, v15, v14, vcc
	v_mov_b32_e32 v15, 0x3b800000
	v_lshlrev_b32_e32 v14, 20, v14
	v_and_b32_e32 v11, 0x80000000, v11
	v_lshl_add_u32 v15, v16, 23, v15
	v_or3_b32 v11, v11, v15, v14
	v_cvt_f16_f32_e32 v11, v11
.LBB47_2229:
	s_or_b64 exec, exec, s[20:21]
.LBB47_2230:
	s_mov_b64 s[16:17], -1
.LBB47_2231:
	s_mov_b64 s[20:21], 0
.LBB47_2232:
	s_and_b64 vcc, exec, s[20:21]
	s_cbranch_vccz .LBB47_2265
; %bb.2233:
	v_mov_b32_e32 v11, 22
	v_cmp_gt_i16_sdwa s[14:15], v4, v11 src0_sel:BYTE_0 src1_sel:DWORD
	s_and_b64 vcc, exec, s[14:15]
	s_cbranch_vccz .LBB47_2243
; %bb.2234:
	v_mov_b32_e32 v11, 24
	v_cmp_lt_i16_sdwa s[14:15], v4, v11 src0_sel:BYTE_0 src1_sel:DWORD
	s_and_b64 vcc, exec, s[14:15]
	s_cbranch_vccnz .LBB47_2246
; %bb.2235:
	v_cmp_gt_i16_sdwa s[14:15], v4, v11 src0_sel:BYTE_0 src1_sel:DWORD
	s_and_b64 vcc, exec, s[14:15]
	s_cbranch_vccz .LBB47_2247
; %bb.2236:
	global_load_ubyte v14, v[0:1], off
	s_movk_i32 s14, 0x7f
                                        ; implicit-def: $sgpr22
	s_waitcnt vmcnt(0)
	v_cmp_lt_i16_e32 vcc, s14, v14
	s_mov_b64 s[14:15], 0
	s_and_saveexec_b64 s[16:17], vcc
	s_xor_b64 s[16:17], exec, s[16:17]
	s_cbranch_execz .LBB47_2259
; %bb.2237:
	s_movk_i32 s14, 0x80
	v_cmp_eq_u16_e32 vcc, s14, v14
	s_mov_b64 s[14:15], -1
                                        ; implicit-def: $sgpr22
	s_and_saveexec_b64 s[20:21], vcc
; %bb.2238:
	s_movk_i32 s22, 0x7e00
	s_xor_b64 s[14:15], exec, -1
; %bb.2239:
	s_or_b64 exec, exec, s[20:21]
	s_and_b64 s[14:15], s[14:15], exec
	s_or_saveexec_b64 s[16:17], s[16:17]
	v_mov_b32_e32 v11, s22
	s_xor_b64 exec, exec, s[16:17]
	s_cbranch_execnz .LBB47_2260
.LBB47_2240:
	s_or_b64 exec, exec, s[16:17]
	s_and_saveexec_b64 s[16:17], s[14:15]
	s_cbranch_execz .LBB47_2242
.LBB47_2241:
	v_lshlrev_b32_e32 v11, 24, v14
	v_and_b32_e32 v14, 0xffff, v14
	v_and_b32_e32 v15, 3, v14
	v_ffbh_u32_e32 v17, v15
	v_min_u32_e32 v17, 32, v17
	v_subrev_u32_e32 v18, 29, v17
	v_bfe_u32 v16, v14, 2, 5
	v_lshlrev_b32_e32 v14, v18, v14
	v_sub_u32_e32 v17, 30, v17
	v_and_b32_e32 v14, 3, v14
	v_cmp_eq_u32_e32 vcc, 0, v16
	v_cndmask_b32_e32 v16, v16, v17, vcc
	v_cndmask_b32_e32 v14, v15, v14, vcc
	v_mov_b32_e32 v15, 0x37800000
	v_lshlrev_b32_e32 v14, 21, v14
	v_and_b32_e32 v11, 0x80000000, v11
	v_lshl_add_u32 v15, v16, 23, v15
	v_or3_b32 v11, v11, v15, v14
	v_cvt_f16_f32_e32 v11, v11
.LBB47_2242:
	s_or_b64 exec, exec, s[16:17]
	s_mov_b64 s[14:15], 0
	s_branch .LBB47_2248
.LBB47_2243:
	s_mov_b64 s[14:15], -1
                                        ; implicit-def: $vgpr11
	s_branch .LBB47_2254
.LBB47_2244:
	s_or_saveexec_b64 s[20:21], s[20:21]
	v_mov_b32_e32 v11, s25
	s_xor_b64 exec, exec, s[20:21]
	s_cbranch_execz .LBB47_2227
.LBB47_2245:
	v_cmp_ne_u16_e32 vcc, 0, v14
	s_andn2_b64 s[16:17], s[16:17], exec
	s_and_b64 s[22:23], vcc, exec
	s_or_b64 s[16:17], s[16:17], s[22:23]
	v_mov_b32_e32 v11, v14
	s_or_b64 exec, exec, s[20:21]
	s_and_saveexec_b64 s[20:21], s[16:17]
	s_cbranch_execnz .LBB47_2228
	s_branch .LBB47_2229
.LBB47_2246:
	s_mov_b64 s[14:15], -1
                                        ; implicit-def: $vgpr11
	s_branch .LBB47_2251
.LBB47_2247:
	s_mov_b64 s[14:15], -1
                                        ; implicit-def: $vgpr11
.LBB47_2248:
	s_and_b64 vcc, exec, s[14:15]
	s_cbranch_vccz .LBB47_2250
; %bb.2249:
	global_load_ubyte v11, v[0:1], off
	s_mov_b32 s14, 0x7f800000
	s_waitcnt vmcnt(0)
	v_lshlrev_b32_e32 v11, 24, v11
	v_and_b32_e32 v14, 0x7f000000, v11
	v_ffbh_u32_e32 v15, v14
	v_min_u32_e32 v15, 32, v15
	v_sub_u32_e64 v15, v15, 4 clamp
	v_lshlrev_b32_e32 v17, v15, v14
	v_lshlrev_b32_e32 v15, 23, v15
	v_lshrrev_b32_e32 v17, 4, v17
	v_add_u32_e32 v16, 0x1000000, v14
	v_sub_u32_e32 v15, v17, v15
	v_ashrrev_i32_e32 v16, 8, v16
	v_add_u32_e32 v15, 0x3c000000, v15
	v_and_or_b32 v15, v16, s14, v15
	v_cmp_ne_u32_e32 vcc, 0, v14
	v_cndmask_b32_e32 v14, 0, v15, vcc
	s_brev_b32 s14, 1
	v_and_or_b32 v11, v11, s14, v14
	v_cvt_f16_f32_e32 v11, v11
.LBB47_2250:
	s_mov_b64 s[14:15], 0
.LBB47_2251:
	s_andn2_b64 vcc, exec, s[14:15]
	s_cbranch_vccnz .LBB47_2253
; %bb.2252:
	global_load_ubyte v11, v[0:1], off
	s_movk_i32 s14, 0x7f00
	s_brev_b32 s15, 16
	s_waitcnt vmcnt(0)
	v_lshlrev_b16_e32 v14, 8, v11
	v_lshlrev_b32_e32 v11, 25, v11
	v_lshrrev_b32_e32 v15, 4, v11
	v_and_or_b32 v16, v14, s14, 0.5
	v_or_b32_e32 v15, 0x70000000, v15
	v_add_f32_e32 v16, -0.5, v16
	v_mul_f32_e32 v15, 0x7800000, v15
	v_cmp_gt_u32_e32 vcc, s15, v11
	v_bfe_i32 v14, v14, 0, 16
	v_cndmask_b32_e32 v11, v15, v16, vcc
	s_brev_b32 s14, 1
	v_and_or_b32 v11, v14, s14, v11
	v_cvt_f16_f32_e32 v11, v11
.LBB47_2253:
	s_mov_b64 s[14:15], 0
	s_mov_b64 s[16:17], -1
.LBB47_2254:
	s_andn2_b64 vcc, exec, s[14:15]
	s_mov_b64 s[14:15], 0
	s_cbranch_vccnz .LBB47_2265
; %bb.2255:
	v_mov_b32_e32 v11, 14
	v_cmp_gt_i16_sdwa s[14:15], v4, v11 src0_sel:BYTE_0 src1_sel:DWORD
	s_and_b64 vcc, exec, s[14:15]
	s_cbranch_vccz .LBB47_2258
; %bb.2256:
	v_mov_b32_e32 v11, 15
	v_cmp_eq_u16_sdwa s[0:1], v4, v11 src0_sel:BYTE_0 src1_sel:DWORD
	s_and_b64 vcc, exec, s[0:1]
	s_cbranch_vccz .LBB47_2261
; %bb.2257:
	global_load_ushort v11, v[0:1], off
	s_mov_b64 s[0:1], 0
	s_mov_b64 s[16:17], -1
	s_waitcnt vmcnt(0)
	v_lshlrev_b32_e32 v11, 16, v11
	v_cvt_f16_f32_e32 v11, v11
	s_branch .LBB47_2262
.LBB47_2258:
	s_mov_b64 s[20:21], -1
                                        ; implicit-def: $vgpr11
	s_branch .LBB47_2263
.LBB47_2259:
	s_or_saveexec_b64 s[16:17], s[16:17]
	v_mov_b32_e32 v11, s22
	s_xor_b64 exec, exec, s[16:17]
	s_cbranch_execz .LBB47_2240
.LBB47_2260:
	v_cmp_ne_u16_e32 vcc, 0, v14
	s_andn2_b64 s[14:15], s[14:15], exec
	s_and_b64 s[20:21], vcc, exec
	s_or_b64 s[14:15], s[14:15], s[20:21]
	v_mov_b32_e32 v11, v14
	s_or_b64 exec, exec, s[16:17]
	s_and_saveexec_b64 s[16:17], s[14:15]
	s_cbranch_execnz .LBB47_2241
	s_branch .LBB47_2242
.LBB47_2261:
	s_mov_b64 s[0:1], -1
                                        ; implicit-def: $vgpr11
.LBB47_2262:
	s_mov_b64 s[20:21], 0
.LBB47_2263:
	s_mov_b64 s[14:15], 0
	s_and_b64 vcc, exec, s[20:21]
	s_cbranch_vccz .LBB47_2265
; %bb.2264:
	v_mov_b32_e32 v11, 11
	v_cmp_ne_u16_sdwa s[0:1], v4, v11 src0_sel:BYTE_0 src1_sel:DWORD
	s_mov_b64 s[14:15], -1
                                        ; implicit-def: $vgpr11
.LBB47_2265:
	s_and_b64 vcc, exec, s[0:1]
	s_cbranch_vccnz .LBB47_2330
; %bb.2266:
	s_andn2_b64 vcc, exec, s[14:15]
	s_cbranch_vccnz .LBB47_2268
.LBB47_2267:
	global_load_ubyte v11, v[0:1], off
	v_mov_b32_e32 v14, 0x3c00
	s_mov_b64 s[16:17], -1
	s_waitcnt vmcnt(0)
	v_cmp_ne_u16_e32 vcc, 0, v11
	v_cndmask_b32_e32 v11, 0, v14, vcc
.LBB47_2268:
	s_mov_b64 s[0:1], 0
.LBB47_2269:
	s_and_b64 vcc, exec, s[0:1]
	s_cbranch_vccz .LBB47_2318
; %bb.2270:
	v_mov_b32_e32 v11, 5
	v_cmp_lt_i16_sdwa s[0:1], v4, v11 src0_sel:BYTE_0 src1_sel:DWORD
	s_and_b64 vcc, exec, s[0:1]
	s_cbranch_vccnz .LBB47_2275
; %bb.2271:
	v_mov_b32_e32 v11, 8
	v_cmp_lt_i16_sdwa s[0:1], v4, v11 src0_sel:BYTE_0 src1_sel:DWORD
	s_and_b64 vcc, exec, s[0:1]
	s_cbranch_vccnz .LBB47_2276
	;; [unrolled: 5-line block ×3, first 2 shown]
; %bb.2273:
	v_cmp_gt_i16_sdwa s[0:1], v4, v11 src0_sel:BYTE_0 src1_sel:DWORD
	s_and_b64 vcc, exec, s[0:1]
	s_cbranch_vccz .LBB47_2278
; %bb.2274:
	global_load_dwordx2 v[14:15], v[0:1], off
	s_mov_b64 s[0:1], 0
	s_waitcnt vmcnt(0)
	v_cvt_f32_f64_e32 v11, v[14:15]
	v_cvt_f16_f32_e32 v11, v11
	s_branch .LBB47_2279
.LBB47_2275:
	s_mov_b64 s[0:1], -1
                                        ; implicit-def: $vgpr11
	s_branch .LBB47_2297
.LBB47_2276:
	s_mov_b64 s[0:1], -1
                                        ; implicit-def: $vgpr11
	s_branch .LBB47_2285
.LBB47_2277:
	s_mov_b64 s[0:1], -1
                                        ; implicit-def: $vgpr11
	s_branch .LBB47_2282
.LBB47_2278:
	s_mov_b64 s[0:1], -1
                                        ; implicit-def: $vgpr11
.LBB47_2279:
	s_andn2_b64 vcc, exec, s[0:1]
	s_cbranch_vccnz .LBB47_2281
; %bb.2280:
	global_load_dword v11, v[0:1], off
	s_waitcnt vmcnt(0)
	v_cvt_f16_f32_e32 v11, v11
.LBB47_2281:
	s_mov_b64 s[0:1], 0
.LBB47_2282:
	s_andn2_b64 vcc, exec, s[0:1]
	s_cbranch_vccnz .LBB47_2284
; %bb.2283:
	global_load_dword v11, v[0:1], off
.LBB47_2284:
	s_mov_b64 s[0:1], 0
.LBB47_2285:
	s_andn2_b64 vcc, exec, s[0:1]
	s_cbranch_vccnz .LBB47_2296
; %bb.2286:
	s_waitcnt vmcnt(0)
	v_mov_b32_e32 v11, 6
	v_cmp_lt_i16_sdwa s[0:1], v4, v11 src0_sel:BYTE_0 src1_sel:DWORD
	s_and_b64 vcc, exec, s[0:1]
	s_cbranch_vccnz .LBB47_2289
; %bb.2287:
	v_cmp_gt_i16_sdwa s[0:1], v4, v11 src0_sel:BYTE_0 src1_sel:DWORD
	s_and_b64 vcc, exec, s[0:1]
	s_cbranch_vccz .LBB47_2290
; %bb.2288:
	global_load_dwordx2 v[14:15], v[0:1], off
	s_mov_b64 s[0:1], 0
	s_waitcnt vmcnt(0)
	v_cvt_f32_f64_e32 v11, v[14:15]
	v_cvt_f16_f32_e32 v11, v11
	s_branch .LBB47_2291
.LBB47_2289:
	s_mov_b64 s[0:1], -1
                                        ; implicit-def: $vgpr11
	s_branch .LBB47_2294
.LBB47_2290:
	s_mov_b64 s[0:1], -1
                                        ; implicit-def: $vgpr11
.LBB47_2291:
	s_andn2_b64 vcc, exec, s[0:1]
	s_cbranch_vccnz .LBB47_2293
; %bb.2292:
	global_load_dword v11, v[0:1], off
	s_waitcnt vmcnt(0)
	v_cvt_f16_f32_e32 v11, v11
.LBB47_2293:
	s_mov_b64 s[0:1], 0
.LBB47_2294:
	s_andn2_b64 vcc, exec, s[0:1]
	s_cbranch_vccnz .LBB47_2296
; %bb.2295:
	global_load_ushort v11, v[0:1], off
.LBB47_2296:
	s_mov_b64 s[0:1], 0
.LBB47_2297:
	s_andn2_b64 vcc, exec, s[0:1]
	s_cbranch_vccnz .LBB47_2317
; %bb.2298:
	s_waitcnt vmcnt(0)
	v_mov_b32_e32 v11, 2
	v_cmp_lt_i16_sdwa s[0:1], v4, v11 src0_sel:BYTE_0 src1_sel:DWORD
	s_and_b64 vcc, exec, s[0:1]
	s_cbranch_vccnz .LBB47_2302
; %bb.2299:
	v_mov_b32_e32 v11, 3
	v_cmp_lt_i16_sdwa s[0:1], v4, v11 src0_sel:BYTE_0 src1_sel:DWORD
	s_and_b64 vcc, exec, s[0:1]
	s_cbranch_vccnz .LBB47_2303
; %bb.2300:
	v_cmp_gt_i16_sdwa s[0:1], v4, v11 src0_sel:BYTE_0 src1_sel:DWORD
	s_and_b64 vcc, exec, s[0:1]
	s_cbranch_vccz .LBB47_2304
; %bb.2301:
	global_load_dwordx2 v[14:15], v[0:1], off
	s_mov_b64 s[0:1], 0
	s_waitcnt vmcnt(0)
	v_xor_b32_e32 v16, v14, v15
	v_ffbh_i32_e32 v11, v15
	v_ashrrev_i32_e32 v16, 31, v16
	v_add_u32_e32 v11, -1, v11
	v_add_u32_e32 v16, 32, v16
	v_min_u32_e32 v11, v11, v16
	v_lshlrev_b64 v[14:15], v11, v[14:15]
	v_min_u32_e32 v14, 1, v14
	v_or_b32_e32 v14, v15, v14
	v_cvt_f32_i32_e32 v14, v14
	v_sub_u32_e32 v11, 32, v11
	v_ldexp_f32 v11, v14, v11
	v_cvt_f16_f32_e32 v11, v11
	s_branch .LBB47_2305
.LBB47_2302:
	s_mov_b64 s[0:1], -1
                                        ; implicit-def: $vgpr11
	s_branch .LBB47_2311
.LBB47_2303:
	s_mov_b64 s[0:1], -1
                                        ; implicit-def: $vgpr11
	s_branch .LBB47_2308
.LBB47_2304:
	s_mov_b64 s[0:1], -1
                                        ; implicit-def: $vgpr11
.LBB47_2305:
	s_andn2_b64 vcc, exec, s[0:1]
	s_cbranch_vccnz .LBB47_2307
; %bb.2306:
	global_load_dword v11, v[0:1], off
	s_waitcnt vmcnt(0)
	v_cvt_f32_i32_e32 v11, v11
	v_cvt_f16_f32_e32 v11, v11
.LBB47_2307:
	s_mov_b64 s[0:1], 0
.LBB47_2308:
	s_andn2_b64 vcc, exec, s[0:1]
	s_cbranch_vccnz .LBB47_2310
; %bb.2309:
	global_load_ushort v11, v[0:1], off
	s_waitcnt vmcnt(0)
	v_cvt_f16_i16_e32 v11, v11
.LBB47_2310:
	s_mov_b64 s[0:1], 0
.LBB47_2311:
	s_andn2_b64 vcc, exec, s[0:1]
	s_cbranch_vccnz .LBB47_2317
; %bb.2312:
	v_mov_b32_e32 v11, 0
	v_cmp_gt_i16_sdwa s[0:1], v4, v11 src0_sel:BYTE_0 src1_sel:DWORD
	s_and_b64 vcc, exec, s[0:1]
	s_cbranch_vccz .LBB47_2314
; %bb.2313:
	global_load_sbyte v11, v[0:1], off
	s_mov_b64 s[0:1], 0
	s_waitcnt vmcnt(0)
	v_cvt_f16_i16_e32 v11, v11
	s_branch .LBB47_2315
.LBB47_2314:
	s_mov_b64 s[0:1], -1
                                        ; implicit-def: $vgpr11
.LBB47_2315:
	s_andn2_b64 vcc, exec, s[0:1]
	s_cbranch_vccnz .LBB47_2317
; %bb.2316:
	global_load_ubyte v0, v[0:1], off
	s_waitcnt vmcnt(0)
	v_cvt_f16_u16_e32 v11, v0
.LBB47_2317:
	s_mov_b64 s[16:17], -1
.LBB47_2318:
	s_andn2_b64 vcc, exec, s[16:17]
	s_cbranch_vccnz .LBB47_3032
; %bb.2319:
	v_add_u32_e32 v0, s13, v12
	v_ashrrev_i32_e32 v1, 31, v0
	v_mov_b32_e32 v12, s11
	v_add_co_u32_e32 v0, vcc, s10, v0
	v_addc_co_u32_e32 v1, vcc, v12, v1, vcc
	v_mov_b32_e32 v12, 11
	v_cmp_lt_i16_sdwa s[0:1], v5, v12 src0_sel:BYTE_0 src1_sel:DWORD
	s_and_b64 vcc, exec, s[0:1]
	s_cbranch_vccnz .LBB47_2326
; %bb.2320:
	v_mov_b32_e32 v12, 25
	v_cmp_gt_i16_sdwa s[0:1], v5, v12 src0_sel:BYTE_0 src1_sel:DWORD
	s_mov_b64 s[10:11], 0
	s_and_b64 vcc, exec, s[0:1]
	s_cbranch_vccz .LBB47_2327
; %bb.2321:
	v_mov_b32_e32 v12, 28
	v_cmp_gt_i16_sdwa s[0:1], v5, v12 src0_sel:BYTE_0 src1_sel:DWORD
	s_and_b64 vcc, exec, s[0:1]
	s_cbranch_vccz .LBB47_2328
; %bb.2322:
	v_mov_b32_e32 v12, 43
	v_cmp_gt_i16_sdwa s[0:1], v5, v12 src0_sel:BYTE_0 src1_sel:DWORD
	;; [unrolled: 5-line block ×3, first 2 shown]
	s_and_b64 vcc, exec, s[0:1]
	s_cbranch_vccz .LBB47_2331
; %bb.2324:
	v_mov_b32_e32 v12, 46
	v_cmp_eq_u16_sdwa s[0:1], v5, v12 src0_sel:BYTE_0 src1_sel:DWORD
	s_mov_b64 s[16:17], 0
	s_and_b64 vcc, exec, s[0:1]
	s_cbranch_vccz .LBB47_2332
; %bb.2325:
	global_load_dword v12, v[0:1], off
	s_mov_b64 s[0:1], 0
	s_mov_b64 s[14:15], -1
	s_waitcnt vmcnt(0)
	v_lshlrev_b32_e32 v12, 16, v12
	v_cvt_f16_f32_e32 v12, v12
	s_branch .LBB47_2333
.LBB47_2326:
	s_mov_b64 s[0:1], -1
	s_mov_b64 s[14:15], 0
                                        ; implicit-def: $vgpr12
	s_branch .LBB47_2399
.LBB47_2327:
	s_mov_b64 s[16:17], -1
	s_mov_b64 s[14:15], 0
	s_mov_b64 s[0:1], 0
                                        ; implicit-def: $vgpr12
	s_branch .LBB47_2362
.LBB47_2328:
	s_mov_b64 s[16:17], -1
	s_mov_b64 s[14:15], 0
	s_mov_b64 s[0:1], 0
                                        ; implicit-def: $vgpr12
	s_branch .LBB47_2343
.LBB47_2329:
	s_mov_b64 s[16:17], -1
	s_mov_b64 s[14:15], 0
	s_mov_b64 s[0:1], 0
                                        ; implicit-def: $vgpr12
	s_branch .LBB47_2338
.LBB47_2330:
	s_trap 2
	s_or_b64 s[18:19], s[18:19], exec
                                        ; implicit-def: $vgpr11
	s_cbranch_execz .LBB47_2267
	s_branch .LBB47_2268
.LBB47_2331:
	s_mov_b64 s[16:17], -1
	s_mov_b64 s[14:15], 0
	s_mov_b64 s[0:1], 0
                                        ; implicit-def: $vgpr12
	s_branch .LBB47_2333
.LBB47_2332:
	s_mov_b64 s[0:1], -1
                                        ; implicit-def: $vgpr12
	s_mov_b64 s[14:15], 0
.LBB47_2333:
	s_and_b64 vcc, exec, s[16:17]
	s_cbranch_vccz .LBB47_2337
; %bb.2334:
	v_mov_b32_e32 v12, 44
	v_cmp_eq_u16_sdwa s[0:1], v5, v12 src0_sel:BYTE_0 src1_sel:DWORD
	s_and_b64 vcc, exec, s[0:1]
	s_cbranch_vccz .LBB47_2336
; %bb.2335:
	global_load_ubyte v12, v[0:1], off
	s_movk_i32 s13, 0xff
	v_mov_b32_e32 v15, 0x7e00
	s_mov_b64 s[0:1], 0
	s_mov_b64 s[14:15], -1
	s_waitcnt vmcnt(0)
	v_lshlrev_b32_e32 v14, 23, v12
	v_cvt_f16_f32_e32 v14, v14
	v_cmp_ne_u32_e32 vcc, s13, v12
	v_cndmask_b32_e32 v14, v15, v14, vcc
	v_cmp_ne_u32_e32 vcc, 0, v12
	v_cndmask_b32_e32 v12, 0, v14, vcc
	s_branch .LBB47_2337
.LBB47_2336:
	s_mov_b64 s[0:1], -1
                                        ; implicit-def: $vgpr12
.LBB47_2337:
	s_mov_b64 s[16:17], 0
.LBB47_2338:
	s_and_b64 vcc, exec, s[16:17]
	s_cbranch_vccz .LBB47_2342
; %bb.2339:
	v_mov_b32_e32 v12, 29
	v_cmp_eq_u16_sdwa s[0:1], v5, v12 src0_sel:BYTE_0 src1_sel:DWORD
	s_and_b64 vcc, exec, s[0:1]
	s_cbranch_vccz .LBB47_2341
; %bb.2340:
	global_load_dwordx2 v[14:15], v[0:1], off
	s_mov_b64 s[0:1], 0
	s_mov_b64 s[14:15], -1
	s_mov_b64 s[16:17], 0
	s_waitcnt vmcnt(0)
	v_ffbh_u32_e32 v12, v15
	v_min_u32_e32 v12, 32, v12
	v_lshlrev_b64 v[14:15], v12, v[14:15]
	v_min_u32_e32 v14, 1, v14
	v_or_b32_e32 v14, v15, v14
	v_cvt_f32_u32_e32 v14, v14
	v_sub_u32_e32 v12, 32, v12
	v_ldexp_f32 v12, v14, v12
	v_cvt_f16_f32_e32 v12, v12
	s_branch .LBB47_2343
.LBB47_2341:
	s_mov_b64 s[0:1], -1
                                        ; implicit-def: $vgpr12
.LBB47_2342:
	s_mov_b64 s[16:17], 0
.LBB47_2343:
	s_and_b64 vcc, exec, s[16:17]
	s_cbranch_vccz .LBB47_2361
; %bb.2344:
	v_mov_b32_e32 v12, 27
	v_cmp_lt_i16_sdwa s[14:15], v5, v12 src0_sel:BYTE_0 src1_sel:DWORD
	s_and_b64 vcc, exec, s[14:15]
	s_cbranch_vccnz .LBB47_2347
; %bb.2345:
	v_cmp_gt_i16_sdwa s[14:15], v5, v12 src0_sel:BYTE_0 src1_sel:DWORD
	s_and_b64 vcc, exec, s[14:15]
	s_cbranch_vccz .LBB47_2348
; %bb.2346:
	global_load_dword v12, v[0:1], off
	s_mov_b64 s[14:15], 0
	s_waitcnt vmcnt(0)
	v_cvt_f32_u32_e32 v12, v12
	v_cvt_f16_f32_e32 v12, v12
	s_branch .LBB47_2349
.LBB47_2347:
	s_mov_b64 s[14:15], -1
                                        ; implicit-def: $vgpr12
	s_branch .LBB47_2352
.LBB47_2348:
	s_mov_b64 s[14:15], -1
                                        ; implicit-def: $vgpr12
.LBB47_2349:
	s_andn2_b64 vcc, exec, s[14:15]
	s_cbranch_vccnz .LBB47_2351
; %bb.2350:
	global_load_ushort v12, v[0:1], off
	s_waitcnt vmcnt(0)
	v_cvt_f16_u16_e32 v12, v12
.LBB47_2351:
	s_mov_b64 s[14:15], 0
.LBB47_2352:
	s_andn2_b64 vcc, exec, s[14:15]
	s_cbranch_vccnz .LBB47_2360
; %bb.2353:
	global_load_ubyte v14, v[0:1], off
	s_movk_i32 s13, 0x7f
	s_mov_b64 s[14:15], 0
	s_waitcnt vmcnt(0)
	v_cmp_lt_i16_e32 vcc, s13, v14
                                        ; implicit-def: $sgpr13
	s_and_saveexec_b64 s[16:17], vcc
	s_xor_b64 s[16:17], exec, s[16:17]
	s_cbranch_execz .LBB47_2374
; %bb.2354:
	s_movk_i32 s13, 0x80
	v_cmp_eq_u16_e32 vcc, s13, v14
	s_mov_b64 s[14:15], -1
                                        ; implicit-def: $sgpr13
	s_and_saveexec_b64 s[20:21], vcc
; %bb.2355:
	s_movk_i32 s13, 0x7e00
	s_xor_b64 s[14:15], exec, -1
; %bb.2356:
	s_or_b64 exec, exec, s[20:21]
	s_and_b64 s[14:15], s[14:15], exec
	s_or_saveexec_b64 s[16:17], s[16:17]
	v_mov_b32_e32 v12, s13
	s_xor_b64 exec, exec, s[16:17]
	s_cbranch_execnz .LBB47_2375
.LBB47_2357:
	s_or_b64 exec, exec, s[16:17]
	s_and_saveexec_b64 s[16:17], s[14:15]
	s_cbranch_execz .LBB47_2359
.LBB47_2358:
	v_lshlrev_b32_e32 v12, 24, v14
	v_and_b32_e32 v14, 0xffff, v14
	v_and_b32_e32 v15, 7, v14
	v_ffbh_u32_e32 v17, v15
	v_min_u32_e32 v17, 32, v17
	v_subrev_u32_e32 v18, 28, v17
	v_bfe_u32 v16, v14, 3, 4
	v_lshlrev_b32_e32 v14, v18, v14
	v_sub_u32_e32 v17, 29, v17
	v_and_b32_e32 v14, 7, v14
	v_cmp_eq_u32_e32 vcc, 0, v16
	v_cndmask_b32_e32 v16, v16, v17, vcc
	v_cndmask_b32_e32 v14, v15, v14, vcc
	v_mov_b32_e32 v15, 0x3b800000
	v_lshlrev_b32_e32 v14, 20, v14
	v_and_b32_e32 v12, 0x80000000, v12
	v_lshl_add_u32 v15, v16, 23, v15
	v_or3_b32 v12, v12, v15, v14
	v_cvt_f16_f32_e32 v12, v12
.LBB47_2359:
	s_or_b64 exec, exec, s[16:17]
.LBB47_2360:
	s_mov_b64 s[14:15], -1
.LBB47_2361:
	s_mov_b64 s[16:17], 0
.LBB47_2362:
	s_and_b64 vcc, exec, s[16:17]
	s_cbranch_vccz .LBB47_2395
; %bb.2363:
	v_mov_b32_e32 v12, 22
	v_cmp_gt_i16_sdwa s[10:11], v5, v12 src0_sel:BYTE_0 src1_sel:DWORD
	s_and_b64 vcc, exec, s[10:11]
	s_cbranch_vccz .LBB47_2373
; %bb.2364:
	v_mov_b32_e32 v12, 24
	v_cmp_lt_i16_sdwa s[10:11], v5, v12 src0_sel:BYTE_0 src1_sel:DWORD
	s_and_b64 vcc, exec, s[10:11]
	s_cbranch_vccnz .LBB47_2376
; %bb.2365:
	v_cmp_gt_i16_sdwa s[10:11], v5, v12 src0_sel:BYTE_0 src1_sel:DWORD
	s_and_b64 vcc, exec, s[10:11]
	s_cbranch_vccz .LBB47_2377
; %bb.2366:
	global_load_ubyte v14, v[0:1], off
	s_movk_i32 s10, 0x7f
                                        ; implicit-def: $sgpr13
	s_waitcnt vmcnt(0)
	v_cmp_lt_i16_e32 vcc, s10, v14
	s_mov_b64 s[10:11], 0
	s_and_saveexec_b64 s[14:15], vcc
	s_xor_b64 s[14:15], exec, s[14:15]
	s_cbranch_execz .LBB47_2389
; %bb.2367:
	s_movk_i32 s10, 0x80
	v_cmp_eq_u16_e32 vcc, s10, v14
	s_mov_b64 s[10:11], -1
                                        ; implicit-def: $sgpr13
	s_and_saveexec_b64 s[16:17], vcc
; %bb.2368:
	s_movk_i32 s13, 0x7e00
	s_xor_b64 s[10:11], exec, -1
; %bb.2369:
	s_or_b64 exec, exec, s[16:17]
	s_and_b64 s[10:11], s[10:11], exec
	s_or_saveexec_b64 s[14:15], s[14:15]
	v_mov_b32_e32 v12, s13
	s_xor_b64 exec, exec, s[14:15]
	s_cbranch_execnz .LBB47_2390
.LBB47_2370:
	s_or_b64 exec, exec, s[14:15]
	s_and_saveexec_b64 s[14:15], s[10:11]
	s_cbranch_execz .LBB47_2372
.LBB47_2371:
	v_lshlrev_b32_e32 v12, 24, v14
	v_and_b32_e32 v14, 0xffff, v14
	v_and_b32_e32 v15, 3, v14
	v_ffbh_u32_e32 v17, v15
	v_min_u32_e32 v17, 32, v17
	v_subrev_u32_e32 v18, 29, v17
	v_bfe_u32 v16, v14, 2, 5
	v_lshlrev_b32_e32 v14, v18, v14
	v_sub_u32_e32 v17, 30, v17
	v_and_b32_e32 v14, 3, v14
	v_cmp_eq_u32_e32 vcc, 0, v16
	v_cndmask_b32_e32 v16, v16, v17, vcc
	v_cndmask_b32_e32 v14, v15, v14, vcc
	v_mov_b32_e32 v15, 0x37800000
	v_lshlrev_b32_e32 v14, 21, v14
	v_and_b32_e32 v12, 0x80000000, v12
	v_lshl_add_u32 v15, v16, 23, v15
	v_or3_b32 v12, v12, v15, v14
	v_cvt_f16_f32_e32 v12, v12
.LBB47_2372:
	s_or_b64 exec, exec, s[14:15]
	s_mov_b64 s[10:11], 0
	s_branch .LBB47_2378
.LBB47_2373:
	s_mov_b64 s[10:11], -1
                                        ; implicit-def: $vgpr12
	s_branch .LBB47_2384
.LBB47_2374:
	s_or_saveexec_b64 s[16:17], s[16:17]
	v_mov_b32_e32 v12, s13
	s_xor_b64 exec, exec, s[16:17]
	s_cbranch_execz .LBB47_2357
.LBB47_2375:
	v_cmp_ne_u16_e32 vcc, 0, v14
	s_andn2_b64 s[14:15], s[14:15], exec
	s_and_b64 s[20:21], vcc, exec
	s_or_b64 s[14:15], s[14:15], s[20:21]
	v_mov_b32_e32 v12, v14
	s_or_b64 exec, exec, s[16:17]
	s_and_saveexec_b64 s[16:17], s[14:15]
	s_cbranch_execnz .LBB47_2358
	s_branch .LBB47_2359
.LBB47_2376:
	s_mov_b64 s[10:11], -1
                                        ; implicit-def: $vgpr12
	s_branch .LBB47_2381
.LBB47_2377:
	s_mov_b64 s[10:11], -1
                                        ; implicit-def: $vgpr12
.LBB47_2378:
	s_and_b64 vcc, exec, s[10:11]
	s_cbranch_vccz .LBB47_2380
; %bb.2379:
	global_load_ubyte v12, v[0:1], off
	s_mov_b32 s10, 0x7f800000
	s_waitcnt vmcnt(0)
	v_lshlrev_b32_e32 v12, 24, v12
	v_and_b32_e32 v14, 0x7f000000, v12
	v_ffbh_u32_e32 v15, v14
	v_min_u32_e32 v15, 32, v15
	v_sub_u32_e64 v15, v15, 4 clamp
	v_lshlrev_b32_e32 v17, v15, v14
	v_lshlrev_b32_e32 v15, 23, v15
	v_lshrrev_b32_e32 v17, 4, v17
	v_add_u32_e32 v16, 0x1000000, v14
	v_sub_u32_e32 v15, v17, v15
	v_ashrrev_i32_e32 v16, 8, v16
	v_add_u32_e32 v15, 0x3c000000, v15
	v_and_or_b32 v15, v16, s10, v15
	v_cmp_ne_u32_e32 vcc, 0, v14
	v_cndmask_b32_e32 v14, 0, v15, vcc
	s_brev_b32 s10, 1
	v_and_or_b32 v12, v12, s10, v14
	v_cvt_f16_f32_e32 v12, v12
.LBB47_2380:
	s_mov_b64 s[10:11], 0
.LBB47_2381:
	s_andn2_b64 vcc, exec, s[10:11]
	s_cbranch_vccnz .LBB47_2383
; %bb.2382:
	global_load_ubyte v12, v[0:1], off
	s_movk_i32 s10, 0x7f00
	s_brev_b32 s11, 16
	s_waitcnt vmcnt(0)
	v_lshlrev_b16_e32 v14, 8, v12
	v_lshlrev_b32_e32 v12, 25, v12
	v_lshrrev_b32_e32 v15, 4, v12
	v_and_or_b32 v16, v14, s10, 0.5
	v_or_b32_e32 v15, 0x70000000, v15
	v_add_f32_e32 v16, -0.5, v16
	v_mul_f32_e32 v15, 0x7800000, v15
	v_cmp_gt_u32_e32 vcc, s11, v12
	v_bfe_i32 v14, v14, 0, 16
	v_cndmask_b32_e32 v12, v15, v16, vcc
	s_brev_b32 s10, 1
	v_and_or_b32 v12, v14, s10, v12
	v_cvt_f16_f32_e32 v12, v12
.LBB47_2383:
	s_mov_b64 s[10:11], 0
	s_mov_b64 s[14:15], -1
.LBB47_2384:
	s_andn2_b64 vcc, exec, s[10:11]
	s_mov_b64 s[10:11], 0
	s_cbranch_vccnz .LBB47_2395
; %bb.2385:
	v_mov_b32_e32 v12, 14
	v_cmp_gt_i16_sdwa s[10:11], v5, v12 src0_sel:BYTE_0 src1_sel:DWORD
	s_and_b64 vcc, exec, s[10:11]
	s_cbranch_vccz .LBB47_2388
; %bb.2386:
	v_mov_b32_e32 v12, 15
	v_cmp_eq_u16_sdwa s[0:1], v5, v12 src0_sel:BYTE_0 src1_sel:DWORD
	s_and_b64 vcc, exec, s[0:1]
	s_cbranch_vccz .LBB47_2391
; %bb.2387:
	global_load_ushort v12, v[0:1], off
	s_mov_b64 s[0:1], 0
	s_mov_b64 s[14:15], -1
	s_waitcnt vmcnt(0)
	v_lshlrev_b32_e32 v12, 16, v12
	v_cvt_f16_f32_e32 v12, v12
	s_branch .LBB47_2392
.LBB47_2388:
	s_mov_b64 s[16:17], -1
                                        ; implicit-def: $vgpr12
	s_branch .LBB47_2393
.LBB47_2389:
	s_or_saveexec_b64 s[14:15], s[14:15]
	v_mov_b32_e32 v12, s13
	s_xor_b64 exec, exec, s[14:15]
	s_cbranch_execz .LBB47_2370
.LBB47_2390:
	v_cmp_ne_u16_e32 vcc, 0, v14
	s_andn2_b64 s[10:11], s[10:11], exec
	s_and_b64 s[16:17], vcc, exec
	s_or_b64 s[10:11], s[10:11], s[16:17]
	v_mov_b32_e32 v12, v14
	s_or_b64 exec, exec, s[14:15]
	s_and_saveexec_b64 s[14:15], s[10:11]
	s_cbranch_execnz .LBB47_2371
	s_branch .LBB47_2372
.LBB47_2391:
	s_mov_b64 s[0:1], -1
                                        ; implicit-def: $vgpr12
.LBB47_2392:
	s_mov_b64 s[16:17], 0
.LBB47_2393:
	s_mov_b64 s[10:11], 0
	s_and_b64 vcc, exec, s[16:17]
	s_cbranch_vccz .LBB47_2395
; %bb.2394:
	v_mov_b32_e32 v12, 11
	v_cmp_ne_u16_sdwa s[0:1], v5, v12 src0_sel:BYTE_0 src1_sel:DWORD
	s_mov_b64 s[10:11], -1
                                        ; implicit-def: $vgpr12
.LBB47_2395:
	s_and_b64 vcc, exec, s[0:1]
	s_cbranch_vccnz .LBB47_2460
; %bb.2396:
	s_andn2_b64 vcc, exec, s[10:11]
	s_cbranch_vccnz .LBB47_2398
.LBB47_2397:
	global_load_ubyte v12, v[0:1], off
	v_mov_b32_e32 v14, 0x3c00
	s_mov_b64 s[14:15], -1
	s_waitcnt vmcnt(0)
	v_cmp_ne_u16_e32 vcc, 0, v12
	v_cndmask_b32_e32 v12, 0, v14, vcc
.LBB47_2398:
	s_mov_b64 s[0:1], 0
.LBB47_2399:
	s_and_b64 vcc, exec, s[0:1]
	s_cbranch_vccz .LBB47_2448
; %bb.2400:
	v_mov_b32_e32 v12, 5
	v_cmp_lt_i16_sdwa s[0:1], v5, v12 src0_sel:BYTE_0 src1_sel:DWORD
	s_and_b64 vcc, exec, s[0:1]
	s_cbranch_vccnz .LBB47_2405
; %bb.2401:
	v_mov_b32_e32 v12, 8
	v_cmp_lt_i16_sdwa s[0:1], v5, v12 src0_sel:BYTE_0 src1_sel:DWORD
	s_and_b64 vcc, exec, s[0:1]
	s_cbranch_vccnz .LBB47_2406
	;; [unrolled: 5-line block ×3, first 2 shown]
; %bb.2403:
	v_cmp_gt_i16_sdwa s[0:1], v5, v12 src0_sel:BYTE_0 src1_sel:DWORD
	s_and_b64 vcc, exec, s[0:1]
	s_cbranch_vccz .LBB47_2408
; %bb.2404:
	global_load_dwordx2 v[14:15], v[0:1], off
	s_mov_b64 s[0:1], 0
	s_waitcnt vmcnt(0)
	v_cvt_f32_f64_e32 v12, v[14:15]
	v_cvt_f16_f32_e32 v12, v12
	s_branch .LBB47_2409
.LBB47_2405:
	s_mov_b64 s[0:1], -1
                                        ; implicit-def: $vgpr12
	s_branch .LBB47_2427
.LBB47_2406:
	s_mov_b64 s[0:1], -1
                                        ; implicit-def: $vgpr12
	s_branch .LBB47_2415
.LBB47_2407:
	s_mov_b64 s[0:1], -1
                                        ; implicit-def: $vgpr12
	s_branch .LBB47_2412
.LBB47_2408:
	s_mov_b64 s[0:1], -1
                                        ; implicit-def: $vgpr12
.LBB47_2409:
	s_andn2_b64 vcc, exec, s[0:1]
	s_cbranch_vccnz .LBB47_2411
; %bb.2410:
	global_load_dword v12, v[0:1], off
	s_waitcnt vmcnt(0)
	v_cvt_f16_f32_e32 v12, v12
.LBB47_2411:
	s_mov_b64 s[0:1], 0
.LBB47_2412:
	s_andn2_b64 vcc, exec, s[0:1]
	s_cbranch_vccnz .LBB47_2414
; %bb.2413:
	global_load_dword v12, v[0:1], off
.LBB47_2414:
	s_mov_b64 s[0:1], 0
.LBB47_2415:
	s_andn2_b64 vcc, exec, s[0:1]
	s_cbranch_vccnz .LBB47_2426
; %bb.2416:
	s_waitcnt vmcnt(0)
	v_mov_b32_e32 v12, 6
	v_cmp_lt_i16_sdwa s[0:1], v5, v12 src0_sel:BYTE_0 src1_sel:DWORD
	s_and_b64 vcc, exec, s[0:1]
	s_cbranch_vccnz .LBB47_2419
; %bb.2417:
	v_cmp_gt_i16_sdwa s[0:1], v5, v12 src0_sel:BYTE_0 src1_sel:DWORD
	s_and_b64 vcc, exec, s[0:1]
	s_cbranch_vccz .LBB47_2420
; %bb.2418:
	global_load_dwordx2 v[14:15], v[0:1], off
	s_mov_b64 s[0:1], 0
	s_waitcnt vmcnt(0)
	v_cvt_f32_f64_e32 v12, v[14:15]
	v_cvt_f16_f32_e32 v12, v12
	s_branch .LBB47_2421
.LBB47_2419:
	s_mov_b64 s[0:1], -1
                                        ; implicit-def: $vgpr12
	s_branch .LBB47_2424
.LBB47_2420:
	s_mov_b64 s[0:1], -1
                                        ; implicit-def: $vgpr12
.LBB47_2421:
	s_andn2_b64 vcc, exec, s[0:1]
	s_cbranch_vccnz .LBB47_2423
; %bb.2422:
	global_load_dword v12, v[0:1], off
	s_waitcnt vmcnt(0)
	v_cvt_f16_f32_e32 v12, v12
.LBB47_2423:
	s_mov_b64 s[0:1], 0
.LBB47_2424:
	s_andn2_b64 vcc, exec, s[0:1]
	s_cbranch_vccnz .LBB47_2426
; %bb.2425:
	global_load_ushort v12, v[0:1], off
.LBB47_2426:
	s_mov_b64 s[0:1], 0
.LBB47_2427:
	s_andn2_b64 vcc, exec, s[0:1]
	s_cbranch_vccnz .LBB47_2447
; %bb.2428:
	s_waitcnt vmcnt(0)
	v_mov_b32_e32 v12, 2
	v_cmp_lt_i16_sdwa s[0:1], v5, v12 src0_sel:BYTE_0 src1_sel:DWORD
	s_and_b64 vcc, exec, s[0:1]
	s_cbranch_vccnz .LBB47_2432
; %bb.2429:
	v_mov_b32_e32 v12, 3
	v_cmp_lt_i16_sdwa s[0:1], v5, v12 src0_sel:BYTE_0 src1_sel:DWORD
	s_and_b64 vcc, exec, s[0:1]
	s_cbranch_vccnz .LBB47_2433
; %bb.2430:
	v_cmp_gt_i16_sdwa s[0:1], v5, v12 src0_sel:BYTE_0 src1_sel:DWORD
	s_and_b64 vcc, exec, s[0:1]
	s_cbranch_vccz .LBB47_2434
; %bb.2431:
	global_load_dwordx2 v[14:15], v[0:1], off
	s_mov_b64 s[0:1], 0
	s_waitcnt vmcnt(0)
	v_xor_b32_e32 v16, v14, v15
	v_ffbh_i32_e32 v12, v15
	v_ashrrev_i32_e32 v16, 31, v16
	v_add_u32_e32 v12, -1, v12
	v_add_u32_e32 v16, 32, v16
	v_min_u32_e32 v12, v12, v16
	v_lshlrev_b64 v[14:15], v12, v[14:15]
	v_min_u32_e32 v14, 1, v14
	v_or_b32_e32 v14, v15, v14
	v_cvt_f32_i32_e32 v14, v14
	v_sub_u32_e32 v12, 32, v12
	v_ldexp_f32 v12, v14, v12
	v_cvt_f16_f32_e32 v12, v12
	s_branch .LBB47_2435
.LBB47_2432:
	s_mov_b64 s[0:1], -1
                                        ; implicit-def: $vgpr12
	s_branch .LBB47_2441
.LBB47_2433:
	s_mov_b64 s[0:1], -1
                                        ; implicit-def: $vgpr12
	s_branch .LBB47_2438
.LBB47_2434:
	s_mov_b64 s[0:1], -1
                                        ; implicit-def: $vgpr12
.LBB47_2435:
	s_andn2_b64 vcc, exec, s[0:1]
	s_cbranch_vccnz .LBB47_2437
; %bb.2436:
	global_load_dword v12, v[0:1], off
	s_waitcnt vmcnt(0)
	v_cvt_f32_i32_e32 v12, v12
	v_cvt_f16_f32_e32 v12, v12
.LBB47_2437:
	s_mov_b64 s[0:1], 0
.LBB47_2438:
	s_andn2_b64 vcc, exec, s[0:1]
	s_cbranch_vccnz .LBB47_2440
; %bb.2439:
	global_load_ushort v12, v[0:1], off
	s_waitcnt vmcnt(0)
	v_cvt_f16_i16_e32 v12, v12
.LBB47_2440:
	s_mov_b64 s[0:1], 0
.LBB47_2441:
	s_andn2_b64 vcc, exec, s[0:1]
	s_cbranch_vccnz .LBB47_2447
; %bb.2442:
	v_mov_b32_e32 v12, 0
	v_cmp_gt_i16_sdwa s[0:1], v5, v12 src0_sel:BYTE_0 src1_sel:DWORD
	s_and_b64 vcc, exec, s[0:1]
	s_cbranch_vccz .LBB47_2444
; %bb.2443:
	global_load_sbyte v5, v[0:1], off
	s_mov_b64 s[0:1], 0
	s_waitcnt vmcnt(0)
	v_cvt_f16_i16_e32 v12, v5
	s_branch .LBB47_2445
.LBB47_2444:
	s_mov_b64 s[0:1], -1
                                        ; implicit-def: $vgpr12
.LBB47_2445:
	s_andn2_b64 vcc, exec, s[0:1]
	s_cbranch_vccnz .LBB47_2447
; %bb.2446:
	global_load_ubyte v0, v[0:1], off
	s_waitcnt vmcnt(0)
	v_cvt_f16_u16_e32 v12, v0
.LBB47_2447:
	s_mov_b64 s[14:15], -1
.LBB47_2448:
	s_andn2_b64 vcc, exec, s[14:15]
	s_cbranch_vccnz .LBB47_3032
; %bb.2449:
	v_add_u32_e32 v0, s24, v13
	v_ashrrev_i32_e32 v1, 31, v0
	v_mov_b32_e32 v5, s3
	v_add_co_u32_e32 v0, vcc, s2, v0
	v_addc_co_u32_e32 v1, vcc, v5, v1, vcc
	v_mov_b32_e32 v5, 11
	v_cmp_lt_i16_sdwa s[0:1], v4, v5 src0_sel:BYTE_0 src1_sel:DWORD
	s_and_b64 vcc, exec, s[0:1]
	s_cbranch_vccnz .LBB47_2456
; %bb.2450:
	v_mov_b32_e32 v5, 25
	v_cmp_gt_i16_sdwa s[0:1], v4, v5 src0_sel:BYTE_0 src1_sel:DWORD
	s_mov_b64 s[2:3], 0
	s_and_b64 vcc, exec, s[0:1]
	s_cbranch_vccz .LBB47_2457
; %bb.2451:
	v_mov_b32_e32 v5, 28
	v_cmp_gt_i16_sdwa s[0:1], v4, v5 src0_sel:BYTE_0 src1_sel:DWORD
	s_and_b64 vcc, exec, s[0:1]
	s_cbranch_vccz .LBB47_2458
; %bb.2452:
	v_mov_b32_e32 v5, 43
	v_cmp_gt_i16_sdwa s[0:1], v4, v5 src0_sel:BYTE_0 src1_sel:DWORD
	;; [unrolled: 5-line block ×3, first 2 shown]
	s_and_b64 vcc, exec, s[0:1]
	s_cbranch_vccz .LBB47_2461
; %bb.2454:
	v_mov_b32_e32 v5, 46
	v_cmp_eq_u16_sdwa s[0:1], v4, v5 src0_sel:BYTE_0 src1_sel:DWORD
	s_mov_b64 s[14:15], 0
	s_and_b64 vcc, exec, s[0:1]
	s_cbranch_vccz .LBB47_2462
; %bb.2455:
	global_load_dword v5, v[0:1], off
	s_mov_b64 s[0:1], 0
	s_mov_b64 s[10:11], -1
	s_waitcnt vmcnt(0)
	v_lshlrev_b32_e32 v5, 16, v5
	v_cvt_f16_f32_e32 v5, v5
	s_branch .LBB47_2463
.LBB47_2456:
	s_mov_b64 s[0:1], -1
	s_mov_b64 s[10:11], 0
                                        ; implicit-def: $vgpr5
	s_branch .LBB47_2529
.LBB47_2457:
	s_mov_b64 s[14:15], -1
	s_mov_b64 s[10:11], 0
	s_mov_b64 s[0:1], 0
                                        ; implicit-def: $vgpr5
	s_branch .LBB47_2492
.LBB47_2458:
	s_mov_b64 s[14:15], -1
	s_mov_b64 s[10:11], 0
	s_mov_b64 s[0:1], 0
                                        ; implicit-def: $vgpr5
	s_branch .LBB47_2473
.LBB47_2459:
	s_mov_b64 s[14:15], -1
	s_mov_b64 s[10:11], 0
	s_mov_b64 s[0:1], 0
                                        ; implicit-def: $vgpr5
	s_branch .LBB47_2468
.LBB47_2460:
	s_trap 2
	s_or_b64 s[18:19], s[18:19], exec
                                        ; implicit-def: $vgpr12
	s_cbranch_execz .LBB47_2397
	s_branch .LBB47_2398
.LBB47_2461:
	s_mov_b64 s[14:15], -1
	s_mov_b64 s[10:11], 0
	s_mov_b64 s[0:1], 0
                                        ; implicit-def: $vgpr5
	s_branch .LBB47_2463
.LBB47_2462:
	s_mov_b64 s[0:1], -1
                                        ; implicit-def: $vgpr5
	s_mov_b64 s[10:11], 0
.LBB47_2463:
	s_and_b64 vcc, exec, s[14:15]
	s_cbranch_vccz .LBB47_2467
; %bb.2464:
	v_mov_b32_e32 v5, 44
	v_cmp_eq_u16_sdwa s[0:1], v4, v5 src0_sel:BYTE_0 src1_sel:DWORD
	s_and_b64 vcc, exec, s[0:1]
	s_cbranch_vccz .LBB47_2466
; %bb.2465:
	global_load_ubyte v5, v[0:1], off
	s_movk_i32 s10, 0xff
	v_mov_b32_e32 v14, 0x7e00
	s_mov_b64 s[0:1], 0
	s_waitcnt vmcnt(0)
	v_lshlrev_b32_e32 v13, 23, v5
	v_cvt_f16_f32_e32 v13, v13
	v_cmp_ne_u32_e32 vcc, s10, v5
	s_mov_b64 s[10:11], -1
	v_cndmask_b32_e32 v13, v14, v13, vcc
	v_cmp_ne_u32_e32 vcc, 0, v5
	v_cndmask_b32_e32 v5, 0, v13, vcc
	s_branch .LBB47_2467
.LBB47_2466:
	s_mov_b64 s[0:1], -1
                                        ; implicit-def: $vgpr5
.LBB47_2467:
	s_mov_b64 s[14:15], 0
.LBB47_2468:
	s_and_b64 vcc, exec, s[14:15]
	s_cbranch_vccz .LBB47_2472
; %bb.2469:
	v_mov_b32_e32 v5, 29
	v_cmp_eq_u16_sdwa s[0:1], v4, v5 src0_sel:BYTE_0 src1_sel:DWORD
	s_and_b64 vcc, exec, s[0:1]
	s_cbranch_vccz .LBB47_2471
; %bb.2470:
	global_load_dwordx2 v[14:15], v[0:1], off
	s_mov_b64 s[0:1], 0
	s_mov_b64 s[10:11], -1
	s_mov_b64 s[14:15], 0
	s_waitcnt vmcnt(0)
	v_ffbh_u32_e32 v5, v15
	v_min_u32_e32 v5, 32, v5
	v_lshlrev_b64 v[14:15], v5, v[14:15]
	v_min_u32_e32 v13, 1, v14
	v_or_b32_e32 v13, v15, v13
	v_cvt_f32_u32_e32 v13, v13
	v_sub_u32_e32 v5, 32, v5
	v_ldexp_f32 v5, v13, v5
	v_cvt_f16_f32_e32 v5, v5
	s_branch .LBB47_2473
.LBB47_2471:
	s_mov_b64 s[0:1], -1
                                        ; implicit-def: $vgpr5
.LBB47_2472:
	s_mov_b64 s[14:15], 0
.LBB47_2473:
	s_and_b64 vcc, exec, s[14:15]
	s_cbranch_vccz .LBB47_2491
; %bb.2474:
	v_mov_b32_e32 v5, 27
	v_cmp_lt_i16_sdwa s[10:11], v4, v5 src0_sel:BYTE_0 src1_sel:DWORD
	s_and_b64 vcc, exec, s[10:11]
	s_cbranch_vccnz .LBB47_2477
; %bb.2475:
	v_cmp_gt_i16_sdwa s[10:11], v4, v5 src0_sel:BYTE_0 src1_sel:DWORD
	s_and_b64 vcc, exec, s[10:11]
	s_cbranch_vccz .LBB47_2478
; %bb.2476:
	global_load_dword v5, v[0:1], off
	s_mov_b64 s[10:11], 0
	s_waitcnt vmcnt(0)
	v_cvt_f32_u32_e32 v5, v5
	v_cvt_f16_f32_e32 v5, v5
	s_branch .LBB47_2479
.LBB47_2477:
	s_mov_b64 s[10:11], -1
                                        ; implicit-def: $vgpr5
	s_branch .LBB47_2482
.LBB47_2478:
	s_mov_b64 s[10:11], -1
                                        ; implicit-def: $vgpr5
.LBB47_2479:
	s_andn2_b64 vcc, exec, s[10:11]
	s_cbranch_vccnz .LBB47_2481
; %bb.2480:
	global_load_ushort v5, v[0:1], off
	s_waitcnt vmcnt(0)
	v_cvt_f16_u16_e32 v5, v5
.LBB47_2481:
	s_mov_b64 s[10:11], 0
.LBB47_2482:
	s_andn2_b64 vcc, exec, s[10:11]
	s_cbranch_vccnz .LBB47_2490
; %bb.2483:
	global_load_ubyte v13, v[0:1], off
	s_movk_i32 s10, 0x7f
                                        ; implicit-def: $sgpr13
	s_waitcnt vmcnt(0)
	v_cmp_lt_i16_e32 vcc, s10, v13
	s_mov_b64 s[10:11], 0
	s_and_saveexec_b64 s[14:15], vcc
	s_xor_b64 s[14:15], exec, s[14:15]
	s_cbranch_execz .LBB47_2504
; %bb.2484:
	s_movk_i32 s10, 0x80
	v_cmp_eq_u16_e32 vcc, s10, v13
	s_mov_b64 s[10:11], -1
                                        ; implicit-def: $sgpr13
	s_and_saveexec_b64 s[16:17], vcc
; %bb.2485:
	s_movk_i32 s13, 0x7e00
	s_xor_b64 s[10:11], exec, -1
; %bb.2486:
	s_or_b64 exec, exec, s[16:17]
	s_and_b64 s[10:11], s[10:11], exec
	s_or_saveexec_b64 s[14:15], s[14:15]
	v_mov_b32_e32 v5, s13
	s_xor_b64 exec, exec, s[14:15]
	s_cbranch_execnz .LBB47_2505
.LBB47_2487:
	s_or_b64 exec, exec, s[14:15]
	s_and_saveexec_b64 s[14:15], s[10:11]
	s_cbranch_execz .LBB47_2489
.LBB47_2488:
	v_lshlrev_b32_e32 v5, 24, v13
	v_and_b32_e32 v13, 0xffff, v13
	v_and_b32_e32 v14, 7, v13
	v_ffbh_u32_e32 v16, v14
	v_min_u32_e32 v16, 32, v16
	v_subrev_u32_e32 v17, 28, v16
	v_bfe_u32 v15, v13, 3, 4
	v_lshlrev_b32_e32 v13, v17, v13
	v_sub_u32_e32 v16, 29, v16
	v_and_b32_e32 v13, 7, v13
	v_cmp_eq_u32_e32 vcc, 0, v15
	v_cndmask_b32_e32 v15, v15, v16, vcc
	v_cndmask_b32_e32 v13, v14, v13, vcc
	v_mov_b32_e32 v14, 0x3b800000
	v_lshlrev_b32_e32 v13, 20, v13
	v_and_b32_e32 v5, 0x80000000, v5
	v_lshl_add_u32 v14, v15, 23, v14
	v_or3_b32 v5, v5, v14, v13
	v_cvt_f16_f32_e32 v5, v5
.LBB47_2489:
	s_or_b64 exec, exec, s[14:15]
.LBB47_2490:
	s_mov_b64 s[10:11], -1
.LBB47_2491:
	s_mov_b64 s[14:15], 0
.LBB47_2492:
	s_and_b64 vcc, exec, s[14:15]
	s_cbranch_vccz .LBB47_2525
; %bb.2493:
	v_mov_b32_e32 v5, 22
	v_cmp_gt_i16_sdwa s[2:3], v4, v5 src0_sel:BYTE_0 src1_sel:DWORD
	s_and_b64 vcc, exec, s[2:3]
	s_cbranch_vccz .LBB47_2503
; %bb.2494:
	v_mov_b32_e32 v5, 24
	v_cmp_lt_i16_sdwa s[2:3], v4, v5 src0_sel:BYTE_0 src1_sel:DWORD
	s_and_b64 vcc, exec, s[2:3]
	s_cbranch_vccnz .LBB47_2506
; %bb.2495:
	v_cmp_gt_i16_sdwa s[2:3], v4, v5 src0_sel:BYTE_0 src1_sel:DWORD
	s_and_b64 vcc, exec, s[2:3]
	s_cbranch_vccz .LBB47_2507
; %bb.2496:
	global_load_ubyte v13, v[0:1], off
	s_movk_i32 s2, 0x7f
                                        ; implicit-def: $sgpr13
	s_waitcnt vmcnt(0)
	v_cmp_lt_i16_e32 vcc, s2, v13
	s_mov_b64 s[2:3], 0
	s_and_saveexec_b64 s[10:11], vcc
	s_xor_b64 s[10:11], exec, s[10:11]
	s_cbranch_execz .LBB47_2519
; %bb.2497:
	s_movk_i32 s2, 0x80
	v_cmp_eq_u16_e32 vcc, s2, v13
	s_mov_b64 s[2:3], -1
                                        ; implicit-def: $sgpr13
	s_and_saveexec_b64 s[14:15], vcc
; %bb.2498:
	s_movk_i32 s13, 0x7e00
	s_xor_b64 s[2:3], exec, -1
; %bb.2499:
	s_or_b64 exec, exec, s[14:15]
	s_and_b64 s[2:3], s[2:3], exec
	s_or_saveexec_b64 s[10:11], s[10:11]
	v_mov_b32_e32 v5, s13
	s_xor_b64 exec, exec, s[10:11]
	s_cbranch_execnz .LBB47_2520
.LBB47_2500:
	s_or_b64 exec, exec, s[10:11]
	s_and_saveexec_b64 s[10:11], s[2:3]
	s_cbranch_execz .LBB47_2502
.LBB47_2501:
	v_lshlrev_b32_e32 v5, 24, v13
	v_and_b32_e32 v13, 0xffff, v13
	v_and_b32_e32 v14, 3, v13
	v_ffbh_u32_e32 v16, v14
	v_min_u32_e32 v16, 32, v16
	v_subrev_u32_e32 v17, 29, v16
	v_bfe_u32 v15, v13, 2, 5
	v_lshlrev_b32_e32 v13, v17, v13
	v_sub_u32_e32 v16, 30, v16
	v_and_b32_e32 v13, 3, v13
	v_cmp_eq_u32_e32 vcc, 0, v15
	v_cndmask_b32_e32 v15, v15, v16, vcc
	v_cndmask_b32_e32 v13, v14, v13, vcc
	v_mov_b32_e32 v14, 0x37800000
	v_lshlrev_b32_e32 v13, 21, v13
	v_and_b32_e32 v5, 0x80000000, v5
	v_lshl_add_u32 v14, v15, 23, v14
	v_or3_b32 v5, v5, v14, v13
	v_cvt_f16_f32_e32 v5, v5
.LBB47_2502:
	s_or_b64 exec, exec, s[10:11]
	s_mov_b64 s[2:3], 0
	s_branch .LBB47_2508
.LBB47_2503:
	s_mov_b64 s[2:3], -1
                                        ; implicit-def: $vgpr5
	s_branch .LBB47_2514
.LBB47_2504:
	s_or_saveexec_b64 s[14:15], s[14:15]
	v_mov_b32_e32 v5, s13
	s_xor_b64 exec, exec, s[14:15]
	s_cbranch_execz .LBB47_2487
.LBB47_2505:
	v_cmp_ne_u16_e32 vcc, 0, v13
	s_andn2_b64 s[10:11], s[10:11], exec
	s_and_b64 s[16:17], vcc, exec
	s_or_b64 s[10:11], s[10:11], s[16:17]
	v_mov_b32_e32 v5, v13
	s_or_b64 exec, exec, s[14:15]
	s_and_saveexec_b64 s[14:15], s[10:11]
	s_cbranch_execnz .LBB47_2488
	s_branch .LBB47_2489
.LBB47_2506:
	s_mov_b64 s[2:3], -1
                                        ; implicit-def: $vgpr5
	s_branch .LBB47_2511
.LBB47_2507:
	s_mov_b64 s[2:3], -1
                                        ; implicit-def: $vgpr5
.LBB47_2508:
	s_and_b64 vcc, exec, s[2:3]
	s_cbranch_vccz .LBB47_2510
; %bb.2509:
	global_load_ubyte v5, v[0:1], off
	s_mov_b32 s2, 0x7f800000
	s_waitcnt vmcnt(0)
	v_lshlrev_b32_e32 v5, 24, v5
	v_and_b32_e32 v13, 0x7f000000, v5
	v_ffbh_u32_e32 v14, v13
	v_min_u32_e32 v14, 32, v14
	v_sub_u32_e64 v14, v14, 4 clamp
	v_lshlrev_b32_e32 v16, v14, v13
	v_lshlrev_b32_e32 v14, 23, v14
	v_lshrrev_b32_e32 v16, 4, v16
	v_add_u32_e32 v15, 0x1000000, v13
	v_sub_u32_e32 v14, v16, v14
	v_ashrrev_i32_e32 v15, 8, v15
	v_add_u32_e32 v14, 0x3c000000, v14
	v_and_or_b32 v14, v15, s2, v14
	v_cmp_ne_u32_e32 vcc, 0, v13
	v_cndmask_b32_e32 v13, 0, v14, vcc
	s_brev_b32 s2, 1
	v_and_or_b32 v5, v5, s2, v13
	v_cvt_f16_f32_e32 v5, v5
.LBB47_2510:
	s_mov_b64 s[2:3], 0
.LBB47_2511:
	s_andn2_b64 vcc, exec, s[2:3]
	s_cbranch_vccnz .LBB47_2513
; %bb.2512:
	global_load_ubyte v5, v[0:1], off
	s_movk_i32 s2, 0x7f00
	s_brev_b32 s3, 16
	s_waitcnt vmcnt(0)
	v_lshlrev_b16_e32 v13, 8, v5
	v_lshlrev_b32_e32 v5, 25, v5
	v_lshrrev_b32_e32 v14, 4, v5
	v_and_or_b32 v15, v13, s2, 0.5
	v_or_b32_e32 v14, 0x70000000, v14
	v_add_f32_e32 v15, -0.5, v15
	v_mul_f32_e32 v14, 0x7800000, v14
	v_cmp_gt_u32_e32 vcc, s3, v5
	v_bfe_i32 v13, v13, 0, 16
	v_cndmask_b32_e32 v5, v14, v15, vcc
	s_brev_b32 s2, 1
	v_and_or_b32 v5, v13, s2, v5
	v_cvt_f16_f32_e32 v5, v5
.LBB47_2513:
	s_mov_b64 s[2:3], 0
	s_mov_b64 s[10:11], -1
.LBB47_2514:
	s_andn2_b64 vcc, exec, s[2:3]
	s_mov_b64 s[2:3], 0
	s_cbranch_vccnz .LBB47_2525
; %bb.2515:
	v_mov_b32_e32 v5, 14
	v_cmp_gt_i16_sdwa s[2:3], v4, v5 src0_sel:BYTE_0 src1_sel:DWORD
	s_and_b64 vcc, exec, s[2:3]
	s_cbranch_vccz .LBB47_2518
; %bb.2516:
	v_mov_b32_e32 v5, 15
	v_cmp_eq_u16_sdwa s[0:1], v4, v5 src0_sel:BYTE_0 src1_sel:DWORD
	s_and_b64 vcc, exec, s[0:1]
	s_cbranch_vccz .LBB47_2521
; %bb.2517:
	global_load_ushort v5, v[0:1], off
	s_mov_b64 s[0:1], 0
	s_mov_b64 s[10:11], -1
	s_waitcnt vmcnt(0)
	v_lshlrev_b32_e32 v5, 16, v5
	v_cvt_f16_f32_e32 v5, v5
	s_branch .LBB47_2522
.LBB47_2518:
	s_mov_b64 s[14:15], -1
                                        ; implicit-def: $vgpr5
	s_branch .LBB47_2523
.LBB47_2519:
	s_or_saveexec_b64 s[10:11], s[10:11]
	v_mov_b32_e32 v5, s13
	s_xor_b64 exec, exec, s[10:11]
	s_cbranch_execz .LBB47_2500
.LBB47_2520:
	v_cmp_ne_u16_e32 vcc, 0, v13
	s_andn2_b64 s[2:3], s[2:3], exec
	s_and_b64 s[14:15], vcc, exec
	s_or_b64 s[2:3], s[2:3], s[14:15]
	v_mov_b32_e32 v5, v13
	s_or_b64 exec, exec, s[10:11]
	s_and_saveexec_b64 s[10:11], s[2:3]
	s_cbranch_execnz .LBB47_2501
	s_branch .LBB47_2502
.LBB47_2521:
	s_mov_b64 s[0:1], -1
                                        ; implicit-def: $vgpr5
.LBB47_2522:
	s_mov_b64 s[14:15], 0
.LBB47_2523:
	s_mov_b64 s[2:3], 0
	s_and_b64 vcc, exec, s[14:15]
	s_cbranch_vccz .LBB47_2525
; %bb.2524:
	v_mov_b32_e32 v5, 11
	v_cmp_ne_u16_sdwa s[0:1], v4, v5 src0_sel:BYTE_0 src1_sel:DWORD
	s_mov_b64 s[2:3], -1
                                        ; implicit-def: $vgpr5
.LBB47_2525:
	s_and_b64 vcc, exec, s[0:1]
	s_cbranch_vccnz .LBB47_2589
; %bb.2526:
	s_andn2_b64 vcc, exec, s[2:3]
	s_cbranch_vccnz .LBB47_2528
.LBB47_2527:
	global_load_ubyte v5, v[0:1], off
	v_mov_b32_e32 v13, 0x3c00
	s_mov_b64 s[10:11], -1
	s_waitcnt vmcnt(0)
	v_cmp_ne_u16_e32 vcc, 0, v5
	v_cndmask_b32_e32 v5, 0, v13, vcc
.LBB47_2528:
	s_mov_b64 s[0:1], 0
.LBB47_2529:
	s_and_b64 vcc, exec, s[0:1]
	s_cbranch_vccz .LBB47_2578
; %bb.2530:
	v_mov_b32_e32 v5, 5
	v_cmp_lt_i16_sdwa s[0:1], v4, v5 src0_sel:BYTE_0 src1_sel:DWORD
	s_and_b64 vcc, exec, s[0:1]
	s_cbranch_vccnz .LBB47_2535
; %bb.2531:
	v_mov_b32_e32 v5, 8
	v_cmp_lt_i16_sdwa s[0:1], v4, v5 src0_sel:BYTE_0 src1_sel:DWORD
	s_and_b64 vcc, exec, s[0:1]
	s_cbranch_vccnz .LBB47_2536
	;; [unrolled: 5-line block ×3, first 2 shown]
; %bb.2533:
	v_cmp_gt_i16_sdwa s[0:1], v4, v5 src0_sel:BYTE_0 src1_sel:DWORD
	s_and_b64 vcc, exec, s[0:1]
	s_cbranch_vccz .LBB47_2538
; %bb.2534:
	global_load_dwordx2 v[14:15], v[0:1], off
	s_mov_b64 s[0:1], 0
	s_waitcnt vmcnt(0)
	v_cvt_f32_f64_e32 v5, v[14:15]
	v_cvt_f16_f32_e32 v5, v5
	s_branch .LBB47_2539
.LBB47_2535:
	s_mov_b64 s[0:1], -1
                                        ; implicit-def: $vgpr5
	s_branch .LBB47_2557
.LBB47_2536:
	s_mov_b64 s[0:1], -1
                                        ; implicit-def: $vgpr5
	s_branch .LBB47_2545
.LBB47_2537:
	s_mov_b64 s[0:1], -1
                                        ; implicit-def: $vgpr5
	s_branch .LBB47_2542
.LBB47_2538:
	s_mov_b64 s[0:1], -1
                                        ; implicit-def: $vgpr5
.LBB47_2539:
	s_andn2_b64 vcc, exec, s[0:1]
	s_cbranch_vccnz .LBB47_2541
; %bb.2540:
	global_load_dword v5, v[0:1], off
	s_waitcnt vmcnt(0)
	v_cvt_f16_f32_e32 v5, v5
.LBB47_2541:
	s_mov_b64 s[0:1], 0
.LBB47_2542:
	s_andn2_b64 vcc, exec, s[0:1]
	s_cbranch_vccnz .LBB47_2544
; %bb.2543:
	global_load_dword v5, v[0:1], off
.LBB47_2544:
	s_mov_b64 s[0:1], 0
.LBB47_2545:
	s_andn2_b64 vcc, exec, s[0:1]
	s_cbranch_vccnz .LBB47_2556
; %bb.2546:
	s_waitcnt vmcnt(0)
	v_mov_b32_e32 v5, 6
	v_cmp_lt_i16_sdwa s[0:1], v4, v5 src0_sel:BYTE_0 src1_sel:DWORD
	s_and_b64 vcc, exec, s[0:1]
	s_cbranch_vccnz .LBB47_2549
; %bb.2547:
	v_cmp_gt_i16_sdwa s[0:1], v4, v5 src0_sel:BYTE_0 src1_sel:DWORD
	s_and_b64 vcc, exec, s[0:1]
	s_cbranch_vccz .LBB47_2550
; %bb.2548:
	global_load_dwordx2 v[14:15], v[0:1], off
	s_mov_b64 s[0:1], 0
	s_waitcnt vmcnt(0)
	v_cvt_f32_f64_e32 v5, v[14:15]
	v_cvt_f16_f32_e32 v5, v5
	s_branch .LBB47_2551
.LBB47_2549:
	s_mov_b64 s[0:1], -1
                                        ; implicit-def: $vgpr5
	s_branch .LBB47_2554
.LBB47_2550:
	s_mov_b64 s[0:1], -1
                                        ; implicit-def: $vgpr5
.LBB47_2551:
	s_andn2_b64 vcc, exec, s[0:1]
	s_cbranch_vccnz .LBB47_2553
; %bb.2552:
	global_load_dword v5, v[0:1], off
	s_waitcnt vmcnt(0)
	v_cvt_f16_f32_e32 v5, v5
.LBB47_2553:
	s_mov_b64 s[0:1], 0
.LBB47_2554:
	s_andn2_b64 vcc, exec, s[0:1]
	s_cbranch_vccnz .LBB47_2556
; %bb.2555:
	global_load_ushort v5, v[0:1], off
.LBB47_2556:
	s_mov_b64 s[0:1], 0
.LBB47_2557:
	s_andn2_b64 vcc, exec, s[0:1]
	s_cbranch_vccnz .LBB47_2577
; %bb.2558:
	s_waitcnt vmcnt(0)
	v_mov_b32_e32 v5, 2
	v_cmp_lt_i16_sdwa s[0:1], v4, v5 src0_sel:BYTE_0 src1_sel:DWORD
	s_and_b64 vcc, exec, s[0:1]
	s_cbranch_vccnz .LBB47_2562
; %bb.2559:
	v_mov_b32_e32 v5, 3
	v_cmp_lt_i16_sdwa s[0:1], v4, v5 src0_sel:BYTE_0 src1_sel:DWORD
	s_and_b64 vcc, exec, s[0:1]
	s_cbranch_vccnz .LBB47_2563
; %bb.2560:
	v_cmp_gt_i16_sdwa s[0:1], v4, v5 src0_sel:BYTE_0 src1_sel:DWORD
	s_and_b64 vcc, exec, s[0:1]
	s_cbranch_vccz .LBB47_2564
; %bb.2561:
	global_load_dwordx2 v[14:15], v[0:1], off
	s_mov_b64 s[0:1], 0
	s_waitcnt vmcnt(0)
	v_xor_b32_e32 v13, v14, v15
	v_ffbh_i32_e32 v5, v15
	v_ashrrev_i32_e32 v13, 31, v13
	v_add_u32_e32 v5, -1, v5
	v_add_u32_e32 v13, 32, v13
	v_min_u32_e32 v5, v5, v13
	v_lshlrev_b64 v[14:15], v5, v[14:15]
	v_min_u32_e32 v13, 1, v14
	v_or_b32_e32 v13, v15, v13
	v_cvt_f32_i32_e32 v13, v13
	v_sub_u32_e32 v5, 32, v5
	v_ldexp_f32 v5, v13, v5
	v_cvt_f16_f32_e32 v5, v5
	s_branch .LBB47_2565
.LBB47_2562:
	s_mov_b64 s[0:1], -1
                                        ; implicit-def: $vgpr5
	s_branch .LBB47_2571
.LBB47_2563:
	s_mov_b64 s[0:1], -1
                                        ; implicit-def: $vgpr5
	s_branch .LBB47_2568
.LBB47_2564:
	s_mov_b64 s[0:1], -1
                                        ; implicit-def: $vgpr5
.LBB47_2565:
	s_andn2_b64 vcc, exec, s[0:1]
	s_cbranch_vccnz .LBB47_2567
; %bb.2566:
	global_load_dword v5, v[0:1], off
	s_waitcnt vmcnt(0)
	v_cvt_f32_i32_e32 v5, v5
	v_cvt_f16_f32_e32 v5, v5
.LBB47_2567:
	s_mov_b64 s[0:1], 0
.LBB47_2568:
	s_andn2_b64 vcc, exec, s[0:1]
	s_cbranch_vccnz .LBB47_2570
; %bb.2569:
	global_load_ushort v5, v[0:1], off
	s_waitcnt vmcnt(0)
	v_cvt_f16_i16_e32 v5, v5
.LBB47_2570:
	s_mov_b64 s[0:1], 0
.LBB47_2571:
	s_andn2_b64 vcc, exec, s[0:1]
	s_cbranch_vccnz .LBB47_2577
; %bb.2572:
	v_mov_b32_e32 v5, 0
	v_cmp_gt_i16_sdwa s[0:1], v4, v5 src0_sel:BYTE_0 src1_sel:DWORD
	s_and_b64 vcc, exec, s[0:1]
	s_cbranch_vccz .LBB47_2574
; %bb.2573:
	global_load_sbyte v4, v[0:1], off
	s_mov_b64 s[0:1], 0
	s_waitcnt vmcnt(0)
	v_cvt_f16_i16_e32 v5, v4
	s_branch .LBB47_2575
.LBB47_2574:
	s_mov_b64 s[0:1], -1
                                        ; implicit-def: $vgpr5
.LBB47_2575:
	s_andn2_b64 vcc, exec, s[0:1]
	s_cbranch_vccnz .LBB47_2577
; %bb.2576:
	global_load_ubyte v0, v[0:1], off
	s_waitcnt vmcnt(0)
	v_cvt_f16_u16_e32 v5, v0
.LBB47_2577:
	s_mov_b64 s[10:11], -1
.LBB47_2578:
	s_andn2_b64 vcc, exec, s[10:11]
	s_cbranch_vccnz .LBB47_3032
; %bb.2579:
	s_waitcnt vmcnt(0)
	v_cvt_f32_f16_e32 v0, v7
	v_cvt_f32_f16_e32 v1, v6
	s_movk_i32 s0, 0x400
	v_mov_b32_e32 v13, 0x400
	v_rcp_f32_e32 v4, v0
	s_movk_i32 s1, 0x3bfe
	v_mul_lo_u32 v3, s12, v3
	v_mul_f32_e32 v14, v1, v4
	v_mad_f32 v15, -v0, v14, v1
	v_mac_f32_e32 v14, v15, v4
	v_mad_f32 v0, -v0, v14, v1
	v_mul_f32_e32 v0, v0, v4
	v_and_b32_e32 v0, 0xff800000, v0
	v_add_f32_e32 v0, v0, v14
	v_cvt_f16_f32_e32 v0, v0
	v_mov_b32_e32 v1, 0x3bfe
	v_ashrrev_i32_e32 v14, 31, v3
	v_div_fixup_f16 v0, v0, v7, v6
	v_cmp_ngt_f16_e32 vcc, s0, v0
	v_cndmask_b32_e32 v0, v13, v0, vcc
	v_cmp_nlt_f16_e32 vcc, s1, v0
	v_cndmask_b32_e32 v4, v1, v0, vcc
	v_mov_b32_e32 v1, s9
	v_add_co_u32_e32 v0, vcc, s8, v3
	v_mov_b32_e32 v6, 11
	v_addc_co_u32_e32 v1, vcc, v1, v14, vcc
	v_cmp_lt_i16_sdwa s[0:1], v2, v6 src0_sel:BYTE_0 src1_sel:DWORD
	s_and_b64 vcc, exec, s[0:1]
	s_cbranch_vccnz .LBB47_2586
; %bb.2580:
	v_mov_b32_e32 v6, 25
	v_cmp_gt_i16_sdwa s[0:1], v2, v6 src0_sel:BYTE_0 src1_sel:DWORD
	s_mov_b64 s[14:15], -1
	s_mov_b64 s[2:3], 0
	s_and_b64 vcc, exec, s[0:1]
	s_mov_b64 s[10:11], 0
	s_mov_b64 s[0:1], 0
	s_cbranch_vccz .LBB47_2618
; %bb.2581:
	v_mov_b32_e32 v6, 28
	v_cmp_gt_i16_sdwa s[0:1], v2, v6 src0_sel:BYTE_0 src1_sel:DWORD
	s_and_b64 vcc, exec, s[0:1]
	s_cbranch_vccz .LBB47_2587
; %bb.2582:
	v_mov_b32_e32 v6, 43
	v_cmp_gt_i16_sdwa s[0:1], v2, v6 src0_sel:BYTE_0 src1_sel:DWORD
	s_and_b64 vcc, exec, s[0:1]
	;; [unrolled: 5-line block ×3, first 2 shown]
	s_cbranch_vccz .LBB47_2590
; %bb.2584:
	v_mov_b32_e32 v6, 46
	v_cmp_eq_u16_sdwa s[10:11], v2, v6 src0_sel:BYTE_0 src1_sel:DWORD
	s_mov_b64 s[0:1], -1
	s_mov_b64 s[14:15], 0
	s_and_b64 vcc, exec, s[10:11]
	s_mov_b64 s[10:11], 0
	s_cbranch_vccz .LBB47_2591
; %bb.2585:
	v_cvt_f32_f16_e32 v6, v4
	s_movk_i32 s0, 0x7fff
	v_mov_b32_e32 v7, 0x7fc0
	v_cmp_o_f16_e32 vcc, v4, v4
	v_bfe_u32 v13, v6, 16, 1
	v_add3_u32 v6, v6, v13, s0
	v_lshrrev_b32_e32 v6, 16, v6
	v_cndmask_b32_e32 v6, v7, v6, vcc
	global_store_dword v[0:1], v6, off
	s_mov_b64 s[0:1], 0
	s_mov_b64 s[10:11], -1
	s_branch .LBB47_2591
.LBB47_2586:
	s_mov_b64 s[0:1], -1
	s_mov_b64 s[10:11], 0
	s_branch .LBB47_2662
.LBB47_2587:
	s_mov_b64 s[0:1], 0
	s_branch .LBB47_2601
.LBB47_2588:
	s_mov_b64 s[0:1], 0
	s_branch .LBB47_2597
.LBB47_2589:
	s_trap 2
	s_or_b64 s[18:19], s[18:19], exec
                                        ; implicit-def: $vgpr5
	s_cbranch_execz .LBB47_2527
	s_branch .LBB47_2528
.LBB47_2590:
	s_mov_b64 s[0:1], 0
.LBB47_2591:
	s_and_b64 vcc, exec, s[14:15]
	s_cbranch_vccz .LBB47_2596
; %bb.2592:
	v_mov_b32_e32 v6, 44
	v_cmp_eq_u16_sdwa s[14:15], v2, v6 src0_sel:BYTE_0 src1_sel:DWORD
	s_mov_b64 s[0:1], -1
	s_and_b64 vcc, exec, s[14:15]
	s_cbranch_vccz .LBB47_2596
; %bb.2593:
	v_cvt_f32_f16_e32 v6, v4
	s_movk_i32 s0, 0xff
	v_mov_b32_e32 v13, 0xff
	v_bfe_u32 v7, v6, 23, 8
	v_cmp_ne_u32_e32 vcc, s0, v7
	s_and_saveexec_b64 s[10:11], vcc
; %bb.2594:
	s_mov_b32 s0, 0x3fffff
	v_lshrrev_b32_e32 v13, 23, v6
	v_and_b32_e32 v14, 0x400000, v6
	v_and_or_b32 v6, v6, s0, v7
	v_cmp_ne_u32_e32 vcc, 0, v14
	v_cmp_ne_u32_e64 s[0:1], 0, v6
	s_and_b64 s[0:1], vcc, s[0:1]
	v_cndmask_b32_e64 v6, 0, 1, s[0:1]
	v_add_u32_e32 v13, v13, v6
; %bb.2595:
	s_or_b64 exec, exec, s[10:11]
	s_mov_b64 s[0:1], 0
	s_mov_b64 s[10:11], -1
	global_store_byte v[0:1], v13, off
.LBB47_2596:
	s_mov_b64 s[14:15], 0
.LBB47_2597:
	s_and_b64 vcc, exec, s[14:15]
	s_cbranch_vccz .LBB47_2600
; %bb.2598:
	v_mov_b32_e32 v6, 29
	v_cmp_eq_u16_sdwa s[14:15], v2, v6 src0_sel:BYTE_0 src1_sel:DWORD
	s_mov_b64 s[0:1], -1
	s_and_b64 vcc, exec, s[14:15]
	s_cbranch_vccz .LBB47_2600
; %bb.2599:
	v_cvt_f32_f16_e32 v6, v4
	v_mov_b32_e32 v7, 0
	s_mov_b64 s[0:1], 0
	s_mov_b64 s[10:11], -1
	v_cvt_u32_f32_e32 v6, v6
	s_mov_b64 s[14:15], 0
	global_store_dwordx2 v[0:1], v[6:7], off
	s_branch .LBB47_2601
.LBB47_2600:
	s_mov_b64 s[14:15], 0
.LBB47_2601:
	s_and_b64 vcc, exec, s[14:15]
	s_cbranch_vccz .LBB47_2617
; %bb.2602:
	v_mov_b32_e32 v6, 27
	v_cmp_lt_i16_sdwa s[14:15], v2, v6 src0_sel:BYTE_0 src1_sel:DWORD
	s_mov_b64 s[10:11], -1
	s_and_b64 vcc, exec, s[14:15]
	s_cbranch_vccnz .LBB47_2608
; %bb.2603:
	v_cmp_gt_i16_sdwa s[14:15], v2, v6 src0_sel:BYTE_0 src1_sel:DWORD
	s_and_b64 vcc, exec, s[14:15]
	s_cbranch_vccz .LBB47_2605
; %bb.2604:
	v_cvt_f32_f16_e32 v6, v4
	s_mov_b64 s[10:11], 0
	v_cvt_u32_f32_e32 v6, v6
	global_store_dword v[0:1], v6, off
.LBB47_2605:
	s_andn2_b64 vcc, exec, s[10:11]
	s_cbranch_vccnz .LBB47_2607
; %bb.2606:
	v_cvt_u16_f16_e32 v6, v4
	global_store_short v[0:1], v6, off
.LBB47_2607:
	s_mov_b64 s[10:11], 0
.LBB47_2608:
	s_andn2_b64 vcc, exec, s[10:11]
	s_cbranch_vccnz .LBB47_2616
; %bb.2609:
	v_cvt_f32_f16_e32 v6, v4
	s_mov_b32 s10, 0x43800000
	v_mov_b32_e32 v13, 0x80
	v_and_b32_e32 v7, 0x7fffffff, v6
	v_cmp_gt_u32_e32 vcc, s10, v7
	s_and_saveexec_b64 s[10:11], vcc
	s_cbranch_execz .LBB47_2615
; %bb.2610:
	s_mov_b32 s13, 0x3bffffff
	v_cmp_lt_u32_e32 vcc, s13, v7
	s_mov_b64 s[14:15], 0
                                        ; implicit-def: $vgpr7
	s_and_saveexec_b64 s[16:17], vcc
	s_xor_b64 s[16:17], exec, s[16:17]
	s_cbranch_execz .LBB47_2711
; %bb.2611:
	v_bfe_u32 v7, v6, 20, 1
	s_mov_b32 s13, 0x487ffff
	v_add3_u32 v7, v6, v7, s13
	s_mov_b64 s[14:15], exec
	v_lshrrev_b32_e32 v7, 20, v7
	s_or_saveexec_b64 s[16:17], s[16:17]
                                        ; implicit-def: $sgpr13
	s_xor_b64 exec, exec, s[16:17]
	s_cbranch_execnz .LBB47_2712
.LBB47_2612:
	s_or_b64 exec, exec, s[16:17]
	v_mov_b32_e32 v13, s13
	s_and_saveexec_b64 s[16:17], s[14:15]
.LBB47_2613:
	v_lshrrev_b32_e32 v6, 24, v6
	s_movk_i32 s13, 0x80
	v_and_or_b32 v13, v6, s13, v7
.LBB47_2614:
	s_or_b64 exec, exec, s[16:17]
.LBB47_2615:
	s_or_b64 exec, exec, s[10:11]
	global_store_byte v[0:1], v13, off
.LBB47_2616:
	s_mov_b64 s[10:11], -1
.LBB47_2617:
	s_mov_b64 s[14:15], 0
.LBB47_2618:
	s_and_b64 vcc, exec, s[14:15]
	s_cbranch_vccz .LBB47_2658
; %bb.2619:
	v_mov_b32_e32 v6, 22
	v_cmp_gt_i16_sdwa s[14:15], v2, v6 src0_sel:BYTE_0 src1_sel:DWORD
	s_mov_b64 s[2:3], -1
	s_and_b64 vcc, exec, s[14:15]
	s_cbranch_vccz .LBB47_2651
; %bb.2620:
	v_mov_b32_e32 v6, 24
	v_cmp_lt_i16_sdwa s[10:11], v2, v6 src0_sel:BYTE_0 src1_sel:DWORD
	s_and_b64 vcc, exec, s[10:11]
	s_cbranch_vccnz .LBB47_2640
; %bb.2621:
	v_cmp_gt_i16_sdwa s[10:11], v2, v6 src0_sel:BYTE_0 src1_sel:DWORD
	s_and_b64 vcc, exec, s[10:11]
	s_cbranch_vccz .LBB47_2629
; %bb.2622:
	v_cvt_f32_f16_e32 v6, v4
	s_mov_b32 s2, 0x47800000
	v_mov_b32_e32 v13, 0x80
	v_and_b32_e32 v7, 0x7fffffff, v6
	v_cmp_gt_u32_e32 vcc, s2, v7
	s_and_saveexec_b64 s[2:3], vcc
	s_cbranch_execz .LBB47_2628
; %bb.2623:
	s_mov_b32 s10, 0x37ffffff
	v_cmp_lt_u32_e32 vcc, s10, v7
	s_mov_b64 s[10:11], 0
                                        ; implicit-def: $vgpr7
	s_and_saveexec_b64 s[14:15], vcc
	s_xor_b64 s[14:15], exec, s[14:15]
	s_cbranch_execz .LBB47_2715
; %bb.2624:
	v_bfe_u32 v7, v6, 21, 1
	s_mov_b32 s13, 0x88fffff
	v_add3_u32 v7, v6, v7, s13
	s_mov_b64 s[10:11], exec
	v_lshrrev_b32_e32 v7, 21, v7
	s_or_saveexec_b64 s[14:15], s[14:15]
                                        ; implicit-def: $sgpr13
	s_xor_b64 exec, exec, s[14:15]
	s_cbranch_execnz .LBB47_2716
.LBB47_2625:
	s_or_b64 exec, exec, s[14:15]
	v_mov_b32_e32 v13, s13
	s_and_saveexec_b64 s[14:15], s[10:11]
.LBB47_2626:
	v_lshrrev_b32_e32 v6, 24, v6
	s_movk_i32 s10, 0x80
	v_and_or_b32 v13, v6, s10, v7
.LBB47_2627:
	s_or_b64 exec, exec, s[14:15]
.LBB47_2628:
	s_or_b64 exec, exec, s[2:3]
	s_mov_b64 s[2:3], 0
	global_store_byte v[0:1], v13, off
.LBB47_2629:
	s_and_b64 vcc, exec, s[2:3]
	s_cbranch_vccz .LBB47_2639
; %bb.2630:
	v_cvt_f32_f16_e32 v6, v4
	s_mov_b32 s2, 0x43f00000
                                        ; implicit-def: $vgpr7
	v_and_b32_e32 v13, 0x7fffffff, v6
	v_cmp_gt_u32_e32 vcc, s2, v13
	s_and_saveexec_b64 s[2:3], vcc
	s_xor_b64 s[2:3], exec, s[2:3]
	s_cbranch_execz .LBB47_2636
; %bb.2631:
	s_mov_b32 s10, 0x3c7fffff
	v_cmp_lt_u32_e32 vcc, s10, v13
                                        ; implicit-def: $vgpr7
	s_and_saveexec_b64 s[10:11], vcc
	s_xor_b64 s[10:11], exec, s[10:11]
; %bb.2632:
	v_bfe_u32 v7, v6, 20, 1
	s_mov_b32 s13, 0x407ffff
	v_add3_u32 v7, v6, v7, s13
	v_lshrrev_b32_e32 v13, 20, v7
	v_and_b32_e32 v7, 0xff00000, v7
	s_mov_b32 s13, 0x7f00000
	v_mov_b32_e32 v14, 0x7e
	v_cmp_ne_u32_e32 vcc, s13, v7
	v_cndmask_b32_e32 v7, v14, v13, vcc
; %bb.2633:
	s_andn2_saveexec_b64 s[10:11], s[10:11]
; %bb.2634:
	s_mov_b32 s13, 0x46800000
	v_add_f32_e64 v7, |v6|, s13
; %bb.2635:
	s_or_b64 exec, exec, s[10:11]
                                        ; implicit-def: $vgpr13
.LBB47_2636:
	s_andn2_saveexec_b64 s[2:3], s[2:3]
; %bb.2637:
	s_mov_b32 s10, 0x7f800000
	v_mov_b32_e32 v7, 0x7e
	v_mov_b32_e32 v14, 0x7f
	v_cmp_lt_u32_e32 vcc, s10, v13
	v_cndmask_b32_e32 v7, v7, v14, vcc
; %bb.2638:
	s_or_b64 exec, exec, s[2:3]
	v_lshrrev_b32_e32 v6, 24, v6
	s_movk_i32 s2, 0x80
	v_and_or_b32 v6, v6, s2, v7
	global_store_byte v[0:1], v6, off
.LBB47_2639:
	s_mov_b64 s[2:3], 0
.LBB47_2640:
	s_andn2_b64 vcc, exec, s[2:3]
	s_cbranch_vccnz .LBB47_2650
; %bb.2641:
	v_cvt_f32_f16_e32 v6, v4
	s_mov_b32 s2, 0x47800000
                                        ; implicit-def: $vgpr7
	v_and_b32_e32 v13, 0x7fffffff, v6
	v_cmp_gt_u32_e32 vcc, s2, v13
	s_and_saveexec_b64 s[2:3], vcc
	s_xor_b64 s[2:3], exec, s[2:3]
	s_cbranch_execz .LBB47_2647
; %bb.2642:
	s_mov_b32 s10, 0x387fffff
	v_cmp_lt_u32_e32 vcc, s10, v13
                                        ; implicit-def: $vgpr7
	s_and_saveexec_b64 s[10:11], vcc
	s_xor_b64 s[10:11], exec, s[10:11]
; %bb.2643:
	v_bfe_u32 v7, v6, 21, 1
	s_mov_b32 s13, 0x80fffff
	v_add3_u32 v7, v6, v7, s13
	v_lshrrev_b32_e32 v7, 21, v7
; %bb.2644:
	s_andn2_saveexec_b64 s[10:11], s[10:11]
; %bb.2645:
	s_mov_b32 s13, 0x43000000
	v_add_f32_e64 v7, |v6|, s13
; %bb.2646:
	s_or_b64 exec, exec, s[10:11]
                                        ; implicit-def: $vgpr13
.LBB47_2647:
	s_andn2_saveexec_b64 s[2:3], s[2:3]
; %bb.2648:
	s_mov_b32 s10, 0x7f800000
	v_mov_b32_e32 v7, 0x7c
	v_mov_b32_e32 v14, 0x7f
	v_cmp_lt_u32_e32 vcc, s10, v13
	v_cndmask_b32_e32 v7, v7, v14, vcc
; %bb.2649:
	s_or_b64 exec, exec, s[2:3]
	v_lshrrev_b32_e32 v6, 24, v6
	s_movk_i32 s2, 0x80
	v_and_or_b32 v6, v6, s2, v7
	global_store_byte v[0:1], v6, off
.LBB47_2650:
	s_mov_b64 s[2:3], 0
	s_mov_b64 s[10:11], -1
.LBB47_2651:
	s_andn2_b64 vcc, exec, s[2:3]
	s_mov_b64 s[2:3], 0
	s_cbranch_vccnz .LBB47_2658
; %bb.2652:
	v_mov_b32_e32 v6, 14
	v_cmp_gt_i16_sdwa s[2:3], v2, v6 src0_sel:BYTE_0 src1_sel:DWORD
	s_mov_b64 s[14:15], -1
	s_and_b64 vcc, exec, s[2:3]
	s_cbranch_vccz .LBB47_2656
; %bb.2653:
	v_mov_b32_e32 v6, 15
	v_cmp_eq_u16_sdwa s[2:3], v2, v6 src0_sel:BYTE_0 src1_sel:DWORD
	s_mov_b64 s[0:1], -1
	s_and_b64 vcc, exec, s[2:3]
	s_cbranch_vccz .LBB47_2655
; %bb.2654:
	v_cvt_f32_f16_e32 v6, v4
	s_movk_i32 s0, 0x7fff
	v_mov_b32_e32 v7, 0x7fc0
	v_cmp_o_f16_e32 vcc, v4, v4
	v_bfe_u32 v13, v6, 16, 1
	v_add3_u32 v6, v6, v13, s0
	v_lshrrev_b32_e32 v6, 16, v6
	v_cndmask_b32_e32 v6, v7, v6, vcc
	global_store_short v[0:1], v6, off
	s_mov_b64 s[0:1], 0
	s_mov_b64 s[10:11], -1
.LBB47_2655:
	s_mov_b64 s[14:15], 0
.LBB47_2656:
	s_mov_b64 s[2:3], 0
	s_and_b64 vcc, exec, s[14:15]
	s_cbranch_vccz .LBB47_2658
; %bb.2657:
	v_mov_b32_e32 v6, 11
	v_cmp_ne_u16_sdwa s[0:1], v2, v6 src0_sel:BYTE_0 src1_sel:DWORD
	s_mov_b64 s[2:3], -1
.LBB47_2658:
	s_and_b64 vcc, exec, s[0:1]
	s_cbranch_vccnz .LBB47_2714
; %bb.2659:
	s_andn2_b64 vcc, exec, s[2:3]
	s_cbranch_vccnz .LBB47_2661
.LBB47_2660:
	v_and_b32_e32 v6, 0x7fff, v4
	v_cmp_ne_u16_e32 vcc, 0, v6
	v_cndmask_b32_e64 v6, 0, 1, vcc
	s_mov_b64 s[10:11], -1
	global_store_byte v[0:1], v6, off
.LBB47_2661:
	s_mov_b64 s[0:1], 0
.LBB47_2662:
	s_and_b64 vcc, exec, s[0:1]
	s_cbranch_vccz .LBB47_2701
; %bb.2663:
	v_mov_b32_e32 v6, 5
	v_cmp_lt_i16_sdwa s[2:3], v2, v6 src0_sel:BYTE_0 src1_sel:DWORD
	s_mov_b64 s[0:1], -1
	s_and_b64 vcc, exec, s[2:3]
	s_cbranch_vccnz .LBB47_2684
; %bb.2664:
	v_mov_b32_e32 v6, 8
	v_cmp_lt_i16_sdwa s[2:3], v2, v6 src0_sel:BYTE_0 src1_sel:DWORD
	s_and_b64 vcc, exec, s[2:3]
	s_cbranch_vccnz .LBB47_2674
; %bb.2665:
	v_mov_b32_e32 v6, 9
	v_cmp_lt_i16_sdwa s[2:3], v2, v6 src0_sel:BYTE_0 src1_sel:DWORD
	s_and_b64 vcc, exec, s[2:3]
	s_cbranch_vccnz .LBB47_2671
; %bb.2666:
	v_cmp_gt_i16_sdwa s[2:3], v2, v6 src0_sel:BYTE_0 src1_sel:DWORD
	s_and_b64 vcc, exec, s[2:3]
	s_cbranch_vccz .LBB47_2668
; %bb.2667:
	v_cvt_f32_f16_e32 v6, v4
	v_mov_b32_e32 v16, 0
	v_mov_b32_e32 v17, v16
	s_mov_b64 s[0:1], 0
	v_cvt_f64_f32_e32 v[14:15], v6
	global_store_dwordx4 v[0:1], v[14:17], off
.LBB47_2668:
	s_andn2_b64 vcc, exec, s[0:1]
	s_cbranch_vccnz .LBB47_2670
; %bb.2669:
	v_cvt_f32_f16_e32 v6, v4
	v_mov_b32_e32 v7, 0
	global_store_dwordx2 v[0:1], v[6:7], off
.LBB47_2670:
	s_mov_b64 s[0:1], 0
.LBB47_2671:
	s_andn2_b64 vcc, exec, s[0:1]
	s_cbranch_vccnz .LBB47_2673
; %bb.2672:
	v_and_b32_e32 v6, 0xffff, v4
	global_store_dword v[0:1], v6, off
.LBB47_2673:
	s_mov_b64 s[0:1], 0
.LBB47_2674:
	s_andn2_b64 vcc, exec, s[0:1]
	s_cbranch_vccnz .LBB47_2683
; %bb.2675:
	v_mov_b32_e32 v6, 6
	v_cmp_lt_i16_sdwa s[2:3], v2, v6 src0_sel:BYTE_0 src1_sel:DWORD
	s_mov_b64 s[0:1], -1
	s_and_b64 vcc, exec, s[2:3]
	s_cbranch_vccnz .LBB47_2681
; %bb.2676:
	v_cmp_gt_i16_sdwa s[2:3], v2, v6 src0_sel:BYTE_0 src1_sel:DWORD
	s_and_b64 vcc, exec, s[2:3]
	s_cbranch_vccz .LBB47_2678
; %bb.2677:
	v_cvt_f32_f16_e32 v6, v4
	s_mov_b64 s[0:1], 0
	v_cvt_f64_f32_e32 v[6:7], v6
	global_store_dwordx2 v[0:1], v[6:7], off
.LBB47_2678:
	s_andn2_b64 vcc, exec, s[0:1]
	s_cbranch_vccnz .LBB47_2680
; %bb.2679:
	v_cvt_f32_f16_e32 v6, v4
	global_store_dword v[0:1], v6, off
.LBB47_2680:
	s_mov_b64 s[0:1], 0
.LBB47_2681:
	s_andn2_b64 vcc, exec, s[0:1]
	s_cbranch_vccnz .LBB47_2683
; %bb.2682:
	global_store_short v[0:1], v4, off
.LBB47_2683:
	s_mov_b64 s[0:1], 0
.LBB47_2684:
	s_andn2_b64 vcc, exec, s[0:1]
	s_cbranch_vccnz .LBB47_2700
; %bb.2685:
	v_mov_b32_e32 v6, 2
	v_cmp_lt_i16_sdwa s[2:3], v2, v6 src0_sel:BYTE_0 src1_sel:DWORD
	s_mov_b64 s[0:1], -1
	s_and_b64 vcc, exec, s[2:3]
	s_cbranch_vccnz .LBB47_2695
; %bb.2686:
	v_mov_b32_e32 v6, 3
	v_cmp_lt_i16_sdwa s[2:3], v2, v6 src0_sel:BYTE_0 src1_sel:DWORD
	s_and_b64 vcc, exec, s[2:3]
	s_cbranch_vccnz .LBB47_2692
; %bb.2687:
	v_cmp_gt_i16_sdwa s[2:3], v2, v6 src0_sel:BYTE_0 src1_sel:DWORD
	s_and_b64 vcc, exec, s[2:3]
	s_cbranch_vccz .LBB47_2689
; %bb.2688:
	v_cvt_f32_f16_e32 v6, v4
	s_mov_b64 s[0:1], 0
	v_cvt_i32_f32_e32 v6, v6
	v_ashrrev_i32_e32 v7, 31, v6
	global_store_dwordx2 v[0:1], v[6:7], off
.LBB47_2689:
	s_andn2_b64 vcc, exec, s[0:1]
	s_cbranch_vccnz .LBB47_2691
; %bb.2690:
	v_cvt_f32_f16_e32 v6, v4
	v_cvt_i32_f32_e32 v6, v6
	global_store_dword v[0:1], v6, off
.LBB47_2691:
	s_mov_b64 s[0:1], 0
.LBB47_2692:
	s_andn2_b64 vcc, exec, s[0:1]
	s_cbranch_vccnz .LBB47_2694
; %bb.2693:
	v_cvt_i16_f16_e32 v6, v4
	global_store_short v[0:1], v6, off
.LBB47_2694:
	s_mov_b64 s[0:1], 0
.LBB47_2695:
	s_andn2_b64 vcc, exec, s[0:1]
	s_cbranch_vccnz .LBB47_2700
; %bb.2696:
	v_mov_b32_e32 v6, 0
	v_cmp_gt_i16_sdwa s[2:3], v2, v6 src0_sel:BYTE_0 src1_sel:DWORD
	s_mov_b64 s[0:1], -1
	s_and_b64 vcc, exec, s[2:3]
	s_cbranch_vccz .LBB47_2698
; %bb.2697:
	v_cvt_i16_f16_e32 v6, v4
	global_store_byte v[0:1], v6, off
	s_mov_b64 s[0:1], 0
.LBB47_2698:
	s_andn2_b64 vcc, exec, s[0:1]
	s_cbranch_vccnz .LBB47_2700
; %bb.2699:
	v_cvt_f32_f16_e32 v4, v4
	v_cvt_i32_f32_e32 v4, v4
	global_store_byte v[0:1], v4, off
.LBB47_2700:
	s_mov_b64 s[10:11], -1
.LBB47_2701:
	s_andn2_b64 vcc, exec, s[10:11]
	s_cbranch_vccnz .LBB47_3032
; %bb.2702:
	v_cvt_f32_f16_e32 v0, v9
	v_cvt_f32_f16_e32 v1, v8
	s_movk_i32 s0, 0x400
	v_mov_b32_e32 v6, 0x400
	v_rcp_f32_e32 v4, v0
	s_movk_i32 s1, 0x3bfe
	s_lshl_b32 s16, s12, 7
	v_add_u32_e32 v3, s16, v3
	v_mul_f32_e32 v7, v1, v4
	v_mad_f32 v13, -v0, v7, v1
	v_mac_f32_e32 v7, v13, v4
	v_mad_f32 v0, -v0, v7, v1
	v_mul_f32_e32 v0, v0, v4
	v_and_b32_e32 v0, 0xff800000, v0
	v_add_f32_e32 v0, v0, v7
	v_cvt_f16_f32_e32 v0, v0
	v_mov_b32_e32 v1, 0x3bfe
	v_div_fixup_f16 v0, v0, v9, v8
	v_cmp_ngt_f16_e32 vcc, s0, v0
	v_cndmask_b32_e32 v0, v6, v0, vcc
	v_cmp_nlt_f16_e32 vcc, s1, v0
	v_cndmask_b32_e32 v4, v1, v0, vcc
	v_ashrrev_i32_e32 v1, 31, v3
	v_mov_b32_e32 v6, s9
	v_add_co_u32_e32 v0, vcc, s8, v3
	v_addc_co_u32_e32 v1, vcc, v6, v1, vcc
	v_mov_b32_e32 v6, 11
	v_cmp_lt_i16_sdwa s[0:1], v2, v6 src0_sel:BYTE_0 src1_sel:DWORD
	s_and_b64 vcc, exec, s[0:1]
	s_cbranch_vccnz .LBB47_2709
; %bb.2703:
	v_mov_b32_e32 v6, 25
	v_cmp_gt_i16_sdwa s[0:1], v2, v6 src0_sel:BYTE_0 src1_sel:DWORD
	s_mov_b64 s[12:13], -1
	s_mov_b64 s[2:3], 0
	s_and_b64 vcc, exec, s[0:1]
	s_mov_b64 s[10:11], 0
	s_mov_b64 s[0:1], 0
	s_cbranch_vccz .LBB47_2745
; %bb.2704:
	v_mov_b32_e32 v6, 28
	v_cmp_gt_i16_sdwa s[0:1], v2, v6 src0_sel:BYTE_0 src1_sel:DWORD
	s_and_b64 vcc, exec, s[0:1]
	s_cbranch_vccz .LBB47_2710
; %bb.2705:
	v_mov_b32_e32 v6, 43
	v_cmp_gt_i16_sdwa s[0:1], v2, v6 src0_sel:BYTE_0 src1_sel:DWORD
	s_and_b64 vcc, exec, s[0:1]
	;; [unrolled: 5-line block ×3, first 2 shown]
	s_cbranch_vccz .LBB47_2717
; %bb.2707:
	v_mov_b32_e32 v6, 46
	v_cmp_eq_u16_sdwa s[10:11], v2, v6 src0_sel:BYTE_0 src1_sel:DWORD
	s_mov_b64 s[0:1], -1
	s_mov_b64 s[12:13], 0
	s_and_b64 vcc, exec, s[10:11]
	s_mov_b64 s[10:11], 0
	s_cbranch_vccz .LBB47_2718
; %bb.2708:
	v_cvt_f32_f16_e32 v6, v4
	s_movk_i32 s0, 0x7fff
	v_mov_b32_e32 v7, 0x7fc0
	v_cmp_o_f16_e32 vcc, v4, v4
	v_bfe_u32 v8, v6, 16, 1
	v_add3_u32 v6, v6, v8, s0
	v_lshrrev_b32_e32 v6, 16, v6
	v_cndmask_b32_e32 v6, v7, v6, vcc
	global_store_dword v[0:1], v6, off
	s_mov_b64 s[0:1], 0
	s_mov_b64 s[10:11], -1
	s_branch .LBB47_2718
.LBB47_2709:
	s_mov_b64 s[0:1], -1
	s_mov_b64 s[10:11], 0
	s_branch .LBB47_2789
.LBB47_2710:
	s_mov_b64 s[0:1], 0
	s_branch .LBB47_2728
.LBB47_2711:
	s_or_saveexec_b64 s[16:17], s[16:17]
                                        ; implicit-def: $sgpr13
	s_xor_b64 exec, exec, s[16:17]
	s_cbranch_execz .LBB47_2612
.LBB47_2712:
	s_mov_b32 s13, 0x46000000
	v_add_f32_e64 v7, |v6|, s13
	v_and_b32_e32 v7, 0xff, v7
	v_cmp_ne_u32_e32 vcc, 0, v7
	s_andn2_b64 s[14:15], s[14:15], exec
	s_and_b64 s[20:21], vcc, exec
	s_mov_b32 s13, 0
	s_or_b64 s[14:15], s[14:15], s[20:21]
	s_or_b64 exec, exec, s[16:17]
	v_mov_b32_e32 v13, s13
	s_and_saveexec_b64 s[16:17], s[14:15]
	s_cbranch_execnz .LBB47_2613
	s_branch .LBB47_2614
.LBB47_2713:
	s_mov_b64 s[0:1], 0
	s_branch .LBB47_2724
.LBB47_2714:
	s_trap 2
	s_or_b64 s[18:19], s[18:19], exec
	s_cbranch_execz .LBB47_2660
	s_branch .LBB47_2661
.LBB47_2715:
	s_or_saveexec_b64 s[14:15], s[14:15]
                                        ; implicit-def: $sgpr13
	s_xor_b64 exec, exec, s[14:15]
	s_cbranch_execz .LBB47_2625
.LBB47_2716:
	s_mov_b32 s13, 0x42800000
	v_add_f32_e64 v7, |v6|, s13
	v_and_b32_e32 v7, 0xff, v7
	v_cmp_ne_u32_e32 vcc, 0, v7
	s_andn2_b64 s[10:11], s[10:11], exec
	s_and_b64 s[16:17], vcc, exec
	s_mov_b32 s13, 0
	s_or_b64 s[10:11], s[10:11], s[16:17]
	s_or_b64 exec, exec, s[14:15]
	v_mov_b32_e32 v13, s13
	s_and_saveexec_b64 s[14:15], s[10:11]
	s_cbranch_execnz .LBB47_2626
	s_branch .LBB47_2627
.LBB47_2717:
	s_mov_b64 s[0:1], 0
.LBB47_2718:
	s_and_b64 vcc, exec, s[12:13]
	s_cbranch_vccz .LBB47_2723
; %bb.2719:
	v_mov_b32_e32 v6, 44
	v_cmp_eq_u16_sdwa s[12:13], v2, v6 src0_sel:BYTE_0 src1_sel:DWORD
	s_mov_b64 s[0:1], -1
	s_and_b64 vcc, exec, s[12:13]
	s_cbranch_vccz .LBB47_2723
; %bb.2720:
	v_cvt_f32_f16_e32 v6, v4
	s_movk_i32 s0, 0xff
	v_mov_b32_e32 v8, 0xff
	v_bfe_u32 v7, v6, 23, 8
	v_cmp_ne_u32_e32 vcc, s0, v7
	s_and_saveexec_b64 s[10:11], vcc
; %bb.2721:
	s_mov_b32 s0, 0x3fffff
	v_lshrrev_b32_e32 v8, 23, v6
	v_and_b32_e32 v9, 0x400000, v6
	v_and_or_b32 v6, v6, s0, v7
	v_cmp_ne_u32_e32 vcc, 0, v9
	v_cmp_ne_u32_e64 s[0:1], 0, v6
	s_and_b64 s[0:1], vcc, s[0:1]
	v_cndmask_b32_e64 v6, 0, 1, s[0:1]
	v_add_u32_e32 v8, v8, v6
; %bb.2722:
	s_or_b64 exec, exec, s[10:11]
	s_mov_b64 s[0:1], 0
	s_mov_b64 s[10:11], -1
	global_store_byte v[0:1], v8, off
.LBB47_2723:
	s_mov_b64 s[12:13], 0
.LBB47_2724:
	s_and_b64 vcc, exec, s[12:13]
	s_cbranch_vccz .LBB47_2727
; %bb.2725:
	v_mov_b32_e32 v6, 29
	v_cmp_eq_u16_sdwa s[12:13], v2, v6 src0_sel:BYTE_0 src1_sel:DWORD
	s_mov_b64 s[0:1], -1
	s_and_b64 vcc, exec, s[12:13]
	s_cbranch_vccz .LBB47_2727
; %bb.2726:
	v_cvt_f32_f16_e32 v6, v4
	v_mov_b32_e32 v7, 0
	s_mov_b64 s[0:1], 0
	s_mov_b64 s[10:11], -1
	v_cvt_u32_f32_e32 v6, v6
	s_mov_b64 s[12:13], 0
	global_store_dwordx2 v[0:1], v[6:7], off
	s_branch .LBB47_2728
.LBB47_2727:
	s_mov_b64 s[12:13], 0
.LBB47_2728:
	s_and_b64 vcc, exec, s[12:13]
	s_cbranch_vccz .LBB47_2744
; %bb.2729:
	v_mov_b32_e32 v6, 27
	v_cmp_lt_i16_sdwa s[12:13], v2, v6 src0_sel:BYTE_0 src1_sel:DWORD
	s_mov_b64 s[10:11], -1
	s_and_b64 vcc, exec, s[12:13]
	s_cbranch_vccnz .LBB47_2735
; %bb.2730:
	v_cmp_gt_i16_sdwa s[12:13], v2, v6 src0_sel:BYTE_0 src1_sel:DWORD
	s_and_b64 vcc, exec, s[12:13]
	s_cbranch_vccz .LBB47_2732
; %bb.2731:
	v_cvt_f32_f16_e32 v6, v4
	s_mov_b64 s[10:11], 0
	v_cvt_u32_f32_e32 v6, v6
	global_store_dword v[0:1], v6, off
.LBB47_2732:
	s_andn2_b64 vcc, exec, s[10:11]
	s_cbranch_vccnz .LBB47_2734
; %bb.2733:
	v_cvt_u16_f16_e32 v6, v4
	global_store_short v[0:1], v6, off
.LBB47_2734:
	s_mov_b64 s[10:11], 0
.LBB47_2735:
	s_andn2_b64 vcc, exec, s[10:11]
	s_cbranch_vccnz .LBB47_2743
; %bb.2736:
	v_cvt_f32_f16_e32 v6, v4
	s_mov_b32 s10, 0x43800000
	v_mov_b32_e32 v8, 0x80
	v_and_b32_e32 v7, 0x7fffffff, v6
	v_cmp_gt_u32_e32 vcc, s10, v7
	s_and_saveexec_b64 s[10:11], vcc
	s_cbranch_execz .LBB47_2742
; %bb.2737:
	s_mov_b32 s12, 0x3bffffff
	v_cmp_lt_u32_e32 vcc, s12, v7
	s_mov_b64 s[12:13], 0
                                        ; implicit-def: $vgpr7
	s_and_saveexec_b64 s[14:15], vcc
	s_xor_b64 s[14:15], exec, s[14:15]
	s_cbranch_execz .LBB47_2838
; %bb.2738:
	v_bfe_u32 v7, v6, 20, 1
	s_mov_b32 s17, 0x487ffff
	v_add3_u32 v7, v6, v7, s17
	s_mov_b64 s[12:13], exec
	v_lshrrev_b32_e32 v7, 20, v7
	s_or_saveexec_b64 s[14:15], s[14:15]
                                        ; implicit-def: $sgpr17
	s_xor_b64 exec, exec, s[14:15]
	s_cbranch_execnz .LBB47_2839
.LBB47_2739:
	s_or_b64 exec, exec, s[14:15]
	v_mov_b32_e32 v8, s17
	s_and_saveexec_b64 s[14:15], s[12:13]
.LBB47_2740:
	v_lshrrev_b32_e32 v6, 24, v6
	s_movk_i32 s12, 0x80
	v_and_or_b32 v8, v6, s12, v7
.LBB47_2741:
	s_or_b64 exec, exec, s[14:15]
.LBB47_2742:
	s_or_b64 exec, exec, s[10:11]
	global_store_byte v[0:1], v8, off
.LBB47_2743:
	s_mov_b64 s[10:11], -1
.LBB47_2744:
	s_mov_b64 s[12:13], 0
.LBB47_2745:
	s_and_b64 vcc, exec, s[12:13]
	s_cbranch_vccz .LBB47_2785
; %bb.2746:
	v_mov_b32_e32 v6, 22
	v_cmp_gt_i16_sdwa s[12:13], v2, v6 src0_sel:BYTE_0 src1_sel:DWORD
	s_mov_b64 s[2:3], -1
	s_and_b64 vcc, exec, s[12:13]
	s_cbranch_vccz .LBB47_2778
; %bb.2747:
	v_mov_b32_e32 v6, 24
	v_cmp_lt_i16_sdwa s[10:11], v2, v6 src0_sel:BYTE_0 src1_sel:DWORD
	s_and_b64 vcc, exec, s[10:11]
	s_cbranch_vccnz .LBB47_2767
; %bb.2748:
	v_cmp_gt_i16_sdwa s[10:11], v2, v6 src0_sel:BYTE_0 src1_sel:DWORD
	s_and_b64 vcc, exec, s[10:11]
	s_cbranch_vccz .LBB47_2756
; %bb.2749:
	v_cvt_f32_f16_e32 v6, v4
	s_mov_b32 s2, 0x47800000
	v_mov_b32_e32 v8, 0x80
	v_and_b32_e32 v7, 0x7fffffff, v6
	v_cmp_gt_u32_e32 vcc, s2, v7
	s_and_saveexec_b64 s[2:3], vcc
	s_cbranch_execz .LBB47_2755
; %bb.2750:
	s_mov_b32 s10, 0x37ffffff
	v_cmp_lt_u32_e32 vcc, s10, v7
	s_mov_b64 s[10:11], 0
                                        ; implicit-def: $vgpr7
	s_and_saveexec_b64 s[12:13], vcc
	s_xor_b64 s[12:13], exec, s[12:13]
	s_cbranch_execz .LBB47_2842
; %bb.2751:
	v_bfe_u32 v7, v6, 21, 1
	s_mov_b32 s14, 0x88fffff
	v_add3_u32 v7, v6, v7, s14
	s_mov_b64 s[10:11], exec
	v_lshrrev_b32_e32 v7, 21, v7
	s_or_saveexec_b64 s[12:13], s[12:13]
                                        ; implicit-def: $sgpr14
	s_xor_b64 exec, exec, s[12:13]
	s_cbranch_execnz .LBB47_2843
.LBB47_2752:
	s_or_b64 exec, exec, s[12:13]
	v_mov_b32_e32 v8, s14
	s_and_saveexec_b64 s[12:13], s[10:11]
.LBB47_2753:
	v_lshrrev_b32_e32 v6, 24, v6
	s_movk_i32 s10, 0x80
	v_and_or_b32 v8, v6, s10, v7
.LBB47_2754:
	s_or_b64 exec, exec, s[12:13]
.LBB47_2755:
	s_or_b64 exec, exec, s[2:3]
	s_mov_b64 s[2:3], 0
	global_store_byte v[0:1], v8, off
.LBB47_2756:
	s_and_b64 vcc, exec, s[2:3]
	s_cbranch_vccz .LBB47_2766
; %bb.2757:
	v_cvt_f32_f16_e32 v6, v4
	s_mov_b32 s2, 0x43f00000
                                        ; implicit-def: $vgpr7
	v_and_b32_e32 v8, 0x7fffffff, v6
	v_cmp_gt_u32_e32 vcc, s2, v8
	s_and_saveexec_b64 s[2:3], vcc
	s_xor_b64 s[2:3], exec, s[2:3]
	s_cbranch_execz .LBB47_2763
; %bb.2758:
	s_mov_b32 s10, 0x3c7fffff
	v_cmp_lt_u32_e32 vcc, s10, v8
                                        ; implicit-def: $vgpr7
	s_and_saveexec_b64 s[10:11], vcc
	s_xor_b64 s[10:11], exec, s[10:11]
; %bb.2759:
	v_bfe_u32 v7, v6, 20, 1
	s_mov_b32 s12, 0x407ffff
	v_add3_u32 v7, v6, v7, s12
	v_lshrrev_b32_e32 v8, 20, v7
	v_and_b32_e32 v7, 0xff00000, v7
	s_mov_b32 s12, 0x7f00000
	v_mov_b32_e32 v9, 0x7e
	v_cmp_ne_u32_e32 vcc, s12, v7
	v_cndmask_b32_e32 v7, v9, v8, vcc
; %bb.2760:
	s_andn2_saveexec_b64 s[10:11], s[10:11]
; %bb.2761:
	s_mov_b32 s12, 0x46800000
	v_add_f32_e64 v7, |v6|, s12
; %bb.2762:
	s_or_b64 exec, exec, s[10:11]
                                        ; implicit-def: $vgpr8
.LBB47_2763:
	s_andn2_saveexec_b64 s[2:3], s[2:3]
; %bb.2764:
	s_mov_b32 s10, 0x7f800000
	v_mov_b32_e32 v7, 0x7e
	v_mov_b32_e32 v9, 0x7f
	v_cmp_lt_u32_e32 vcc, s10, v8
	v_cndmask_b32_e32 v7, v7, v9, vcc
; %bb.2765:
	s_or_b64 exec, exec, s[2:3]
	v_lshrrev_b32_e32 v6, 24, v6
	s_movk_i32 s2, 0x80
	v_and_or_b32 v6, v6, s2, v7
	global_store_byte v[0:1], v6, off
.LBB47_2766:
	s_mov_b64 s[2:3], 0
.LBB47_2767:
	s_andn2_b64 vcc, exec, s[2:3]
	s_cbranch_vccnz .LBB47_2777
; %bb.2768:
	v_cvt_f32_f16_e32 v6, v4
	s_mov_b32 s2, 0x47800000
                                        ; implicit-def: $vgpr7
	v_and_b32_e32 v8, 0x7fffffff, v6
	v_cmp_gt_u32_e32 vcc, s2, v8
	s_and_saveexec_b64 s[2:3], vcc
	s_xor_b64 s[2:3], exec, s[2:3]
	s_cbranch_execz .LBB47_2774
; %bb.2769:
	s_mov_b32 s10, 0x387fffff
	v_cmp_lt_u32_e32 vcc, s10, v8
                                        ; implicit-def: $vgpr7
	s_and_saveexec_b64 s[10:11], vcc
	s_xor_b64 s[10:11], exec, s[10:11]
; %bb.2770:
	v_bfe_u32 v7, v6, 21, 1
	s_mov_b32 s12, 0x80fffff
	v_add3_u32 v7, v6, v7, s12
	v_lshrrev_b32_e32 v7, 21, v7
; %bb.2771:
	s_andn2_saveexec_b64 s[10:11], s[10:11]
; %bb.2772:
	s_mov_b32 s12, 0x43000000
	v_add_f32_e64 v7, |v6|, s12
; %bb.2773:
	s_or_b64 exec, exec, s[10:11]
                                        ; implicit-def: $vgpr8
.LBB47_2774:
	s_andn2_saveexec_b64 s[2:3], s[2:3]
; %bb.2775:
	s_mov_b32 s10, 0x7f800000
	v_mov_b32_e32 v7, 0x7c
	v_mov_b32_e32 v9, 0x7f
	v_cmp_lt_u32_e32 vcc, s10, v8
	v_cndmask_b32_e32 v7, v7, v9, vcc
; %bb.2776:
	s_or_b64 exec, exec, s[2:3]
	v_lshrrev_b32_e32 v6, 24, v6
	s_movk_i32 s2, 0x80
	v_and_or_b32 v6, v6, s2, v7
	global_store_byte v[0:1], v6, off
.LBB47_2777:
	s_mov_b64 s[2:3], 0
	s_mov_b64 s[10:11], -1
.LBB47_2778:
	s_andn2_b64 vcc, exec, s[2:3]
	s_mov_b64 s[2:3], 0
	s_cbranch_vccnz .LBB47_2785
; %bb.2779:
	v_mov_b32_e32 v6, 14
	v_cmp_gt_i16_sdwa s[2:3], v2, v6 src0_sel:BYTE_0 src1_sel:DWORD
	s_mov_b64 s[12:13], -1
	s_and_b64 vcc, exec, s[2:3]
	s_cbranch_vccz .LBB47_2783
; %bb.2780:
	v_mov_b32_e32 v6, 15
	v_cmp_eq_u16_sdwa s[2:3], v2, v6 src0_sel:BYTE_0 src1_sel:DWORD
	s_mov_b64 s[0:1], -1
	s_and_b64 vcc, exec, s[2:3]
	s_cbranch_vccz .LBB47_2782
; %bb.2781:
	v_cvt_f32_f16_e32 v6, v4
	s_movk_i32 s0, 0x7fff
	v_mov_b32_e32 v7, 0x7fc0
	v_cmp_o_f16_e32 vcc, v4, v4
	v_bfe_u32 v8, v6, 16, 1
	v_add3_u32 v6, v6, v8, s0
	v_lshrrev_b32_e32 v6, 16, v6
	v_cndmask_b32_e32 v6, v7, v6, vcc
	global_store_short v[0:1], v6, off
	s_mov_b64 s[0:1], 0
	s_mov_b64 s[10:11], -1
.LBB47_2782:
	s_mov_b64 s[12:13], 0
.LBB47_2783:
	s_mov_b64 s[2:3], 0
	s_and_b64 vcc, exec, s[12:13]
	s_cbranch_vccz .LBB47_2785
; %bb.2784:
	v_mov_b32_e32 v6, 11
	v_cmp_ne_u16_sdwa s[0:1], v2, v6 src0_sel:BYTE_0 src1_sel:DWORD
	s_mov_b64 s[2:3], -1
.LBB47_2785:
	s_and_b64 vcc, exec, s[0:1]
	s_cbranch_vccnz .LBB47_2841
; %bb.2786:
	s_andn2_b64 vcc, exec, s[2:3]
	s_cbranch_vccnz .LBB47_2788
.LBB47_2787:
	v_and_b32_e32 v6, 0x7fff, v4
	v_cmp_ne_u16_e32 vcc, 0, v6
	v_cndmask_b32_e64 v6, 0, 1, vcc
	s_mov_b64 s[10:11], -1
	global_store_byte v[0:1], v6, off
.LBB47_2788:
	s_mov_b64 s[0:1], 0
.LBB47_2789:
	s_and_b64 vcc, exec, s[0:1]
	s_cbranch_vccz .LBB47_2828
; %bb.2790:
	v_mov_b32_e32 v6, 5
	v_cmp_lt_i16_sdwa s[2:3], v2, v6 src0_sel:BYTE_0 src1_sel:DWORD
	s_mov_b64 s[0:1], -1
	s_and_b64 vcc, exec, s[2:3]
	s_cbranch_vccnz .LBB47_2811
; %bb.2791:
	v_mov_b32_e32 v6, 8
	v_cmp_lt_i16_sdwa s[2:3], v2, v6 src0_sel:BYTE_0 src1_sel:DWORD
	s_and_b64 vcc, exec, s[2:3]
	s_cbranch_vccnz .LBB47_2801
; %bb.2792:
	v_mov_b32_e32 v6, 9
	v_cmp_lt_i16_sdwa s[2:3], v2, v6 src0_sel:BYTE_0 src1_sel:DWORD
	s_and_b64 vcc, exec, s[2:3]
	s_cbranch_vccnz .LBB47_2798
; %bb.2793:
	v_cmp_gt_i16_sdwa s[2:3], v2, v6 src0_sel:BYTE_0 src1_sel:DWORD
	s_and_b64 vcc, exec, s[2:3]
	s_cbranch_vccz .LBB47_2795
; %bb.2794:
	v_cvt_f32_f16_e32 v6, v4
	v_mov_b32_e32 v8, 0
	v_mov_b32_e32 v9, v8
	s_mov_b64 s[0:1], 0
	v_cvt_f64_f32_e32 v[6:7], v6
	global_store_dwordx4 v[0:1], v[6:9], off
.LBB47_2795:
	s_andn2_b64 vcc, exec, s[0:1]
	s_cbranch_vccnz .LBB47_2797
; %bb.2796:
	v_cvt_f32_f16_e32 v6, v4
	v_mov_b32_e32 v7, 0
	global_store_dwordx2 v[0:1], v[6:7], off
.LBB47_2797:
	s_mov_b64 s[0:1], 0
.LBB47_2798:
	s_andn2_b64 vcc, exec, s[0:1]
	s_cbranch_vccnz .LBB47_2800
; %bb.2799:
	v_and_b32_e32 v6, 0xffff, v4
	global_store_dword v[0:1], v6, off
.LBB47_2800:
	s_mov_b64 s[0:1], 0
.LBB47_2801:
	s_andn2_b64 vcc, exec, s[0:1]
	s_cbranch_vccnz .LBB47_2810
; %bb.2802:
	v_mov_b32_e32 v6, 6
	v_cmp_lt_i16_sdwa s[2:3], v2, v6 src0_sel:BYTE_0 src1_sel:DWORD
	s_mov_b64 s[0:1], -1
	s_and_b64 vcc, exec, s[2:3]
	s_cbranch_vccnz .LBB47_2808
; %bb.2803:
	v_cmp_gt_i16_sdwa s[2:3], v2, v6 src0_sel:BYTE_0 src1_sel:DWORD
	s_and_b64 vcc, exec, s[2:3]
	s_cbranch_vccz .LBB47_2805
; %bb.2804:
	v_cvt_f32_f16_e32 v6, v4
	s_mov_b64 s[0:1], 0
	v_cvt_f64_f32_e32 v[6:7], v6
	global_store_dwordx2 v[0:1], v[6:7], off
.LBB47_2805:
	s_andn2_b64 vcc, exec, s[0:1]
	s_cbranch_vccnz .LBB47_2807
; %bb.2806:
	v_cvt_f32_f16_e32 v6, v4
	global_store_dword v[0:1], v6, off
.LBB47_2807:
	s_mov_b64 s[0:1], 0
.LBB47_2808:
	s_andn2_b64 vcc, exec, s[0:1]
	s_cbranch_vccnz .LBB47_2810
; %bb.2809:
	global_store_short v[0:1], v4, off
.LBB47_2810:
	s_mov_b64 s[0:1], 0
.LBB47_2811:
	s_andn2_b64 vcc, exec, s[0:1]
	s_cbranch_vccnz .LBB47_2827
; %bb.2812:
	v_mov_b32_e32 v6, 2
	v_cmp_lt_i16_sdwa s[2:3], v2, v6 src0_sel:BYTE_0 src1_sel:DWORD
	s_mov_b64 s[0:1], -1
	s_and_b64 vcc, exec, s[2:3]
	s_cbranch_vccnz .LBB47_2822
; %bb.2813:
	v_mov_b32_e32 v6, 3
	v_cmp_lt_i16_sdwa s[2:3], v2, v6 src0_sel:BYTE_0 src1_sel:DWORD
	s_and_b64 vcc, exec, s[2:3]
	s_cbranch_vccnz .LBB47_2819
; %bb.2814:
	v_cmp_gt_i16_sdwa s[2:3], v2, v6 src0_sel:BYTE_0 src1_sel:DWORD
	s_and_b64 vcc, exec, s[2:3]
	s_cbranch_vccz .LBB47_2816
; %bb.2815:
	v_cvt_f32_f16_e32 v6, v4
	s_mov_b64 s[0:1], 0
	v_cvt_i32_f32_e32 v6, v6
	v_ashrrev_i32_e32 v7, 31, v6
	global_store_dwordx2 v[0:1], v[6:7], off
.LBB47_2816:
	s_andn2_b64 vcc, exec, s[0:1]
	s_cbranch_vccnz .LBB47_2818
; %bb.2817:
	v_cvt_f32_f16_e32 v6, v4
	v_cvt_i32_f32_e32 v6, v6
	global_store_dword v[0:1], v6, off
.LBB47_2818:
	s_mov_b64 s[0:1], 0
.LBB47_2819:
	s_andn2_b64 vcc, exec, s[0:1]
	s_cbranch_vccnz .LBB47_2821
; %bb.2820:
	v_cvt_i16_f16_e32 v6, v4
	global_store_short v[0:1], v6, off
.LBB47_2821:
	s_mov_b64 s[0:1], 0
.LBB47_2822:
	s_andn2_b64 vcc, exec, s[0:1]
	s_cbranch_vccnz .LBB47_2827
; %bb.2823:
	v_mov_b32_e32 v6, 0
	v_cmp_gt_i16_sdwa s[2:3], v2, v6 src0_sel:BYTE_0 src1_sel:DWORD
	s_mov_b64 s[0:1], -1
	s_and_b64 vcc, exec, s[2:3]
	s_cbranch_vccz .LBB47_2825
; %bb.2824:
	v_cvt_i16_f16_e32 v6, v4
	global_store_byte v[0:1], v6, off
	s_mov_b64 s[0:1], 0
.LBB47_2825:
	s_andn2_b64 vcc, exec, s[0:1]
	s_cbranch_vccnz .LBB47_2827
; %bb.2826:
	v_cvt_f32_f16_e32 v4, v4
	v_cvt_i32_f32_e32 v4, v4
	global_store_byte v[0:1], v4, off
.LBB47_2827:
	s_mov_b64 s[10:11], -1
.LBB47_2828:
	s_andn2_b64 vcc, exec, s[10:11]
	s_cbranch_vccnz .LBB47_3032
; %bb.2829:
	v_cvt_f32_f16_e32 v0, v11
	v_cvt_f32_f16_e32 v1, v10
	s_movk_i32 s0, 0x400
	v_mov_b32_e32 v6, 0x400
	v_rcp_f32_e32 v4, v0
	s_movk_i32 s1, 0x3bfe
	v_add_u32_e32 v3, s16, v3
	v_mul_f32_e32 v7, v1, v4
	v_mad_f32 v8, -v0, v7, v1
	v_mac_f32_e32 v7, v8, v4
	v_mad_f32 v0, -v0, v7, v1
	v_mul_f32_e32 v0, v0, v4
	v_and_b32_e32 v0, 0xff800000, v0
	v_add_f32_e32 v0, v0, v7
	v_cvt_f16_f32_e32 v0, v0
	v_mov_b32_e32 v1, 0x3bfe
	v_ashrrev_i32_e32 v7, 31, v3
	v_div_fixup_f16 v0, v0, v11, v10
	v_cmp_ngt_f16_e32 vcc, s0, v0
	v_cndmask_b32_e32 v0, v6, v0, vcc
	v_cmp_nlt_f16_e32 vcc, s1, v0
	v_cndmask_b32_e32 v4, v1, v0, vcc
	v_mov_b32_e32 v1, s9
	v_add_co_u32_e32 v0, vcc, s8, v3
	v_mov_b32_e32 v6, 11
	v_addc_co_u32_e32 v1, vcc, v1, v7, vcc
	v_cmp_lt_i16_sdwa s[0:1], v2, v6 src0_sel:BYTE_0 src1_sel:DWORD
	s_and_b64 vcc, exec, s[0:1]
	s_cbranch_vccnz .LBB47_2836
; %bb.2830:
	v_mov_b32_e32 v6, 25
	v_cmp_gt_i16_sdwa s[0:1], v2, v6 src0_sel:BYTE_0 src1_sel:DWORD
	s_mov_b64 s[12:13], -1
	s_mov_b64 s[2:3], 0
	s_and_b64 vcc, exec, s[0:1]
	s_mov_b64 s[10:11], 0
	s_mov_b64 s[0:1], 0
	s_cbranch_vccz .LBB47_2872
; %bb.2831:
	v_mov_b32_e32 v6, 28
	v_cmp_gt_i16_sdwa s[0:1], v2, v6 src0_sel:BYTE_0 src1_sel:DWORD
	s_and_b64 vcc, exec, s[0:1]
	s_cbranch_vccz .LBB47_2837
; %bb.2832:
	v_mov_b32_e32 v6, 43
	v_cmp_gt_i16_sdwa s[0:1], v2, v6 src0_sel:BYTE_0 src1_sel:DWORD
	s_and_b64 vcc, exec, s[0:1]
	;; [unrolled: 5-line block ×3, first 2 shown]
	s_cbranch_vccz .LBB47_2844
; %bb.2834:
	v_mov_b32_e32 v6, 46
	v_cmp_eq_u16_sdwa s[10:11], v2, v6 src0_sel:BYTE_0 src1_sel:DWORD
	s_mov_b64 s[0:1], -1
	s_mov_b64 s[12:13], 0
	s_and_b64 vcc, exec, s[10:11]
	s_mov_b64 s[10:11], 0
	s_cbranch_vccz .LBB47_2845
; %bb.2835:
	v_cvt_f32_f16_e32 v6, v4
	s_movk_i32 s0, 0x7fff
	v_mov_b32_e32 v7, 0x7fc0
	v_cmp_o_f16_e32 vcc, v4, v4
	v_bfe_u32 v8, v6, 16, 1
	v_add3_u32 v6, v6, v8, s0
	v_lshrrev_b32_e32 v6, 16, v6
	v_cndmask_b32_e32 v6, v7, v6, vcc
	global_store_dword v[0:1], v6, off
	s_mov_b64 s[0:1], 0
	s_mov_b64 s[10:11], -1
	s_branch .LBB47_2845
.LBB47_2836:
	s_mov_b64 s[0:1], -1
	s_mov_b64 s[10:11], 0
	s_branch .LBB47_2916
.LBB47_2837:
	s_mov_b64 s[0:1], 0
	s_branch .LBB47_2855
.LBB47_2838:
	s_or_saveexec_b64 s[14:15], s[14:15]
                                        ; implicit-def: $sgpr17
	s_xor_b64 exec, exec, s[14:15]
	s_cbranch_execz .LBB47_2739
.LBB47_2839:
	s_mov_b32 s17, 0x46000000
	v_add_f32_e64 v7, |v6|, s17
	v_and_b32_e32 v7, 0xff, v7
	v_cmp_ne_u32_e32 vcc, 0, v7
	s_andn2_b64 s[12:13], s[12:13], exec
	s_and_b64 s[20:21], vcc, exec
	s_mov_b32 s17, 0
	s_or_b64 s[12:13], s[12:13], s[20:21]
	s_or_b64 exec, exec, s[14:15]
	v_mov_b32_e32 v8, s17
	s_and_saveexec_b64 s[14:15], s[12:13]
	s_cbranch_execnz .LBB47_2740
	s_branch .LBB47_2741
.LBB47_2840:
	s_mov_b64 s[0:1], 0
	s_branch .LBB47_2851
.LBB47_2841:
	s_trap 2
	s_or_b64 s[18:19], s[18:19], exec
	s_cbranch_execz .LBB47_2787
	s_branch .LBB47_2788
.LBB47_2842:
	s_or_saveexec_b64 s[12:13], s[12:13]
                                        ; implicit-def: $sgpr14
	s_xor_b64 exec, exec, s[12:13]
	s_cbranch_execz .LBB47_2752
.LBB47_2843:
	s_mov_b32 s14, 0x42800000
	v_add_f32_e64 v7, |v6|, s14
	v_and_b32_e32 v7, 0xff, v7
	v_cmp_ne_u32_e32 vcc, 0, v7
	s_andn2_b64 s[10:11], s[10:11], exec
	s_and_b64 s[20:21], vcc, exec
	s_mov_b32 s14, 0
	s_or_b64 s[10:11], s[10:11], s[20:21]
	s_or_b64 exec, exec, s[12:13]
	v_mov_b32_e32 v8, s14
	s_and_saveexec_b64 s[12:13], s[10:11]
	s_cbranch_execnz .LBB47_2753
	s_branch .LBB47_2754
.LBB47_2844:
	s_mov_b64 s[0:1], 0
.LBB47_2845:
	s_and_b64 vcc, exec, s[12:13]
	s_cbranch_vccz .LBB47_2850
; %bb.2846:
	v_mov_b32_e32 v6, 44
	v_cmp_eq_u16_sdwa s[12:13], v2, v6 src0_sel:BYTE_0 src1_sel:DWORD
	s_mov_b64 s[0:1], -1
	s_and_b64 vcc, exec, s[12:13]
	s_cbranch_vccz .LBB47_2850
; %bb.2847:
	v_cvt_f32_f16_e32 v6, v4
	s_movk_i32 s0, 0xff
	v_mov_b32_e32 v8, 0xff
	v_bfe_u32 v7, v6, 23, 8
	v_cmp_ne_u32_e32 vcc, s0, v7
	s_and_saveexec_b64 s[10:11], vcc
; %bb.2848:
	s_mov_b32 s0, 0x3fffff
	v_lshrrev_b32_e32 v8, 23, v6
	v_and_b32_e32 v9, 0x400000, v6
	v_and_or_b32 v6, v6, s0, v7
	v_cmp_ne_u32_e32 vcc, 0, v9
	v_cmp_ne_u32_e64 s[0:1], 0, v6
	s_and_b64 s[0:1], vcc, s[0:1]
	v_cndmask_b32_e64 v6, 0, 1, s[0:1]
	v_add_u32_e32 v8, v8, v6
; %bb.2849:
	s_or_b64 exec, exec, s[10:11]
	s_mov_b64 s[0:1], 0
	s_mov_b64 s[10:11], -1
	global_store_byte v[0:1], v8, off
.LBB47_2850:
	s_mov_b64 s[12:13], 0
.LBB47_2851:
	s_and_b64 vcc, exec, s[12:13]
	s_cbranch_vccz .LBB47_2854
; %bb.2852:
	v_mov_b32_e32 v6, 29
	v_cmp_eq_u16_sdwa s[12:13], v2, v6 src0_sel:BYTE_0 src1_sel:DWORD
	s_mov_b64 s[0:1], -1
	s_and_b64 vcc, exec, s[12:13]
	s_cbranch_vccz .LBB47_2854
; %bb.2853:
	v_cvt_f32_f16_e32 v6, v4
	v_mov_b32_e32 v7, 0
	s_mov_b64 s[0:1], 0
	s_mov_b64 s[10:11], -1
	v_cvt_u32_f32_e32 v6, v6
	s_mov_b64 s[12:13], 0
	global_store_dwordx2 v[0:1], v[6:7], off
	s_branch .LBB47_2855
.LBB47_2854:
	s_mov_b64 s[12:13], 0
.LBB47_2855:
	s_and_b64 vcc, exec, s[12:13]
	s_cbranch_vccz .LBB47_2871
; %bb.2856:
	v_mov_b32_e32 v6, 27
	v_cmp_lt_i16_sdwa s[12:13], v2, v6 src0_sel:BYTE_0 src1_sel:DWORD
	s_mov_b64 s[10:11], -1
	s_and_b64 vcc, exec, s[12:13]
	s_cbranch_vccnz .LBB47_2862
; %bb.2857:
	v_cmp_gt_i16_sdwa s[12:13], v2, v6 src0_sel:BYTE_0 src1_sel:DWORD
	s_and_b64 vcc, exec, s[12:13]
	s_cbranch_vccz .LBB47_2859
; %bb.2858:
	v_cvt_f32_f16_e32 v6, v4
	s_mov_b64 s[10:11], 0
	v_cvt_u32_f32_e32 v6, v6
	global_store_dword v[0:1], v6, off
.LBB47_2859:
	s_andn2_b64 vcc, exec, s[10:11]
	s_cbranch_vccnz .LBB47_2861
; %bb.2860:
	v_cvt_u16_f16_e32 v6, v4
	global_store_short v[0:1], v6, off
.LBB47_2861:
	s_mov_b64 s[10:11], 0
.LBB47_2862:
	s_andn2_b64 vcc, exec, s[10:11]
	s_cbranch_vccnz .LBB47_2870
; %bb.2863:
	v_cvt_f32_f16_e32 v6, v4
	s_mov_b32 s10, 0x43800000
	v_mov_b32_e32 v8, 0x80
	v_and_b32_e32 v7, 0x7fffffff, v6
	v_cmp_gt_u32_e32 vcc, s10, v7
	s_and_saveexec_b64 s[10:11], vcc
	s_cbranch_execz .LBB47_2869
; %bb.2864:
	s_mov_b32 s12, 0x3bffffff
	v_cmp_lt_u32_e32 vcc, s12, v7
	s_mov_b64 s[12:13], 0
                                        ; implicit-def: $vgpr7
	s_and_saveexec_b64 s[14:15], vcc
	s_xor_b64 s[14:15], exec, s[14:15]
	s_cbranch_execz .LBB47_3078
; %bb.2865:
	v_bfe_u32 v7, v6, 20, 1
	s_mov_b32 s17, 0x487ffff
	v_add3_u32 v7, v6, v7, s17
	s_mov_b64 s[12:13], exec
	v_lshrrev_b32_e32 v7, 20, v7
	s_or_saveexec_b64 s[14:15], s[14:15]
                                        ; implicit-def: $sgpr17
	s_xor_b64 exec, exec, s[14:15]
	s_cbranch_execnz .LBB47_3079
.LBB47_2866:
	s_or_b64 exec, exec, s[14:15]
	v_mov_b32_e32 v8, s17
	s_and_saveexec_b64 s[14:15], s[12:13]
.LBB47_2867:
	v_lshrrev_b32_e32 v6, 24, v6
	s_movk_i32 s12, 0x80
	v_and_or_b32 v8, v6, s12, v7
.LBB47_2868:
	s_or_b64 exec, exec, s[14:15]
.LBB47_2869:
	s_or_b64 exec, exec, s[10:11]
	global_store_byte v[0:1], v8, off
.LBB47_2870:
	s_mov_b64 s[10:11], -1
.LBB47_2871:
	s_mov_b64 s[12:13], 0
.LBB47_2872:
	s_and_b64 vcc, exec, s[12:13]
	s_cbranch_vccz .LBB47_2912
; %bb.2873:
	v_mov_b32_e32 v6, 22
	v_cmp_gt_i16_sdwa s[12:13], v2, v6 src0_sel:BYTE_0 src1_sel:DWORD
	s_mov_b64 s[2:3], -1
	s_and_b64 vcc, exec, s[12:13]
	s_cbranch_vccz .LBB47_2905
; %bb.2874:
	v_mov_b32_e32 v6, 24
	v_cmp_lt_i16_sdwa s[10:11], v2, v6 src0_sel:BYTE_0 src1_sel:DWORD
	s_and_b64 vcc, exec, s[10:11]
	s_cbranch_vccnz .LBB47_2894
; %bb.2875:
	v_cmp_gt_i16_sdwa s[10:11], v2, v6 src0_sel:BYTE_0 src1_sel:DWORD
	s_and_b64 vcc, exec, s[10:11]
	s_cbranch_vccz .LBB47_2883
; %bb.2876:
	v_cvt_f32_f16_e32 v6, v4
	s_mov_b32 s2, 0x47800000
	v_mov_b32_e32 v8, 0x80
	v_and_b32_e32 v7, 0x7fffffff, v6
	v_cmp_gt_u32_e32 vcc, s2, v7
	s_and_saveexec_b64 s[2:3], vcc
	s_cbranch_execz .LBB47_2882
; %bb.2877:
	s_mov_b32 s10, 0x37ffffff
	v_cmp_lt_u32_e32 vcc, s10, v7
	s_mov_b64 s[10:11], 0
                                        ; implicit-def: $vgpr7
	s_and_saveexec_b64 s[12:13], vcc
	s_xor_b64 s[12:13], exec, s[12:13]
	s_cbranch_execz .LBB47_3081
; %bb.2878:
	v_bfe_u32 v7, v6, 21, 1
	s_mov_b32 s14, 0x88fffff
	v_add3_u32 v7, v6, v7, s14
	s_mov_b64 s[10:11], exec
	v_lshrrev_b32_e32 v7, 21, v7
	s_or_saveexec_b64 s[12:13], s[12:13]
                                        ; implicit-def: $sgpr14
	s_xor_b64 exec, exec, s[12:13]
	s_cbranch_execnz .LBB47_3082
.LBB47_2879:
	s_or_b64 exec, exec, s[12:13]
	v_mov_b32_e32 v8, s14
	s_and_saveexec_b64 s[12:13], s[10:11]
.LBB47_2880:
	v_lshrrev_b32_e32 v6, 24, v6
	s_movk_i32 s10, 0x80
	v_and_or_b32 v8, v6, s10, v7
.LBB47_2881:
	s_or_b64 exec, exec, s[12:13]
.LBB47_2882:
	s_or_b64 exec, exec, s[2:3]
	s_mov_b64 s[2:3], 0
	global_store_byte v[0:1], v8, off
.LBB47_2883:
	s_and_b64 vcc, exec, s[2:3]
	s_cbranch_vccz .LBB47_2893
; %bb.2884:
	v_cvt_f32_f16_e32 v6, v4
	s_mov_b32 s2, 0x43f00000
                                        ; implicit-def: $vgpr7
	v_and_b32_e32 v8, 0x7fffffff, v6
	v_cmp_gt_u32_e32 vcc, s2, v8
	s_and_saveexec_b64 s[2:3], vcc
	s_xor_b64 s[2:3], exec, s[2:3]
	s_cbranch_execz .LBB47_2890
; %bb.2885:
	s_mov_b32 s10, 0x3c7fffff
	v_cmp_lt_u32_e32 vcc, s10, v8
                                        ; implicit-def: $vgpr7
	s_and_saveexec_b64 s[10:11], vcc
	s_xor_b64 s[10:11], exec, s[10:11]
; %bb.2886:
	v_bfe_u32 v7, v6, 20, 1
	s_mov_b32 s12, 0x407ffff
	v_add3_u32 v7, v6, v7, s12
	v_lshrrev_b32_e32 v8, 20, v7
	v_and_b32_e32 v7, 0xff00000, v7
	s_mov_b32 s12, 0x7f00000
	v_mov_b32_e32 v9, 0x7e
	v_cmp_ne_u32_e32 vcc, s12, v7
	v_cndmask_b32_e32 v7, v9, v8, vcc
; %bb.2887:
	s_andn2_saveexec_b64 s[10:11], s[10:11]
; %bb.2888:
	s_mov_b32 s12, 0x46800000
	v_add_f32_e64 v7, |v6|, s12
; %bb.2889:
	s_or_b64 exec, exec, s[10:11]
                                        ; implicit-def: $vgpr8
.LBB47_2890:
	s_andn2_saveexec_b64 s[2:3], s[2:3]
; %bb.2891:
	s_mov_b32 s10, 0x7f800000
	v_mov_b32_e32 v7, 0x7e
	v_mov_b32_e32 v9, 0x7f
	v_cmp_lt_u32_e32 vcc, s10, v8
	v_cndmask_b32_e32 v7, v7, v9, vcc
; %bb.2892:
	s_or_b64 exec, exec, s[2:3]
	v_lshrrev_b32_e32 v6, 24, v6
	s_movk_i32 s2, 0x80
	v_and_or_b32 v6, v6, s2, v7
	global_store_byte v[0:1], v6, off
.LBB47_2893:
	s_mov_b64 s[2:3], 0
.LBB47_2894:
	s_andn2_b64 vcc, exec, s[2:3]
	s_cbranch_vccnz .LBB47_2904
; %bb.2895:
	v_cvt_f32_f16_e32 v6, v4
	s_mov_b32 s2, 0x47800000
                                        ; implicit-def: $vgpr7
	v_and_b32_e32 v8, 0x7fffffff, v6
	v_cmp_gt_u32_e32 vcc, s2, v8
	s_and_saveexec_b64 s[2:3], vcc
	s_xor_b64 s[2:3], exec, s[2:3]
	s_cbranch_execz .LBB47_2901
; %bb.2896:
	s_mov_b32 s10, 0x387fffff
	v_cmp_lt_u32_e32 vcc, s10, v8
                                        ; implicit-def: $vgpr7
	s_and_saveexec_b64 s[10:11], vcc
	s_xor_b64 s[10:11], exec, s[10:11]
; %bb.2897:
	v_bfe_u32 v7, v6, 21, 1
	s_mov_b32 s12, 0x80fffff
	v_add3_u32 v7, v6, v7, s12
	v_lshrrev_b32_e32 v7, 21, v7
; %bb.2898:
	s_andn2_saveexec_b64 s[10:11], s[10:11]
; %bb.2899:
	s_mov_b32 s12, 0x43000000
	v_add_f32_e64 v7, |v6|, s12
; %bb.2900:
	s_or_b64 exec, exec, s[10:11]
                                        ; implicit-def: $vgpr8
.LBB47_2901:
	s_andn2_saveexec_b64 s[2:3], s[2:3]
; %bb.2902:
	s_mov_b32 s10, 0x7f800000
	v_mov_b32_e32 v7, 0x7c
	v_mov_b32_e32 v9, 0x7f
	v_cmp_lt_u32_e32 vcc, s10, v8
	v_cndmask_b32_e32 v7, v7, v9, vcc
; %bb.2903:
	s_or_b64 exec, exec, s[2:3]
	v_lshrrev_b32_e32 v6, 24, v6
	s_movk_i32 s2, 0x80
	v_and_or_b32 v6, v6, s2, v7
	global_store_byte v[0:1], v6, off
.LBB47_2904:
	s_mov_b64 s[2:3], 0
	s_mov_b64 s[10:11], -1
.LBB47_2905:
	s_andn2_b64 vcc, exec, s[2:3]
	s_mov_b64 s[2:3], 0
	s_cbranch_vccnz .LBB47_2912
; %bb.2906:
	v_mov_b32_e32 v6, 14
	v_cmp_gt_i16_sdwa s[2:3], v2, v6 src0_sel:BYTE_0 src1_sel:DWORD
	s_mov_b64 s[12:13], -1
	s_and_b64 vcc, exec, s[2:3]
	s_cbranch_vccz .LBB47_2910
; %bb.2907:
	v_mov_b32_e32 v6, 15
	v_cmp_eq_u16_sdwa s[2:3], v2, v6 src0_sel:BYTE_0 src1_sel:DWORD
	s_mov_b64 s[0:1], -1
	s_and_b64 vcc, exec, s[2:3]
	s_cbranch_vccz .LBB47_2909
; %bb.2908:
	v_cvt_f32_f16_e32 v6, v4
	s_movk_i32 s0, 0x7fff
	v_mov_b32_e32 v7, 0x7fc0
	v_cmp_o_f16_e32 vcc, v4, v4
	v_bfe_u32 v8, v6, 16, 1
	v_add3_u32 v6, v6, v8, s0
	v_lshrrev_b32_e32 v6, 16, v6
	v_cndmask_b32_e32 v6, v7, v6, vcc
	global_store_short v[0:1], v6, off
	s_mov_b64 s[0:1], 0
	s_mov_b64 s[10:11], -1
.LBB47_2909:
	s_mov_b64 s[12:13], 0
.LBB47_2910:
	s_mov_b64 s[2:3], 0
	s_and_b64 vcc, exec, s[12:13]
	s_cbranch_vccz .LBB47_2912
; %bb.2911:
	v_mov_b32_e32 v6, 11
	v_cmp_ne_u16_sdwa s[0:1], v2, v6 src0_sel:BYTE_0 src1_sel:DWORD
	s_mov_b64 s[2:3], -1
.LBB47_2912:
	s_and_b64 vcc, exec, s[0:1]
	s_cbranch_vccnz .LBB47_3080
; %bb.2913:
	s_andn2_b64 vcc, exec, s[2:3]
	s_cbranch_vccnz .LBB47_2915
.LBB47_2914:
	v_and_b32_e32 v6, 0x7fff, v4
	v_cmp_ne_u16_e32 vcc, 0, v6
	v_cndmask_b32_e64 v6, 0, 1, vcc
	s_mov_b64 s[10:11], -1
	global_store_byte v[0:1], v6, off
.LBB47_2915:
	s_mov_b64 s[0:1], 0
.LBB47_2916:
	s_and_b64 vcc, exec, s[0:1]
	s_cbranch_vccz .LBB47_2955
; %bb.2917:
	v_mov_b32_e32 v6, 5
	v_cmp_lt_i16_sdwa s[2:3], v2, v6 src0_sel:BYTE_0 src1_sel:DWORD
	s_mov_b64 s[0:1], -1
	s_and_b64 vcc, exec, s[2:3]
	s_cbranch_vccnz .LBB47_2938
; %bb.2918:
	v_mov_b32_e32 v6, 8
	v_cmp_lt_i16_sdwa s[2:3], v2, v6 src0_sel:BYTE_0 src1_sel:DWORD
	s_and_b64 vcc, exec, s[2:3]
	s_cbranch_vccnz .LBB47_2928
; %bb.2919:
	v_mov_b32_e32 v6, 9
	v_cmp_lt_i16_sdwa s[2:3], v2, v6 src0_sel:BYTE_0 src1_sel:DWORD
	s_and_b64 vcc, exec, s[2:3]
	s_cbranch_vccnz .LBB47_2925
; %bb.2920:
	v_cmp_gt_i16_sdwa s[2:3], v2, v6 src0_sel:BYTE_0 src1_sel:DWORD
	s_and_b64 vcc, exec, s[2:3]
	s_cbranch_vccz .LBB47_2922
; %bb.2921:
	v_cvt_f32_f16_e32 v6, v4
	v_mov_b32_e32 v8, 0
	v_mov_b32_e32 v9, v8
	s_mov_b64 s[0:1], 0
	v_cvt_f64_f32_e32 v[6:7], v6
	global_store_dwordx4 v[0:1], v[6:9], off
.LBB47_2922:
	s_andn2_b64 vcc, exec, s[0:1]
	s_cbranch_vccnz .LBB47_2924
; %bb.2923:
	v_cvt_f32_f16_e32 v6, v4
	v_mov_b32_e32 v7, 0
	global_store_dwordx2 v[0:1], v[6:7], off
.LBB47_2924:
	s_mov_b64 s[0:1], 0
.LBB47_2925:
	s_andn2_b64 vcc, exec, s[0:1]
	s_cbranch_vccnz .LBB47_2927
; %bb.2926:
	v_and_b32_e32 v6, 0xffff, v4
	global_store_dword v[0:1], v6, off
.LBB47_2927:
	s_mov_b64 s[0:1], 0
.LBB47_2928:
	s_andn2_b64 vcc, exec, s[0:1]
	s_cbranch_vccnz .LBB47_2937
; %bb.2929:
	v_mov_b32_e32 v6, 6
	v_cmp_lt_i16_sdwa s[2:3], v2, v6 src0_sel:BYTE_0 src1_sel:DWORD
	s_mov_b64 s[0:1], -1
	s_and_b64 vcc, exec, s[2:3]
	s_cbranch_vccnz .LBB47_2935
; %bb.2930:
	v_cmp_gt_i16_sdwa s[2:3], v2, v6 src0_sel:BYTE_0 src1_sel:DWORD
	s_and_b64 vcc, exec, s[2:3]
	s_cbranch_vccz .LBB47_2932
; %bb.2931:
	v_cvt_f32_f16_e32 v6, v4
	s_mov_b64 s[0:1], 0
	v_cvt_f64_f32_e32 v[6:7], v6
	global_store_dwordx2 v[0:1], v[6:7], off
.LBB47_2932:
	s_andn2_b64 vcc, exec, s[0:1]
	s_cbranch_vccnz .LBB47_2934
; %bb.2933:
	v_cvt_f32_f16_e32 v6, v4
	global_store_dword v[0:1], v6, off
.LBB47_2934:
	s_mov_b64 s[0:1], 0
.LBB47_2935:
	s_andn2_b64 vcc, exec, s[0:1]
	s_cbranch_vccnz .LBB47_2937
; %bb.2936:
	global_store_short v[0:1], v4, off
.LBB47_2937:
	s_mov_b64 s[0:1], 0
.LBB47_2938:
	s_andn2_b64 vcc, exec, s[0:1]
	s_cbranch_vccnz .LBB47_2954
; %bb.2939:
	v_mov_b32_e32 v6, 2
	v_cmp_lt_i16_sdwa s[2:3], v2, v6 src0_sel:BYTE_0 src1_sel:DWORD
	s_mov_b64 s[0:1], -1
	s_and_b64 vcc, exec, s[2:3]
	s_cbranch_vccnz .LBB47_2949
; %bb.2940:
	v_mov_b32_e32 v6, 3
	v_cmp_lt_i16_sdwa s[2:3], v2, v6 src0_sel:BYTE_0 src1_sel:DWORD
	s_and_b64 vcc, exec, s[2:3]
	s_cbranch_vccnz .LBB47_2946
; %bb.2941:
	v_cmp_gt_i16_sdwa s[2:3], v2, v6 src0_sel:BYTE_0 src1_sel:DWORD
	s_and_b64 vcc, exec, s[2:3]
	s_cbranch_vccz .LBB47_2943
; %bb.2942:
	v_cvt_f32_f16_e32 v6, v4
	s_mov_b64 s[0:1], 0
	v_cvt_i32_f32_e32 v6, v6
	v_ashrrev_i32_e32 v7, 31, v6
	global_store_dwordx2 v[0:1], v[6:7], off
.LBB47_2943:
	s_andn2_b64 vcc, exec, s[0:1]
	s_cbranch_vccnz .LBB47_2945
; %bb.2944:
	v_cvt_f32_f16_e32 v6, v4
	v_cvt_i32_f32_e32 v6, v6
	global_store_dword v[0:1], v6, off
.LBB47_2945:
	s_mov_b64 s[0:1], 0
.LBB47_2946:
	s_andn2_b64 vcc, exec, s[0:1]
	s_cbranch_vccnz .LBB47_2948
; %bb.2947:
	v_cvt_i16_f16_e32 v6, v4
	global_store_short v[0:1], v6, off
.LBB47_2948:
	s_mov_b64 s[0:1], 0
.LBB47_2949:
	s_andn2_b64 vcc, exec, s[0:1]
	s_cbranch_vccnz .LBB47_2954
; %bb.2950:
	v_mov_b32_e32 v6, 0
	v_cmp_gt_i16_sdwa s[2:3], v2, v6 src0_sel:BYTE_0 src1_sel:DWORD
	s_mov_b64 s[0:1], -1
	s_and_b64 vcc, exec, s[2:3]
	s_cbranch_vccz .LBB47_2952
; %bb.2951:
	v_cvt_i16_f16_e32 v6, v4
	global_store_byte v[0:1], v6, off
	s_mov_b64 s[0:1], 0
.LBB47_2952:
	s_andn2_b64 vcc, exec, s[0:1]
	s_cbranch_vccnz .LBB47_2954
; %bb.2953:
	v_cvt_f32_f16_e32 v4, v4
	v_cvt_i32_f32_e32 v4, v4
	global_store_byte v[0:1], v4, off
.LBB47_2954:
	s_mov_b64 s[10:11], -1
.LBB47_2955:
	s_andn2_b64 vcc, exec, s[10:11]
	s_cbranch_vccnz .LBB47_3032
; %bb.2956:
	v_cvt_f32_f16_e32 v0, v5
	v_cvt_f32_f16_e32 v1, v12
	s_movk_i32 s0, 0x400
	v_mov_b32_e32 v6, 0x400
	v_rcp_f32_e32 v4, v0
	s_movk_i32 s1, 0x3bfe
	v_add_u32_e32 v3, s16, v3
	v_mul_f32_e32 v7, v1, v4
	v_mad_f32 v8, -v0, v7, v1
	v_mac_f32_e32 v7, v8, v4
	v_mad_f32 v0, -v0, v7, v1
	v_mul_f32_e32 v0, v0, v4
	v_and_b32_e32 v0, 0xff800000, v0
	v_add_f32_e32 v0, v0, v7
	v_cvt_f16_f32_e32 v0, v0
	v_mov_b32_e32 v1, 0x3bfe
	v_ashrrev_i32_e32 v4, 31, v3
	v_and_b32_e32 v7, 0xff, v2
	v_div_fixup_f16 v0, v0, v5, v12
	v_cmp_ngt_f16_e32 vcc, s0, v0
	v_cndmask_b32_e32 v0, v6, v0, vcc
	v_cmp_nlt_f16_e32 vcc, s1, v0
	v_cndmask_b32_e32 v6, v1, v0, vcc
	v_mov_b32_e32 v1, s9
	v_add_co_u32_e32 v0, vcc, s8, v3
	v_addc_co_u32_e32 v1, vcc, v1, v4, vcc
	v_cmp_gt_i16_e32 vcc, 11, v7
	s_cbranch_vccnz .LBB47_3077
; %bb.2957:
	v_cmp_lt_i16_e32 vcc, 25, v7
	s_mov_b64 s[8:9], -1
	s_mov_b64 s[2:3], 0
	s_mov_b64 s[0:1], 0
	s_cbranch_vccz .LBB47_2990
; %bb.2958:
	v_cmp_lt_i16_e32 vcc, 28, v7
	s_cbranch_vccz .LBB47_2974
; %bb.2959:
	v_cmp_lt_i16_e32 vcc, 43, v7
	;; [unrolled: 3-line block ×3, first 2 shown]
	s_cbranch_vccz .LBB47_2964
; %bb.2961:
	v_cmp_eq_u16_e32 vcc, 46, v7
	s_mov_b64 s[0:1], -1
	s_cbranch_vccz .LBB47_2963
; %bb.2962:
	v_cvt_f32_f16_e32 v2, v6
	s_movk_i32 s0, 0x7fff
	v_mov_b32_e32 v3, 0x7fc0
	v_cmp_o_f16_e32 vcc, v6, v6
	v_bfe_u32 v4, v2, 16, 1
	v_add3_u32 v2, v2, v4, s0
	v_lshrrev_b32_e32 v2, 16, v2
	v_cndmask_b32_e32 v2, v3, v2, vcc
	global_store_dword v[0:1], v2, off
	s_mov_b64 s[0:1], 0
.LBB47_2963:
	s_mov_b64 s[8:9], 0
.LBB47_2964:
	s_and_b64 vcc, exec, s[8:9]
	s_cbranch_vccz .LBB47_2969
; %bb.2965:
	v_cmp_eq_u16_e32 vcc, 44, v7
	s_mov_b64 s[0:1], -1
	s_cbranch_vccz .LBB47_2969
; %bb.2966:
	v_cvt_f32_f16_e32 v2, v6
	s_movk_i32 s0, 0xff
	v_mov_b32_e32 v4, 0xff
	v_bfe_u32 v3, v2, 23, 8
	v_cmp_ne_u32_e32 vcc, s0, v3
	s_and_saveexec_b64 s[8:9], vcc
; %bb.2967:
	s_mov_b32 s0, 0x3fffff
	v_lshrrev_b32_e32 v4, 23, v2
	v_and_b32_e32 v5, 0x400000, v2
	v_and_or_b32 v2, v2, s0, v3
	v_cmp_ne_u32_e32 vcc, 0, v5
	v_cmp_ne_u32_e64 s[0:1], 0, v2
	s_and_b64 s[0:1], vcc, s[0:1]
	v_cndmask_b32_e64 v2, 0, 1, s[0:1]
	v_add_u32_e32 v4, v4, v2
; %bb.2968:
	s_or_b64 exec, exec, s[8:9]
	s_mov_b64 s[0:1], 0
	global_store_byte v[0:1], v4, off
.LBB47_2969:
	s_mov_b64 s[8:9], 0
.LBB47_2970:
	s_and_b64 vcc, exec, s[8:9]
	s_cbranch_vccz .LBB47_2973
; %bb.2971:
	v_cmp_eq_u16_e32 vcc, 29, v7
	s_mov_b64 s[0:1], -1
	s_cbranch_vccz .LBB47_2973
; %bb.2972:
	v_cvt_f32_f16_e32 v2, v6
	v_mov_b32_e32 v3, 0
	s_mov_b64 s[0:1], 0
	v_cvt_u32_f32_e32 v2, v2
	global_store_dwordx2 v[0:1], v[2:3], off
.LBB47_2973:
	s_mov_b64 s[8:9], 0
.LBB47_2974:
	s_and_b64 vcc, exec, s[8:9]
	s_cbranch_vccz .LBB47_2989
; %bb.2975:
	v_cmp_gt_i16_e32 vcc, 27, v7
	s_mov_b64 s[8:9], -1
	s_cbranch_vccnz .LBB47_2981
; %bb.2976:
	v_cmp_lt_i16_e32 vcc, 27, v7
	s_cbranch_vccz .LBB47_2978
; %bb.2977:
	v_cvt_f32_f16_e32 v2, v6
	s_mov_b64 s[8:9], 0
	v_cvt_u32_f32_e32 v2, v2
	global_store_dword v[0:1], v2, off
.LBB47_2978:
	s_andn2_b64 vcc, exec, s[8:9]
	s_cbranch_vccnz .LBB47_2980
; %bb.2979:
	v_cvt_u16_f16_e32 v2, v6
	global_store_short v[0:1], v2, off
.LBB47_2980:
	s_mov_b64 s[8:9], 0
.LBB47_2981:
	s_andn2_b64 vcc, exec, s[8:9]
	s_cbranch_vccnz .LBB47_2989
; %bb.2982:
	v_cvt_f32_f16_e32 v2, v6
	s_mov_b32 s8, 0x43800000
	v_mov_b32_e32 v4, 0x80
	v_and_b32_e32 v3, 0x7fffffff, v2
	v_cmp_gt_u32_e32 vcc, s8, v3
	s_and_saveexec_b64 s[8:9], vcc
	s_cbranch_execz .LBB47_2988
; %bb.2983:
	s_mov_b32 s10, 0x3bffffff
	v_cmp_lt_u32_e32 vcc, s10, v3
	s_mov_b64 s[10:11], 0
                                        ; implicit-def: $vgpr3
	s_and_saveexec_b64 s[12:13], vcc
	s_xor_b64 s[12:13], exec, s[12:13]
	s_cbranch_execz .LBB47_3083
; %bb.2984:
	v_bfe_u32 v3, v2, 20, 1
	s_mov_b32 s14, 0x487ffff
	v_add3_u32 v3, v2, v3, s14
	s_mov_b64 s[10:11], exec
	v_lshrrev_b32_e32 v3, 20, v3
	s_or_saveexec_b64 s[12:13], s[12:13]
                                        ; implicit-def: $sgpr14
	s_xor_b64 exec, exec, s[12:13]
	s_cbranch_execnz .LBB47_3084
.LBB47_2985:
	s_or_b64 exec, exec, s[12:13]
	v_mov_b32_e32 v4, s14
	s_and_saveexec_b64 s[12:13], s[10:11]
.LBB47_2986:
	v_lshrrev_b32_e32 v2, 24, v2
	s_movk_i32 s10, 0x80
	v_and_or_b32 v4, v2, s10, v3
.LBB47_2987:
	s_or_b64 exec, exec, s[12:13]
.LBB47_2988:
	s_or_b64 exec, exec, s[8:9]
	global_store_byte v[0:1], v4, off
.LBB47_2989:
	s_mov_b64 s[8:9], 0
.LBB47_2990:
	s_and_b64 vcc, exec, s[8:9]
	s_cbranch_vccz .LBB47_3030
; %bb.2991:
	v_cmp_lt_i16_e32 vcc, 22, v7
	s_mov_b64 s[2:3], -1
	s_cbranch_vccz .LBB47_3023
; %bb.2992:
	v_cmp_gt_i16_e32 vcc, 24, v7
	s_cbranch_vccnz .LBB47_3012
; %bb.2993:
	v_cmp_lt_i16_e32 vcc, 24, v7
	s_cbranch_vccz .LBB47_3001
; %bb.2994:
	v_cvt_f32_f16_e32 v2, v6
	s_mov_b32 s2, 0x47800000
	v_mov_b32_e32 v4, 0x80
	v_and_b32_e32 v3, 0x7fffffff, v2
	v_cmp_gt_u32_e32 vcc, s2, v3
	s_and_saveexec_b64 s[2:3], vcc
	s_cbranch_execz .LBB47_3000
; %bb.2995:
	s_mov_b32 s8, 0x37ffffff
	v_cmp_lt_u32_e32 vcc, s8, v3
	s_mov_b64 s[8:9], 0
                                        ; implicit-def: $vgpr3
	s_and_saveexec_b64 s[10:11], vcc
	s_xor_b64 s[10:11], exec, s[10:11]
	s_cbranch_execz .LBB47_3086
; %bb.2996:
	v_bfe_u32 v3, v2, 21, 1
	s_mov_b32 s12, 0x88fffff
	v_add3_u32 v3, v2, v3, s12
	s_mov_b64 s[8:9], exec
	v_lshrrev_b32_e32 v3, 21, v3
	s_or_saveexec_b64 s[10:11], s[10:11]
                                        ; implicit-def: $sgpr12
	s_xor_b64 exec, exec, s[10:11]
	s_cbranch_execnz .LBB47_3087
.LBB47_2997:
	s_or_b64 exec, exec, s[10:11]
	v_mov_b32_e32 v4, s12
	s_and_saveexec_b64 s[10:11], s[8:9]
.LBB47_2998:
	v_lshrrev_b32_e32 v2, 24, v2
	s_movk_i32 s8, 0x80
	v_and_or_b32 v4, v2, s8, v3
.LBB47_2999:
	s_or_b64 exec, exec, s[10:11]
.LBB47_3000:
	s_or_b64 exec, exec, s[2:3]
	s_mov_b64 s[2:3], 0
	global_store_byte v[0:1], v4, off
.LBB47_3001:
	s_and_b64 vcc, exec, s[2:3]
	s_cbranch_vccz .LBB47_3011
; %bb.3002:
	v_cvt_f32_f16_e32 v2, v6
	s_mov_b32 s2, 0x43f00000
                                        ; implicit-def: $vgpr3
	v_and_b32_e32 v4, 0x7fffffff, v2
	v_cmp_gt_u32_e32 vcc, s2, v4
	s_and_saveexec_b64 s[2:3], vcc
	s_xor_b64 s[2:3], exec, s[2:3]
	s_cbranch_execz .LBB47_3008
; %bb.3003:
	s_mov_b32 s8, 0x3c7fffff
	v_cmp_lt_u32_e32 vcc, s8, v4
                                        ; implicit-def: $vgpr3
	s_and_saveexec_b64 s[8:9], vcc
	s_xor_b64 s[8:9], exec, s[8:9]
; %bb.3004:
	v_bfe_u32 v3, v2, 20, 1
	s_mov_b32 s10, 0x407ffff
	v_add3_u32 v3, v2, v3, s10
	v_lshrrev_b32_e32 v4, 20, v3
	v_and_b32_e32 v3, 0xff00000, v3
	s_mov_b32 s10, 0x7f00000
	v_mov_b32_e32 v5, 0x7e
	v_cmp_ne_u32_e32 vcc, s10, v3
	v_cndmask_b32_e32 v3, v5, v4, vcc
; %bb.3005:
	s_andn2_saveexec_b64 s[8:9], s[8:9]
; %bb.3006:
	s_mov_b32 s10, 0x46800000
	v_add_f32_e64 v3, |v2|, s10
; %bb.3007:
	s_or_b64 exec, exec, s[8:9]
                                        ; implicit-def: $vgpr4
.LBB47_3008:
	s_andn2_saveexec_b64 s[2:3], s[2:3]
; %bb.3009:
	s_mov_b32 s8, 0x7f800000
	v_mov_b32_e32 v3, 0x7e
	v_mov_b32_e32 v5, 0x7f
	v_cmp_lt_u32_e32 vcc, s8, v4
	v_cndmask_b32_e32 v3, v3, v5, vcc
; %bb.3010:
	s_or_b64 exec, exec, s[2:3]
	v_lshrrev_b32_e32 v2, 24, v2
	s_movk_i32 s2, 0x80
	v_and_or_b32 v2, v2, s2, v3
	global_store_byte v[0:1], v2, off
.LBB47_3011:
	s_mov_b64 s[2:3], 0
.LBB47_3012:
	s_andn2_b64 vcc, exec, s[2:3]
	s_cbranch_vccnz .LBB47_3022
; %bb.3013:
	v_cvt_f32_f16_e32 v2, v6
	s_mov_b32 s2, 0x47800000
                                        ; implicit-def: $vgpr3
	v_and_b32_e32 v4, 0x7fffffff, v2
	v_cmp_gt_u32_e32 vcc, s2, v4
	s_and_saveexec_b64 s[2:3], vcc
	s_xor_b64 s[2:3], exec, s[2:3]
	s_cbranch_execz .LBB47_3019
; %bb.3014:
	s_mov_b32 s8, 0x387fffff
	v_cmp_lt_u32_e32 vcc, s8, v4
                                        ; implicit-def: $vgpr3
	s_and_saveexec_b64 s[8:9], vcc
	s_xor_b64 s[8:9], exec, s[8:9]
; %bb.3015:
	v_bfe_u32 v3, v2, 21, 1
	s_mov_b32 s10, 0x80fffff
	v_add3_u32 v3, v2, v3, s10
	v_lshrrev_b32_e32 v3, 21, v3
; %bb.3016:
	s_andn2_saveexec_b64 s[8:9], s[8:9]
; %bb.3017:
	s_mov_b32 s10, 0x43000000
	v_add_f32_e64 v3, |v2|, s10
; %bb.3018:
	s_or_b64 exec, exec, s[8:9]
                                        ; implicit-def: $vgpr4
.LBB47_3019:
	s_andn2_saveexec_b64 s[2:3], s[2:3]
; %bb.3020:
	s_mov_b32 s8, 0x7f800000
	v_mov_b32_e32 v3, 0x7c
	v_mov_b32_e32 v5, 0x7f
	v_cmp_lt_u32_e32 vcc, s8, v4
	v_cndmask_b32_e32 v3, v3, v5, vcc
; %bb.3021:
	s_or_b64 exec, exec, s[2:3]
	v_lshrrev_b32_e32 v2, 24, v2
	s_movk_i32 s2, 0x80
	v_and_or_b32 v2, v2, s2, v3
	global_store_byte v[0:1], v2, off
.LBB47_3022:
	s_mov_b64 s[2:3], 0
.LBB47_3023:
	s_andn2_b64 vcc, exec, s[2:3]
	s_mov_b64 s[2:3], 0
	s_cbranch_vccnz .LBB47_3030
; %bb.3024:
	v_cmp_lt_i16_e32 vcc, 14, v7
	s_mov_b64 s[8:9], -1
	s_cbranch_vccz .LBB47_3028
; %bb.3025:
	v_cmp_eq_u16_e32 vcc, 15, v7
	s_mov_b64 s[0:1], -1
	s_cbranch_vccz .LBB47_3027
; %bb.3026:
	v_cvt_f32_f16_e32 v2, v6
	s_movk_i32 s0, 0x7fff
	v_mov_b32_e32 v3, 0x7fc0
	v_cmp_o_f16_e32 vcc, v6, v6
	v_bfe_u32 v4, v2, 16, 1
	v_add3_u32 v2, v2, v4, s0
	v_lshrrev_b32_e32 v2, 16, v2
	v_cndmask_b32_e32 v2, v3, v2, vcc
	global_store_short v[0:1], v2, off
	s_mov_b64 s[0:1], 0
.LBB47_3027:
	s_mov_b64 s[8:9], 0
.LBB47_3028:
	s_and_b64 vcc, exec, s[8:9]
	s_cbranch_vccz .LBB47_3030
; %bb.3029:
	v_cmp_ne_u16_e64 s[0:1], 11, v7
	s_mov_b64 s[2:3], -1
.LBB47_3030:
	s_and_b64 vcc, exec, s[0:1]
	s_cbranch_vccnz .LBB47_3085
.LBB47_3031:
	s_mov_b64 s[0:1], 0
	s_branch .LBB47_3033
.LBB47_3032:
	s_mov_b64 s[0:1], 0
	s_mov_b64 s[2:3], 0
                                        ; implicit-def: $vgpr7
                                        ; implicit-def: $vgpr0_vgpr1
                                        ; implicit-def: $vgpr6
.LBB47_3033:
	s_and_b64 s[16:17], s[2:3], exec
	s_andn2_b64 s[2:3], s[6:7], exec
	s_and_b64 s[6:7], s[18:19], exec
	s_and_b64 s[0:1], s[0:1], exec
	s_or_b64 s[6:7], s[2:3], s[6:7]
.LBB47_3034:
	s_or_b64 exec, exec, s[4:5]
	s_and_saveexec_b64 s[2:3], s[6:7]
	s_cbranch_execz .LBB47_3037
; %bb.3035:
	; divergent unreachable
	s_or_b64 exec, exec, s[2:3]
	s_and_saveexec_b64 s[2:3], s[16:17]
	s_xor_b64 s[2:3], exec, s[2:3]
	s_cbranch_execnz .LBB47_3038
.LBB47_3036:
	s_or_b64 exec, exec, s[2:3]
	s_and_saveexec_b64 s[2:3], s[0:1]
	s_cbranch_execnz .LBB47_3039
	s_branch .LBB47_3076
.LBB47_3037:
	s_or_b64 exec, exec, s[2:3]
	s_and_saveexec_b64 s[2:3], s[16:17]
	s_xor_b64 s[2:3], exec, s[2:3]
	s_cbranch_execz .LBB47_3036
.LBB47_3038:
	s_waitcnt vmcnt(0)
	v_and_b32_e32 v2, 0x7fff, v6
	v_cmp_ne_u16_e32 vcc, 0, v2
	v_cndmask_b32_e64 v2, 0, 1, vcc
	global_store_byte v[0:1], v2, off
	s_or_b64 exec, exec, s[2:3]
	s_and_saveexec_b64 s[2:3], s[0:1]
	s_cbranch_execz .LBB47_3076
.LBB47_3039:
	s_waitcnt vmcnt(0)
	v_cmp_gt_i16_e32 vcc, 5, v7
	s_mov_b64 s[0:1], -1
	s_cbranch_vccnz .LBB47_3060
; %bb.3040:
	v_cmp_gt_i16_e32 vcc, 8, v7
	s_cbranch_vccnz .LBB47_3050
; %bb.3041:
	v_cmp_gt_i16_e32 vcc, 9, v7
	s_cbranch_vccnz .LBB47_3047
; %bb.3042:
	v_cmp_lt_i16_e32 vcc, 9, v7
	s_cbranch_vccz .LBB47_3044
; %bb.3043:
	v_cvt_f32_f16_e32 v2, v6
	v_mov_b32_e32 v4, 0
	v_mov_b32_e32 v5, v4
	s_mov_b64 s[0:1], 0
	v_cvt_f64_f32_e32 v[2:3], v2
	global_store_dwordx4 v[0:1], v[2:5], off
.LBB47_3044:
	s_andn2_b64 vcc, exec, s[0:1]
	s_cbranch_vccnz .LBB47_3046
; %bb.3045:
	v_cvt_f32_f16_e32 v2, v6
	v_mov_b32_e32 v3, 0
	global_store_dwordx2 v[0:1], v[2:3], off
.LBB47_3046:
	s_mov_b64 s[0:1], 0
.LBB47_3047:
	s_andn2_b64 vcc, exec, s[0:1]
	s_cbranch_vccnz .LBB47_3049
; %bb.3048:
	v_and_b32_e32 v2, 0xffff, v6
	global_store_dword v[0:1], v2, off
.LBB47_3049:
	s_mov_b64 s[0:1], 0
.LBB47_3050:
	s_andn2_b64 vcc, exec, s[0:1]
	s_cbranch_vccnz .LBB47_3059
; %bb.3051:
	v_cmp_gt_i16_e32 vcc, 6, v7
	s_mov_b64 s[0:1], -1
	s_cbranch_vccnz .LBB47_3057
; %bb.3052:
	v_cmp_lt_i16_e32 vcc, 6, v7
	s_cbranch_vccz .LBB47_3054
; %bb.3053:
	v_cvt_f32_f16_e32 v2, v6
	s_mov_b64 s[0:1], 0
	v_cvt_f64_f32_e32 v[2:3], v2
	global_store_dwordx2 v[0:1], v[2:3], off
.LBB47_3054:
	s_andn2_b64 vcc, exec, s[0:1]
	s_cbranch_vccnz .LBB47_3056
; %bb.3055:
	v_cvt_f32_f16_e32 v2, v6
	global_store_dword v[0:1], v2, off
.LBB47_3056:
	s_mov_b64 s[0:1], 0
.LBB47_3057:
	s_andn2_b64 vcc, exec, s[0:1]
	s_cbranch_vccnz .LBB47_3059
; %bb.3058:
	global_store_short v[0:1], v6, off
.LBB47_3059:
	s_mov_b64 s[0:1], 0
.LBB47_3060:
	s_andn2_b64 vcc, exec, s[0:1]
	s_cbranch_vccnz .LBB47_3076
; %bb.3061:
	v_cmp_gt_i16_e32 vcc, 2, v7
	s_mov_b64 s[0:1], -1
	s_cbranch_vccnz .LBB47_3071
; %bb.3062:
	v_cmp_gt_i16_e32 vcc, 3, v7
	s_cbranch_vccnz .LBB47_3068
; %bb.3063:
	v_cmp_lt_i16_e32 vcc, 3, v7
	s_cbranch_vccz .LBB47_3065
; %bb.3064:
	v_cvt_f32_f16_e32 v2, v6
	s_mov_b64 s[0:1], 0
	v_cvt_i32_f32_e32 v2, v2
	v_ashrrev_i32_e32 v3, 31, v2
	global_store_dwordx2 v[0:1], v[2:3], off
.LBB47_3065:
	s_andn2_b64 vcc, exec, s[0:1]
	s_cbranch_vccnz .LBB47_3067
; %bb.3066:
	v_cvt_f32_f16_e32 v2, v6
	v_cvt_i32_f32_e32 v2, v2
	global_store_dword v[0:1], v2, off
.LBB47_3067:
	s_mov_b64 s[0:1], 0
.LBB47_3068:
	s_andn2_b64 vcc, exec, s[0:1]
	s_cbranch_vccnz .LBB47_3070
; %bb.3069:
	v_cvt_i16_f16_e32 v2, v6
	global_store_short v[0:1], v2, off
.LBB47_3070:
	s_mov_b64 s[0:1], 0
.LBB47_3071:
	s_andn2_b64 vcc, exec, s[0:1]
	s_cbranch_vccnz .LBB47_3076
; %bb.3072:
	v_cmp_lt_i16_e32 vcc, 0, v7
	s_mov_b64 s[0:1], -1
	s_cbranch_vccz .LBB47_3074
; %bb.3073:
	v_cvt_i16_f16_e32 v2, v6
	global_store_byte v[0:1], v2, off
	s_mov_b64 s[0:1], 0
.LBB47_3074:
	s_andn2_b64 vcc, exec, s[0:1]
	s_cbranch_vccnz .LBB47_3076
; %bb.3075:
	v_cvt_f32_f16_e32 v2, v6
	v_cvt_i32_f32_e32 v2, v2
	global_store_byte v[0:1], v2, off
	s_endpgm
.LBB47_3076:
	s_endpgm
.LBB47_3077:
	s_mov_b64 s[2:3], 0
	s_mov_b64 s[0:1], -1
	s_branch .LBB47_3033
.LBB47_3078:
	s_or_saveexec_b64 s[14:15], s[14:15]
                                        ; implicit-def: $sgpr17
	s_xor_b64 exec, exec, s[14:15]
	s_cbranch_execz .LBB47_2866
.LBB47_3079:
	s_mov_b32 s17, 0x46000000
	v_add_f32_e64 v7, |v6|, s17
	v_and_b32_e32 v7, 0xff, v7
	v_cmp_ne_u32_e32 vcc, 0, v7
	s_andn2_b64 s[12:13], s[12:13], exec
	s_and_b64 s[20:21], vcc, exec
	s_mov_b32 s17, 0
	s_or_b64 s[12:13], s[12:13], s[20:21]
	s_or_b64 exec, exec, s[14:15]
	v_mov_b32_e32 v8, s17
	s_and_saveexec_b64 s[14:15], s[12:13]
	s_cbranch_execnz .LBB47_2867
	s_branch .LBB47_2868
.LBB47_3080:
	s_trap 2
	s_or_b64 s[18:19], s[18:19], exec
	s_cbranch_execz .LBB47_2914
	s_branch .LBB47_2915
.LBB47_3081:
	s_or_saveexec_b64 s[12:13], s[12:13]
                                        ; implicit-def: $sgpr14
	s_xor_b64 exec, exec, s[12:13]
	s_cbranch_execz .LBB47_2879
.LBB47_3082:
	s_mov_b32 s14, 0x42800000
	v_add_f32_e64 v7, |v6|, s14
	v_and_b32_e32 v7, 0xff, v7
	v_cmp_ne_u32_e32 vcc, 0, v7
	s_andn2_b64 s[10:11], s[10:11], exec
	s_and_b64 s[20:21], vcc, exec
	s_mov_b32 s14, 0
	s_or_b64 s[10:11], s[10:11], s[20:21]
	s_or_b64 exec, exec, s[12:13]
	v_mov_b32_e32 v8, s14
	s_and_saveexec_b64 s[12:13], s[10:11]
	s_cbranch_execnz .LBB47_2880
	s_branch .LBB47_2881
.LBB47_3083:
	s_or_saveexec_b64 s[12:13], s[12:13]
                                        ; implicit-def: $sgpr14
	s_xor_b64 exec, exec, s[12:13]
	s_cbranch_execz .LBB47_2985
.LBB47_3084:
	s_mov_b32 s14, 0x46000000
	v_add_f32_e64 v3, |v2|, s14
	v_and_b32_e32 v3, 0xff, v3
	v_cmp_ne_u32_e32 vcc, 0, v3
	s_andn2_b64 s[10:11], s[10:11], exec
	s_and_b64 s[16:17], vcc, exec
	s_mov_b32 s14, 0
	s_or_b64 s[10:11], s[10:11], s[16:17]
	s_or_b64 exec, exec, s[12:13]
	v_mov_b32_e32 v4, s14
	s_and_saveexec_b64 s[12:13], s[10:11]
	s_cbranch_execnz .LBB47_2986
	s_branch .LBB47_2987
.LBB47_3085:
	s_mov_b64 s[2:3], 0
	s_or_b64 s[18:19], s[18:19], exec
	s_trap 2
	s_branch .LBB47_3031
.LBB47_3086:
	s_or_saveexec_b64 s[10:11], s[10:11]
                                        ; implicit-def: $sgpr12
	s_xor_b64 exec, exec, s[10:11]
	s_cbranch_execz .LBB47_2997
.LBB47_3087:
	s_mov_b32 s12, 0x42800000
	v_add_f32_e64 v3, |v2|, s12
	v_and_b32_e32 v3, 0xff, v3
	v_cmp_ne_u32_e32 vcc, 0, v3
	s_andn2_b64 s[8:9], s[8:9], exec
	s_and_b64 s[14:15], vcc, exec
	s_mov_b32 s12, 0
	s_or_b64 s[8:9], s[8:9], s[14:15]
	s_or_b64 exec, exec, s[10:11]
	v_mov_b32_e32 v4, s12
	s_and_saveexec_b64 s[10:11], s[8:9]
	s_cbranch_execnz .LBB47_2998
	s_branch .LBB47_2999
	.section	.rodata,"a",@progbits
	.p2align	6, 0x0
	.amdhsa_kernel _ZN2at6native32elementwise_kernel_manual_unrollILi128ELi4EZNS0_15gpu_kernel_implIZZZNS0_23launch_dirichlet_kernelERNS_18TensorIteratorBaseEENKUlvE_clEvENKUlvE1_clEvEUlN3c104HalfES8_E_EEvS4_RKT_EUlibE_EEviT1_
		.amdhsa_group_segment_fixed_size 0
		.amdhsa_private_segment_fixed_size 0
		.amdhsa_kernarg_size 48
		.amdhsa_user_sgpr_count 6
		.amdhsa_user_sgpr_private_segment_buffer 1
		.amdhsa_user_sgpr_dispatch_ptr 0
		.amdhsa_user_sgpr_queue_ptr 0
		.amdhsa_user_sgpr_kernarg_segment_ptr 1
		.amdhsa_user_sgpr_dispatch_id 0
		.amdhsa_user_sgpr_flat_scratch_init 0
		.amdhsa_user_sgpr_kernarg_preload_length 0
		.amdhsa_user_sgpr_kernarg_preload_offset 0
		.amdhsa_user_sgpr_private_segment_size 0
		.amdhsa_uses_dynamic_stack 0
		.amdhsa_system_sgpr_private_segment_wavefront_offset 0
		.amdhsa_system_sgpr_workgroup_id_x 1
		.amdhsa_system_sgpr_workgroup_id_y 0
		.amdhsa_system_sgpr_workgroup_id_z 0
		.amdhsa_system_sgpr_workgroup_info 0
		.amdhsa_system_vgpr_workitem_id 0
		.amdhsa_next_free_vgpr 19
		.amdhsa_next_free_sgpr 54
		.amdhsa_accum_offset 20
		.amdhsa_reserve_vcc 1
		.amdhsa_reserve_flat_scratch 0
		.amdhsa_float_round_mode_32 0
		.amdhsa_float_round_mode_16_64 0
		.amdhsa_float_denorm_mode_32 3
		.amdhsa_float_denorm_mode_16_64 3
		.amdhsa_dx10_clamp 1
		.amdhsa_ieee_mode 1
		.amdhsa_fp16_overflow 0
		.amdhsa_tg_split 0
		.amdhsa_exception_fp_ieee_invalid_op 0
		.amdhsa_exception_fp_denorm_src 0
		.amdhsa_exception_fp_ieee_div_zero 0
		.amdhsa_exception_fp_ieee_overflow 0
		.amdhsa_exception_fp_ieee_underflow 0
		.amdhsa_exception_fp_ieee_inexact 0
		.amdhsa_exception_int_div_zero 0
	.end_amdhsa_kernel
	.section	.text._ZN2at6native32elementwise_kernel_manual_unrollILi128ELi4EZNS0_15gpu_kernel_implIZZZNS0_23launch_dirichlet_kernelERNS_18TensorIteratorBaseEENKUlvE_clEvENKUlvE1_clEvEUlN3c104HalfES8_E_EEvS4_RKT_EUlibE_EEviT1_,"axG",@progbits,_ZN2at6native32elementwise_kernel_manual_unrollILi128ELi4EZNS0_15gpu_kernel_implIZZZNS0_23launch_dirichlet_kernelERNS_18TensorIteratorBaseEENKUlvE_clEvENKUlvE1_clEvEUlN3c104HalfES8_E_EEvS4_RKT_EUlibE_EEviT1_,comdat
.Lfunc_end47:
	.size	_ZN2at6native32elementwise_kernel_manual_unrollILi128ELi4EZNS0_15gpu_kernel_implIZZZNS0_23launch_dirichlet_kernelERNS_18TensorIteratorBaseEENKUlvE_clEvENKUlvE1_clEvEUlN3c104HalfES8_E_EEvS4_RKT_EUlibE_EEviT1_, .Lfunc_end47-_ZN2at6native32elementwise_kernel_manual_unrollILi128ELi4EZNS0_15gpu_kernel_implIZZZNS0_23launch_dirichlet_kernelERNS_18TensorIteratorBaseEENKUlvE_clEvENKUlvE1_clEvEUlN3c104HalfES8_E_EEvS4_RKT_EUlibE_EEviT1_
                                        ; -- End function
	.section	.AMDGPU.csdata,"",@progbits
; Kernel info:
; codeLenInByte = 54712
; NumSgprs: 58
; NumVgprs: 19
; NumAgprs: 0
; TotalNumVgprs: 19
; ScratchSize: 0
; MemoryBound: 0
; FloatMode: 240
; IeeeMode: 1
; LDSByteSize: 0 bytes/workgroup (compile time only)
; SGPRBlocks: 7
; VGPRBlocks: 2
; NumSGPRsForWavesPerEU: 58
; NumVGPRsForWavesPerEU: 19
; AccumOffset: 20
; Occupancy: 8
; WaveLimiterHint : 0
; COMPUTE_PGM_RSRC2:SCRATCH_EN: 0
; COMPUTE_PGM_RSRC2:USER_SGPR: 6
; COMPUTE_PGM_RSRC2:TRAP_HANDLER: 0
; COMPUTE_PGM_RSRC2:TGID_X_EN: 1
; COMPUTE_PGM_RSRC2:TGID_Y_EN: 0
; COMPUTE_PGM_RSRC2:TGID_Z_EN: 0
; COMPUTE_PGM_RSRC2:TIDIG_COMP_CNT: 0
; COMPUTE_PGM_RSRC3_GFX90A:ACCUM_OFFSET: 4
; COMPUTE_PGM_RSRC3_GFX90A:TG_SPLIT: 0
	.section	.text._ZN2at6native32elementwise_kernel_manual_unrollILi128ELi4EZNS0_15gpu_kernel_implIZZZNS0_23launch_dirichlet_kernelERNS_18TensorIteratorBaseEENKUlvE_clEvENKUlvE1_clEvEUlN3c104HalfES8_E_EEvS4_RKT_EUlibE0_EEviT1_,"axG",@progbits,_ZN2at6native32elementwise_kernel_manual_unrollILi128ELi4EZNS0_15gpu_kernel_implIZZZNS0_23launch_dirichlet_kernelERNS_18TensorIteratorBaseEENKUlvE_clEvENKUlvE1_clEvEUlN3c104HalfES8_E_EEvS4_RKT_EUlibE0_EEviT1_,comdat
	.globl	_ZN2at6native32elementwise_kernel_manual_unrollILi128ELi4EZNS0_15gpu_kernel_implIZZZNS0_23launch_dirichlet_kernelERNS_18TensorIteratorBaseEENKUlvE_clEvENKUlvE1_clEvEUlN3c104HalfES8_E_EEvS4_RKT_EUlibE0_EEviT1_ ; -- Begin function _ZN2at6native32elementwise_kernel_manual_unrollILi128ELi4EZNS0_15gpu_kernel_implIZZZNS0_23launch_dirichlet_kernelERNS_18TensorIteratorBaseEENKUlvE_clEvENKUlvE1_clEvEUlN3c104HalfES8_E_EEvS4_RKT_EUlibE0_EEviT1_
	.p2align	8
	.type	_ZN2at6native32elementwise_kernel_manual_unrollILi128ELi4EZNS0_15gpu_kernel_implIZZZNS0_23launch_dirichlet_kernelERNS_18TensorIteratorBaseEENKUlvE_clEvENKUlvE1_clEvEUlN3c104HalfES8_E_EEvS4_RKT_EUlibE0_EEviT1_,@function
_ZN2at6native32elementwise_kernel_manual_unrollILi128ELi4EZNS0_15gpu_kernel_implIZZZNS0_23launch_dirichlet_kernelERNS_18TensorIteratorBaseEENKUlvE_clEvENKUlvE1_clEvEUlN3c104HalfES8_E_EEvS4_RKT_EUlibE0_EEviT1_: ; @_ZN2at6native32elementwise_kernel_manual_unrollILi128ELi4EZNS0_15gpu_kernel_implIZZZNS0_23launch_dirichlet_kernelERNS_18TensorIteratorBaseEENKUlvE_clEvENKUlvE1_clEvEUlN3c104HalfES8_E_EEvS4_RKT_EUlibE0_EEviT1_
; %bb.0:
	s_load_dword s66, s[4:5], 0x0
	s_load_dword s33, s[4:5], 0x8
	s_or_b32 s2, s4, 8
	v_lshl_or_b32 v8, s6, 9, v0
	v_or_b32_e32 v24, 0x180, v8
	s_mov_b32 s3, s5
	s_waitcnt lgkmcnt(0)
	s_add_i32 s68, s33, -1
	s_cmp_gt_u32 s68, 1
	v_cmp_le_i32_e32 vcc, s66, v24
	s_cselect_b64 s[20:21], -1, 0
	s_mov_b64 s[6:7], 0
	s_mov_b64 s[12:13], 0
	s_and_saveexec_b64 s[0:1], vcc
	s_xor_b64 s[22:23], exec, s[0:1]
	s_cbranch_execz .LBB48_1585
; %bb.1:
	v_mov_b32_e32 v0, 0
	global_load_ushort v6, v0, s[2:3] offset:417
	global_load_sbyte v7, v0, s[2:3] offset:419
	s_load_dwordx4 s[16:19], s[2:3], 0x4
	s_load_dwordx2 s[28:29], s[2:3], 0x14
	s_load_dwordx4 s[12:15], s[2:3], 0xc4
	s_load_dwordx2 s[26:27], s[2:3], 0xd4
	s_load_dwordx2 s[24:25], s[2:3], 0x198
	s_load_dwordx4 s[8:11], s[2:3], 0x188
	s_cmp_lg_u32 s33, 0
	s_cselect_b64 s[34:35], -1, 0
	s_min_u32 s69, s68, 15
	s_cmp_gt_u32 s33, 1
	v_cmp_gt_i32_e32 vcc, s66, v8
	s_mov_b64 s[0:1], -1
	s_mov_b64 s[46:47], 0
	s_mov_b64 s[40:41], 0
	;; [unrolled: 1-line block ×3, first 2 shown]
	s_cselect_b64 s[30:31], -1, 0
	s_mov_b64 s[36:37], 0
	s_waitcnt vmcnt(1)
	v_lshrrev_b32_e32 v9, 8, v6
	s_and_saveexec_b64 s[42:43], vcc
	s_cbranch_execz .LBB48_393
; %bb.2:
	s_andn2_b64 vcc, exec, s[20:21]
	s_cbranch_vccnz .LBB48_9
; %bb.3:
	s_andn2_b64 vcc, exec, s[34:35]
	v_mov_b32_e32 v2, 0
	v_mov_b32_e32 v4, 0
	;; [unrolled: 1-line block ×3, first 2 shown]
	s_cbranch_vccnz .LBB48_8
; %bb.4:
	s_add_i32 s0, s69, 1
	s_and_b32 s36, s0, 30
	s_add_u32 s0, s2, 0xffffffec
	s_addc_u32 s1, s3, -1
	v_mov_b32_e32 v0, 0
	v_mov_b32_e32 v1, v8
	;; [unrolled: 1-line block ×4, first 2 shown]
.LBB48_5:                               ; =>This Inner Loop Header: Depth=1
	s_mov_b64 s[38:39], s[0:1]
	s_load_dwordx4 s[48:51], s[38:39], 0x18
	s_load_dwordx2 s[40:41], s[38:39], 0x28
	s_load_dwordx2 s[44:45], s[38:39], 0xe8
	s_load_dwordx4 s[52:55], s[38:39], 0xd8
	s_add_u32 s0, s38, 24
	s_waitcnt lgkmcnt(0)
	v_mul_hi_u32 v3, s49, v1
	v_add_u32_e32 v3, v1, v3
	v_lshrrev_b32_e32 v3, s50, v3
	v_mul_lo_u32 v5, v3, s48
	v_mul_hi_u32 v10, s40, v3
	v_sub_u32_e32 v1, v1, v5
	v_add_u32_e32 v5, v3, v10
	v_mul_lo_u32 v10, v1, s52
	v_mul_lo_u32 v11, v1, s53
	v_mul_lo_u32 v12, v1, s54
	v_lshrrev_b32_e32 v1, s41, v5
	v_mul_lo_u32 v5, v1, s51
	v_sub_u32_e32 v3, v3, v5
	s_addc_u32 s1, s39, 0
	s_add_i32 s36, s36, -2
	v_mul_lo_u32 v5, v3, s55
	v_mul_lo_u32 v13, v3, s44
	v_mul_lo_u32 v3, v3, s45
	s_cmp_lg_u32 s36, 0
	v_add3_u32 v0, v10, v0, v5
	v_add3_u32 v2, v12, v2, v3
	;; [unrolled: 1-line block ×3, first 2 shown]
	s_cbranch_scc1 .LBB48_5
; %bb.6:
	s_bitcmp1_b32 s69, 0
	s_cselect_b64 s[36:37], -1, 0
	s_and_b64 vcc, exec, s[36:37]
	s_cbranch_vccnz .LBB48_8
; %bb.7:
	s_load_dwordx2 s[36:37], s[0:1], 0x18
	s_load_dword s38, s[0:1], 0x20
	s_load_dword s39, s[0:1], 0xe0
	s_nop 0
	s_load_dwordx2 s[0:1], s[0:1], 0xd8
	s_waitcnt lgkmcnt(0)
	v_mul_hi_u32 v3, s37, v1
	v_add_u32_e32 v3, v1, v3
	v_lshrrev_b32_e32 v3, s38, v3
	v_mul_lo_u32 v3, v3, s36
	v_sub_u32_e32 v3, v1, v3
	v_mad_u64_u32 v[0:1], s[36:37], v3, s0, v[0:1]
	v_mad_u64_u32 v[4:5], s[0:1], v3, s1, v[4:5]
	;; [unrolled: 1-line block ×3, first 2 shown]
.LBB48_8:
	s_cbranch_execz .LBB48_10
	s_branch .LBB48_12
.LBB48_9:
                                        ; implicit-def: $vgpr2
                                        ; implicit-def: $vgpr4
                                        ; implicit-def: $vgpr0
	s_andn2_b64 vcc, exec, s[0:1]
	s_cbranch_vccnz .LBB48_12
.LBB48_10:
	s_waitcnt lgkmcnt(0)
	v_mul_hi_u32 v0, s17, v8
	v_add_u32_e32 v0, v8, v0
	v_lshrrev_b32_e32 v1, s18, v0
	v_mul_lo_u32 v0, v1, s16
	v_sub_u32_e32 v3, v8, v0
	v_mul_lo_u32 v0, v3, s12
	v_mul_lo_u32 v2, v3, s14
	s_andn2_b64 vcc, exec, s[30:31]
	v_mul_lo_u32 v4, v3, s13
	s_cbranch_vccnz .LBB48_12
; %bb.11:
	v_mul_hi_u32 v3, s28, v1
	v_add_u32_e32 v3, v1, v3
	v_lshrrev_b32_e32 v3, s29, v3
	v_mul_lo_u32 v3, v3, s19
	v_sub_u32_e32 v3, v1, v3
	v_mad_u64_u32 v[0:1], s[0:1], v3, s15, v[0:1]
	v_mad_u64_u32 v[4:5], s[0:1], v3, s26, v[4:5]
	;; [unrolled: 1-line block ×3, first 2 shown]
.LBB48_12:
	s_waitcnt lgkmcnt(0)
	v_mov_b32_e32 v1, s11
	v_add_co_u32_e32 v4, vcc, s10, v4
	v_addc_co_u32_e32 v5, vcc, 0, v1, vcc
	v_mov_b32_e32 v1, 11
	v_cmp_lt_i16_sdwa s[0:1], v9, v1 src0_sel:BYTE_0 src1_sel:DWORD
	s_and_b64 vcc, exec, s[0:1]
	s_cbranch_vccnz .LBB48_19
; %bb.13:
	v_mov_b32_e32 v1, 25
	v_cmp_gt_i16_sdwa s[0:1], v9, v1 src0_sel:BYTE_0 src1_sel:DWORD
	s_and_b64 vcc, exec, s[0:1]
	s_cbranch_vccz .LBB48_28
; %bb.14:
	v_mov_b32_e32 v1, 28
	v_cmp_gt_i16_sdwa s[0:1], v9, v1 src0_sel:BYTE_0 src1_sel:DWORD
	s_and_b64 vcc, exec, s[0:1]
	s_cbranch_vccz .LBB48_38
; %bb.15:
	v_mov_b32_e32 v1, 43
	v_cmp_gt_i16_sdwa s[0:1], v9, v1 src0_sel:BYTE_0 src1_sel:DWORD
	s_and_b64 vcc, exec, s[0:1]
	s_cbranch_vccz .LBB48_41
; %bb.16:
	v_mov_b32_e32 v1, 45
	v_cmp_gt_i16_sdwa s[0:1], v9, v1 src0_sel:BYTE_0 src1_sel:DWORD
	s_and_b64 vcc, exec, s[0:1]
	s_cbranch_vccz .LBB48_44
; %bb.17:
	v_mov_b32_e32 v1, 46
	v_cmp_eq_u16_sdwa s[0:1], v9, v1 src0_sel:BYTE_0 src1_sel:DWORD
	s_mov_b64 s[36:37], 0
	s_and_b64 vcc, exec, s[0:1]
	s_cbranch_vccz .LBB48_47
; %bb.18:
	global_load_dword v1, v[4:5], off
	s_mov_b64 s[0:1], -1
	s_mov_b64 s[40:41], 0
	s_waitcnt vmcnt(0)
	v_lshlrev_b32_e32 v1, 16, v1
	v_cvt_f16_f32_e32 v1, v1
	s_branch .LBB48_49
.LBB48_19:
	s_mov_b64 s[40:41], 0
                                        ; implicit-def: $vgpr1
	s_mov_b64 s[0:1], 0
	s_cbranch_execnz .LBB48_115
.LBB48_20:
	s_andn2_b64 vcc, exec, s[0:1]
	s_cbranch_vccnz .LBB48_162
.LBB48_21:
	v_mov_b32_e32 v3, s25
	v_add_co_u32_e32 v2, vcc, s24, v2
	v_mov_b32_e32 v4, 11
	v_addc_co_u32_e32 v3, vcc, 0, v3, vcc
	s_waitcnt vmcnt(0)
	v_cmp_lt_i16_sdwa s[0:1], v7, v4 src0_sel:BYTE_0 src1_sel:DWORD
	s_and_b64 vcc, exec, s[0:1]
	s_cbranch_vccnz .LBB48_29
; %bb.22:
	v_mov_b32_e32 v4, 25
	v_cmp_gt_i16_sdwa s[0:1], v7, v4 src0_sel:BYTE_0 src1_sel:DWORD
	s_and_b64 vcc, exec, s[0:1]
	s_cbranch_vccz .LBB48_39
; %bb.23:
	v_mov_b32_e32 v4, 28
	v_cmp_gt_i16_sdwa s[0:1], v7, v4 src0_sel:BYTE_0 src1_sel:DWORD
	s_and_b64 vcc, exec, s[0:1]
	s_cbranch_vccz .LBB48_42
	;; [unrolled: 5-line block ×4, first 2 shown]
; %bb.26:
	v_mov_b32_e32 v4, 46
	v_cmp_eq_u16_sdwa s[0:1], v7, v4 src0_sel:BYTE_0 src1_sel:DWORD
	s_mov_b64 s[36:37], 0
	s_and_b64 vcc, exec, s[0:1]
	s_cbranch_vccz .LBB48_163
; %bb.27:
	global_load_dword v4, v[2:3], off
	s_mov_b64 s[0:1], -1
	s_mov_b64 s[38:39], 0
	s_waitcnt vmcnt(0)
	v_lshlrev_b32_e32 v4, 16, v4
	v_cvt_f16_f32_e32 v4, v4
	s_branch .LBB48_165
.LBB48_28:
	s_mov_b64 s[40:41], 0
	s_mov_b64 s[0:1], 0
                                        ; implicit-def: $vgpr1
	s_cbranch_execnz .LBB48_80
	s_branch .LBB48_114
.LBB48_29:
	s_mov_b64 s[38:39], 0
                                        ; implicit-def: $vgpr4
	s_mov_b64 s[0:1], 0
	s_cbranch_execnz .LBB48_342
.LBB48_30:
	s_andn2_b64 vcc, exec, s[0:1]
	s_cbranch_vccnz .LBB48_390
.LBB48_31:
	s_waitcnt vmcnt(0)
	v_cvt_f32_f16_e32 v2, v4
	v_cvt_f32_f16_e32 v3, v1
	s_movk_i32 s0, 0x400
	v_mov_b32_e32 v10, 0x400
	v_rcp_f32_e32 v5, v2
	s_movk_i32 s1, 0x3bfe
	v_mul_f32_e32 v11, v3, v5
	v_mad_f32 v12, -v2, v11, v3
	v_mac_f32_e32 v11, v12, v5
	v_mad_f32 v2, -v2, v11, v3
	v_mul_f32_e32 v2, v2, v5
	v_and_b32_e32 v2, 0xff800000, v2
	v_add_f32_e32 v2, v2, v11
	v_cvt_f16_f32_e32 v2, v2
	v_mov_b32_e32 v3, 0x3bfe
	v_mov_b32_e32 v5, s9
	v_div_fixup_f16 v1, v2, v4, v1
	v_cmp_ngt_f16_e32 vcc, s0, v1
	v_cndmask_b32_e32 v1, v10, v1, vcc
	v_cmp_nlt_f16_e32 vcc, s1, v1
	v_cndmask_b32_e32 v2, v3, v1, vcc
	v_add_co_u32_e32 v0, vcc, s8, v0
	v_mov_b32_e32 v3, 11
	v_addc_co_u32_e32 v1, vcc, 0, v5, vcc
	v_cmp_lt_i16_sdwa s[0:1], v6, v3 src0_sel:BYTE_0 src1_sel:DWORD
	s_and_b64 vcc, exec, s[0:1]
	s_cbranch_vccnz .LBB48_40
; %bb.32:
	v_mov_b32_e32 v3, 25
	v_cmp_gt_i16_sdwa s[0:1], v6, v3 src0_sel:BYTE_0 src1_sel:DWORD
	s_and_b64 vcc, exec, s[0:1]
	s_cbranch_vccz .LBB48_43
; %bb.33:
	v_mov_b32_e32 v3, 28
	v_cmp_gt_i16_sdwa s[0:1], v6, v3 src0_sel:BYTE_0 src1_sel:DWORD
	s_and_b64 vcc, exec, s[0:1]
	s_cbranch_vccz .LBB48_46
	;; [unrolled: 5-line block ×4, first 2 shown]
; %bb.36:
	v_mov_b32_e32 v3, 46
	v_cmp_eq_u16_sdwa s[36:37], v6, v3 src0_sel:BYTE_0 src1_sel:DWORD
	s_mov_b64 s[44:45], 0
	s_mov_b64 s[0:1], -1
	s_and_b64 vcc, exec, s[36:37]
	s_mov_b64 s[36:37], 0
	s_cbranch_vccz .LBB48_169
; %bb.37:
	v_cvt_f32_f16_e32 v3, v2
	s_movk_i32 s0, 0x7fff
	v_mov_b32_e32 v4, 0x7fc0
	v_cmp_o_f16_e32 vcc, v2, v2
	v_bfe_u32 v5, v3, 16, 1
	v_add3_u32 v3, v3, v5, s0
	v_lshrrev_b32_e32 v3, 16, v3
	v_cndmask_b32_e32 v3, v4, v3, vcc
	global_store_dword v[0:1], v3, off
	s_mov_b64 s[36:37], -1
	s_mov_b64 s[0:1], 0
	s_branch .LBB48_169
.LBB48_38:
	s_mov_b64 s[36:37], -1
	s_mov_b64 s[40:41], 0
	s_mov_b64 s[0:1], 0
                                        ; implicit-def: $vgpr1
	s_branch .LBB48_61
.LBB48_39:
	s_mov_b64 s[36:37], -1
	s_mov_b64 s[38:39], 0
	s_mov_b64 s[0:1], 0
                                        ; implicit-def: $vgpr4
	s_branch .LBB48_306
.LBB48_40:
	s_mov_b64 s[44:45], -1
	s_mov_b64 s[0:1], 0
	s_mov_b64 s[36:37], 0
	s_branch .LBB48_238
.LBB48_41:
	s_mov_b64 s[36:37], -1
	s_mov_b64 s[40:41], 0
	s_mov_b64 s[0:1], 0
                                        ; implicit-def: $vgpr1
	s_branch .LBB48_56
.LBB48_42:
	s_mov_b64 s[36:37], -1
	s_mov_b64 s[38:39], 0
	s_mov_b64 s[0:1], 0
                                        ; implicit-def: $vgpr4
	s_branch .LBB48_287
.LBB48_43:
	s_mov_b64 s[44:45], -1
	s_mov_b64 s[0:1], 0
	s_mov_b64 s[36:37], 0
	s_branch .LBB48_196
.LBB48_44:
	s_mov_b64 s[36:37], -1
	s_mov_b64 s[40:41], 0
	s_branch .LBB48_48
.LBB48_45:
	s_mov_b64 s[36:37], -1
	s_mov_b64 s[38:39], 0
	s_mov_b64 s[0:1], 0
                                        ; implicit-def: $vgpr4
	s_branch .LBB48_282
.LBB48_46:
	s_mov_b64 s[44:45], -1
	s_mov_b64 s[0:1], 0
	s_mov_b64 s[36:37], 0
	s_branch .LBB48_179
.LBB48_47:
	s_mov_b64 s[40:41], -1
.LBB48_48:
	s_mov_b64 s[0:1], 0
                                        ; implicit-def: $vgpr1
.LBB48_49:
	s_and_b64 vcc, exec, s[36:37]
	s_cbranch_vccz .LBB48_55
; %bb.50:
	v_mov_b32_e32 v1, 44
	v_cmp_eq_u16_sdwa s[36:37], v9, v1 src0_sel:BYTE_0 src1_sel:DWORD
	s_and_b64 vcc, exec, s[36:37]
	s_cbranch_vccz .LBB48_54
; %bb.51:
	global_load_ubyte v1, v[4:5], off
	s_movk_i32 s36, 0xff
	v_mov_b32_e32 v10, 0x7e00
	s_mov_b64 s[0:1], -1
	s_mov_b64 s[40:41], 0
	s_waitcnt vmcnt(0)
	v_lshlrev_b32_e32 v3, 23, v1
	v_cvt_f16_f32_e32 v3, v3
	v_cmp_ne_u32_e32 vcc, s36, v1
	v_cndmask_b32_e32 v3, v10, v3, vcc
	v_cmp_ne_u32_e32 vcc, 0, v1
	v_cndmask_b32_e32 v1, 0, v3, vcc
	s_branch .LBB48_55
.LBB48_52:
	s_mov_b64 s[36:37], -1
	s_mov_b64 s[38:39], 0
	s_branch .LBB48_164
.LBB48_53:
	s_mov_b64 s[44:45], -1
	s_mov_b64 s[0:1], 0
	s_mov_b64 s[36:37], 0
	s_branch .LBB48_175
.LBB48_54:
	s_mov_b64 s[40:41], -1
                                        ; implicit-def: $vgpr1
.LBB48_55:
	s_mov_b64 s[36:37], 0
.LBB48_56:
	s_and_b64 vcc, exec, s[36:37]
	s_cbranch_vccz .LBB48_60
; %bb.57:
	v_mov_b32_e32 v1, 29
	v_cmp_eq_u16_sdwa s[36:37], v9, v1 src0_sel:BYTE_0 src1_sel:DWORD
	s_and_b64 vcc, exec, s[36:37]
	s_cbranch_vccz .LBB48_59
; %bb.58:
	global_load_dwordx2 v[10:11], v[4:5], off
	s_mov_b64 s[0:1], -1
	s_mov_b64 s[40:41], 0
	s_mov_b64 s[36:37], 0
	s_waitcnt vmcnt(0)
	v_ffbh_u32_e32 v1, v11
	v_min_u32_e32 v1, 32, v1
	v_lshlrev_b64 v[10:11], v1, v[10:11]
	v_min_u32_e32 v3, 1, v10
	v_or_b32_e32 v3, v11, v3
	v_cvt_f32_u32_e32 v3, v3
	v_sub_u32_e32 v1, 32, v1
	v_ldexp_f32 v1, v3, v1
	v_cvt_f16_f32_e32 v1, v1
	s_branch .LBB48_61
.LBB48_59:
	s_mov_b64 s[40:41], -1
                                        ; implicit-def: $vgpr1
.LBB48_60:
	s_mov_b64 s[36:37], 0
.LBB48_61:
	s_and_b64 vcc, exec, s[36:37]
	s_cbranch_vccz .LBB48_79
; %bb.62:
	v_mov_b32_e32 v1, 27
	v_cmp_lt_i16_sdwa s[0:1], v9, v1 src0_sel:BYTE_0 src1_sel:DWORD
	s_and_b64 vcc, exec, s[0:1]
	s_cbranch_vccnz .LBB48_65
; %bb.63:
	v_cmp_gt_i16_sdwa s[0:1], v9, v1 src0_sel:BYTE_0 src1_sel:DWORD
	s_and_b64 vcc, exec, s[0:1]
	s_cbranch_vccz .LBB48_66
; %bb.64:
	global_load_dword v1, v[4:5], off
	s_mov_b64 s[0:1], 0
	s_waitcnt vmcnt(0)
	v_cvt_f32_u32_e32 v1, v1
	v_cvt_f16_f32_e32 v1, v1
	s_branch .LBB48_67
.LBB48_65:
	s_mov_b64 s[0:1], -1
                                        ; implicit-def: $vgpr1
	s_branch .LBB48_70
.LBB48_66:
	s_mov_b64 s[0:1], -1
                                        ; implicit-def: $vgpr1
.LBB48_67:
	s_andn2_b64 vcc, exec, s[0:1]
	s_cbranch_vccnz .LBB48_69
; %bb.68:
	global_load_ushort v1, v[4:5], off
	s_waitcnt vmcnt(0)
	v_cvt_f16_u16_e32 v1, v1
.LBB48_69:
	s_mov_b64 s[0:1], 0
.LBB48_70:
	s_andn2_b64 vcc, exec, s[0:1]
	s_cbranch_vccnz .LBB48_78
; %bb.71:
	global_load_ubyte v3, v[4:5], off
	s_movk_i32 s0, 0x7f
                                        ; implicit-def: $sgpr44
	s_waitcnt vmcnt(0)
	v_cmp_lt_i16_e32 vcc, s0, v3
	s_mov_b64 s[0:1], 0
	s_and_saveexec_b64 s[36:37], vcc
	s_xor_b64 s[36:37], exec, s[36:37]
	s_cbranch_execz .LBB48_91
; %bb.72:
	s_movk_i32 s0, 0x80
	v_cmp_eq_u16_e32 vcc, s0, v3
	s_mov_b64 s[0:1], -1
                                        ; implicit-def: $sgpr44
	s_and_saveexec_b64 s[38:39], vcc
; %bb.73:
	s_movk_i32 s44, 0x7e00
	s_xor_b64 s[0:1], exec, -1
; %bb.74:
	s_or_b64 exec, exec, s[38:39]
	s_and_b64 s[0:1], s[0:1], exec
	s_or_saveexec_b64 s[36:37], s[36:37]
	v_mov_b32_e32 v1, s44
	s_xor_b64 exec, exec, s[36:37]
	s_cbranch_execnz .LBB48_92
.LBB48_75:
	s_or_b64 exec, exec, s[36:37]
	s_and_saveexec_b64 s[36:37], s[0:1]
	s_cbranch_execz .LBB48_77
.LBB48_76:
	v_lshlrev_b32_e32 v1, 24, v3
	v_and_b32_e32 v3, 0xffff, v3
	v_and_b32_e32 v10, 7, v3
	v_ffbh_u32_e32 v12, v10
	v_min_u32_e32 v12, 32, v12
	v_subrev_u32_e32 v13, 28, v12
	v_bfe_u32 v11, v3, 3, 4
	v_lshlrev_b32_e32 v3, v13, v3
	v_sub_u32_e32 v12, 29, v12
	v_and_b32_e32 v3, 7, v3
	v_cmp_eq_u32_e32 vcc, 0, v11
	v_cndmask_b32_e32 v11, v11, v12, vcc
	v_cndmask_b32_e32 v3, v10, v3, vcc
	v_mov_b32_e32 v10, 0x3b800000
	v_lshlrev_b32_e32 v3, 20, v3
	v_and_b32_e32 v1, 0x80000000, v1
	v_lshl_add_u32 v10, v11, 23, v10
	v_or3_b32 v1, v1, v10, v3
	v_cvt_f16_f32_e32 v1, v1
.LBB48_77:
	s_or_b64 exec, exec, s[36:37]
.LBB48_78:
	s_mov_b64 s[0:1], -1
.LBB48_79:
	s_branch .LBB48_114
.LBB48_80:
	v_mov_b32_e32 v1, 22
	v_cmp_gt_i16_sdwa s[36:37], v9, v1 src0_sel:BYTE_0 src1_sel:DWORD
	s_and_b64 vcc, exec, s[36:37]
	s_cbranch_vccz .LBB48_90
; %bb.81:
	v_mov_b32_e32 v1, 24
	v_cmp_lt_i16_sdwa s[0:1], v9, v1 src0_sel:BYTE_0 src1_sel:DWORD
	s_and_b64 vcc, exec, s[0:1]
	s_cbranch_vccnz .LBB48_93
; %bb.82:
	v_cmp_gt_i16_sdwa s[0:1], v9, v1 src0_sel:BYTE_0 src1_sel:DWORD
	s_and_b64 vcc, exec, s[0:1]
	s_cbranch_vccz .LBB48_94
; %bb.83:
	global_load_ubyte v3, v[4:5], off
	s_movk_i32 s0, 0x7f
                                        ; implicit-def: $sgpr44
	s_waitcnt vmcnt(0)
	v_cmp_lt_i16_e32 vcc, s0, v3
	s_mov_b64 s[0:1], 0
	s_and_saveexec_b64 s[36:37], vcc
	s_xor_b64 s[36:37], exec, s[36:37]
	s_cbranch_execz .LBB48_106
; %bb.84:
	s_movk_i32 s0, 0x80
	v_cmp_eq_u16_e32 vcc, s0, v3
	s_mov_b64 s[0:1], -1
                                        ; implicit-def: $sgpr44
	s_and_saveexec_b64 s[38:39], vcc
; %bb.85:
	s_movk_i32 s44, 0x7e00
	s_xor_b64 s[0:1], exec, -1
; %bb.86:
	s_or_b64 exec, exec, s[38:39]
	s_and_b64 s[0:1], s[0:1], exec
	s_or_saveexec_b64 s[36:37], s[36:37]
	v_mov_b32_e32 v1, s44
	s_xor_b64 exec, exec, s[36:37]
	s_cbranch_execnz .LBB48_107
.LBB48_87:
	s_or_b64 exec, exec, s[36:37]
	s_and_saveexec_b64 s[36:37], s[0:1]
	s_cbranch_execz .LBB48_89
.LBB48_88:
	v_lshlrev_b32_e32 v1, 24, v3
	v_and_b32_e32 v3, 0xffff, v3
	v_and_b32_e32 v10, 3, v3
	v_ffbh_u32_e32 v12, v10
	v_min_u32_e32 v12, 32, v12
	v_subrev_u32_e32 v13, 29, v12
	v_bfe_u32 v11, v3, 2, 5
	v_lshlrev_b32_e32 v3, v13, v3
	v_sub_u32_e32 v12, 30, v12
	v_and_b32_e32 v3, 3, v3
	v_cmp_eq_u32_e32 vcc, 0, v11
	v_cndmask_b32_e32 v11, v11, v12, vcc
	v_cndmask_b32_e32 v3, v10, v3, vcc
	v_mov_b32_e32 v10, 0x37800000
	v_lshlrev_b32_e32 v3, 21, v3
	v_and_b32_e32 v1, 0x80000000, v1
	v_lshl_add_u32 v10, v11, 23, v10
	v_or3_b32 v1, v1, v10, v3
	v_cvt_f16_f32_e32 v1, v1
.LBB48_89:
	s_or_b64 exec, exec, s[36:37]
	s_mov_b64 s[0:1], 0
	s_branch .LBB48_95
.LBB48_90:
	s_mov_b64 s[36:37], -1
                                        ; implicit-def: $vgpr1
	s_branch .LBB48_101
.LBB48_91:
	s_or_saveexec_b64 s[36:37], s[36:37]
	v_mov_b32_e32 v1, s44
	s_xor_b64 exec, exec, s[36:37]
	s_cbranch_execz .LBB48_75
.LBB48_92:
	v_cmp_ne_u16_e32 vcc, 0, v3
	s_andn2_b64 s[0:1], s[0:1], exec
	s_and_b64 s[38:39], vcc, exec
	s_or_b64 s[0:1], s[0:1], s[38:39]
	v_mov_b32_e32 v1, v3
	s_or_b64 exec, exec, s[36:37]
	s_and_saveexec_b64 s[36:37], s[0:1]
	s_cbranch_execnz .LBB48_76
	s_branch .LBB48_77
.LBB48_93:
	s_mov_b64 s[0:1], -1
                                        ; implicit-def: $vgpr1
	s_branch .LBB48_98
.LBB48_94:
	s_mov_b64 s[0:1], -1
                                        ; implicit-def: $vgpr1
.LBB48_95:
	s_and_b64 vcc, exec, s[0:1]
	s_cbranch_vccz .LBB48_97
; %bb.96:
	global_load_ubyte v1, v[4:5], off
	s_mov_b32 s0, 0x7f800000
	s_waitcnt vmcnt(0)
	v_lshlrev_b32_e32 v1, 24, v1
	v_and_b32_e32 v3, 0x7f000000, v1
	v_ffbh_u32_e32 v10, v3
	v_min_u32_e32 v10, 32, v10
	v_sub_u32_e64 v10, v10, 4 clamp
	v_lshlrev_b32_e32 v12, v10, v3
	v_lshlrev_b32_e32 v10, 23, v10
	v_lshrrev_b32_e32 v12, 4, v12
	v_add_u32_e32 v11, 0x1000000, v3
	v_sub_u32_e32 v10, v12, v10
	v_ashrrev_i32_e32 v11, 8, v11
	v_add_u32_e32 v10, 0x3c000000, v10
	v_and_or_b32 v10, v11, s0, v10
	v_cmp_ne_u32_e32 vcc, 0, v3
	v_cndmask_b32_e32 v3, 0, v10, vcc
	s_brev_b32 s0, 1
	v_and_or_b32 v1, v1, s0, v3
	v_cvt_f16_f32_e32 v1, v1
.LBB48_97:
	s_mov_b64 s[0:1], 0
.LBB48_98:
	s_andn2_b64 vcc, exec, s[0:1]
	s_cbranch_vccnz .LBB48_100
; %bb.99:
	global_load_ubyte v1, v[4:5], off
	s_movk_i32 s0, 0x7f00
	s_brev_b32 s1, 16
	s_waitcnt vmcnt(0)
	v_lshlrev_b16_e32 v3, 8, v1
	v_lshlrev_b32_e32 v1, 25, v1
	v_lshrrev_b32_e32 v10, 4, v1
	v_and_or_b32 v11, v3, s0, 0.5
	v_or_b32_e32 v10, 0x70000000, v10
	v_add_f32_e32 v11, -0.5, v11
	v_mul_f32_e32 v10, 0x7800000, v10
	v_cmp_gt_u32_e32 vcc, s1, v1
	v_bfe_i32 v3, v3, 0, 16
	v_cndmask_b32_e32 v1, v10, v11, vcc
	s_brev_b32 s0, 1
	v_and_or_b32 v1, v3, s0, v1
	v_cvt_f16_f32_e32 v1, v1
.LBB48_100:
	s_mov_b64 s[36:37], 0
	s_mov_b64 s[0:1], -1
.LBB48_101:
	s_andn2_b64 vcc, exec, s[36:37]
	s_cbranch_vccnz .LBB48_114
; %bb.102:
	v_mov_b32_e32 v1, 14
	v_cmp_gt_i16_sdwa s[36:37], v9, v1 src0_sel:BYTE_0 src1_sel:DWORD
	s_and_b64 vcc, exec, s[36:37]
	s_cbranch_vccz .LBB48_105
; %bb.103:
	v_mov_b32_e32 v1, 15
	v_cmp_eq_u16_sdwa s[36:37], v9, v1 src0_sel:BYTE_0 src1_sel:DWORD
	s_and_b64 vcc, exec, s[36:37]
	s_cbranch_vccz .LBB48_108
; %bb.104:
	global_load_ushort v1, v[4:5], off
	s_mov_b64 s[0:1], -1
	s_mov_b64 s[40:41], 0
	s_waitcnt vmcnt(0)
	v_lshlrev_b32_e32 v1, 16, v1
	v_cvt_f16_f32_e32 v1, v1
	s_branch .LBB48_109
.LBB48_105:
	s_mov_b64 s[36:37], -1
                                        ; implicit-def: $vgpr1
	s_branch .LBB48_110
.LBB48_106:
	s_or_saveexec_b64 s[36:37], s[36:37]
	v_mov_b32_e32 v1, s44
	s_xor_b64 exec, exec, s[36:37]
	s_cbranch_execz .LBB48_87
.LBB48_107:
	v_cmp_ne_u16_e32 vcc, 0, v3
	s_andn2_b64 s[0:1], s[0:1], exec
	s_and_b64 s[38:39], vcc, exec
	s_or_b64 s[0:1], s[0:1], s[38:39]
	v_mov_b32_e32 v1, v3
	s_or_b64 exec, exec, s[36:37]
	s_and_saveexec_b64 s[36:37], s[0:1]
	s_cbranch_execnz .LBB48_88
	s_branch .LBB48_89
.LBB48_108:
	s_mov_b64 s[40:41], -1
                                        ; implicit-def: $vgpr1
.LBB48_109:
	s_mov_b64 s[36:37], 0
.LBB48_110:
	s_and_b64 vcc, exec, s[36:37]
	s_cbranch_vccz .LBB48_114
; %bb.111:
	v_mov_b32_e32 v1, 11
	v_cmp_eq_u16_sdwa s[36:37], v9, v1 src0_sel:BYTE_0 src1_sel:DWORD
	s_and_b64 vcc, exec, s[36:37]
	s_cbranch_vccz .LBB48_113
; %bb.112:
	global_load_ubyte v1, v[4:5], off
	v_mov_b32_e32 v3, 0x3c00
	s_mov_b64 s[0:1], -1
	s_mov_b64 s[40:41], 0
	s_waitcnt vmcnt(0)
	v_cmp_ne_u16_e32 vcc, 0, v1
	v_cndmask_b32_e32 v1, 0, v3, vcc
	s_branch .LBB48_114
.LBB48_113:
	s_mov_b64 s[40:41], -1
                                        ; implicit-def: $vgpr1
.LBB48_114:
	s_branch .LBB48_20
.LBB48_115:
	v_mov_b32_e32 v1, 5
	v_cmp_lt_i16_sdwa s[0:1], v9, v1 src0_sel:BYTE_0 src1_sel:DWORD
	s_and_b64 vcc, exec, s[0:1]
	s_cbranch_vccnz .LBB48_120
; %bb.116:
	v_mov_b32_e32 v1, 8
	v_cmp_lt_i16_sdwa s[0:1], v9, v1 src0_sel:BYTE_0 src1_sel:DWORD
	s_and_b64 vcc, exec, s[0:1]
	s_cbranch_vccnz .LBB48_121
; %bb.117:
	;; [unrolled: 5-line block ×3, first 2 shown]
	v_cmp_gt_i16_sdwa s[0:1], v9, v1 src0_sel:BYTE_0 src1_sel:DWORD
	s_and_b64 vcc, exec, s[0:1]
	s_cbranch_vccz .LBB48_123
; %bb.119:
	global_load_dwordx2 v[10:11], v[4:5], off
	s_mov_b64 s[0:1], 0
	s_waitcnt vmcnt(0)
	v_cvt_f32_f64_e32 v1, v[10:11]
	v_cvt_f16_f32_e32 v1, v1
	s_branch .LBB48_124
.LBB48_120:
                                        ; implicit-def: $vgpr1
	s_branch .LBB48_142
.LBB48_121:
	s_mov_b64 s[0:1], -1
                                        ; implicit-def: $vgpr1
	s_branch .LBB48_130
.LBB48_122:
	s_mov_b64 s[0:1], -1
                                        ; implicit-def: $vgpr1
	s_branch .LBB48_127
.LBB48_123:
	s_mov_b64 s[0:1], -1
                                        ; implicit-def: $vgpr1
.LBB48_124:
	s_andn2_b64 vcc, exec, s[0:1]
	s_cbranch_vccnz .LBB48_126
; %bb.125:
	global_load_dword v1, v[4:5], off
	s_waitcnt vmcnt(0)
	v_cvt_f16_f32_e32 v1, v1
.LBB48_126:
	s_mov_b64 s[0:1], 0
.LBB48_127:
	s_andn2_b64 vcc, exec, s[0:1]
	s_cbranch_vccnz .LBB48_129
; %bb.128:
	global_load_dword v1, v[4:5], off
.LBB48_129:
	s_mov_b64 s[0:1], 0
.LBB48_130:
	s_andn2_b64 vcc, exec, s[0:1]
	s_cbranch_vccnz .LBB48_141
; %bb.131:
	s_waitcnt vmcnt(0)
	v_mov_b32_e32 v1, 6
	v_cmp_lt_i16_sdwa s[0:1], v9, v1 src0_sel:BYTE_0 src1_sel:DWORD
	s_and_b64 vcc, exec, s[0:1]
	s_cbranch_vccnz .LBB48_134
; %bb.132:
	v_cmp_gt_i16_sdwa s[0:1], v9, v1 src0_sel:BYTE_0 src1_sel:DWORD
	s_and_b64 vcc, exec, s[0:1]
	s_cbranch_vccz .LBB48_135
; %bb.133:
	global_load_dwordx2 v[10:11], v[4:5], off
	s_mov_b64 s[0:1], 0
	s_waitcnt vmcnt(0)
	v_cvt_f32_f64_e32 v1, v[10:11]
	v_cvt_f16_f32_e32 v1, v1
	s_branch .LBB48_136
.LBB48_134:
	s_mov_b64 s[0:1], -1
                                        ; implicit-def: $vgpr1
	s_branch .LBB48_139
.LBB48_135:
	s_mov_b64 s[0:1], -1
                                        ; implicit-def: $vgpr1
.LBB48_136:
	s_andn2_b64 vcc, exec, s[0:1]
	s_cbranch_vccnz .LBB48_138
; %bb.137:
	global_load_dword v1, v[4:5], off
	s_waitcnt vmcnt(0)
	v_cvt_f16_f32_e32 v1, v1
.LBB48_138:
	s_mov_b64 s[0:1], 0
.LBB48_139:
	s_andn2_b64 vcc, exec, s[0:1]
	s_cbranch_vccnz .LBB48_141
; %bb.140:
	global_load_ushort v1, v[4:5], off
.LBB48_141:
	s_cbranch_execnz .LBB48_161
.LBB48_142:
	s_waitcnt vmcnt(0)
	v_mov_b32_e32 v1, 2
	v_cmp_lt_i16_sdwa s[0:1], v9, v1 src0_sel:BYTE_0 src1_sel:DWORD
	s_and_b64 vcc, exec, s[0:1]
	s_cbranch_vccnz .LBB48_146
; %bb.143:
	v_mov_b32_e32 v1, 3
	v_cmp_lt_i16_sdwa s[0:1], v9, v1 src0_sel:BYTE_0 src1_sel:DWORD
	s_and_b64 vcc, exec, s[0:1]
	s_cbranch_vccnz .LBB48_147
; %bb.144:
	v_cmp_gt_i16_sdwa s[0:1], v9, v1 src0_sel:BYTE_0 src1_sel:DWORD
	s_and_b64 vcc, exec, s[0:1]
	s_cbranch_vccz .LBB48_148
; %bb.145:
	global_load_dwordx2 v[10:11], v[4:5], off
	s_mov_b64 s[0:1], 0
	s_waitcnt vmcnt(0)
	v_xor_b32_e32 v3, v10, v11
	v_ffbh_i32_e32 v1, v11
	v_ashrrev_i32_e32 v3, 31, v3
	v_add_u32_e32 v1, -1, v1
	v_add_u32_e32 v3, 32, v3
	v_min_u32_e32 v1, v1, v3
	v_lshlrev_b64 v[10:11], v1, v[10:11]
	v_min_u32_e32 v3, 1, v10
	v_or_b32_e32 v3, v11, v3
	v_cvt_f32_i32_e32 v3, v3
	v_sub_u32_e32 v1, 32, v1
	v_ldexp_f32 v1, v3, v1
	v_cvt_f16_f32_e32 v1, v1
	s_branch .LBB48_149
.LBB48_146:
	s_mov_b64 s[0:1], -1
                                        ; implicit-def: $vgpr1
	s_branch .LBB48_155
.LBB48_147:
	s_mov_b64 s[0:1], -1
                                        ; implicit-def: $vgpr1
	s_branch .LBB48_152
.LBB48_148:
	s_mov_b64 s[0:1], -1
                                        ; implicit-def: $vgpr1
.LBB48_149:
	s_andn2_b64 vcc, exec, s[0:1]
	s_cbranch_vccnz .LBB48_151
; %bb.150:
	global_load_dword v1, v[4:5], off
	s_waitcnt vmcnt(0)
	v_cvt_f32_i32_e32 v1, v1
	v_cvt_f16_f32_e32 v1, v1
.LBB48_151:
	s_mov_b64 s[0:1], 0
.LBB48_152:
	s_andn2_b64 vcc, exec, s[0:1]
	s_cbranch_vccnz .LBB48_154
; %bb.153:
	global_load_ushort v1, v[4:5], off
	s_waitcnt vmcnt(0)
	v_cvt_f16_i16_e32 v1, v1
.LBB48_154:
	s_mov_b64 s[0:1], 0
.LBB48_155:
	s_andn2_b64 vcc, exec, s[0:1]
	s_cbranch_vccnz .LBB48_161
; %bb.156:
	v_mov_b32_e32 v1, 0
	v_cmp_gt_i16_sdwa s[0:1], v9, v1 src0_sel:BYTE_0 src1_sel:DWORD
	s_and_b64 vcc, exec, s[0:1]
	s_cbranch_vccz .LBB48_158
; %bb.157:
	global_load_sbyte v1, v[4:5], off
	s_mov_b64 s[0:1], 0
	s_waitcnt vmcnt(0)
	v_cvt_f16_i16_e32 v1, v1
	s_branch .LBB48_159
.LBB48_158:
	s_mov_b64 s[0:1], -1
                                        ; implicit-def: $vgpr1
.LBB48_159:
	s_andn2_b64 vcc, exec, s[0:1]
	s_cbranch_vccnz .LBB48_161
; %bb.160:
	global_load_ubyte v1, v[4:5], off
	s_waitcnt vmcnt(0)
	v_cvt_f16_u16_e32 v1, v1
.LBB48_161:
	s_branch .LBB48_21
.LBB48_162:
	s_mov_b64 s[0:1], 0
	s_mov_b64 s[38:39], 0
	s_branch .LBB48_391
.LBB48_163:
	s_mov_b64 s[38:39], -1
.LBB48_164:
	s_mov_b64 s[0:1], 0
                                        ; implicit-def: $vgpr4
.LBB48_165:
	s_and_b64 vcc, exec, s[36:37]
	s_cbranch_vccz .LBB48_281
; %bb.166:
	v_mov_b32_e32 v4, 44
	v_cmp_eq_u16_sdwa s[36:37], v7, v4 src0_sel:BYTE_0 src1_sel:DWORD
	s_and_b64 vcc, exec, s[36:37]
	s_cbranch_vccz .LBB48_280
; %bb.167:
	global_load_ubyte v4, v[2:3], off
	s_movk_i32 s36, 0xff
	v_mov_b32_e32 v10, 0x7e00
	s_mov_b64 s[0:1], -1
	s_mov_b64 s[38:39], 0
	s_waitcnt vmcnt(0)
	v_lshlrev_b32_e32 v5, 23, v4
	v_cvt_f16_f32_e32 v5, v5
	v_cmp_ne_u32_e32 vcc, s36, v4
	v_cndmask_b32_e32 v5, v10, v5, vcc
	v_cmp_ne_u32_e32 vcc, 0, v4
	v_cndmask_b32_e32 v4, 0, v5, vcc
	s_branch .LBB48_281
.LBB48_168:
	s_mov_b64 s[44:45], -1
	s_mov_b64 s[0:1], 0
	s_mov_b64 s[36:37], 0
.LBB48_169:
	s_and_b64 vcc, exec, s[44:45]
	s_cbranch_vccz .LBB48_174
; %bb.170:
	v_mov_b32_e32 v3, 44
	v_cmp_eq_u16_sdwa s[44:45], v6, v3 src0_sel:BYTE_0 src1_sel:DWORD
	s_mov_b64 s[0:1], -1
	s_and_b64 vcc, exec, s[44:45]
	s_cbranch_vccz .LBB48_174
; %bb.171:
	v_cvt_f32_f16_e32 v3, v2
	s_movk_i32 s0, 0xff
	v_mov_b32_e32 v5, 0xff
	v_bfe_u32 v4, v3, 23, 8
	v_cmp_ne_u32_e32 vcc, s0, v4
	s_and_saveexec_b64 s[36:37], vcc
; %bb.172:
	s_mov_b32 s0, 0x3fffff
	v_lshrrev_b32_e32 v5, 23, v3
	v_and_b32_e32 v10, 0x400000, v3
	v_and_or_b32 v3, v3, s0, v4
	v_cmp_ne_u32_e32 vcc, 0, v10
	v_cmp_ne_u32_e64 s[0:1], 0, v3
	s_and_b64 s[0:1], vcc, s[0:1]
	v_cndmask_b32_e64 v3, 0, 1, s[0:1]
	v_add_u32_e32 v5, v5, v3
; %bb.173:
	s_or_b64 exec, exec, s[36:37]
	s_mov_b64 s[36:37], -1
	s_mov_b64 s[0:1], 0
	global_store_byte v[0:1], v5, off
.LBB48_174:
	s_mov_b64 s[44:45], 0
.LBB48_175:
	s_and_b64 vcc, exec, s[44:45]
	s_cbranch_vccz .LBB48_178
; %bb.176:
	v_mov_b32_e32 v3, 29
	v_cmp_eq_u16_sdwa s[44:45], v6, v3 src0_sel:BYTE_0 src1_sel:DWORD
	s_mov_b64 s[0:1], -1
	s_and_b64 vcc, exec, s[44:45]
	s_cbranch_vccz .LBB48_178
; %bb.177:
	v_cvt_f32_f16_e32 v3, v2
	v_mov_b32_e32 v5, 0
	s_mov_b64 s[36:37], -1
	s_mov_b64 s[0:1], 0
	v_cvt_u32_f32_e32 v4, v3
	s_mov_b64 s[44:45], 0
	global_store_dwordx2 v[0:1], v[4:5], off
	s_branch .LBB48_179
.LBB48_178:
	s_mov_b64 s[44:45], 0
.LBB48_179:
	s_and_b64 vcc, exec, s[44:45]
	s_cbranch_vccz .LBB48_195
; %bb.180:
	v_mov_b32_e32 v3, 27
	v_cmp_lt_i16_sdwa s[44:45], v6, v3 src0_sel:BYTE_0 src1_sel:DWORD
	s_mov_b64 s[36:37], -1
	s_and_b64 vcc, exec, s[44:45]
	s_cbranch_vccnz .LBB48_186
; %bb.181:
	v_cmp_gt_i16_sdwa s[44:45], v6, v3 src0_sel:BYTE_0 src1_sel:DWORD
	s_and_b64 vcc, exec, s[44:45]
	s_cbranch_vccz .LBB48_183
; %bb.182:
	v_cvt_f32_f16_e32 v3, v2
	s_mov_b64 s[36:37], 0
	v_cvt_u32_f32_e32 v3, v3
	global_store_dword v[0:1], v3, off
.LBB48_183:
	s_andn2_b64 vcc, exec, s[36:37]
	s_cbranch_vccnz .LBB48_185
; %bb.184:
	v_cvt_u16_f16_e32 v3, v2
	global_store_short v[0:1], v3, off
.LBB48_185:
	s_mov_b64 s[36:37], 0
.LBB48_186:
	s_andn2_b64 vcc, exec, s[36:37]
	s_cbranch_vccnz .LBB48_194
; %bb.187:
	v_cvt_f32_f16_e32 v3, v2
	s_mov_b32 s36, 0x43800000
	v_mov_b32_e32 v5, 0x80
	v_and_b32_e32 v4, 0x7fffffff, v3
	v_cmp_gt_u32_e32 vcc, s36, v4
	s_and_saveexec_b64 s[36:37], vcc
	s_cbranch_execz .LBB48_193
; %bb.188:
	s_mov_b32 s44, 0x3bffffff
	v_cmp_lt_u32_e32 vcc, s44, v4
	s_mov_b64 s[44:45], 0
                                        ; implicit-def: $vgpr4
	s_and_saveexec_b64 s[48:49], vcc
	s_xor_b64 s[48:49], exec, s[48:49]
	s_cbranch_execz .LBB48_432
; %bb.189:
	v_bfe_u32 v4, v3, 20, 1
	s_mov_b32 s50, 0x487ffff
	v_add3_u32 v4, v3, v4, s50
	s_mov_b64 s[44:45], exec
	v_lshrrev_b32_e32 v4, 20, v4
	s_or_saveexec_b64 s[48:49], s[48:49]
                                        ; implicit-def: $sgpr50
	s_xor_b64 exec, exec, s[48:49]
	s_cbranch_execnz .LBB48_433
.LBB48_190:
	s_or_b64 exec, exec, s[48:49]
	v_mov_b32_e32 v5, s50
	s_and_saveexec_b64 s[48:49], s[44:45]
.LBB48_191:
	v_lshrrev_b32_e32 v3, 24, v3
	s_movk_i32 s44, 0x80
	v_and_or_b32 v5, v3, s44, v4
.LBB48_192:
	s_or_b64 exec, exec, s[48:49]
.LBB48_193:
	s_or_b64 exec, exec, s[36:37]
	global_store_byte v[0:1], v5, off
.LBB48_194:
	s_mov_b64 s[36:37], -1
.LBB48_195:
	s_mov_b64 s[44:45], 0
.LBB48_196:
	s_and_b64 vcc, exec, s[44:45]
	s_cbranch_vccz .LBB48_237
; %bb.197:
	v_mov_b32_e32 v3, 22
	v_cmp_gt_i16_sdwa s[48:49], v6, v3 src0_sel:BYTE_0 src1_sel:DWORD
	s_mov_b64 s[44:45], -1
	s_and_b64 vcc, exec, s[48:49]
	s_cbranch_vccz .LBB48_229
; %bb.198:
	v_mov_b32_e32 v3, 24
	v_cmp_lt_i16_sdwa s[44:45], v6, v3 src0_sel:BYTE_0 src1_sel:DWORD
	s_mov_b64 s[36:37], -1
	s_and_b64 vcc, exec, s[44:45]
	s_cbranch_vccnz .LBB48_218
; %bb.199:
	v_cmp_gt_i16_sdwa s[44:45], v6, v3 src0_sel:BYTE_0 src1_sel:DWORD
	s_and_b64 vcc, exec, s[44:45]
	s_cbranch_vccz .LBB48_207
; %bb.200:
	v_cvt_f32_f16_e32 v3, v2
	s_mov_b32 s36, 0x47800000
	v_mov_b32_e32 v5, 0x80
	v_and_b32_e32 v4, 0x7fffffff, v3
	v_cmp_gt_u32_e32 vcc, s36, v4
	s_and_saveexec_b64 s[36:37], vcc
	s_cbranch_execz .LBB48_206
; %bb.201:
	s_mov_b32 s44, 0x37ffffff
	v_cmp_lt_u32_e32 vcc, s44, v4
	s_mov_b64 s[44:45], 0
                                        ; implicit-def: $vgpr4
	s_and_saveexec_b64 s[48:49], vcc
	s_xor_b64 s[48:49], exec, s[48:49]
	s_cbranch_execz .LBB48_551
; %bb.202:
	v_bfe_u32 v4, v3, 21, 1
	s_mov_b32 s50, 0x88fffff
	v_add3_u32 v4, v3, v4, s50
	s_mov_b64 s[44:45], exec
	v_lshrrev_b32_e32 v4, 21, v4
	s_or_saveexec_b64 s[48:49], s[48:49]
                                        ; implicit-def: $sgpr50
	s_xor_b64 exec, exec, s[48:49]
	s_cbranch_execnz .LBB48_552
.LBB48_203:
	s_or_b64 exec, exec, s[48:49]
	v_mov_b32_e32 v5, s50
	s_and_saveexec_b64 s[48:49], s[44:45]
.LBB48_204:
	v_lshrrev_b32_e32 v3, 24, v3
	s_movk_i32 s44, 0x80
	v_and_or_b32 v5, v3, s44, v4
.LBB48_205:
	s_or_b64 exec, exec, s[48:49]
.LBB48_206:
	s_or_b64 exec, exec, s[36:37]
	s_mov_b64 s[36:37], 0
	global_store_byte v[0:1], v5, off
.LBB48_207:
	s_and_b64 vcc, exec, s[36:37]
	s_cbranch_vccz .LBB48_217
; %bb.208:
	v_cvt_f32_f16_e32 v3, v2
	s_mov_b32 s36, 0x43f00000
                                        ; implicit-def: $vgpr4
	v_and_b32_e32 v5, 0x7fffffff, v3
	v_cmp_gt_u32_e32 vcc, s36, v5
	s_and_saveexec_b64 s[36:37], vcc
	s_xor_b64 s[36:37], exec, s[36:37]
	s_cbranch_execz .LBB48_214
; %bb.209:
	s_mov_b32 s44, 0x3c7fffff
	v_cmp_lt_u32_e32 vcc, s44, v5
                                        ; implicit-def: $vgpr4
	s_and_saveexec_b64 s[44:45], vcc
	s_xor_b64 s[44:45], exec, s[44:45]
; %bb.210:
	v_bfe_u32 v4, v3, 20, 1
	s_mov_b32 s48, 0x407ffff
	v_add3_u32 v4, v3, v4, s48
	v_lshrrev_b32_e32 v5, 20, v4
	v_and_b32_e32 v4, 0xff00000, v4
	s_mov_b32 s48, 0x7f00000
	v_mov_b32_e32 v10, 0x7e
	v_cmp_ne_u32_e32 vcc, s48, v4
	v_cndmask_b32_e32 v4, v10, v5, vcc
; %bb.211:
	s_andn2_saveexec_b64 s[44:45], s[44:45]
; %bb.212:
	s_mov_b32 s48, 0x46800000
	v_add_f32_e64 v4, |v3|, s48
; %bb.213:
	s_or_b64 exec, exec, s[44:45]
                                        ; implicit-def: $vgpr5
.LBB48_214:
	s_andn2_saveexec_b64 s[36:37], s[36:37]
; %bb.215:
	s_mov_b32 s44, 0x7f800000
	v_mov_b32_e32 v4, 0x7e
	v_mov_b32_e32 v10, 0x7f
	v_cmp_lt_u32_e32 vcc, s44, v5
	v_cndmask_b32_e32 v4, v4, v10, vcc
; %bb.216:
	s_or_b64 exec, exec, s[36:37]
	v_lshrrev_b32_e32 v3, 24, v3
	s_movk_i32 s36, 0x80
	v_and_or_b32 v3, v3, s36, v4
	global_store_byte v[0:1], v3, off
.LBB48_217:
	s_mov_b64 s[36:37], 0
.LBB48_218:
	s_andn2_b64 vcc, exec, s[36:37]
	s_cbranch_vccnz .LBB48_228
; %bb.219:
	v_cvt_f32_f16_e32 v3, v2
	s_mov_b32 s36, 0x47800000
                                        ; implicit-def: $vgpr4
	v_and_b32_e32 v5, 0x7fffffff, v3
	v_cmp_gt_u32_e32 vcc, s36, v5
	s_and_saveexec_b64 s[36:37], vcc
	s_xor_b64 s[36:37], exec, s[36:37]
	s_cbranch_execz .LBB48_225
; %bb.220:
	s_mov_b32 s44, 0x387fffff
	v_cmp_lt_u32_e32 vcc, s44, v5
                                        ; implicit-def: $vgpr4
	s_and_saveexec_b64 s[44:45], vcc
	s_xor_b64 s[44:45], exec, s[44:45]
; %bb.221:
	v_bfe_u32 v4, v3, 21, 1
	s_mov_b32 s48, 0x80fffff
	v_add3_u32 v4, v3, v4, s48
	v_lshrrev_b32_e32 v4, 21, v4
; %bb.222:
	s_andn2_saveexec_b64 s[44:45], s[44:45]
; %bb.223:
	s_mov_b32 s48, 0x43000000
	v_add_f32_e64 v4, |v3|, s48
; %bb.224:
	s_or_b64 exec, exec, s[44:45]
                                        ; implicit-def: $vgpr5
.LBB48_225:
	s_andn2_saveexec_b64 s[36:37], s[36:37]
; %bb.226:
	s_mov_b32 s44, 0x7f800000
	v_mov_b32_e32 v4, 0x7c
	v_mov_b32_e32 v10, 0x7f
	v_cmp_lt_u32_e32 vcc, s44, v5
	v_cndmask_b32_e32 v4, v4, v10, vcc
; %bb.227:
	s_or_b64 exec, exec, s[36:37]
	v_lshrrev_b32_e32 v3, 24, v3
	s_movk_i32 s36, 0x80
	v_and_or_b32 v3, v3, s36, v4
	global_store_byte v[0:1], v3, off
.LBB48_228:
	s_mov_b64 s[44:45], 0
	s_mov_b64 s[36:37], -1
.LBB48_229:
	s_andn2_b64 vcc, exec, s[44:45]
	s_cbranch_vccnz .LBB48_237
; %bb.230:
	v_mov_b32_e32 v3, 14
	v_cmp_gt_i16_sdwa s[48:49], v6, v3 src0_sel:BYTE_0 src1_sel:DWORD
	s_mov_b64 s[44:45], -1
	s_and_b64 vcc, exec, s[48:49]
	s_cbranch_vccz .LBB48_234
; %bb.231:
	v_mov_b32_e32 v3, 15
	v_cmp_eq_u16_sdwa s[44:45], v6, v3 src0_sel:BYTE_0 src1_sel:DWORD
	s_mov_b64 s[0:1], -1
	s_and_b64 vcc, exec, s[44:45]
	s_cbranch_vccz .LBB48_233
; %bb.232:
	v_cvt_f32_f16_e32 v3, v2
	s_movk_i32 s0, 0x7fff
	v_mov_b32_e32 v4, 0x7fc0
	v_cmp_o_f16_e32 vcc, v2, v2
	v_bfe_u32 v5, v3, 16, 1
	v_add3_u32 v3, v3, v5, s0
	v_lshrrev_b32_e32 v3, 16, v3
	v_cndmask_b32_e32 v3, v4, v3, vcc
	global_store_short v[0:1], v3, off
	s_mov_b64 s[36:37], -1
	s_mov_b64 s[0:1], 0
.LBB48_233:
	s_mov_b64 s[44:45], 0
.LBB48_234:
	s_and_b64 vcc, exec, s[44:45]
	s_cbranch_vccz .LBB48_237
; %bb.235:
	v_mov_b32_e32 v3, 11
	v_cmp_eq_u16_sdwa s[44:45], v6, v3 src0_sel:BYTE_0 src1_sel:DWORD
	s_mov_b64 s[0:1], -1
	s_and_b64 vcc, exec, s[44:45]
	s_cbranch_vccz .LBB48_237
; %bb.236:
	v_and_b32_e32 v3, 0x7fff, v2
	v_cmp_ne_u16_e32 vcc, 0, v3
	v_cndmask_b32_e64 v3, 0, 1, vcc
	s_mov_b64 s[36:37], -1
	s_mov_b64 s[0:1], 0
	global_store_byte v[0:1], v3, off
.LBB48_237:
	s_mov_b64 s[44:45], 0
.LBB48_238:
	s_and_b64 vcc, exec, s[44:45]
	s_cbranch_vccz .LBB48_277
; %bb.239:
	v_mov_b32_e32 v3, 5
	v_cmp_lt_i16_sdwa s[44:45], v6, v3 src0_sel:BYTE_0 src1_sel:DWORD
	s_mov_b64 s[36:37], -1
	s_and_b64 vcc, exec, s[44:45]
	s_cbranch_vccnz .LBB48_260
; %bb.240:
	v_mov_b32_e32 v3, 8
	v_cmp_lt_i16_sdwa s[44:45], v6, v3 src0_sel:BYTE_0 src1_sel:DWORD
	s_and_b64 vcc, exec, s[44:45]
	s_cbranch_vccnz .LBB48_250
; %bb.241:
	v_mov_b32_e32 v3, 9
	v_cmp_lt_i16_sdwa s[44:45], v6, v3 src0_sel:BYTE_0 src1_sel:DWORD
	s_and_b64 vcc, exec, s[44:45]
	s_cbranch_vccnz .LBB48_247
; %bb.242:
	v_cmp_gt_i16_sdwa s[44:45], v6, v3 src0_sel:BYTE_0 src1_sel:DWORD
	s_and_b64 vcc, exec, s[44:45]
	s_cbranch_vccz .LBB48_244
; %bb.243:
	v_cvt_f32_f16_e32 v3, v2
	v_mov_b32_e32 v12, 0
	v_mov_b32_e32 v13, v12
	s_mov_b64 s[36:37], 0
	v_cvt_f64_f32_e32 v[10:11], v3
	global_store_dwordx4 v[0:1], v[10:13], off
.LBB48_244:
	s_andn2_b64 vcc, exec, s[36:37]
	s_cbranch_vccnz .LBB48_246
; %bb.245:
	v_cvt_f32_f16_e32 v4, v2
	v_mov_b32_e32 v5, 0
	global_store_dwordx2 v[0:1], v[4:5], off
.LBB48_246:
	s_mov_b64 s[36:37], 0
.LBB48_247:
	s_andn2_b64 vcc, exec, s[36:37]
	s_cbranch_vccnz .LBB48_249
; %bb.248:
	v_and_b32_e32 v3, 0xffff, v2
	global_store_dword v[0:1], v3, off
.LBB48_249:
	s_mov_b64 s[36:37], 0
.LBB48_250:
	s_andn2_b64 vcc, exec, s[36:37]
	s_cbranch_vccnz .LBB48_259
; %bb.251:
	v_mov_b32_e32 v3, 6
	v_cmp_lt_i16_sdwa s[44:45], v6, v3 src0_sel:BYTE_0 src1_sel:DWORD
	s_mov_b64 s[36:37], -1
	s_and_b64 vcc, exec, s[44:45]
	s_cbranch_vccnz .LBB48_257
; %bb.252:
	v_cmp_gt_i16_sdwa s[44:45], v6, v3 src0_sel:BYTE_0 src1_sel:DWORD
	s_and_b64 vcc, exec, s[44:45]
	s_cbranch_vccz .LBB48_254
; %bb.253:
	v_cvt_f32_f16_e32 v3, v2
	s_mov_b64 s[36:37], 0
	v_cvt_f64_f32_e32 v[4:5], v3
	global_store_dwordx2 v[0:1], v[4:5], off
.LBB48_254:
	s_andn2_b64 vcc, exec, s[36:37]
	s_cbranch_vccnz .LBB48_256
; %bb.255:
	v_cvt_f32_f16_e32 v3, v2
	global_store_dword v[0:1], v3, off
.LBB48_256:
	s_mov_b64 s[36:37], 0
.LBB48_257:
	s_andn2_b64 vcc, exec, s[36:37]
	s_cbranch_vccnz .LBB48_259
; %bb.258:
	global_store_short v[0:1], v2, off
.LBB48_259:
	s_mov_b64 s[36:37], 0
.LBB48_260:
	s_andn2_b64 vcc, exec, s[36:37]
	s_cbranch_vccnz .LBB48_276
; %bb.261:
	v_mov_b32_e32 v3, 2
	v_cmp_lt_i16_sdwa s[44:45], v6, v3 src0_sel:BYTE_0 src1_sel:DWORD
	s_mov_b64 s[36:37], -1
	s_and_b64 vcc, exec, s[44:45]
	s_cbranch_vccnz .LBB48_271
; %bb.262:
	v_mov_b32_e32 v3, 3
	v_cmp_lt_i16_sdwa s[44:45], v6, v3 src0_sel:BYTE_0 src1_sel:DWORD
	s_and_b64 vcc, exec, s[44:45]
	s_cbranch_vccnz .LBB48_268
; %bb.263:
	v_cmp_gt_i16_sdwa s[44:45], v6, v3 src0_sel:BYTE_0 src1_sel:DWORD
	s_and_b64 vcc, exec, s[44:45]
	s_cbranch_vccz .LBB48_265
; %bb.264:
	v_cvt_f32_f16_e32 v3, v2
	s_mov_b64 s[36:37], 0
	v_cvt_i32_f32_e32 v4, v3
	v_ashrrev_i32_e32 v5, 31, v4
	global_store_dwordx2 v[0:1], v[4:5], off
.LBB48_265:
	s_andn2_b64 vcc, exec, s[36:37]
	s_cbranch_vccnz .LBB48_267
; %bb.266:
	v_cvt_f32_f16_e32 v3, v2
	v_cvt_i32_f32_e32 v3, v3
	global_store_dword v[0:1], v3, off
.LBB48_267:
	s_mov_b64 s[36:37], 0
.LBB48_268:
	s_andn2_b64 vcc, exec, s[36:37]
	s_cbranch_vccnz .LBB48_270
; %bb.269:
	v_cvt_i16_f16_e32 v3, v2
	global_store_short v[0:1], v3, off
.LBB48_270:
	s_mov_b64 s[36:37], 0
.LBB48_271:
	s_andn2_b64 vcc, exec, s[36:37]
	s_cbranch_vccnz .LBB48_276
; %bb.272:
	v_mov_b32_e32 v3, 0
	v_cmp_gt_i16_sdwa s[44:45], v6, v3 src0_sel:BYTE_0 src1_sel:DWORD
	s_mov_b64 s[36:37], -1
	s_and_b64 vcc, exec, s[44:45]
	s_cbranch_vccz .LBB48_274
; %bb.273:
	v_cvt_i16_f16_e32 v3, v2
	global_store_byte v[0:1], v3, off
	s_mov_b64 s[36:37], 0
.LBB48_274:
	s_andn2_b64 vcc, exec, s[36:37]
	s_cbranch_vccnz .LBB48_276
; %bb.275:
	v_cvt_f32_f16_e32 v2, v2
	v_cvt_i32_f32_e32 v2, v2
	global_store_byte v[0:1], v2, off
.LBB48_276:
	s_mov_b64 s[36:37], -1
.LBB48_277:
	s_andn2_b64 vcc, exec, s[36:37]
	s_cbranch_vccnz .LBB48_279
; %bb.278:
	v_add_u32_e32 v8, 0x80, v8
	s_mov_b64 s[44:45], -1
	s_branch .LBB48_392
.LBB48_279:
	s_mov_b64 s[44:45], 0
                                        ; implicit-def: $vgpr8
	s_branch .LBB48_392
.LBB48_280:
	s_mov_b64 s[38:39], -1
                                        ; implicit-def: $vgpr4
.LBB48_281:
	s_mov_b64 s[36:37], 0
.LBB48_282:
	s_and_b64 vcc, exec, s[36:37]
	s_cbranch_vccz .LBB48_286
; %bb.283:
	v_mov_b32_e32 v4, 29
	v_cmp_eq_u16_sdwa s[36:37], v7, v4 src0_sel:BYTE_0 src1_sel:DWORD
	s_and_b64 vcc, exec, s[36:37]
	s_cbranch_vccz .LBB48_285
; %bb.284:
	global_load_dwordx2 v[4:5], v[2:3], off
	s_mov_b64 s[0:1], -1
	s_mov_b64 s[38:39], 0
	s_mov_b64 s[36:37], 0
	s_waitcnt vmcnt(0)
	v_ffbh_u32_e32 v10, v5
	v_min_u32_e32 v10, 32, v10
	v_lshlrev_b64 v[4:5], v10, v[4:5]
	v_min_u32_e32 v4, 1, v4
	v_or_b32_e32 v4, v5, v4
	v_cvt_f32_u32_e32 v4, v4
	v_sub_u32_e32 v5, 32, v10
	v_ldexp_f32 v4, v4, v5
	v_cvt_f16_f32_e32 v4, v4
	s_branch .LBB48_287
.LBB48_285:
	s_mov_b64 s[38:39], -1
                                        ; implicit-def: $vgpr4
.LBB48_286:
	s_mov_b64 s[36:37], 0
.LBB48_287:
	s_and_b64 vcc, exec, s[36:37]
	s_cbranch_vccz .LBB48_305
; %bb.288:
	v_mov_b32_e32 v4, 27
	v_cmp_lt_i16_sdwa s[0:1], v7, v4 src0_sel:BYTE_0 src1_sel:DWORD
	s_and_b64 vcc, exec, s[0:1]
	s_cbranch_vccnz .LBB48_291
; %bb.289:
	v_cmp_gt_i16_sdwa s[0:1], v7, v4 src0_sel:BYTE_0 src1_sel:DWORD
	s_and_b64 vcc, exec, s[0:1]
	s_cbranch_vccz .LBB48_292
; %bb.290:
	global_load_dword v4, v[2:3], off
	s_mov_b64 s[0:1], 0
	s_waitcnt vmcnt(0)
	v_cvt_f32_u32_e32 v4, v4
	v_cvt_f16_f32_e32 v4, v4
	s_branch .LBB48_293
.LBB48_291:
	s_mov_b64 s[0:1], -1
                                        ; implicit-def: $vgpr4
	s_branch .LBB48_296
.LBB48_292:
	s_mov_b64 s[0:1], -1
                                        ; implicit-def: $vgpr4
.LBB48_293:
	s_andn2_b64 vcc, exec, s[0:1]
	s_cbranch_vccnz .LBB48_295
; %bb.294:
	global_load_ushort v4, v[2:3], off
	s_waitcnt vmcnt(0)
	v_cvt_f16_u16_e32 v4, v4
.LBB48_295:
	s_mov_b64 s[0:1], 0
.LBB48_296:
	s_andn2_b64 vcc, exec, s[0:1]
	s_cbranch_vccnz .LBB48_304
; %bb.297:
	global_load_ubyte v5, v[2:3], off
	s_movk_i32 s0, 0x7f
                                        ; implicit-def: $sgpr48
	s_waitcnt vmcnt(0)
	v_cmp_lt_i16_e32 vcc, s0, v5
	s_mov_b64 s[0:1], 0
	s_and_saveexec_b64 s[36:37], vcc
	s_xor_b64 s[36:37], exec, s[36:37]
	s_cbranch_execz .LBB48_318
; %bb.298:
	s_movk_i32 s0, 0x80
	v_cmp_eq_u16_e32 vcc, s0, v5
	s_mov_b64 s[0:1], -1
                                        ; implicit-def: $sgpr48
	s_and_saveexec_b64 s[44:45], vcc
; %bb.299:
	s_movk_i32 s48, 0x7e00
	s_xor_b64 s[0:1], exec, -1
; %bb.300:
	s_or_b64 exec, exec, s[44:45]
	s_and_b64 s[0:1], s[0:1], exec
	s_or_saveexec_b64 s[36:37], s[36:37]
	v_mov_b32_e32 v4, s48
	s_xor_b64 exec, exec, s[36:37]
	s_cbranch_execnz .LBB48_319
.LBB48_301:
	s_or_b64 exec, exec, s[36:37]
	s_and_saveexec_b64 s[36:37], s[0:1]
	s_cbranch_execz .LBB48_303
.LBB48_302:
	v_lshlrev_b32_e32 v4, 24, v5
	v_and_b32_e32 v5, 0xffff, v5
	v_and_b32_e32 v10, 7, v5
	v_ffbh_u32_e32 v12, v10
	v_min_u32_e32 v12, 32, v12
	v_subrev_u32_e32 v13, 28, v12
	v_bfe_u32 v11, v5, 3, 4
	v_lshlrev_b32_e32 v5, v13, v5
	v_sub_u32_e32 v12, 29, v12
	v_and_b32_e32 v5, 7, v5
	v_cmp_eq_u32_e32 vcc, 0, v11
	v_cndmask_b32_e32 v11, v11, v12, vcc
	v_cndmask_b32_e32 v5, v10, v5, vcc
	v_mov_b32_e32 v10, 0x3b800000
	v_lshlrev_b32_e32 v5, 20, v5
	v_and_b32_e32 v4, 0x80000000, v4
	v_lshl_add_u32 v10, v11, 23, v10
	v_or3_b32 v4, v4, v10, v5
	v_cvt_f16_f32_e32 v4, v4
.LBB48_303:
	s_or_b64 exec, exec, s[36:37]
.LBB48_304:
	s_mov_b64 s[0:1], -1
.LBB48_305:
	s_mov_b64 s[36:37], 0
.LBB48_306:
	s_and_b64 vcc, exec, s[36:37]
	s_cbranch_vccz .LBB48_341
; %bb.307:
	v_mov_b32_e32 v4, 22
	v_cmp_gt_i16_sdwa s[36:37], v7, v4 src0_sel:BYTE_0 src1_sel:DWORD
	s_and_b64 vcc, exec, s[36:37]
	s_cbranch_vccz .LBB48_317
; %bb.308:
	v_mov_b32_e32 v4, 24
	v_cmp_lt_i16_sdwa s[0:1], v7, v4 src0_sel:BYTE_0 src1_sel:DWORD
	s_and_b64 vcc, exec, s[0:1]
	s_cbranch_vccnz .LBB48_320
; %bb.309:
	v_cmp_gt_i16_sdwa s[0:1], v7, v4 src0_sel:BYTE_0 src1_sel:DWORD
	s_and_b64 vcc, exec, s[0:1]
	s_cbranch_vccz .LBB48_321
; %bb.310:
	global_load_ubyte v5, v[2:3], off
	s_movk_i32 s0, 0x7f
                                        ; implicit-def: $sgpr48
	s_waitcnt vmcnt(0)
	v_cmp_lt_i16_e32 vcc, s0, v5
	s_mov_b64 s[0:1], 0
	s_and_saveexec_b64 s[36:37], vcc
	s_xor_b64 s[36:37], exec, s[36:37]
	s_cbranch_execz .LBB48_333
; %bb.311:
	s_movk_i32 s0, 0x80
	v_cmp_eq_u16_e32 vcc, s0, v5
	s_mov_b64 s[0:1], -1
                                        ; implicit-def: $sgpr48
	s_and_saveexec_b64 s[44:45], vcc
; %bb.312:
	s_movk_i32 s48, 0x7e00
	s_xor_b64 s[0:1], exec, -1
; %bb.313:
	s_or_b64 exec, exec, s[44:45]
	s_and_b64 s[0:1], s[0:1], exec
	s_or_saveexec_b64 s[36:37], s[36:37]
	v_mov_b32_e32 v4, s48
	s_xor_b64 exec, exec, s[36:37]
	s_cbranch_execnz .LBB48_334
.LBB48_314:
	s_or_b64 exec, exec, s[36:37]
	s_and_saveexec_b64 s[36:37], s[0:1]
	s_cbranch_execz .LBB48_316
.LBB48_315:
	v_lshlrev_b32_e32 v4, 24, v5
	v_and_b32_e32 v5, 0xffff, v5
	v_and_b32_e32 v10, 3, v5
	v_ffbh_u32_e32 v12, v10
	v_min_u32_e32 v12, 32, v12
	v_subrev_u32_e32 v13, 29, v12
	v_bfe_u32 v11, v5, 2, 5
	v_lshlrev_b32_e32 v5, v13, v5
	v_sub_u32_e32 v12, 30, v12
	v_and_b32_e32 v5, 3, v5
	v_cmp_eq_u32_e32 vcc, 0, v11
	v_cndmask_b32_e32 v11, v11, v12, vcc
	v_cndmask_b32_e32 v5, v10, v5, vcc
	v_mov_b32_e32 v10, 0x37800000
	v_lshlrev_b32_e32 v5, 21, v5
	v_and_b32_e32 v4, 0x80000000, v4
	v_lshl_add_u32 v10, v11, 23, v10
	v_or3_b32 v4, v4, v10, v5
	v_cvt_f16_f32_e32 v4, v4
.LBB48_316:
	s_or_b64 exec, exec, s[36:37]
	s_mov_b64 s[0:1], 0
	s_branch .LBB48_322
.LBB48_317:
	s_mov_b64 s[36:37], -1
                                        ; implicit-def: $vgpr4
	s_branch .LBB48_328
.LBB48_318:
	s_or_saveexec_b64 s[36:37], s[36:37]
	v_mov_b32_e32 v4, s48
	s_xor_b64 exec, exec, s[36:37]
	s_cbranch_execz .LBB48_301
.LBB48_319:
	v_cmp_ne_u16_e32 vcc, 0, v5
	s_andn2_b64 s[0:1], s[0:1], exec
	s_and_b64 s[44:45], vcc, exec
	s_or_b64 s[0:1], s[0:1], s[44:45]
	v_mov_b32_e32 v4, v5
	s_or_b64 exec, exec, s[36:37]
	s_and_saveexec_b64 s[36:37], s[0:1]
	s_cbranch_execnz .LBB48_302
	s_branch .LBB48_303
.LBB48_320:
	s_mov_b64 s[0:1], -1
                                        ; implicit-def: $vgpr4
	s_branch .LBB48_325
.LBB48_321:
	s_mov_b64 s[0:1], -1
                                        ; implicit-def: $vgpr4
.LBB48_322:
	s_and_b64 vcc, exec, s[0:1]
	s_cbranch_vccz .LBB48_324
; %bb.323:
	global_load_ubyte v4, v[2:3], off
	s_mov_b32 s0, 0x7f800000
	s_waitcnt vmcnt(0)
	v_lshlrev_b32_e32 v4, 24, v4
	v_and_b32_e32 v5, 0x7f000000, v4
	v_ffbh_u32_e32 v10, v5
	v_min_u32_e32 v10, 32, v10
	v_sub_u32_e64 v10, v10, 4 clamp
	v_lshlrev_b32_e32 v12, v10, v5
	v_lshlrev_b32_e32 v10, 23, v10
	v_lshrrev_b32_e32 v12, 4, v12
	v_add_u32_e32 v11, 0x1000000, v5
	v_sub_u32_e32 v10, v12, v10
	v_ashrrev_i32_e32 v11, 8, v11
	v_add_u32_e32 v10, 0x3c000000, v10
	v_and_or_b32 v10, v11, s0, v10
	v_cmp_ne_u32_e32 vcc, 0, v5
	v_cndmask_b32_e32 v5, 0, v10, vcc
	s_brev_b32 s0, 1
	v_and_or_b32 v4, v4, s0, v5
	v_cvt_f16_f32_e32 v4, v4
.LBB48_324:
	s_mov_b64 s[0:1], 0
.LBB48_325:
	s_andn2_b64 vcc, exec, s[0:1]
	s_cbranch_vccnz .LBB48_327
; %bb.326:
	global_load_ubyte v4, v[2:3], off
	s_movk_i32 s0, 0x7f00
	s_brev_b32 s1, 16
	s_waitcnt vmcnt(0)
	v_lshlrev_b16_e32 v5, 8, v4
	v_lshlrev_b32_e32 v4, 25, v4
	v_lshrrev_b32_e32 v10, 4, v4
	v_and_or_b32 v11, v5, s0, 0.5
	v_or_b32_e32 v10, 0x70000000, v10
	v_add_f32_e32 v11, -0.5, v11
	v_mul_f32_e32 v10, 0x7800000, v10
	v_cmp_gt_u32_e32 vcc, s1, v4
	v_bfe_i32 v5, v5, 0, 16
	v_cndmask_b32_e32 v4, v10, v11, vcc
	s_brev_b32 s0, 1
	v_and_or_b32 v4, v5, s0, v4
	v_cvt_f16_f32_e32 v4, v4
.LBB48_327:
	s_mov_b64 s[36:37], 0
	s_mov_b64 s[0:1], -1
.LBB48_328:
	s_andn2_b64 vcc, exec, s[36:37]
	s_cbranch_vccnz .LBB48_341
; %bb.329:
	v_mov_b32_e32 v4, 14
	v_cmp_gt_i16_sdwa s[36:37], v7, v4 src0_sel:BYTE_0 src1_sel:DWORD
	s_and_b64 vcc, exec, s[36:37]
	s_cbranch_vccz .LBB48_332
; %bb.330:
	v_mov_b32_e32 v4, 15
	v_cmp_eq_u16_sdwa s[36:37], v7, v4 src0_sel:BYTE_0 src1_sel:DWORD
	s_and_b64 vcc, exec, s[36:37]
	s_cbranch_vccz .LBB48_335
; %bb.331:
	global_load_ushort v4, v[2:3], off
	s_mov_b64 s[0:1], -1
	s_mov_b64 s[38:39], 0
	s_waitcnt vmcnt(0)
	v_lshlrev_b32_e32 v4, 16, v4
	v_cvt_f16_f32_e32 v4, v4
	s_branch .LBB48_336
.LBB48_332:
	s_mov_b64 s[36:37], -1
                                        ; implicit-def: $vgpr4
	s_branch .LBB48_337
.LBB48_333:
	s_or_saveexec_b64 s[36:37], s[36:37]
	v_mov_b32_e32 v4, s48
	s_xor_b64 exec, exec, s[36:37]
	s_cbranch_execz .LBB48_314
.LBB48_334:
	v_cmp_ne_u16_e32 vcc, 0, v5
	s_andn2_b64 s[0:1], s[0:1], exec
	s_and_b64 s[44:45], vcc, exec
	s_or_b64 s[0:1], s[0:1], s[44:45]
	v_mov_b32_e32 v4, v5
	s_or_b64 exec, exec, s[36:37]
	s_and_saveexec_b64 s[36:37], s[0:1]
	s_cbranch_execnz .LBB48_315
	s_branch .LBB48_316
.LBB48_335:
	s_mov_b64 s[38:39], -1
                                        ; implicit-def: $vgpr4
.LBB48_336:
	s_mov_b64 s[36:37], 0
.LBB48_337:
	s_and_b64 vcc, exec, s[36:37]
	s_cbranch_vccz .LBB48_341
; %bb.338:
	v_mov_b32_e32 v4, 11
	v_cmp_eq_u16_sdwa s[36:37], v7, v4 src0_sel:BYTE_0 src1_sel:DWORD
	s_and_b64 vcc, exec, s[36:37]
	s_cbranch_vccz .LBB48_340
; %bb.339:
	global_load_ubyte v4, v[2:3], off
	v_mov_b32_e32 v5, 0x3c00
	s_mov_b64 s[0:1], -1
	s_mov_b64 s[38:39], 0
	s_waitcnt vmcnt(0)
	v_cmp_ne_u16_e32 vcc, 0, v4
	v_cndmask_b32_e32 v4, 0, v5, vcc
	s_branch .LBB48_341
.LBB48_340:
	s_mov_b64 s[38:39], -1
                                        ; implicit-def: $vgpr4
.LBB48_341:
	s_branch .LBB48_30
.LBB48_342:
	v_mov_b32_e32 v4, 5
	v_cmp_lt_i16_sdwa s[0:1], v7, v4 src0_sel:BYTE_0 src1_sel:DWORD
	s_and_b64 vcc, exec, s[0:1]
	s_cbranch_vccnz .LBB48_347
; %bb.343:
	v_mov_b32_e32 v4, 8
	v_cmp_lt_i16_sdwa s[0:1], v7, v4 src0_sel:BYTE_0 src1_sel:DWORD
	s_and_b64 vcc, exec, s[0:1]
	s_cbranch_vccnz .LBB48_348
; %bb.344:
	;; [unrolled: 5-line block ×3, first 2 shown]
	v_cmp_gt_i16_sdwa s[0:1], v7, v4 src0_sel:BYTE_0 src1_sel:DWORD
	s_and_b64 vcc, exec, s[0:1]
	s_cbranch_vccz .LBB48_350
; %bb.346:
	global_load_dwordx2 v[4:5], v[2:3], off
	s_mov_b64 s[0:1], 0
	s_waitcnt vmcnt(0)
	v_cvt_f32_f64_e32 v4, v[4:5]
	v_cvt_f16_f32_e32 v4, v4
	s_branch .LBB48_351
.LBB48_347:
	s_mov_b64 s[0:1], -1
                                        ; implicit-def: $vgpr4
	s_branch .LBB48_369
.LBB48_348:
	s_mov_b64 s[0:1], -1
                                        ; implicit-def: $vgpr4
	s_branch .LBB48_357
.LBB48_349:
	s_mov_b64 s[0:1], -1
                                        ; implicit-def: $vgpr4
	s_branch .LBB48_354
.LBB48_350:
	s_mov_b64 s[0:1], -1
                                        ; implicit-def: $vgpr4
.LBB48_351:
	s_andn2_b64 vcc, exec, s[0:1]
	s_cbranch_vccnz .LBB48_353
; %bb.352:
	global_load_dword v4, v[2:3], off
	s_waitcnt vmcnt(0)
	v_cvt_f16_f32_e32 v4, v4
.LBB48_353:
	s_mov_b64 s[0:1], 0
.LBB48_354:
	s_andn2_b64 vcc, exec, s[0:1]
	s_cbranch_vccnz .LBB48_356
; %bb.355:
	global_load_dword v4, v[2:3], off
.LBB48_356:
	s_mov_b64 s[0:1], 0
.LBB48_357:
	s_andn2_b64 vcc, exec, s[0:1]
	s_cbranch_vccnz .LBB48_368
; %bb.358:
	s_waitcnt vmcnt(0)
	v_mov_b32_e32 v4, 6
	v_cmp_lt_i16_sdwa s[0:1], v7, v4 src0_sel:BYTE_0 src1_sel:DWORD
	s_and_b64 vcc, exec, s[0:1]
	s_cbranch_vccnz .LBB48_361
; %bb.359:
	v_cmp_gt_i16_sdwa s[0:1], v7, v4 src0_sel:BYTE_0 src1_sel:DWORD
	s_and_b64 vcc, exec, s[0:1]
	s_cbranch_vccz .LBB48_362
; %bb.360:
	global_load_dwordx2 v[4:5], v[2:3], off
	s_mov_b64 s[0:1], 0
	s_waitcnt vmcnt(0)
	v_cvt_f32_f64_e32 v4, v[4:5]
	v_cvt_f16_f32_e32 v4, v4
	s_branch .LBB48_363
.LBB48_361:
	s_mov_b64 s[0:1], -1
                                        ; implicit-def: $vgpr4
	s_branch .LBB48_366
.LBB48_362:
	s_mov_b64 s[0:1], -1
                                        ; implicit-def: $vgpr4
.LBB48_363:
	s_andn2_b64 vcc, exec, s[0:1]
	s_cbranch_vccnz .LBB48_365
; %bb.364:
	global_load_dword v4, v[2:3], off
	s_waitcnt vmcnt(0)
	v_cvt_f16_f32_e32 v4, v4
.LBB48_365:
	s_mov_b64 s[0:1], 0
.LBB48_366:
	s_andn2_b64 vcc, exec, s[0:1]
	s_cbranch_vccnz .LBB48_368
; %bb.367:
	global_load_ushort v4, v[2:3], off
.LBB48_368:
	s_mov_b64 s[0:1], 0
.LBB48_369:
	s_andn2_b64 vcc, exec, s[0:1]
	s_cbranch_vccnz .LBB48_389
; %bb.370:
	s_waitcnt vmcnt(0)
	v_mov_b32_e32 v4, 2
	v_cmp_lt_i16_sdwa s[0:1], v7, v4 src0_sel:BYTE_0 src1_sel:DWORD
	s_and_b64 vcc, exec, s[0:1]
	s_cbranch_vccnz .LBB48_374
; %bb.371:
	v_mov_b32_e32 v4, 3
	v_cmp_lt_i16_sdwa s[0:1], v7, v4 src0_sel:BYTE_0 src1_sel:DWORD
	s_and_b64 vcc, exec, s[0:1]
	s_cbranch_vccnz .LBB48_375
; %bb.372:
	v_cmp_gt_i16_sdwa s[0:1], v7, v4 src0_sel:BYTE_0 src1_sel:DWORD
	s_and_b64 vcc, exec, s[0:1]
	s_cbranch_vccz .LBB48_376
; %bb.373:
	global_load_dwordx2 v[4:5], v[2:3], off
	s_mov_b64 s[0:1], 0
	s_waitcnt vmcnt(0)
	v_xor_b32_e32 v11, v4, v5
	v_ffbh_i32_e32 v10, v5
	v_ashrrev_i32_e32 v11, 31, v11
	v_add_u32_e32 v10, -1, v10
	v_add_u32_e32 v11, 32, v11
	v_min_u32_e32 v10, v10, v11
	v_lshlrev_b64 v[4:5], v10, v[4:5]
	v_min_u32_e32 v4, 1, v4
	v_or_b32_e32 v4, v5, v4
	v_cvt_f32_i32_e32 v4, v4
	v_sub_u32_e32 v5, 32, v10
	v_ldexp_f32 v4, v4, v5
	v_cvt_f16_f32_e32 v4, v4
	s_branch .LBB48_377
.LBB48_374:
	s_mov_b64 s[0:1], -1
                                        ; implicit-def: $vgpr4
	s_branch .LBB48_383
.LBB48_375:
	s_mov_b64 s[0:1], -1
                                        ; implicit-def: $vgpr4
	s_branch .LBB48_380
.LBB48_376:
	s_mov_b64 s[0:1], -1
                                        ; implicit-def: $vgpr4
.LBB48_377:
	s_andn2_b64 vcc, exec, s[0:1]
	s_cbranch_vccnz .LBB48_379
; %bb.378:
	global_load_dword v4, v[2:3], off
	s_waitcnt vmcnt(0)
	v_cvt_f32_i32_e32 v4, v4
	v_cvt_f16_f32_e32 v4, v4
.LBB48_379:
	s_mov_b64 s[0:1], 0
.LBB48_380:
	s_andn2_b64 vcc, exec, s[0:1]
	s_cbranch_vccnz .LBB48_382
; %bb.381:
	global_load_ushort v4, v[2:3], off
	s_waitcnt vmcnt(0)
	v_cvt_f16_i16_e32 v4, v4
.LBB48_382:
	s_mov_b64 s[0:1], 0
.LBB48_383:
	s_andn2_b64 vcc, exec, s[0:1]
	s_cbranch_vccnz .LBB48_389
; %bb.384:
	v_mov_b32_e32 v4, 0
	v_cmp_gt_i16_sdwa s[0:1], v7, v4 src0_sel:BYTE_0 src1_sel:DWORD
	s_and_b64 vcc, exec, s[0:1]
	s_cbranch_vccz .LBB48_386
; %bb.385:
	global_load_sbyte v4, v[2:3], off
	s_mov_b64 s[0:1], 0
	s_waitcnt vmcnt(0)
	v_cvt_f16_i16_e32 v4, v4
	s_branch .LBB48_387
.LBB48_386:
	s_mov_b64 s[0:1], -1
                                        ; implicit-def: $vgpr4
.LBB48_387:
	s_andn2_b64 vcc, exec, s[0:1]
	s_cbranch_vccnz .LBB48_389
; %bb.388:
	global_load_ubyte v2, v[2:3], off
	s_waitcnt vmcnt(0)
	v_cvt_f16_u16_e32 v4, v2
.LBB48_389:
	s_branch .LBB48_31
.LBB48_390:
	s_mov_b64 s[0:1], 0
.LBB48_391:
                                        ; implicit-def: $vgpr8
	s_mov_b64 s[44:45], 0
.LBB48_392:
	s_and_b64 s[36:37], s[0:1], exec
	s_and_b64 s[38:39], s[38:39], exec
	;; [unrolled: 1-line block ×3, first 2 shown]
	s_orn2_b64 s[0:1], s[44:45], exec
.LBB48_393:
	s_or_b64 exec, exec, s[42:43]
	s_mov_b64 s[50:51], 0
	s_mov_b64 s[48:49], 0
                                        ; implicit-def: $vgpr3
                                        ; implicit-def: $vgpr4_vgpr5
                                        ; implicit-def: $vgpr2
                                        ; implicit-def: $vgpr0
                                        ; implicit-def: $vgpr1
	s_and_saveexec_b64 s[42:43], s[0:1]
	s_cbranch_execz .LBB48_402
; %bb.394:
	v_cmp_gt_i32_e32 vcc, s66, v8
	s_mov_b64 s[0:1], -1
	s_mov_b64 s[44:45], s[40:41]
	s_mov_b64 s[46:47], s[38:39]
	;; [unrolled: 1-line block ×3, first 2 shown]
	s_and_saveexec_b64 s[50:51], vcc
	s_cbranch_execz .LBB48_793
; %bb.395:
	s_andn2_b64 vcc, exec, s[20:21]
	s_cbranch_vccnz .LBB48_405
; %bb.396:
	s_andn2_b64 vcc, exec, s[34:35]
	v_mov_b32_e32 v2, 0
	s_waitcnt vmcnt(0)
	v_mov_b32_e32 v4, 0
	v_mov_b32_e32 v0, 0
	s_cbranch_vccnz .LBB48_401
; %bb.397:
	s_add_i32 s0, s69, 1
	s_and_b32 s44, s0, 30
	s_add_u32 s0, s2, 0xffffffec
	s_addc_u32 s1, s3, -1
	v_mov_b32_e32 v0, 0
	v_mov_b32_e32 v1, v8
	v_mov_b32_e32 v4, 0
	v_mov_b32_e32 v2, 0
.LBB48_398:                             ; =>This Inner Loop Header: Depth=1
	s_mov_b64 s[46:47], s[0:1]
	s_load_dwordx4 s[52:55], s[46:47], 0x18
	s_load_dwordx2 s[48:49], s[46:47], 0x28
	s_load_dwordx2 s[60:61], s[46:47], 0xe8
	s_load_dwordx4 s[56:59], s[46:47], 0xd8
	s_add_u32 s0, s46, 24
	s_waitcnt lgkmcnt(0)
	v_mul_hi_u32 v3, s53, v1
	v_add_u32_e32 v3, v1, v3
	v_lshrrev_b32_e32 v3, s54, v3
	v_mul_lo_u32 v5, v3, s52
	v_mul_hi_u32 v10, s48, v3
	v_sub_u32_e32 v1, v1, v5
	v_add_u32_e32 v5, v3, v10
	v_mul_lo_u32 v10, v1, s56
	v_mul_lo_u32 v11, v1, s57
	;; [unrolled: 1-line block ×3, first 2 shown]
	v_lshrrev_b32_e32 v1, s49, v5
	v_mul_lo_u32 v5, v1, s55
	v_sub_u32_e32 v3, v3, v5
	s_addc_u32 s1, s47, 0
	s_add_i32 s44, s44, -2
	v_mul_lo_u32 v5, v3, s59
	v_mul_lo_u32 v13, v3, s60
	;; [unrolled: 1-line block ×3, first 2 shown]
	s_cmp_eq_u32 s44, 0
	v_add3_u32 v0, v10, v0, v5
	v_add3_u32 v2, v12, v2, v3
	;; [unrolled: 1-line block ×3, first 2 shown]
	s_cbranch_scc0 .LBB48_398
; %bb.399:
	s_bitcmp1_b32 s69, 0
	s_cselect_b64 s[44:45], -1, 0
	s_and_b64 vcc, exec, s[44:45]
	s_cbranch_vccnz .LBB48_401
; %bb.400:
	s_load_dwordx2 s[44:45], s[0:1], 0x18
	s_load_dword s46, s[0:1], 0x20
	s_load_dword s47, s[0:1], 0xe0
	s_nop 0
	s_load_dwordx2 s[0:1], s[0:1], 0xd8
	s_waitcnt lgkmcnt(0)
	v_mul_hi_u32 v3, s45, v1
	v_add_u32_e32 v3, v1, v3
	v_lshrrev_b32_e32 v3, s46, v3
	v_mul_lo_u32 v3, v3, s44
	v_sub_u32_e32 v3, v1, v3
	v_mad_u64_u32 v[0:1], s[44:45], v3, s0, v[0:1]
	v_mad_u64_u32 v[4:5], s[0:1], v3, s1, v[4:5]
	;; [unrolled: 1-line block ×3, first 2 shown]
.LBB48_401:
	s_cbranch_execz .LBB48_406
	s_branch .LBB48_408
.LBB48_402:
	s_or_b64 exec, exec, s[42:43]
	s_waitcnt lgkmcnt(0)
	s_mov_b64 s[10:11], 0
	s_and_saveexec_b64 s[0:1], s[40:41]
	s_cbranch_execnz .LBB48_1289
.LBB48_403:
	s_or_b64 exec, exec, s[0:1]
	s_and_saveexec_b64 s[0:1], s[46:47]
	s_xor_b64 s[0:1], exec, s[0:1]
	s_cbranch_execz .LBB48_1290
.LBB48_404:
	s_waitcnt vmcnt(0)
	global_load_ubyte v1, v[4:5], off
	v_mov_b32_e32 v8, 0x3c00
	s_or_b64 s[48:49], s[48:49], exec
	s_waitcnt vmcnt(0)
	v_cmp_ne_u16_e32 vcc, 0, v1
	v_cndmask_b32_e32 v1, 0, v8, vcc
	s_or_b64 exec, exec, s[0:1]
	s_and_saveexec_b64 s[0:1], s[50:51]
	s_cbranch_execz .LBB48_1336
	s_branch .LBB48_1291
.LBB48_405:
                                        ; implicit-def: $vgpr2
                                        ; implicit-def: $vgpr4
                                        ; implicit-def: $vgpr0
	s_andn2_b64 vcc, exec, s[0:1]
	s_cbranch_vccnz .LBB48_408
.LBB48_406:
	s_waitcnt lgkmcnt(0)
	v_mul_hi_u32 v0, s17, v8
	v_add_u32_e32 v0, v8, v0
	s_waitcnt vmcnt(0)
	v_lshrrev_b32_e32 v1, s18, v0
	v_mul_lo_u32 v0, v1, s16
	v_sub_u32_e32 v3, v8, v0
	v_mul_lo_u32 v0, v3, s12
	v_mul_lo_u32 v2, v3, s14
	s_andn2_b64 vcc, exec, s[30:31]
	v_mul_lo_u32 v4, v3, s13
	s_cbranch_vccnz .LBB48_408
; %bb.407:
	v_mul_hi_u32 v3, s28, v1
	v_add_u32_e32 v3, v1, v3
	v_lshrrev_b32_e32 v3, s29, v3
	v_mul_lo_u32 v3, v3, s19
	v_sub_u32_e32 v3, v1, v3
	v_mad_u64_u32 v[0:1], s[0:1], v3, s15, v[0:1]
	v_mad_u64_u32 v[4:5], s[0:1], v3, s26, v[4:5]
	;; [unrolled: 1-line block ×3, first 2 shown]
.LBB48_408:
	s_waitcnt vmcnt(0) lgkmcnt(0)
	v_mov_b32_e32 v1, s11
	v_add_co_u32_e32 v4, vcc, s10, v4
	v_addc_co_u32_e32 v5, vcc, 0, v1, vcc
	v_mov_b32_e32 v1, 11
	v_cmp_lt_i16_sdwa s[0:1], v9, v1 src0_sel:BYTE_0 src1_sel:DWORD
	s_and_b64 vcc, exec, s[0:1]
	s_cbranch_vccnz .LBB48_415
; %bb.409:
	v_mov_b32_e32 v1, 25
	v_cmp_gt_i16_sdwa s[0:1], v9, v1 src0_sel:BYTE_0 src1_sel:DWORD
	s_and_b64 vcc, exec, s[0:1]
	s_cbranch_vccz .LBB48_424
; %bb.410:
	v_mov_b32_e32 v1, 28
	v_cmp_gt_i16_sdwa s[0:1], v9, v1 src0_sel:BYTE_0 src1_sel:DWORD
	s_and_b64 vcc, exec, s[0:1]
	s_cbranch_vccz .LBB48_426
	;; [unrolled: 5-line block ×4, first 2 shown]
; %bb.413:
	v_mov_b32_e32 v1, 46
	v_cmp_eq_u16_sdwa s[0:1], v9, v1 src0_sel:BYTE_0 src1_sel:DWORD
	s_mov_b64 s[46:47], 0
	s_and_b64 vcc, exec, s[0:1]
	s_cbranch_vccz .LBB48_434
; %bb.414:
	global_load_dword v1, v[4:5], off
	s_mov_b64 s[0:1], -1
	s_mov_b64 s[44:45], 0
	s_waitcnt vmcnt(0)
	v_lshlrev_b32_e32 v1, 16, v1
	v_cvt_f16_f32_e32 v1, v1
	s_branch .LBB48_435
.LBB48_415:
	s_mov_b64 s[0:1], 0
                                        ; implicit-def: $vgpr1
	s_mov_b64 s[44:45], s[40:41]
	s_cbranch_execnz .LBB48_501
.LBB48_416:
	s_andn2_b64 vcc, exec, s[0:1]
	s_cbranch_vccnz .LBB48_549
.LBB48_417:
	v_mov_b32_e32 v3, s25
	v_add_co_u32_e32 v2, vcc, s24, v2
	v_mov_b32_e32 v4, 11
	v_addc_co_u32_e32 v3, vcc, 0, v3, vcc
	v_cmp_lt_i16_sdwa s[0:1], v7, v4 src0_sel:BYTE_0 src1_sel:DWORD
	s_and_b64 vcc, exec, s[0:1]
	s_cbranch_vccnz .LBB48_425
; %bb.418:
	v_mov_b32_e32 v4, 25
	v_cmp_gt_i16_sdwa s[0:1], v7, v4 src0_sel:BYTE_0 src1_sel:DWORD
	s_and_b64 vcc, exec, s[0:1]
	s_cbranch_vccz .LBB48_427
; %bb.419:
	v_mov_b32_e32 v4, 28
	v_cmp_gt_i16_sdwa s[0:1], v7, v4 src0_sel:BYTE_0 src1_sel:DWORD
	s_and_b64 vcc, exec, s[0:1]
	s_cbranch_vccz .LBB48_429
	;; [unrolled: 5-line block ×4, first 2 shown]
; %bb.422:
	v_mov_b32_e32 v4, 46
	v_cmp_eq_u16_sdwa s[0:1], v7, v4 src0_sel:BYTE_0 src1_sel:DWORD
	s_mov_b64 s[48:49], 0
	s_and_b64 vcc, exec, s[0:1]
	s_cbranch_vccz .LBB48_553
; %bb.423:
	global_load_dword v4, v[2:3], off
	s_mov_b64 s[0:1], -1
	s_mov_b64 s[46:47], 0
	s_waitcnt vmcnt(0)
	v_lshlrev_b32_e32 v4, 16, v4
	v_cvt_f16_f32_e32 v4, v4
	s_branch .LBB48_554
.LBB48_424:
	s_mov_b64 s[46:47], -1
	s_mov_b64 s[0:1], 0
	s_mov_b64 s[44:45], s[40:41]
                                        ; implicit-def: $vgpr1
	s_branch .LBB48_465
.LBB48_425:
	s_mov_b64 s[48:49], -1
	s_mov_b64 s[0:1], 0
                                        ; implicit-def: $vgpr4
	s_mov_b64 s[46:47], s[38:39]
	s_branch .LBB48_619
.LBB48_426:
	s_mov_b64 s[46:47], -1
	s_mov_b64 s[0:1], 0
	s_mov_b64 s[44:45], s[40:41]
                                        ; implicit-def: $vgpr1
	s_branch .LBB48_446
.LBB48_427:
	s_mov_b64 s[48:49], -1
	s_mov_b64 s[0:1], 0
	s_mov_b64 s[46:47], s[38:39]
                                        ; implicit-def: $vgpr4
	s_branch .LBB48_583
.LBB48_428:
	s_mov_b64 s[46:47], -1
	s_mov_b64 s[0:1], 0
	s_mov_b64 s[44:45], s[40:41]
                                        ; implicit-def: $vgpr1
	s_branch .LBB48_441
.LBB48_429:
	s_mov_b64 s[48:49], -1
	s_mov_b64 s[0:1], 0
	s_mov_b64 s[46:47], s[38:39]
                                        ; implicit-def: $vgpr4
	s_branch .LBB48_564
.LBB48_430:
	s_mov_b64 s[46:47], -1
	s_mov_b64 s[0:1], 0
	s_mov_b64 s[44:45], s[40:41]
                                        ; implicit-def: $vgpr1
	s_branch .LBB48_435
.LBB48_431:
	s_mov_b64 s[48:49], -1
	s_mov_b64 s[0:1], 0
	s_mov_b64 s[46:47], s[38:39]
                                        ; implicit-def: $vgpr4
	s_branch .LBB48_559
.LBB48_432:
	s_or_saveexec_b64 s[48:49], s[48:49]
                                        ; implicit-def: $sgpr50
	s_xor_b64 exec, exec, s[48:49]
	s_cbranch_execz .LBB48_190
.LBB48_433:
	s_mov_b32 s50, 0x46000000
	v_add_f32_e64 v4, |v3|, s50
	v_and_b32_e32 v4, 0xff, v4
	v_cmp_ne_u32_e32 vcc, 0, v4
	s_andn2_b64 s[44:45], s[44:45], exec
	s_and_b64 s[52:53], vcc, exec
	s_mov_b32 s50, 0
	s_or_b64 s[44:45], s[44:45], s[52:53]
	s_or_b64 exec, exec, s[48:49]
	v_mov_b32_e32 v5, s50
	s_and_saveexec_b64 s[48:49], s[44:45]
	s_cbranch_execnz .LBB48_191
	s_branch .LBB48_192
.LBB48_434:
	s_mov_b64 s[44:45], -1
                                        ; implicit-def: $vgpr1
	s_mov_b64 s[0:1], 0
.LBB48_435:
	s_and_b64 vcc, exec, s[46:47]
	s_cbranch_vccz .LBB48_440
; %bb.436:
	v_mov_b32_e32 v1, 44
	v_cmp_eq_u16_sdwa s[44:45], v9, v1 src0_sel:BYTE_0 src1_sel:DWORD
	s_and_b64 vcc, exec, s[44:45]
	s_cbranch_vccz .LBB48_439
; %bb.437:
	global_load_ubyte v1, v[4:5], off
	s_movk_i32 s44, 0xff
	v_mov_b32_e32 v10, 0x7e00
	s_mov_b64 s[0:1], -1
	s_waitcnt vmcnt(0)
	v_lshlrev_b32_e32 v3, 23, v1
	v_cvt_f16_f32_e32 v3, v3
	v_cmp_ne_u32_e32 vcc, s44, v1
	s_mov_b64 s[44:45], 0
	v_cndmask_b32_e32 v3, v10, v3, vcc
	v_cmp_ne_u32_e32 vcc, 0, v1
	v_cndmask_b32_e32 v1, 0, v3, vcc
	s_branch .LBB48_440
.LBB48_438:
	s_mov_b64 s[48:49], -1
	s_mov_b64 s[0:1], 0
	s_mov_b64 s[46:47], s[38:39]
                                        ; implicit-def: $vgpr4
	s_branch .LBB48_554
.LBB48_439:
	s_mov_b64 s[44:45], -1
                                        ; implicit-def: $vgpr1
.LBB48_440:
	s_mov_b64 s[46:47], 0
.LBB48_441:
	s_and_b64 vcc, exec, s[46:47]
	s_cbranch_vccz .LBB48_445
; %bb.442:
	v_mov_b32_e32 v1, 29
	v_cmp_eq_u16_sdwa s[44:45], v9, v1 src0_sel:BYTE_0 src1_sel:DWORD
	s_and_b64 vcc, exec, s[44:45]
	s_cbranch_vccz .LBB48_444
; %bb.443:
	global_load_dwordx2 v[10:11], v[4:5], off
	s_mov_b64 s[0:1], -1
	s_mov_b64 s[44:45], 0
	s_mov_b64 s[46:47], 0
	s_waitcnt vmcnt(0)
	v_ffbh_u32_e32 v1, v11
	v_min_u32_e32 v1, 32, v1
	v_lshlrev_b64 v[10:11], v1, v[10:11]
	v_min_u32_e32 v3, 1, v10
	v_or_b32_e32 v3, v11, v3
	v_cvt_f32_u32_e32 v3, v3
	v_sub_u32_e32 v1, 32, v1
	v_ldexp_f32 v1, v3, v1
	v_cvt_f16_f32_e32 v1, v1
	s_branch .LBB48_446
.LBB48_444:
	s_mov_b64 s[44:45], -1
                                        ; implicit-def: $vgpr1
.LBB48_445:
	s_mov_b64 s[46:47], 0
.LBB48_446:
	s_and_b64 vcc, exec, s[46:47]
	s_cbranch_vccz .LBB48_464
; %bb.447:
	v_mov_b32_e32 v1, 27
	v_cmp_lt_i16_sdwa s[0:1], v9, v1 src0_sel:BYTE_0 src1_sel:DWORD
	s_and_b64 vcc, exec, s[0:1]
	s_cbranch_vccnz .LBB48_450
; %bb.448:
	v_cmp_gt_i16_sdwa s[0:1], v9, v1 src0_sel:BYTE_0 src1_sel:DWORD
	s_and_b64 vcc, exec, s[0:1]
	s_cbranch_vccz .LBB48_451
; %bb.449:
	global_load_dword v1, v[4:5], off
	s_mov_b64 s[0:1], 0
	s_waitcnt vmcnt(0)
	v_cvt_f32_u32_e32 v1, v1
	v_cvt_f16_f32_e32 v1, v1
	s_branch .LBB48_452
.LBB48_450:
	s_mov_b64 s[0:1], -1
                                        ; implicit-def: $vgpr1
	s_branch .LBB48_455
.LBB48_451:
	s_mov_b64 s[0:1], -1
                                        ; implicit-def: $vgpr1
.LBB48_452:
	s_andn2_b64 vcc, exec, s[0:1]
	s_cbranch_vccnz .LBB48_454
; %bb.453:
	global_load_ushort v1, v[4:5], off
	s_waitcnt vmcnt(0)
	v_cvt_f16_u16_e32 v1, v1
.LBB48_454:
	s_mov_b64 s[0:1], 0
.LBB48_455:
	s_andn2_b64 vcc, exec, s[0:1]
	s_cbranch_vccnz .LBB48_463
; %bb.456:
	global_load_ubyte v3, v[4:5], off
	s_movk_i32 s0, 0x7f
                                        ; implicit-def: $sgpr52
	s_waitcnt vmcnt(0)
	v_cmp_lt_i16_e32 vcc, s0, v3
	s_mov_b64 s[0:1], 0
	s_and_saveexec_b64 s[46:47], vcc
	s_xor_b64 s[46:47], exec, s[46:47]
	s_cbranch_execz .LBB48_477
; %bb.457:
	s_movk_i32 s0, 0x80
	v_cmp_eq_u16_e32 vcc, s0, v3
	s_mov_b64 s[0:1], -1
                                        ; implicit-def: $sgpr52
	s_and_saveexec_b64 s[48:49], vcc
; %bb.458:
	s_movk_i32 s52, 0x7e00
	s_xor_b64 s[0:1], exec, -1
; %bb.459:
	s_or_b64 exec, exec, s[48:49]
	s_and_b64 s[0:1], s[0:1], exec
	s_or_saveexec_b64 s[46:47], s[46:47]
	v_mov_b32_e32 v1, s52
	s_xor_b64 exec, exec, s[46:47]
	s_cbranch_execnz .LBB48_478
.LBB48_460:
	s_or_b64 exec, exec, s[46:47]
	s_and_saveexec_b64 s[46:47], s[0:1]
	s_cbranch_execz .LBB48_462
.LBB48_461:
	v_lshlrev_b32_e32 v1, 24, v3
	v_and_b32_e32 v3, 0xffff, v3
	v_and_b32_e32 v10, 7, v3
	v_ffbh_u32_e32 v12, v10
	v_min_u32_e32 v12, 32, v12
	v_subrev_u32_e32 v13, 28, v12
	v_bfe_u32 v11, v3, 3, 4
	v_lshlrev_b32_e32 v3, v13, v3
	v_sub_u32_e32 v12, 29, v12
	v_and_b32_e32 v3, 7, v3
	v_cmp_eq_u32_e32 vcc, 0, v11
	v_cndmask_b32_e32 v11, v11, v12, vcc
	v_cndmask_b32_e32 v3, v10, v3, vcc
	v_mov_b32_e32 v10, 0x3b800000
	v_lshlrev_b32_e32 v3, 20, v3
	v_and_b32_e32 v1, 0x80000000, v1
	v_lshl_add_u32 v10, v11, 23, v10
	v_or3_b32 v1, v1, v10, v3
	v_cvt_f16_f32_e32 v1, v1
.LBB48_462:
	s_or_b64 exec, exec, s[46:47]
.LBB48_463:
	s_mov_b64 s[0:1], -1
.LBB48_464:
	s_mov_b64 s[46:47], 0
.LBB48_465:
	s_and_b64 vcc, exec, s[46:47]
	s_cbranch_vccz .LBB48_500
; %bb.466:
	v_mov_b32_e32 v1, 22
	v_cmp_gt_i16_sdwa s[46:47], v9, v1 src0_sel:BYTE_0 src1_sel:DWORD
	s_and_b64 vcc, exec, s[46:47]
	s_cbranch_vccz .LBB48_476
; %bb.467:
	v_mov_b32_e32 v1, 24
	v_cmp_lt_i16_sdwa s[0:1], v9, v1 src0_sel:BYTE_0 src1_sel:DWORD
	s_and_b64 vcc, exec, s[0:1]
	s_cbranch_vccnz .LBB48_479
; %bb.468:
	v_cmp_gt_i16_sdwa s[0:1], v9, v1 src0_sel:BYTE_0 src1_sel:DWORD
	s_and_b64 vcc, exec, s[0:1]
	s_cbranch_vccz .LBB48_480
; %bb.469:
	global_load_ubyte v3, v[4:5], off
	s_movk_i32 s0, 0x7f
                                        ; implicit-def: $sgpr52
	s_waitcnt vmcnt(0)
	v_cmp_lt_i16_e32 vcc, s0, v3
	s_mov_b64 s[0:1], 0
	s_and_saveexec_b64 s[46:47], vcc
	s_xor_b64 s[46:47], exec, s[46:47]
	s_cbranch_execz .LBB48_492
; %bb.470:
	s_movk_i32 s0, 0x80
	v_cmp_eq_u16_e32 vcc, s0, v3
	s_mov_b64 s[0:1], -1
                                        ; implicit-def: $sgpr52
	s_and_saveexec_b64 s[48:49], vcc
; %bb.471:
	s_movk_i32 s52, 0x7e00
	s_xor_b64 s[0:1], exec, -1
; %bb.472:
	s_or_b64 exec, exec, s[48:49]
	s_and_b64 s[0:1], s[0:1], exec
	s_or_saveexec_b64 s[46:47], s[46:47]
	v_mov_b32_e32 v1, s52
	s_xor_b64 exec, exec, s[46:47]
	s_cbranch_execnz .LBB48_493
.LBB48_473:
	s_or_b64 exec, exec, s[46:47]
	s_and_saveexec_b64 s[46:47], s[0:1]
	s_cbranch_execz .LBB48_475
.LBB48_474:
	v_lshlrev_b32_e32 v1, 24, v3
	v_and_b32_e32 v3, 0xffff, v3
	v_and_b32_e32 v10, 3, v3
	v_ffbh_u32_e32 v12, v10
	v_min_u32_e32 v12, 32, v12
	v_subrev_u32_e32 v13, 29, v12
	v_bfe_u32 v11, v3, 2, 5
	v_lshlrev_b32_e32 v3, v13, v3
	v_sub_u32_e32 v12, 30, v12
	v_and_b32_e32 v3, 3, v3
	v_cmp_eq_u32_e32 vcc, 0, v11
	v_cndmask_b32_e32 v11, v11, v12, vcc
	v_cndmask_b32_e32 v3, v10, v3, vcc
	v_mov_b32_e32 v10, 0x37800000
	v_lshlrev_b32_e32 v3, 21, v3
	v_and_b32_e32 v1, 0x80000000, v1
	v_lshl_add_u32 v10, v11, 23, v10
	v_or3_b32 v1, v1, v10, v3
	v_cvt_f16_f32_e32 v1, v1
.LBB48_475:
	s_or_b64 exec, exec, s[46:47]
	s_mov_b64 s[0:1], 0
	s_branch .LBB48_481
.LBB48_476:
	s_mov_b64 s[46:47], -1
                                        ; implicit-def: $vgpr1
	s_branch .LBB48_487
.LBB48_477:
	s_or_saveexec_b64 s[46:47], s[46:47]
	v_mov_b32_e32 v1, s52
	s_xor_b64 exec, exec, s[46:47]
	s_cbranch_execz .LBB48_460
.LBB48_478:
	v_cmp_ne_u16_e32 vcc, 0, v3
	s_andn2_b64 s[0:1], s[0:1], exec
	s_and_b64 s[48:49], vcc, exec
	s_or_b64 s[0:1], s[0:1], s[48:49]
	v_mov_b32_e32 v1, v3
	s_or_b64 exec, exec, s[46:47]
	s_and_saveexec_b64 s[46:47], s[0:1]
	s_cbranch_execnz .LBB48_461
	s_branch .LBB48_462
.LBB48_479:
	s_mov_b64 s[0:1], -1
                                        ; implicit-def: $vgpr1
	s_branch .LBB48_484
.LBB48_480:
	s_mov_b64 s[0:1], -1
                                        ; implicit-def: $vgpr1
.LBB48_481:
	s_and_b64 vcc, exec, s[0:1]
	s_cbranch_vccz .LBB48_483
; %bb.482:
	global_load_ubyte v1, v[4:5], off
	s_mov_b32 s0, 0x7f800000
	s_waitcnt vmcnt(0)
	v_lshlrev_b32_e32 v1, 24, v1
	v_and_b32_e32 v3, 0x7f000000, v1
	v_ffbh_u32_e32 v10, v3
	v_min_u32_e32 v10, 32, v10
	v_sub_u32_e64 v10, v10, 4 clamp
	v_lshlrev_b32_e32 v12, v10, v3
	v_lshlrev_b32_e32 v10, 23, v10
	v_lshrrev_b32_e32 v12, 4, v12
	v_add_u32_e32 v11, 0x1000000, v3
	v_sub_u32_e32 v10, v12, v10
	v_ashrrev_i32_e32 v11, 8, v11
	v_add_u32_e32 v10, 0x3c000000, v10
	v_and_or_b32 v10, v11, s0, v10
	v_cmp_ne_u32_e32 vcc, 0, v3
	v_cndmask_b32_e32 v3, 0, v10, vcc
	s_brev_b32 s0, 1
	v_and_or_b32 v1, v1, s0, v3
	v_cvt_f16_f32_e32 v1, v1
.LBB48_483:
	s_mov_b64 s[0:1], 0
.LBB48_484:
	s_andn2_b64 vcc, exec, s[0:1]
	s_cbranch_vccnz .LBB48_486
; %bb.485:
	global_load_ubyte v1, v[4:5], off
	s_movk_i32 s0, 0x7f00
	s_brev_b32 s1, 16
	s_waitcnt vmcnt(0)
	v_lshlrev_b16_e32 v3, 8, v1
	v_lshlrev_b32_e32 v1, 25, v1
	v_lshrrev_b32_e32 v10, 4, v1
	v_and_or_b32 v11, v3, s0, 0.5
	v_or_b32_e32 v10, 0x70000000, v10
	v_add_f32_e32 v11, -0.5, v11
	v_mul_f32_e32 v10, 0x7800000, v10
	v_cmp_gt_u32_e32 vcc, s1, v1
	v_bfe_i32 v3, v3, 0, 16
	v_cndmask_b32_e32 v1, v10, v11, vcc
	s_brev_b32 s0, 1
	v_and_or_b32 v1, v3, s0, v1
	v_cvt_f16_f32_e32 v1, v1
.LBB48_486:
	s_mov_b64 s[46:47], 0
	s_mov_b64 s[0:1], -1
.LBB48_487:
	s_andn2_b64 vcc, exec, s[46:47]
	s_cbranch_vccnz .LBB48_500
; %bb.488:
	v_mov_b32_e32 v1, 14
	v_cmp_gt_i16_sdwa s[46:47], v9, v1 src0_sel:BYTE_0 src1_sel:DWORD
	s_and_b64 vcc, exec, s[46:47]
	s_cbranch_vccz .LBB48_491
; %bb.489:
	v_mov_b32_e32 v1, 15
	v_cmp_eq_u16_sdwa s[44:45], v9, v1 src0_sel:BYTE_0 src1_sel:DWORD
	s_and_b64 vcc, exec, s[44:45]
	s_cbranch_vccz .LBB48_494
; %bb.490:
	global_load_ushort v1, v[4:5], off
	s_mov_b64 s[0:1], -1
	s_mov_b64 s[44:45], 0
	s_waitcnt vmcnt(0)
	v_lshlrev_b32_e32 v1, 16, v1
	v_cvt_f16_f32_e32 v1, v1
	s_branch .LBB48_495
.LBB48_491:
	s_mov_b64 s[46:47], -1
                                        ; implicit-def: $vgpr1
	s_branch .LBB48_496
.LBB48_492:
	s_or_saveexec_b64 s[46:47], s[46:47]
	v_mov_b32_e32 v1, s52
	s_xor_b64 exec, exec, s[46:47]
	s_cbranch_execz .LBB48_473
.LBB48_493:
	v_cmp_ne_u16_e32 vcc, 0, v3
	s_andn2_b64 s[0:1], s[0:1], exec
	s_and_b64 s[48:49], vcc, exec
	s_or_b64 s[0:1], s[0:1], s[48:49]
	v_mov_b32_e32 v1, v3
	s_or_b64 exec, exec, s[46:47]
	s_and_saveexec_b64 s[46:47], s[0:1]
	s_cbranch_execnz .LBB48_474
	s_branch .LBB48_475
.LBB48_494:
	s_mov_b64 s[44:45], -1
                                        ; implicit-def: $vgpr1
.LBB48_495:
	s_mov_b64 s[46:47], 0
.LBB48_496:
	s_and_b64 vcc, exec, s[46:47]
	s_cbranch_vccz .LBB48_500
; %bb.497:
	v_mov_b32_e32 v1, 11
	v_cmp_eq_u16_sdwa s[44:45], v9, v1 src0_sel:BYTE_0 src1_sel:DWORD
	s_and_b64 vcc, exec, s[44:45]
	s_cbranch_vccz .LBB48_499
; %bb.498:
	global_load_ubyte v1, v[4:5], off
	v_mov_b32_e32 v3, 0x3c00
	s_mov_b64 s[0:1], -1
	s_mov_b64 s[44:45], 0
	s_waitcnt vmcnt(0)
	v_cmp_ne_u16_e32 vcc, 0, v1
	v_cndmask_b32_e32 v1, 0, v3, vcc
	s_branch .LBB48_500
.LBB48_499:
	s_mov_b64 s[44:45], -1
                                        ; implicit-def: $vgpr1
.LBB48_500:
	s_branch .LBB48_416
.LBB48_501:
	v_mov_b32_e32 v1, 5
	v_cmp_lt_i16_sdwa s[0:1], v9, v1 src0_sel:BYTE_0 src1_sel:DWORD
	s_and_b64 vcc, exec, s[0:1]
	s_cbranch_vccnz .LBB48_506
; %bb.502:
	v_mov_b32_e32 v1, 8
	v_cmp_lt_i16_sdwa s[0:1], v9, v1 src0_sel:BYTE_0 src1_sel:DWORD
	s_and_b64 vcc, exec, s[0:1]
	s_cbranch_vccnz .LBB48_507
; %bb.503:
	v_mov_b32_e32 v1, 9
	v_cmp_lt_i16_sdwa s[0:1], v9, v1 src0_sel:BYTE_0 src1_sel:DWORD
	s_and_b64 vcc, exec, s[0:1]
	s_cbranch_vccnz .LBB48_508
; %bb.504:
	v_cmp_gt_i16_sdwa s[0:1], v9, v1 src0_sel:BYTE_0 src1_sel:DWORD
	s_and_b64 vcc, exec, s[0:1]
	s_cbranch_vccz .LBB48_509
; %bb.505:
	global_load_dwordx2 v[10:11], v[4:5], off
	s_mov_b64 s[0:1], 0
	s_waitcnt vmcnt(0)
	v_cvt_f32_f64_e32 v1, v[10:11]
	v_cvt_f16_f32_e32 v1, v1
	s_branch .LBB48_510
.LBB48_506:
	s_mov_b64 s[0:1], -1
                                        ; implicit-def: $vgpr1
	s_branch .LBB48_528
.LBB48_507:
	s_mov_b64 s[0:1], -1
                                        ; implicit-def: $vgpr1
	s_branch .LBB48_516
.LBB48_508:
	s_mov_b64 s[0:1], -1
                                        ; implicit-def: $vgpr1
	s_branch .LBB48_513
.LBB48_509:
	s_mov_b64 s[0:1], -1
                                        ; implicit-def: $vgpr1
.LBB48_510:
	s_andn2_b64 vcc, exec, s[0:1]
	s_cbranch_vccnz .LBB48_512
; %bb.511:
	global_load_dword v1, v[4:5], off
	s_waitcnt vmcnt(0)
	v_cvt_f16_f32_e32 v1, v1
.LBB48_512:
	s_mov_b64 s[0:1], 0
.LBB48_513:
	s_andn2_b64 vcc, exec, s[0:1]
	s_cbranch_vccnz .LBB48_515
; %bb.514:
	global_load_dword v1, v[4:5], off
.LBB48_515:
	s_mov_b64 s[0:1], 0
.LBB48_516:
	s_andn2_b64 vcc, exec, s[0:1]
	s_cbranch_vccnz .LBB48_527
; %bb.517:
	s_waitcnt vmcnt(0)
	v_mov_b32_e32 v1, 6
	v_cmp_lt_i16_sdwa s[0:1], v9, v1 src0_sel:BYTE_0 src1_sel:DWORD
	s_and_b64 vcc, exec, s[0:1]
	s_cbranch_vccnz .LBB48_520
; %bb.518:
	v_cmp_gt_i16_sdwa s[0:1], v9, v1 src0_sel:BYTE_0 src1_sel:DWORD
	s_and_b64 vcc, exec, s[0:1]
	s_cbranch_vccz .LBB48_521
; %bb.519:
	global_load_dwordx2 v[10:11], v[4:5], off
	s_mov_b64 s[0:1], 0
	s_waitcnt vmcnt(0)
	v_cvt_f32_f64_e32 v1, v[10:11]
	v_cvt_f16_f32_e32 v1, v1
	s_branch .LBB48_522
.LBB48_520:
	s_mov_b64 s[0:1], -1
                                        ; implicit-def: $vgpr1
	s_branch .LBB48_525
.LBB48_521:
	s_mov_b64 s[0:1], -1
                                        ; implicit-def: $vgpr1
.LBB48_522:
	s_andn2_b64 vcc, exec, s[0:1]
	s_cbranch_vccnz .LBB48_524
; %bb.523:
	global_load_dword v1, v[4:5], off
	s_waitcnt vmcnt(0)
	v_cvt_f16_f32_e32 v1, v1
.LBB48_524:
	s_mov_b64 s[0:1], 0
.LBB48_525:
	s_andn2_b64 vcc, exec, s[0:1]
	s_cbranch_vccnz .LBB48_527
; %bb.526:
	global_load_ushort v1, v[4:5], off
.LBB48_527:
	s_mov_b64 s[0:1], 0
.LBB48_528:
	s_andn2_b64 vcc, exec, s[0:1]
	s_cbranch_vccnz .LBB48_548
; %bb.529:
	s_waitcnt vmcnt(0)
	v_mov_b32_e32 v1, 2
	v_cmp_lt_i16_sdwa s[0:1], v9, v1 src0_sel:BYTE_0 src1_sel:DWORD
	s_and_b64 vcc, exec, s[0:1]
	s_cbranch_vccnz .LBB48_533
; %bb.530:
	v_mov_b32_e32 v1, 3
	v_cmp_lt_i16_sdwa s[0:1], v9, v1 src0_sel:BYTE_0 src1_sel:DWORD
	s_and_b64 vcc, exec, s[0:1]
	s_cbranch_vccnz .LBB48_534
; %bb.531:
	v_cmp_gt_i16_sdwa s[0:1], v9, v1 src0_sel:BYTE_0 src1_sel:DWORD
	s_and_b64 vcc, exec, s[0:1]
	s_cbranch_vccz .LBB48_535
; %bb.532:
	global_load_dwordx2 v[10:11], v[4:5], off
	s_mov_b64 s[0:1], 0
	s_waitcnt vmcnt(0)
	v_xor_b32_e32 v3, v10, v11
	v_ffbh_i32_e32 v1, v11
	v_ashrrev_i32_e32 v3, 31, v3
	v_add_u32_e32 v1, -1, v1
	v_add_u32_e32 v3, 32, v3
	v_min_u32_e32 v1, v1, v3
	v_lshlrev_b64 v[10:11], v1, v[10:11]
	v_min_u32_e32 v3, 1, v10
	v_or_b32_e32 v3, v11, v3
	v_cvt_f32_i32_e32 v3, v3
	v_sub_u32_e32 v1, 32, v1
	v_ldexp_f32 v1, v3, v1
	v_cvt_f16_f32_e32 v1, v1
	s_branch .LBB48_536
.LBB48_533:
	s_mov_b64 s[0:1], -1
                                        ; implicit-def: $vgpr1
	s_branch .LBB48_542
.LBB48_534:
	s_mov_b64 s[0:1], -1
                                        ; implicit-def: $vgpr1
	s_branch .LBB48_539
.LBB48_535:
	s_mov_b64 s[0:1], -1
                                        ; implicit-def: $vgpr1
.LBB48_536:
	s_andn2_b64 vcc, exec, s[0:1]
	s_cbranch_vccnz .LBB48_538
; %bb.537:
	global_load_dword v1, v[4:5], off
	s_waitcnt vmcnt(0)
	v_cvt_f32_i32_e32 v1, v1
	v_cvt_f16_f32_e32 v1, v1
.LBB48_538:
	s_mov_b64 s[0:1], 0
.LBB48_539:
	s_andn2_b64 vcc, exec, s[0:1]
	s_cbranch_vccnz .LBB48_541
; %bb.540:
	global_load_ushort v1, v[4:5], off
	s_waitcnt vmcnt(0)
	v_cvt_f16_i16_e32 v1, v1
.LBB48_541:
	s_mov_b64 s[0:1], 0
.LBB48_542:
	s_andn2_b64 vcc, exec, s[0:1]
	s_cbranch_vccnz .LBB48_548
; %bb.543:
	v_mov_b32_e32 v1, 0
	v_cmp_gt_i16_sdwa s[0:1], v9, v1 src0_sel:BYTE_0 src1_sel:DWORD
	s_and_b64 vcc, exec, s[0:1]
	s_cbranch_vccz .LBB48_545
; %bb.544:
	global_load_sbyte v1, v[4:5], off
	s_mov_b64 s[0:1], 0
	s_waitcnt vmcnt(0)
	v_cvt_f16_i16_e32 v1, v1
	s_branch .LBB48_546
.LBB48_545:
	s_mov_b64 s[0:1], -1
                                        ; implicit-def: $vgpr1
.LBB48_546:
	s_andn2_b64 vcc, exec, s[0:1]
	s_cbranch_vccnz .LBB48_548
; %bb.547:
	global_load_ubyte v1, v[4:5], off
	s_waitcnt vmcnt(0)
	v_cvt_f16_u16_e32 v1, v1
.LBB48_548:
	s_branch .LBB48_417
.LBB48_549:
	s_mov_b64 s[52:53], 0
	s_mov_b64 s[0:1], s[36:37]
	;; [unrolled: 1-line block ×3, first 2 shown]
.LBB48_550:
                                        ; implicit-def: $vgpr8
	s_branch .LBB48_792
.LBB48_551:
	s_or_saveexec_b64 s[48:49], s[48:49]
                                        ; implicit-def: $sgpr50
	s_xor_b64 exec, exec, s[48:49]
	s_cbranch_execz .LBB48_203
.LBB48_552:
	s_mov_b32 s50, 0x42800000
	v_add_f32_e64 v4, |v3|, s50
	v_and_b32_e32 v4, 0xff, v4
	v_cmp_ne_u32_e32 vcc, 0, v4
	s_andn2_b64 s[44:45], s[44:45], exec
	s_and_b64 s[52:53], vcc, exec
	s_mov_b32 s50, 0
	s_or_b64 s[44:45], s[44:45], s[52:53]
	s_or_b64 exec, exec, s[48:49]
	v_mov_b32_e32 v5, s50
	s_and_saveexec_b64 s[48:49], s[44:45]
	s_cbranch_execnz .LBB48_204
	s_branch .LBB48_205
.LBB48_553:
	s_mov_b64 s[46:47], -1
                                        ; implicit-def: $vgpr4
	s_mov_b64 s[0:1], 0
.LBB48_554:
	s_and_b64 vcc, exec, s[48:49]
	s_cbranch_vccz .LBB48_558
; %bb.555:
	v_mov_b32_e32 v4, 44
	v_cmp_eq_u16_sdwa s[46:47], v7, v4 src0_sel:BYTE_0 src1_sel:DWORD
	s_and_b64 vcc, exec, s[46:47]
	s_cbranch_vccz .LBB48_557
; %bb.556:
	global_load_ubyte v4, v[2:3], off
	s_movk_i32 s46, 0xff
	v_mov_b32_e32 v10, 0x7e00
	s_mov_b64 s[0:1], -1
	s_waitcnt vmcnt(0)
	v_lshlrev_b32_e32 v5, 23, v4
	v_cvt_f16_f32_e32 v5, v5
	v_cmp_ne_u32_e32 vcc, s46, v4
	s_mov_b64 s[46:47], 0
	v_cndmask_b32_e32 v5, v10, v5, vcc
	v_cmp_ne_u32_e32 vcc, 0, v4
	v_cndmask_b32_e32 v4, 0, v5, vcc
	s_branch .LBB48_558
.LBB48_557:
	s_mov_b64 s[46:47], -1
                                        ; implicit-def: $vgpr4
.LBB48_558:
	s_mov_b64 s[48:49], 0
.LBB48_559:
	s_and_b64 vcc, exec, s[48:49]
	s_cbranch_vccz .LBB48_563
; %bb.560:
	v_mov_b32_e32 v4, 29
	v_cmp_eq_u16_sdwa s[46:47], v7, v4 src0_sel:BYTE_0 src1_sel:DWORD
	s_and_b64 vcc, exec, s[46:47]
	s_cbranch_vccz .LBB48_562
; %bb.561:
	global_load_dwordx2 v[4:5], v[2:3], off
	s_mov_b64 s[0:1], -1
	s_mov_b64 s[46:47], 0
	s_mov_b64 s[48:49], 0
	s_waitcnt vmcnt(0)
	v_ffbh_u32_e32 v10, v5
	v_min_u32_e32 v10, 32, v10
	v_lshlrev_b64 v[4:5], v10, v[4:5]
	v_min_u32_e32 v4, 1, v4
	v_or_b32_e32 v4, v5, v4
	v_cvt_f32_u32_e32 v4, v4
	v_sub_u32_e32 v5, 32, v10
	v_ldexp_f32 v4, v4, v5
	v_cvt_f16_f32_e32 v4, v4
	s_branch .LBB48_564
.LBB48_562:
	s_mov_b64 s[46:47], -1
                                        ; implicit-def: $vgpr4
.LBB48_563:
	s_mov_b64 s[48:49], 0
.LBB48_564:
	s_and_b64 vcc, exec, s[48:49]
	s_cbranch_vccz .LBB48_582
; %bb.565:
	v_mov_b32_e32 v4, 27
	v_cmp_lt_i16_sdwa s[0:1], v7, v4 src0_sel:BYTE_0 src1_sel:DWORD
	s_and_b64 vcc, exec, s[0:1]
	s_cbranch_vccnz .LBB48_568
; %bb.566:
	v_cmp_gt_i16_sdwa s[0:1], v7, v4 src0_sel:BYTE_0 src1_sel:DWORD
	s_and_b64 vcc, exec, s[0:1]
	s_cbranch_vccz .LBB48_569
; %bb.567:
	global_load_dword v4, v[2:3], off
	s_mov_b64 s[0:1], 0
	s_waitcnt vmcnt(0)
	v_cvt_f32_u32_e32 v4, v4
	v_cvt_f16_f32_e32 v4, v4
	s_branch .LBB48_570
.LBB48_568:
	s_mov_b64 s[0:1], -1
                                        ; implicit-def: $vgpr4
	s_branch .LBB48_573
.LBB48_569:
	s_mov_b64 s[0:1], -1
                                        ; implicit-def: $vgpr4
.LBB48_570:
	s_andn2_b64 vcc, exec, s[0:1]
	s_cbranch_vccnz .LBB48_572
; %bb.571:
	global_load_ushort v4, v[2:3], off
	s_waitcnt vmcnt(0)
	v_cvt_f16_u16_e32 v4, v4
.LBB48_572:
	s_mov_b64 s[0:1], 0
.LBB48_573:
	s_andn2_b64 vcc, exec, s[0:1]
	s_cbranch_vccnz .LBB48_581
; %bb.574:
	global_load_ubyte v5, v[2:3], off
	s_movk_i32 s0, 0x7f
                                        ; implicit-def: $sgpr54
	s_waitcnt vmcnt(0)
	v_cmp_lt_i16_e32 vcc, s0, v5
	s_mov_b64 s[0:1], 0
	s_and_saveexec_b64 s[48:49], vcc
	s_xor_b64 s[48:49], exec, s[48:49]
	s_cbranch_execz .LBB48_595
; %bb.575:
	s_movk_i32 s0, 0x80
	v_cmp_eq_u16_e32 vcc, s0, v5
	s_mov_b64 s[0:1], -1
                                        ; implicit-def: $sgpr54
	s_and_saveexec_b64 s[52:53], vcc
; %bb.576:
	s_movk_i32 s54, 0x7e00
	s_xor_b64 s[0:1], exec, -1
; %bb.577:
	s_or_b64 exec, exec, s[52:53]
	s_and_b64 s[0:1], s[0:1], exec
	s_or_saveexec_b64 s[48:49], s[48:49]
	v_mov_b32_e32 v4, s54
	s_xor_b64 exec, exec, s[48:49]
	s_cbranch_execnz .LBB48_596
.LBB48_578:
	s_or_b64 exec, exec, s[48:49]
	s_and_saveexec_b64 s[48:49], s[0:1]
	s_cbranch_execz .LBB48_580
.LBB48_579:
	v_lshlrev_b32_e32 v4, 24, v5
	v_and_b32_e32 v5, 0xffff, v5
	v_and_b32_e32 v10, 7, v5
	v_ffbh_u32_e32 v12, v10
	v_min_u32_e32 v12, 32, v12
	v_subrev_u32_e32 v13, 28, v12
	v_bfe_u32 v11, v5, 3, 4
	v_lshlrev_b32_e32 v5, v13, v5
	v_sub_u32_e32 v12, 29, v12
	v_and_b32_e32 v5, 7, v5
	v_cmp_eq_u32_e32 vcc, 0, v11
	v_cndmask_b32_e32 v11, v11, v12, vcc
	v_cndmask_b32_e32 v5, v10, v5, vcc
	v_mov_b32_e32 v10, 0x3b800000
	v_lshlrev_b32_e32 v5, 20, v5
	v_and_b32_e32 v4, 0x80000000, v4
	v_lshl_add_u32 v10, v11, 23, v10
	v_or3_b32 v4, v4, v10, v5
	v_cvt_f16_f32_e32 v4, v4
.LBB48_580:
	s_or_b64 exec, exec, s[48:49]
.LBB48_581:
	s_mov_b64 s[0:1], -1
.LBB48_582:
	s_mov_b64 s[48:49], 0
.LBB48_583:
	s_and_b64 vcc, exec, s[48:49]
	s_cbranch_vccz .LBB48_618
; %bb.584:
	v_mov_b32_e32 v4, 22
	v_cmp_gt_i16_sdwa s[48:49], v7, v4 src0_sel:BYTE_0 src1_sel:DWORD
	s_and_b64 vcc, exec, s[48:49]
	s_cbranch_vccz .LBB48_594
; %bb.585:
	v_mov_b32_e32 v4, 24
	v_cmp_lt_i16_sdwa s[0:1], v7, v4 src0_sel:BYTE_0 src1_sel:DWORD
	s_and_b64 vcc, exec, s[0:1]
	s_cbranch_vccnz .LBB48_597
; %bb.586:
	v_cmp_gt_i16_sdwa s[0:1], v7, v4 src0_sel:BYTE_0 src1_sel:DWORD
	s_and_b64 vcc, exec, s[0:1]
	s_cbranch_vccz .LBB48_598
; %bb.587:
	global_load_ubyte v5, v[2:3], off
	s_movk_i32 s0, 0x7f
                                        ; implicit-def: $sgpr54
	s_waitcnt vmcnt(0)
	v_cmp_lt_i16_e32 vcc, s0, v5
	s_mov_b64 s[0:1], 0
	s_and_saveexec_b64 s[48:49], vcc
	s_xor_b64 s[48:49], exec, s[48:49]
	s_cbranch_execz .LBB48_610
; %bb.588:
	s_movk_i32 s0, 0x80
	v_cmp_eq_u16_e32 vcc, s0, v5
	s_mov_b64 s[0:1], -1
                                        ; implicit-def: $sgpr54
	s_and_saveexec_b64 s[52:53], vcc
; %bb.589:
	s_movk_i32 s54, 0x7e00
	s_xor_b64 s[0:1], exec, -1
; %bb.590:
	s_or_b64 exec, exec, s[52:53]
	s_and_b64 s[0:1], s[0:1], exec
	s_or_saveexec_b64 s[48:49], s[48:49]
	v_mov_b32_e32 v4, s54
	s_xor_b64 exec, exec, s[48:49]
	s_cbranch_execnz .LBB48_611
.LBB48_591:
	s_or_b64 exec, exec, s[48:49]
	s_and_saveexec_b64 s[48:49], s[0:1]
	s_cbranch_execz .LBB48_593
.LBB48_592:
	v_lshlrev_b32_e32 v4, 24, v5
	v_and_b32_e32 v5, 0xffff, v5
	v_and_b32_e32 v10, 3, v5
	v_ffbh_u32_e32 v12, v10
	v_min_u32_e32 v12, 32, v12
	v_subrev_u32_e32 v13, 29, v12
	v_bfe_u32 v11, v5, 2, 5
	v_lshlrev_b32_e32 v5, v13, v5
	v_sub_u32_e32 v12, 30, v12
	v_and_b32_e32 v5, 3, v5
	v_cmp_eq_u32_e32 vcc, 0, v11
	v_cndmask_b32_e32 v11, v11, v12, vcc
	v_cndmask_b32_e32 v5, v10, v5, vcc
	v_mov_b32_e32 v10, 0x37800000
	v_lshlrev_b32_e32 v5, 21, v5
	v_and_b32_e32 v4, 0x80000000, v4
	v_lshl_add_u32 v10, v11, 23, v10
	v_or3_b32 v4, v4, v10, v5
	v_cvt_f16_f32_e32 v4, v4
.LBB48_593:
	s_or_b64 exec, exec, s[48:49]
	s_mov_b64 s[0:1], 0
	s_branch .LBB48_599
.LBB48_594:
	s_mov_b64 s[48:49], -1
                                        ; implicit-def: $vgpr4
	s_branch .LBB48_605
.LBB48_595:
	s_or_saveexec_b64 s[48:49], s[48:49]
	v_mov_b32_e32 v4, s54
	s_xor_b64 exec, exec, s[48:49]
	s_cbranch_execz .LBB48_578
.LBB48_596:
	v_cmp_ne_u16_e32 vcc, 0, v5
	s_andn2_b64 s[0:1], s[0:1], exec
	s_and_b64 s[52:53], vcc, exec
	s_or_b64 s[0:1], s[0:1], s[52:53]
	v_mov_b32_e32 v4, v5
	s_or_b64 exec, exec, s[48:49]
	s_and_saveexec_b64 s[48:49], s[0:1]
	s_cbranch_execnz .LBB48_579
	s_branch .LBB48_580
.LBB48_597:
	s_mov_b64 s[0:1], -1
                                        ; implicit-def: $vgpr4
	s_branch .LBB48_602
.LBB48_598:
	s_mov_b64 s[0:1], -1
                                        ; implicit-def: $vgpr4
.LBB48_599:
	s_and_b64 vcc, exec, s[0:1]
	s_cbranch_vccz .LBB48_601
; %bb.600:
	global_load_ubyte v4, v[2:3], off
	s_mov_b32 s0, 0x7f800000
	s_waitcnt vmcnt(0)
	v_lshlrev_b32_e32 v4, 24, v4
	v_and_b32_e32 v5, 0x7f000000, v4
	v_ffbh_u32_e32 v10, v5
	v_min_u32_e32 v10, 32, v10
	v_sub_u32_e64 v10, v10, 4 clamp
	v_lshlrev_b32_e32 v12, v10, v5
	v_lshlrev_b32_e32 v10, 23, v10
	v_lshrrev_b32_e32 v12, 4, v12
	v_add_u32_e32 v11, 0x1000000, v5
	v_sub_u32_e32 v10, v12, v10
	v_ashrrev_i32_e32 v11, 8, v11
	v_add_u32_e32 v10, 0x3c000000, v10
	v_and_or_b32 v10, v11, s0, v10
	v_cmp_ne_u32_e32 vcc, 0, v5
	v_cndmask_b32_e32 v5, 0, v10, vcc
	s_brev_b32 s0, 1
	v_and_or_b32 v4, v4, s0, v5
	v_cvt_f16_f32_e32 v4, v4
.LBB48_601:
	s_mov_b64 s[0:1], 0
.LBB48_602:
	s_andn2_b64 vcc, exec, s[0:1]
	s_cbranch_vccnz .LBB48_604
; %bb.603:
	global_load_ubyte v4, v[2:3], off
	s_movk_i32 s0, 0x7f00
	s_brev_b32 s1, 16
	s_waitcnt vmcnt(0)
	v_lshlrev_b16_e32 v5, 8, v4
	v_lshlrev_b32_e32 v4, 25, v4
	v_lshrrev_b32_e32 v10, 4, v4
	v_and_or_b32 v11, v5, s0, 0.5
	v_or_b32_e32 v10, 0x70000000, v10
	v_add_f32_e32 v11, -0.5, v11
	v_mul_f32_e32 v10, 0x7800000, v10
	v_cmp_gt_u32_e32 vcc, s1, v4
	v_bfe_i32 v5, v5, 0, 16
	v_cndmask_b32_e32 v4, v10, v11, vcc
	s_brev_b32 s0, 1
	v_and_or_b32 v4, v5, s0, v4
	v_cvt_f16_f32_e32 v4, v4
.LBB48_604:
	s_mov_b64 s[48:49], 0
	s_mov_b64 s[0:1], -1
.LBB48_605:
	s_andn2_b64 vcc, exec, s[48:49]
	s_cbranch_vccnz .LBB48_618
; %bb.606:
	v_mov_b32_e32 v4, 14
	v_cmp_gt_i16_sdwa s[48:49], v7, v4 src0_sel:BYTE_0 src1_sel:DWORD
	s_and_b64 vcc, exec, s[48:49]
	s_cbranch_vccz .LBB48_609
; %bb.607:
	v_mov_b32_e32 v4, 15
	v_cmp_eq_u16_sdwa s[46:47], v7, v4 src0_sel:BYTE_0 src1_sel:DWORD
	s_and_b64 vcc, exec, s[46:47]
	s_cbranch_vccz .LBB48_612
; %bb.608:
	global_load_ushort v4, v[2:3], off
	s_mov_b64 s[0:1], -1
	s_mov_b64 s[46:47], 0
	s_waitcnt vmcnt(0)
	v_lshlrev_b32_e32 v4, 16, v4
	v_cvt_f16_f32_e32 v4, v4
	s_branch .LBB48_613
.LBB48_609:
	s_mov_b64 s[48:49], -1
                                        ; implicit-def: $vgpr4
	s_branch .LBB48_614
.LBB48_610:
	s_or_saveexec_b64 s[48:49], s[48:49]
	v_mov_b32_e32 v4, s54
	s_xor_b64 exec, exec, s[48:49]
	s_cbranch_execz .LBB48_591
.LBB48_611:
	v_cmp_ne_u16_e32 vcc, 0, v5
	s_andn2_b64 s[0:1], s[0:1], exec
	s_and_b64 s[52:53], vcc, exec
	s_or_b64 s[0:1], s[0:1], s[52:53]
	v_mov_b32_e32 v4, v5
	s_or_b64 exec, exec, s[48:49]
	s_and_saveexec_b64 s[48:49], s[0:1]
	s_cbranch_execnz .LBB48_592
	s_branch .LBB48_593
.LBB48_612:
	s_mov_b64 s[46:47], -1
                                        ; implicit-def: $vgpr4
.LBB48_613:
	s_mov_b64 s[48:49], 0
.LBB48_614:
	s_and_b64 vcc, exec, s[48:49]
	s_cbranch_vccz .LBB48_618
; %bb.615:
	v_mov_b32_e32 v4, 11
	v_cmp_eq_u16_sdwa s[46:47], v7, v4 src0_sel:BYTE_0 src1_sel:DWORD
	s_and_b64 vcc, exec, s[46:47]
	s_cbranch_vccz .LBB48_617
; %bb.616:
	global_load_ubyte v4, v[2:3], off
	v_mov_b32_e32 v5, 0x3c00
	s_mov_b64 s[0:1], -1
	s_mov_b64 s[46:47], 0
	s_waitcnt vmcnt(0)
	v_cmp_ne_u16_e32 vcc, 0, v4
	v_cndmask_b32_e32 v4, 0, v5, vcc
	s_branch .LBB48_618
.LBB48_617:
	s_mov_b64 s[46:47], -1
                                        ; implicit-def: $vgpr4
.LBB48_618:
	s_mov_b64 s[48:49], 0
.LBB48_619:
	s_and_b64 vcc, exec, s[48:49]
	s_cbranch_vccz .LBB48_668
; %bb.620:
	v_mov_b32_e32 v4, 5
	v_cmp_lt_i16_sdwa s[0:1], v7, v4 src0_sel:BYTE_0 src1_sel:DWORD
	s_and_b64 vcc, exec, s[0:1]
	s_cbranch_vccnz .LBB48_625
; %bb.621:
	v_mov_b32_e32 v4, 8
	v_cmp_lt_i16_sdwa s[0:1], v7, v4 src0_sel:BYTE_0 src1_sel:DWORD
	s_and_b64 vcc, exec, s[0:1]
	s_cbranch_vccnz .LBB48_626
	;; [unrolled: 5-line block ×3, first 2 shown]
; %bb.623:
	v_cmp_gt_i16_sdwa s[0:1], v7, v4 src0_sel:BYTE_0 src1_sel:DWORD
	s_and_b64 vcc, exec, s[0:1]
	s_cbranch_vccz .LBB48_628
; %bb.624:
	global_load_dwordx2 v[4:5], v[2:3], off
	s_mov_b64 s[0:1], 0
	s_waitcnt vmcnt(0)
	v_cvt_f32_f64_e32 v4, v[4:5]
	v_cvt_f16_f32_e32 v4, v4
	s_branch .LBB48_629
.LBB48_625:
	s_mov_b64 s[0:1], -1
                                        ; implicit-def: $vgpr4
	s_branch .LBB48_647
.LBB48_626:
	s_mov_b64 s[0:1], -1
                                        ; implicit-def: $vgpr4
	s_branch .LBB48_635
.LBB48_627:
	s_mov_b64 s[0:1], -1
                                        ; implicit-def: $vgpr4
	s_branch .LBB48_632
.LBB48_628:
	s_mov_b64 s[0:1], -1
                                        ; implicit-def: $vgpr4
.LBB48_629:
	s_andn2_b64 vcc, exec, s[0:1]
	s_cbranch_vccnz .LBB48_631
; %bb.630:
	global_load_dword v4, v[2:3], off
	s_waitcnt vmcnt(0)
	v_cvt_f16_f32_e32 v4, v4
.LBB48_631:
	s_mov_b64 s[0:1], 0
.LBB48_632:
	s_andn2_b64 vcc, exec, s[0:1]
	s_cbranch_vccnz .LBB48_634
; %bb.633:
	global_load_dword v4, v[2:3], off
.LBB48_634:
	s_mov_b64 s[0:1], 0
.LBB48_635:
	s_andn2_b64 vcc, exec, s[0:1]
	s_cbranch_vccnz .LBB48_646
; %bb.636:
	s_waitcnt vmcnt(0)
	v_mov_b32_e32 v4, 6
	v_cmp_lt_i16_sdwa s[0:1], v7, v4 src0_sel:BYTE_0 src1_sel:DWORD
	s_and_b64 vcc, exec, s[0:1]
	s_cbranch_vccnz .LBB48_639
; %bb.637:
	v_cmp_gt_i16_sdwa s[0:1], v7, v4 src0_sel:BYTE_0 src1_sel:DWORD
	s_and_b64 vcc, exec, s[0:1]
	s_cbranch_vccz .LBB48_640
; %bb.638:
	global_load_dwordx2 v[4:5], v[2:3], off
	s_mov_b64 s[0:1], 0
	s_waitcnt vmcnt(0)
	v_cvt_f32_f64_e32 v4, v[4:5]
	v_cvt_f16_f32_e32 v4, v4
	s_branch .LBB48_641
.LBB48_639:
	s_mov_b64 s[0:1], -1
                                        ; implicit-def: $vgpr4
	s_branch .LBB48_644
.LBB48_640:
	s_mov_b64 s[0:1], -1
                                        ; implicit-def: $vgpr4
.LBB48_641:
	s_andn2_b64 vcc, exec, s[0:1]
	s_cbranch_vccnz .LBB48_643
; %bb.642:
	global_load_dword v4, v[2:3], off
	s_waitcnt vmcnt(0)
	v_cvt_f16_f32_e32 v4, v4
.LBB48_643:
	s_mov_b64 s[0:1], 0
.LBB48_644:
	s_andn2_b64 vcc, exec, s[0:1]
	s_cbranch_vccnz .LBB48_646
; %bb.645:
	global_load_ushort v4, v[2:3], off
.LBB48_646:
	s_mov_b64 s[0:1], 0
.LBB48_647:
	s_andn2_b64 vcc, exec, s[0:1]
	s_cbranch_vccnz .LBB48_667
; %bb.648:
	s_waitcnt vmcnt(0)
	v_mov_b32_e32 v4, 2
	v_cmp_lt_i16_sdwa s[0:1], v7, v4 src0_sel:BYTE_0 src1_sel:DWORD
	s_and_b64 vcc, exec, s[0:1]
	s_cbranch_vccnz .LBB48_652
; %bb.649:
	v_mov_b32_e32 v4, 3
	v_cmp_lt_i16_sdwa s[0:1], v7, v4 src0_sel:BYTE_0 src1_sel:DWORD
	s_and_b64 vcc, exec, s[0:1]
	s_cbranch_vccnz .LBB48_653
; %bb.650:
	v_cmp_gt_i16_sdwa s[0:1], v7, v4 src0_sel:BYTE_0 src1_sel:DWORD
	s_and_b64 vcc, exec, s[0:1]
	s_cbranch_vccz .LBB48_654
; %bb.651:
	global_load_dwordx2 v[4:5], v[2:3], off
	s_mov_b64 s[0:1], 0
	s_waitcnt vmcnt(0)
	v_xor_b32_e32 v11, v4, v5
	v_ffbh_i32_e32 v10, v5
	v_ashrrev_i32_e32 v11, 31, v11
	v_add_u32_e32 v10, -1, v10
	v_add_u32_e32 v11, 32, v11
	v_min_u32_e32 v10, v10, v11
	v_lshlrev_b64 v[4:5], v10, v[4:5]
	v_min_u32_e32 v4, 1, v4
	v_or_b32_e32 v4, v5, v4
	v_cvt_f32_i32_e32 v4, v4
	v_sub_u32_e32 v5, 32, v10
	v_ldexp_f32 v4, v4, v5
	v_cvt_f16_f32_e32 v4, v4
	s_branch .LBB48_655
.LBB48_652:
	s_mov_b64 s[0:1], -1
                                        ; implicit-def: $vgpr4
	s_branch .LBB48_661
.LBB48_653:
	s_mov_b64 s[0:1], -1
                                        ; implicit-def: $vgpr4
	s_branch .LBB48_658
.LBB48_654:
	s_mov_b64 s[0:1], -1
                                        ; implicit-def: $vgpr4
.LBB48_655:
	s_andn2_b64 vcc, exec, s[0:1]
	s_cbranch_vccnz .LBB48_657
; %bb.656:
	global_load_dword v4, v[2:3], off
	s_waitcnt vmcnt(0)
	v_cvt_f32_i32_e32 v4, v4
	v_cvt_f16_f32_e32 v4, v4
.LBB48_657:
	s_mov_b64 s[0:1], 0
.LBB48_658:
	s_andn2_b64 vcc, exec, s[0:1]
	s_cbranch_vccnz .LBB48_660
; %bb.659:
	global_load_ushort v4, v[2:3], off
	s_waitcnt vmcnt(0)
	v_cvt_f16_i16_e32 v4, v4
.LBB48_660:
	s_mov_b64 s[0:1], 0
.LBB48_661:
	s_andn2_b64 vcc, exec, s[0:1]
	s_cbranch_vccnz .LBB48_667
; %bb.662:
	v_mov_b32_e32 v4, 0
	v_cmp_gt_i16_sdwa s[0:1], v7, v4 src0_sel:BYTE_0 src1_sel:DWORD
	s_and_b64 vcc, exec, s[0:1]
	s_cbranch_vccz .LBB48_664
; %bb.663:
	global_load_sbyte v4, v[2:3], off
	s_mov_b64 s[0:1], 0
	s_waitcnt vmcnt(0)
	v_cvt_f16_i16_e32 v4, v4
	s_branch .LBB48_665
.LBB48_664:
	s_mov_b64 s[0:1], -1
                                        ; implicit-def: $vgpr4
.LBB48_665:
	s_andn2_b64 vcc, exec, s[0:1]
	s_cbranch_vccnz .LBB48_667
; %bb.666:
	global_load_ubyte v2, v[2:3], off
	s_waitcnt vmcnt(0)
	v_cvt_f16_u16_e32 v4, v2
.LBB48_667:
	s_mov_b64 s[0:1], -1
.LBB48_668:
	s_andn2_b64 vcc, exec, s[0:1]
	s_cbranch_vccnz .LBB48_676
; %bb.669:
	s_waitcnt vmcnt(0)
	v_cvt_f32_f16_e32 v2, v4
	v_cvt_f32_f16_e32 v3, v1
	s_movk_i32 s0, 0x400
	v_mov_b32_e32 v10, 0x400
	v_rcp_f32_e32 v5, v2
	s_movk_i32 s1, 0x3bfe
	v_mul_f32_e32 v11, v3, v5
	v_mad_f32 v12, -v2, v11, v3
	v_mac_f32_e32 v11, v12, v5
	v_mad_f32 v2, -v2, v11, v3
	v_mul_f32_e32 v2, v2, v5
	v_and_b32_e32 v2, 0xff800000, v2
	v_add_f32_e32 v2, v2, v11
	v_cvt_f16_f32_e32 v2, v2
	v_mov_b32_e32 v3, 0x3bfe
	v_mov_b32_e32 v5, s9
	v_div_fixup_f16 v1, v2, v4, v1
	v_cmp_ngt_f16_e32 vcc, s0, v1
	v_cndmask_b32_e32 v1, v10, v1, vcc
	v_cmp_nlt_f16_e32 vcc, s1, v1
	v_cndmask_b32_e32 v2, v3, v1, vcc
	v_add_co_u32_e32 v0, vcc, s8, v0
	v_mov_b32_e32 v3, 11
	v_addc_co_u32_e32 v1, vcc, 0, v5, vcc
	v_cmp_lt_i16_sdwa s[0:1], v6, v3 src0_sel:BYTE_0 src1_sel:DWORD
	s_and_b64 vcc, exec, s[0:1]
	s_cbranch_vccnz .LBB48_677
; %bb.670:
	v_mov_b32_e32 v3, 25
	v_cmp_gt_i16_sdwa s[0:1], v6, v3 src0_sel:BYTE_0 src1_sel:DWORD
	s_and_b64 vcc, exec, s[0:1]
	s_cbranch_vccz .LBB48_678
; %bb.671:
	v_mov_b32_e32 v3, 28
	v_cmp_gt_i16_sdwa s[0:1], v6, v3 src0_sel:BYTE_0 src1_sel:DWORD
	s_and_b64 vcc, exec, s[0:1]
	s_cbranch_vccz .LBB48_679
	;; [unrolled: 5-line block ×4, first 2 shown]
; %bb.674:
	v_mov_b32_e32 v3, 46
	v_cmp_eq_u16_sdwa s[48:49], v6, v3 src0_sel:BYTE_0 src1_sel:DWORD
	s_mov_b64 s[52:53], 0
	s_mov_b64 s[0:1], -1
	s_and_b64 vcc, exec, s[48:49]
	s_mov_b64 s[48:49], 0
	s_cbranch_vccz .LBB48_682
; %bb.675:
	v_cvt_f32_f16_e32 v3, v2
	s_movk_i32 s0, 0x7fff
	v_mov_b32_e32 v4, 0x7fc0
	v_cmp_o_f16_e32 vcc, v2, v2
	v_bfe_u32 v5, v3, 16, 1
	v_add3_u32 v3, v3, v5, s0
	v_lshrrev_b32_e32 v3, 16, v3
	v_cndmask_b32_e32 v3, v4, v3, vcc
	global_store_dword v[0:1], v3, off
	s_mov_b64 s[48:49], -1
	s_mov_b64 s[0:1], 0
	s_branch .LBB48_682
.LBB48_676:
	s_mov_b64 s[52:53], 0
                                        ; implicit-def: $vgpr8
	s_mov_b64 s[0:1], s[36:37]
	s_branch .LBB48_792
.LBB48_677:
	s_mov_b64 s[52:53], -1
	s_mov_b64 s[48:49], 0
	s_mov_b64 s[0:1], s[36:37]
	s_branch .LBB48_751
.LBB48_678:
	s_mov_b64 s[52:53], -1
	s_mov_b64 s[48:49], 0
	s_mov_b64 s[0:1], s[36:37]
	s_branch .LBB48_709
.LBB48_679:
	s_mov_b64 s[52:53], -1
	s_mov_b64 s[48:49], 0
	s_mov_b64 s[0:1], s[36:37]
	s_branch .LBB48_692
.LBB48_680:
	s_mov_b64 s[52:53], -1
	s_mov_b64 s[48:49], 0
	s_mov_b64 s[0:1], s[36:37]
	s_branch .LBB48_688
.LBB48_681:
	s_mov_b64 s[52:53], -1
	s_mov_b64 s[48:49], 0
	s_mov_b64 s[0:1], s[36:37]
.LBB48_682:
	s_and_b64 vcc, exec, s[52:53]
	s_cbranch_vccz .LBB48_687
; %bb.683:
	v_mov_b32_e32 v3, 44
	v_cmp_eq_u16_sdwa s[52:53], v6, v3 src0_sel:BYTE_0 src1_sel:DWORD
	s_mov_b64 s[0:1], -1
	s_and_b64 vcc, exec, s[52:53]
	s_cbranch_vccz .LBB48_687
; %bb.684:
	v_cvt_f32_f16_e32 v3, v2
	s_movk_i32 s0, 0xff
	v_mov_b32_e32 v5, 0xff
	v_bfe_u32 v4, v3, 23, 8
	v_cmp_ne_u32_e32 vcc, s0, v4
	s_and_saveexec_b64 s[48:49], vcc
; %bb.685:
	s_mov_b32 s0, 0x3fffff
	v_lshrrev_b32_e32 v5, 23, v3
	v_and_b32_e32 v10, 0x400000, v3
	v_and_or_b32 v3, v3, s0, v4
	v_cmp_ne_u32_e32 vcc, 0, v10
	v_cmp_ne_u32_e64 s[0:1], 0, v3
	s_and_b64 s[0:1], vcc, s[0:1]
	v_cndmask_b32_e64 v3, 0, 1, s[0:1]
	v_add_u32_e32 v5, v5, v3
; %bb.686:
	s_or_b64 exec, exec, s[48:49]
	s_mov_b64 s[48:49], -1
	s_mov_b64 s[0:1], 0
	global_store_byte v[0:1], v5, off
.LBB48_687:
	s_mov_b64 s[52:53], 0
.LBB48_688:
	s_and_b64 vcc, exec, s[52:53]
	s_cbranch_vccz .LBB48_691
; %bb.689:
	v_mov_b32_e32 v3, 29
	v_cmp_eq_u16_sdwa s[52:53], v6, v3 src0_sel:BYTE_0 src1_sel:DWORD
	s_mov_b64 s[0:1], -1
	s_and_b64 vcc, exec, s[52:53]
	s_cbranch_vccz .LBB48_691
; %bb.690:
	v_cvt_f32_f16_e32 v3, v2
	v_mov_b32_e32 v5, 0
	s_mov_b64 s[48:49], -1
	s_mov_b64 s[0:1], 0
	v_cvt_u32_f32_e32 v4, v3
	s_mov_b64 s[52:53], 0
	global_store_dwordx2 v[0:1], v[4:5], off
	s_branch .LBB48_692
.LBB48_691:
	s_mov_b64 s[52:53], 0
.LBB48_692:
	s_and_b64 vcc, exec, s[52:53]
	s_cbranch_vccz .LBB48_708
; %bb.693:
	v_mov_b32_e32 v3, 27
	v_cmp_lt_i16_sdwa s[52:53], v6, v3 src0_sel:BYTE_0 src1_sel:DWORD
	s_mov_b64 s[48:49], -1
	s_and_b64 vcc, exec, s[52:53]
	s_cbranch_vccnz .LBB48_699
; %bb.694:
	v_cmp_gt_i16_sdwa s[52:53], v6, v3 src0_sel:BYTE_0 src1_sel:DWORD
	s_and_b64 vcc, exec, s[52:53]
	s_cbranch_vccz .LBB48_696
; %bb.695:
	v_cvt_f32_f16_e32 v3, v2
	s_mov_b64 s[48:49], 0
	v_cvt_u32_f32_e32 v3, v3
	global_store_dword v[0:1], v3, off
.LBB48_696:
	s_andn2_b64 vcc, exec, s[48:49]
	s_cbranch_vccnz .LBB48_698
; %bb.697:
	v_cvt_u16_f16_e32 v3, v2
	global_store_short v[0:1], v3, off
.LBB48_698:
	s_mov_b64 s[48:49], 0
.LBB48_699:
	s_andn2_b64 vcc, exec, s[48:49]
	s_cbranch_vccnz .LBB48_707
; %bb.700:
	v_cvt_f32_f16_e32 v3, v2
	s_mov_b32 s48, 0x43800000
	v_mov_b32_e32 v5, 0x80
	v_and_b32_e32 v4, 0x7fffffff, v3
	v_cmp_gt_u32_e32 vcc, s48, v4
	s_and_saveexec_b64 s[48:49], vcc
	s_cbranch_execz .LBB48_706
; %bb.701:
	s_mov_b32 s52, 0x3bffffff
	v_cmp_lt_u32_e32 vcc, s52, v4
	s_mov_b64 s[52:53], 0
                                        ; implicit-def: $vgpr4
	s_and_saveexec_b64 s[54:55], vcc
	s_xor_b64 s[54:55], exec, s[54:55]
	s_cbranch_execz .LBB48_819
; %bb.702:
	v_bfe_u32 v4, v3, 20, 1
	s_mov_b32 s56, 0x487ffff
	v_add3_u32 v4, v3, v4, s56
	s_mov_b64 s[52:53], exec
	v_lshrrev_b32_e32 v4, 20, v4
	s_or_saveexec_b64 s[54:55], s[54:55]
                                        ; implicit-def: $sgpr56
	s_xor_b64 exec, exec, s[54:55]
	s_cbranch_execnz .LBB48_820
.LBB48_703:
	s_or_b64 exec, exec, s[54:55]
	v_mov_b32_e32 v5, s56
	s_and_saveexec_b64 s[54:55], s[52:53]
.LBB48_704:
	v_lshrrev_b32_e32 v3, 24, v3
	s_movk_i32 s52, 0x80
	v_and_or_b32 v5, v3, s52, v4
.LBB48_705:
	s_or_b64 exec, exec, s[54:55]
.LBB48_706:
	s_or_b64 exec, exec, s[48:49]
	global_store_byte v[0:1], v5, off
.LBB48_707:
	s_mov_b64 s[48:49], -1
.LBB48_708:
	s_mov_b64 s[52:53], 0
.LBB48_709:
	s_and_b64 vcc, exec, s[52:53]
	s_cbranch_vccz .LBB48_750
; %bb.710:
	v_mov_b32_e32 v3, 22
	v_cmp_gt_i16_sdwa s[54:55], v6, v3 src0_sel:BYTE_0 src1_sel:DWORD
	s_mov_b64 s[52:53], -1
	s_and_b64 vcc, exec, s[54:55]
	s_cbranch_vccz .LBB48_742
; %bb.711:
	v_mov_b32_e32 v3, 24
	v_cmp_lt_i16_sdwa s[52:53], v6, v3 src0_sel:BYTE_0 src1_sel:DWORD
	s_mov_b64 s[48:49], -1
	s_and_b64 vcc, exec, s[52:53]
	s_cbranch_vccnz .LBB48_731
; %bb.712:
	v_cmp_gt_i16_sdwa s[52:53], v6, v3 src0_sel:BYTE_0 src1_sel:DWORD
	s_and_b64 vcc, exec, s[52:53]
	s_cbranch_vccz .LBB48_720
; %bb.713:
	v_cvt_f32_f16_e32 v3, v2
	s_mov_b32 s48, 0x47800000
	v_mov_b32_e32 v5, 0x80
	v_and_b32_e32 v4, 0x7fffffff, v3
	v_cmp_gt_u32_e32 vcc, s48, v4
	s_and_saveexec_b64 s[48:49], vcc
	s_cbranch_execz .LBB48_719
; %bb.714:
	s_mov_b32 s52, 0x37ffffff
	v_cmp_lt_u32_e32 vcc, s52, v4
	s_mov_b64 s[52:53], 0
                                        ; implicit-def: $vgpr4
	s_and_saveexec_b64 s[54:55], vcc
	s_xor_b64 s[54:55], exec, s[54:55]
	s_cbranch_execz .LBB48_951
; %bb.715:
	v_bfe_u32 v4, v3, 21, 1
	s_mov_b32 s56, 0x88fffff
	v_add3_u32 v4, v3, v4, s56
	s_mov_b64 s[52:53], exec
	v_lshrrev_b32_e32 v4, 21, v4
	s_or_saveexec_b64 s[54:55], s[54:55]
                                        ; implicit-def: $sgpr56
	s_xor_b64 exec, exec, s[54:55]
	s_cbranch_execnz .LBB48_952
.LBB48_716:
	s_or_b64 exec, exec, s[54:55]
	v_mov_b32_e32 v5, s56
	s_and_saveexec_b64 s[54:55], s[52:53]
.LBB48_717:
	v_lshrrev_b32_e32 v3, 24, v3
	s_movk_i32 s52, 0x80
	v_and_or_b32 v5, v3, s52, v4
.LBB48_718:
	s_or_b64 exec, exec, s[54:55]
.LBB48_719:
	s_or_b64 exec, exec, s[48:49]
	s_mov_b64 s[48:49], 0
	global_store_byte v[0:1], v5, off
.LBB48_720:
	s_and_b64 vcc, exec, s[48:49]
	s_cbranch_vccz .LBB48_730
; %bb.721:
	v_cvt_f32_f16_e32 v3, v2
	s_mov_b32 s48, 0x43f00000
                                        ; implicit-def: $vgpr4
	v_and_b32_e32 v5, 0x7fffffff, v3
	v_cmp_gt_u32_e32 vcc, s48, v5
	s_and_saveexec_b64 s[48:49], vcc
	s_xor_b64 s[48:49], exec, s[48:49]
	s_cbranch_execz .LBB48_727
; %bb.722:
	s_mov_b32 s52, 0x3c7fffff
	v_cmp_lt_u32_e32 vcc, s52, v5
                                        ; implicit-def: $vgpr4
	s_and_saveexec_b64 s[52:53], vcc
	s_xor_b64 s[52:53], exec, s[52:53]
; %bb.723:
	v_bfe_u32 v4, v3, 20, 1
	s_mov_b32 s54, 0x407ffff
	v_add3_u32 v4, v3, v4, s54
	v_lshrrev_b32_e32 v5, 20, v4
	v_and_b32_e32 v4, 0xff00000, v4
	s_mov_b32 s54, 0x7f00000
	v_mov_b32_e32 v10, 0x7e
	v_cmp_ne_u32_e32 vcc, s54, v4
	v_cndmask_b32_e32 v4, v10, v5, vcc
; %bb.724:
	s_andn2_saveexec_b64 s[52:53], s[52:53]
; %bb.725:
	s_mov_b32 s54, 0x46800000
	v_add_f32_e64 v4, |v3|, s54
; %bb.726:
	s_or_b64 exec, exec, s[52:53]
                                        ; implicit-def: $vgpr5
.LBB48_727:
	s_andn2_saveexec_b64 s[48:49], s[48:49]
; %bb.728:
	s_mov_b32 s52, 0x7f800000
	v_mov_b32_e32 v4, 0x7e
	v_mov_b32_e32 v10, 0x7f
	v_cmp_lt_u32_e32 vcc, s52, v5
	v_cndmask_b32_e32 v4, v4, v10, vcc
; %bb.729:
	s_or_b64 exec, exec, s[48:49]
	v_lshrrev_b32_e32 v3, 24, v3
	s_movk_i32 s48, 0x80
	v_and_or_b32 v3, v3, s48, v4
	global_store_byte v[0:1], v3, off
.LBB48_730:
	s_mov_b64 s[48:49], 0
.LBB48_731:
	s_andn2_b64 vcc, exec, s[48:49]
	s_cbranch_vccnz .LBB48_741
; %bb.732:
	v_cvt_f32_f16_e32 v3, v2
	s_mov_b32 s48, 0x47800000
                                        ; implicit-def: $vgpr4
	v_and_b32_e32 v5, 0x7fffffff, v3
	v_cmp_gt_u32_e32 vcc, s48, v5
	s_and_saveexec_b64 s[48:49], vcc
	s_xor_b64 s[48:49], exec, s[48:49]
	s_cbranch_execz .LBB48_738
; %bb.733:
	s_mov_b32 s52, 0x387fffff
	v_cmp_lt_u32_e32 vcc, s52, v5
                                        ; implicit-def: $vgpr4
	s_and_saveexec_b64 s[52:53], vcc
	s_xor_b64 s[52:53], exec, s[52:53]
; %bb.734:
	v_bfe_u32 v4, v3, 21, 1
	s_mov_b32 s54, 0x80fffff
	v_add3_u32 v4, v3, v4, s54
	v_lshrrev_b32_e32 v4, 21, v4
; %bb.735:
	s_andn2_saveexec_b64 s[52:53], s[52:53]
; %bb.736:
	s_mov_b32 s54, 0x43000000
	v_add_f32_e64 v4, |v3|, s54
; %bb.737:
	s_or_b64 exec, exec, s[52:53]
                                        ; implicit-def: $vgpr5
.LBB48_738:
	s_andn2_saveexec_b64 s[48:49], s[48:49]
; %bb.739:
	s_mov_b32 s52, 0x7f800000
	v_mov_b32_e32 v4, 0x7c
	v_mov_b32_e32 v10, 0x7f
	v_cmp_lt_u32_e32 vcc, s52, v5
	v_cndmask_b32_e32 v4, v4, v10, vcc
; %bb.740:
	s_or_b64 exec, exec, s[48:49]
	v_lshrrev_b32_e32 v3, 24, v3
	s_movk_i32 s48, 0x80
	v_and_or_b32 v3, v3, s48, v4
	global_store_byte v[0:1], v3, off
.LBB48_741:
	s_mov_b64 s[52:53], 0
	s_mov_b64 s[48:49], -1
.LBB48_742:
	s_andn2_b64 vcc, exec, s[52:53]
	s_cbranch_vccnz .LBB48_750
; %bb.743:
	v_mov_b32_e32 v3, 14
	v_cmp_gt_i16_sdwa s[54:55], v6, v3 src0_sel:BYTE_0 src1_sel:DWORD
	s_mov_b64 s[52:53], -1
	s_and_b64 vcc, exec, s[54:55]
	s_cbranch_vccz .LBB48_747
; %bb.744:
	v_mov_b32_e32 v3, 15
	v_cmp_eq_u16_sdwa s[52:53], v6, v3 src0_sel:BYTE_0 src1_sel:DWORD
	s_mov_b64 s[0:1], -1
	s_and_b64 vcc, exec, s[52:53]
	s_cbranch_vccz .LBB48_746
; %bb.745:
	v_cvt_f32_f16_e32 v3, v2
	s_movk_i32 s0, 0x7fff
	v_mov_b32_e32 v4, 0x7fc0
	v_cmp_o_f16_e32 vcc, v2, v2
	v_bfe_u32 v5, v3, 16, 1
	v_add3_u32 v3, v3, v5, s0
	v_lshrrev_b32_e32 v3, 16, v3
	v_cndmask_b32_e32 v3, v4, v3, vcc
	global_store_short v[0:1], v3, off
	s_mov_b64 s[48:49], -1
	s_mov_b64 s[0:1], 0
.LBB48_746:
	s_mov_b64 s[52:53], 0
.LBB48_747:
	s_and_b64 vcc, exec, s[52:53]
	s_cbranch_vccz .LBB48_750
; %bb.748:
	v_mov_b32_e32 v3, 11
	v_cmp_eq_u16_sdwa s[52:53], v6, v3 src0_sel:BYTE_0 src1_sel:DWORD
	s_mov_b64 s[0:1], -1
	s_and_b64 vcc, exec, s[52:53]
	s_cbranch_vccz .LBB48_750
; %bb.749:
	v_and_b32_e32 v3, 0x7fff, v2
	v_cmp_ne_u16_e32 vcc, 0, v3
	v_cndmask_b32_e64 v3, 0, 1, vcc
	s_mov_b64 s[48:49], -1
	s_mov_b64 s[0:1], 0
	global_store_byte v[0:1], v3, off
.LBB48_750:
	s_mov_b64 s[52:53], 0
.LBB48_751:
	s_and_b64 vcc, exec, s[52:53]
	s_cbranch_vccz .LBB48_790
; %bb.752:
	v_mov_b32_e32 v3, 5
	v_cmp_lt_i16_sdwa s[52:53], v6, v3 src0_sel:BYTE_0 src1_sel:DWORD
	s_mov_b64 s[48:49], -1
	s_and_b64 vcc, exec, s[52:53]
	s_cbranch_vccnz .LBB48_773
; %bb.753:
	v_mov_b32_e32 v3, 8
	v_cmp_lt_i16_sdwa s[52:53], v6, v3 src0_sel:BYTE_0 src1_sel:DWORD
	s_and_b64 vcc, exec, s[52:53]
	s_cbranch_vccnz .LBB48_763
; %bb.754:
	v_mov_b32_e32 v3, 9
	v_cmp_lt_i16_sdwa s[52:53], v6, v3 src0_sel:BYTE_0 src1_sel:DWORD
	s_and_b64 vcc, exec, s[52:53]
	s_cbranch_vccnz .LBB48_760
; %bb.755:
	v_cmp_gt_i16_sdwa s[52:53], v6, v3 src0_sel:BYTE_0 src1_sel:DWORD
	s_and_b64 vcc, exec, s[52:53]
	s_cbranch_vccz .LBB48_757
; %bb.756:
	v_cvt_f32_f16_e32 v3, v2
	v_mov_b32_e32 v12, 0
	v_mov_b32_e32 v13, v12
	s_mov_b64 s[48:49], 0
	v_cvt_f64_f32_e32 v[10:11], v3
	global_store_dwordx4 v[0:1], v[10:13], off
.LBB48_757:
	s_andn2_b64 vcc, exec, s[48:49]
	s_cbranch_vccnz .LBB48_759
; %bb.758:
	v_cvt_f32_f16_e32 v4, v2
	v_mov_b32_e32 v5, 0
	global_store_dwordx2 v[0:1], v[4:5], off
.LBB48_759:
	s_mov_b64 s[48:49], 0
.LBB48_760:
	s_andn2_b64 vcc, exec, s[48:49]
	s_cbranch_vccnz .LBB48_762
; %bb.761:
	v_and_b32_e32 v3, 0xffff, v2
	global_store_dword v[0:1], v3, off
.LBB48_762:
	s_mov_b64 s[48:49], 0
.LBB48_763:
	s_andn2_b64 vcc, exec, s[48:49]
	s_cbranch_vccnz .LBB48_772
; %bb.764:
	v_mov_b32_e32 v3, 6
	v_cmp_lt_i16_sdwa s[52:53], v6, v3 src0_sel:BYTE_0 src1_sel:DWORD
	s_mov_b64 s[48:49], -1
	s_and_b64 vcc, exec, s[52:53]
	s_cbranch_vccnz .LBB48_770
; %bb.765:
	v_cmp_gt_i16_sdwa s[52:53], v6, v3 src0_sel:BYTE_0 src1_sel:DWORD
	s_and_b64 vcc, exec, s[52:53]
	s_cbranch_vccz .LBB48_767
; %bb.766:
	v_cvt_f32_f16_e32 v3, v2
	s_mov_b64 s[48:49], 0
	v_cvt_f64_f32_e32 v[4:5], v3
	global_store_dwordx2 v[0:1], v[4:5], off
.LBB48_767:
	s_andn2_b64 vcc, exec, s[48:49]
	s_cbranch_vccnz .LBB48_769
; %bb.768:
	v_cvt_f32_f16_e32 v3, v2
	global_store_dword v[0:1], v3, off
.LBB48_769:
	s_mov_b64 s[48:49], 0
.LBB48_770:
	s_andn2_b64 vcc, exec, s[48:49]
	s_cbranch_vccnz .LBB48_772
; %bb.771:
	global_store_short v[0:1], v2, off
.LBB48_772:
	s_mov_b64 s[48:49], 0
.LBB48_773:
	s_andn2_b64 vcc, exec, s[48:49]
	s_cbranch_vccnz .LBB48_789
; %bb.774:
	v_mov_b32_e32 v3, 2
	v_cmp_lt_i16_sdwa s[52:53], v6, v3 src0_sel:BYTE_0 src1_sel:DWORD
	s_mov_b64 s[48:49], -1
	s_and_b64 vcc, exec, s[52:53]
	s_cbranch_vccnz .LBB48_784
; %bb.775:
	v_mov_b32_e32 v3, 3
	v_cmp_lt_i16_sdwa s[52:53], v6, v3 src0_sel:BYTE_0 src1_sel:DWORD
	s_and_b64 vcc, exec, s[52:53]
	s_cbranch_vccnz .LBB48_781
; %bb.776:
	v_cmp_gt_i16_sdwa s[52:53], v6, v3 src0_sel:BYTE_0 src1_sel:DWORD
	s_and_b64 vcc, exec, s[52:53]
	s_cbranch_vccz .LBB48_778
; %bb.777:
	v_cvt_f32_f16_e32 v3, v2
	s_mov_b64 s[48:49], 0
	v_cvt_i32_f32_e32 v4, v3
	v_ashrrev_i32_e32 v5, 31, v4
	global_store_dwordx2 v[0:1], v[4:5], off
.LBB48_778:
	s_andn2_b64 vcc, exec, s[48:49]
	s_cbranch_vccnz .LBB48_780
; %bb.779:
	v_cvt_f32_f16_e32 v3, v2
	v_cvt_i32_f32_e32 v3, v3
	global_store_dword v[0:1], v3, off
.LBB48_780:
	s_mov_b64 s[48:49], 0
.LBB48_781:
	s_andn2_b64 vcc, exec, s[48:49]
	s_cbranch_vccnz .LBB48_783
; %bb.782:
	v_cvt_i16_f16_e32 v3, v2
	global_store_short v[0:1], v3, off
.LBB48_783:
	s_mov_b64 s[48:49], 0
.LBB48_784:
	s_andn2_b64 vcc, exec, s[48:49]
	s_cbranch_vccnz .LBB48_789
; %bb.785:
	v_mov_b32_e32 v3, 0
	v_cmp_gt_i16_sdwa s[52:53], v6, v3 src0_sel:BYTE_0 src1_sel:DWORD
	s_mov_b64 s[48:49], -1
	s_and_b64 vcc, exec, s[52:53]
	s_cbranch_vccz .LBB48_787
; %bb.786:
	v_cvt_i16_f16_e32 v3, v2
	s_mov_b64 s[48:49], 0
	global_store_byte v[0:1], v3, off
.LBB48_787:
	s_andn2_b64 vcc, exec, s[48:49]
	s_cbranch_vccnz .LBB48_789
; %bb.788:
	v_cvt_f32_f16_e32 v2, v2
	v_cvt_i32_f32_e32 v2, v2
	global_store_byte v[0:1], v2, off
.LBB48_789:
	s_mov_b64 s[48:49], -1
.LBB48_790:
	s_andn2_b64 vcc, exec, s[48:49]
	s_cbranch_vccnz .LBB48_814
; %bb.791:
	v_add_u32_e32 v8, 0x80, v8
	s_mov_b64 s[52:53], -1
.LBB48_792:
	s_andn2_b64 s[48:49], s[36:37], exec
	s_and_b64 s[0:1], s[0:1], exec
	s_or_b64 s[48:49], s[48:49], s[0:1]
	s_andn2_b64 s[0:1], s[38:39], exec
	s_and_b64 s[46:47], s[46:47], exec
	s_or_b64 s[46:47], s[0:1], s[46:47]
	;; [unrolled: 3-line block ×3, first 2 shown]
	s_orn2_b64 s[0:1], s[52:53], exec
.LBB48_793:
	s_or_b64 exec, exec, s[50:51]
	s_mov_b64 s[52:53], 0
	s_mov_b64 s[54:55], 0
	;; [unrolled: 1-line block ×3, first 2 shown]
                                        ; implicit-def: $vgpr3
                                        ; implicit-def: $vgpr4_vgpr5
                                        ; implicit-def: $vgpr2
                                        ; implicit-def: $vgpr0
                                        ; implicit-def: $vgpr1
	s_and_saveexec_b64 s[50:51], s[0:1]
	s_cbranch_execz .LBB48_1288
; %bb.794:
	v_cmp_gt_i32_e32 vcc, s66, v8
	s_mov_b64 s[64:65], -1
	s_mov_b64 s[0:1], s[44:45]
	s_mov_b64 s[56:57], s[46:47]
	;; [unrolled: 1-line block ×3, first 2 shown]
	s_and_saveexec_b64 s[52:53], vcc
	s_cbranch_execz .LBB48_1193
; %bb.795:
	s_andn2_b64 vcc, exec, s[20:21]
	s_cbranch_vccnz .LBB48_802
; %bb.796:
	s_andn2_b64 vcc, exec, s[34:35]
	v_mov_b32_e32 v2, 0
	s_waitcnt vmcnt(0)
	v_mov_b32_e32 v4, 0
	v_mov_b32_e32 v0, 0
	s_cbranch_vccnz .LBB48_801
; %bb.797:
	s_add_i32 s0, s69, 1
	s_and_b32 s54, s0, 30
	s_add_u32 s0, s2, 0xffffffec
	s_addc_u32 s1, s3, -1
	v_mov_b32_e32 v0, 0
	v_mov_b32_e32 v1, v8
	;; [unrolled: 1-line block ×4, first 2 shown]
.LBB48_798:                             ; =>This Inner Loop Header: Depth=1
	s_mov_b64 s[64:65], s[0:1]
	s_load_dwordx4 s[56:59], s[64:65], 0x18
	s_load_dwordx2 s[70:71], s[64:65], 0x28
	s_load_dwordx2 s[72:73], s[64:65], 0xe8
	s_load_dwordx4 s[60:63], s[64:65], 0xd8
	s_add_u32 s0, s64, 24
	s_waitcnt lgkmcnt(0)
	v_mul_hi_u32 v3, s57, v1
	v_add_u32_e32 v3, v1, v3
	v_lshrrev_b32_e32 v3, s58, v3
	v_mul_lo_u32 v5, v3, s56
	v_mul_hi_u32 v10, s70, v3
	v_sub_u32_e32 v1, v1, v5
	v_add_u32_e32 v5, v3, v10
	v_mul_lo_u32 v10, v1, s60
	v_mul_lo_u32 v11, v1, s61
	;; [unrolled: 1-line block ×3, first 2 shown]
	v_lshrrev_b32_e32 v1, s71, v5
	v_mul_lo_u32 v5, v1, s59
	v_sub_u32_e32 v3, v3, v5
	s_addc_u32 s1, s65, 0
	s_add_i32 s54, s54, -2
	v_mul_lo_u32 v5, v3, s63
	v_mul_lo_u32 v13, v3, s72
	;; [unrolled: 1-line block ×3, first 2 shown]
	s_cmp_eq_u32 s54, 0
	v_add3_u32 v0, v10, v0, v5
	v_add3_u32 v2, v12, v2, v3
	;; [unrolled: 1-line block ×3, first 2 shown]
	s_cbranch_scc0 .LBB48_798
; %bb.799:
	s_bitcmp1_b32 s69, 0
	s_cselect_b64 s[54:55], -1, 0
	s_and_b64 vcc, exec, s[54:55]
	s_cbranch_vccnz .LBB48_801
; %bb.800:
	s_load_dwordx2 s[54:55], s[0:1], 0x18
	s_load_dword s56, s[0:1], 0x20
	s_load_dword s57, s[0:1], 0xe0
	s_nop 0
	s_load_dwordx2 s[0:1], s[0:1], 0xd8
	s_waitcnt lgkmcnt(0)
	v_mul_hi_u32 v3, s55, v1
	v_add_u32_e32 v3, v1, v3
	v_lshrrev_b32_e32 v3, s56, v3
	v_mul_lo_u32 v3, v3, s54
	v_sub_u32_e32 v3, v1, v3
	v_mad_u64_u32 v[0:1], s[54:55], v3, s0, v[0:1]
	v_mad_u64_u32 v[4:5], s[0:1], v3, s1, v[4:5]
	;; [unrolled: 1-line block ×3, first 2 shown]
.LBB48_801:
	s_mov_b64 s[0:1], 0
	s_branch .LBB48_803
.LBB48_802:
	s_mov_b64 s[0:1], -1
                                        ; implicit-def: $vgpr2
                                        ; implicit-def: $vgpr4
                                        ; implicit-def: $vgpr0
.LBB48_803:
	s_andn2_b64 vcc, exec, s[0:1]
	s_cbranch_vccnz .LBB48_806
; %bb.804:
	s_waitcnt lgkmcnt(0)
	v_mul_hi_u32 v0, s17, v8
	v_add_u32_e32 v0, v8, v0
	s_waitcnt vmcnt(0)
	v_lshrrev_b32_e32 v1, s18, v0
	v_mul_lo_u32 v0, v1, s16
	v_sub_u32_e32 v3, v8, v0
	v_mul_lo_u32 v0, v3, s12
	v_mul_lo_u32 v2, v3, s14
	s_andn2_b64 vcc, exec, s[30:31]
	v_mul_lo_u32 v4, v3, s13
	s_cbranch_vccnz .LBB48_806
; %bb.805:
	v_mul_hi_u32 v3, s28, v1
	v_add_u32_e32 v3, v1, v3
	v_lshrrev_b32_e32 v3, s29, v3
	v_mul_lo_u32 v3, v3, s19
	v_sub_u32_e32 v3, v1, v3
	v_mad_u64_u32 v[0:1], s[0:1], v3, s15, v[0:1]
	v_mad_u64_u32 v[4:5], s[0:1], v3, s26, v[4:5]
	;; [unrolled: 1-line block ×3, first 2 shown]
.LBB48_806:
	s_waitcnt vmcnt(0) lgkmcnt(0)
	v_mov_b32_e32 v1, s11
	v_add_co_u32_e32 v4, vcc, s10, v4
	v_addc_co_u32_e32 v5, vcc, 0, v1, vcc
	v_mov_b32_e32 v1, 11
	v_cmp_lt_i16_sdwa s[0:1], v9, v1 src0_sel:BYTE_0 src1_sel:DWORD
	s_and_b64 vcc, exec, s[0:1]
	s_cbranch_vccnz .LBB48_813
; %bb.807:
	v_mov_b32_e32 v1, 25
	v_cmp_gt_i16_sdwa s[0:1], v9, v1 src0_sel:BYTE_0 src1_sel:DWORD
	s_and_b64 vcc, exec, s[0:1]
	s_cbranch_vccz .LBB48_815
; %bb.808:
	v_mov_b32_e32 v1, 28
	v_cmp_gt_i16_sdwa s[0:1], v9, v1 src0_sel:BYTE_0 src1_sel:DWORD
	s_and_b64 vcc, exec, s[0:1]
	s_cbranch_vccz .LBB48_816
	;; [unrolled: 5-line block ×4, first 2 shown]
; %bb.811:
	v_mov_b32_e32 v1, 46
	v_cmp_eq_u16_sdwa s[0:1], v9, v1 src0_sel:BYTE_0 src1_sel:DWORD
	s_mov_b64 s[56:57], 0
	s_and_b64 vcc, exec, s[0:1]
	s_cbranch_vccz .LBB48_821
; %bb.812:
	global_load_dword v1, v[4:5], off
	s_mov_b64 s[0:1], -1
	s_mov_b64 s[54:55], 0
	s_waitcnt vmcnt(0)
	v_lshlrev_b32_e32 v1, 16, v1
	v_cvt_f16_f32_e32 v1, v1
	s_branch .LBB48_822
.LBB48_813:
	s_mov_b64 s[56:57], -1
	s_mov_b64 s[0:1], 0
                                        ; implicit-def: $vgpr1
	s_mov_b64 s[54:55], s[44:45]
	s_branch .LBB48_887
.LBB48_814:
	s_mov_b64 s[52:53], 0
	s_branch .LBB48_550
.LBB48_815:
	s_mov_b64 s[56:57], -1
	s_mov_b64 s[0:1], 0
	s_mov_b64 s[54:55], s[44:45]
                                        ; implicit-def: $vgpr1
	s_branch .LBB48_851
.LBB48_816:
	s_mov_b64 s[56:57], -1
	s_mov_b64 s[0:1], 0
	s_mov_b64 s[54:55], s[44:45]
                                        ; implicit-def: $vgpr1
	s_branch .LBB48_832
.LBB48_817:
	s_mov_b64 s[56:57], -1
	s_mov_b64 s[0:1], 0
	s_mov_b64 s[54:55], s[44:45]
                                        ; implicit-def: $vgpr1
	s_branch .LBB48_827
.LBB48_818:
	s_mov_b64 s[56:57], -1
	s_mov_b64 s[0:1], 0
	s_mov_b64 s[54:55], s[44:45]
                                        ; implicit-def: $vgpr1
	s_branch .LBB48_822
.LBB48_819:
	s_or_saveexec_b64 s[54:55], s[54:55]
                                        ; implicit-def: $sgpr56
	s_xor_b64 exec, exec, s[54:55]
	s_cbranch_execz .LBB48_703
.LBB48_820:
	s_mov_b32 s56, 0x46000000
	v_add_f32_e64 v4, |v3|, s56
	v_and_b32_e32 v4, 0xff, v4
	v_cmp_ne_u32_e32 vcc, 0, v4
	s_andn2_b64 s[52:53], s[52:53], exec
	s_and_b64 s[58:59], vcc, exec
	s_mov_b32 s56, 0
	s_or_b64 s[52:53], s[52:53], s[58:59]
	s_or_b64 exec, exec, s[54:55]
	v_mov_b32_e32 v5, s56
	s_and_saveexec_b64 s[54:55], s[52:53]
	s_cbranch_execnz .LBB48_704
	s_branch .LBB48_705
.LBB48_821:
	s_mov_b64 s[54:55], -1
                                        ; implicit-def: $vgpr1
	s_mov_b64 s[0:1], 0
.LBB48_822:
	s_and_b64 vcc, exec, s[56:57]
	s_cbranch_vccz .LBB48_826
; %bb.823:
	v_mov_b32_e32 v1, 44
	v_cmp_eq_u16_sdwa s[54:55], v9, v1 src0_sel:BYTE_0 src1_sel:DWORD
	s_and_b64 vcc, exec, s[54:55]
	s_cbranch_vccz .LBB48_825
; %bb.824:
	global_load_ubyte v1, v[4:5], off
	s_movk_i32 s54, 0xff
	v_mov_b32_e32 v10, 0x7e00
	s_mov_b64 s[0:1], -1
	s_waitcnt vmcnt(0)
	v_lshlrev_b32_e32 v3, 23, v1
	v_cvt_f16_f32_e32 v3, v3
	v_cmp_ne_u32_e32 vcc, s54, v1
	s_mov_b64 s[54:55], 0
	v_cndmask_b32_e32 v3, v10, v3, vcc
	v_cmp_ne_u32_e32 vcc, 0, v1
	v_cndmask_b32_e32 v1, 0, v3, vcc
	s_branch .LBB48_826
.LBB48_825:
	s_mov_b64 s[54:55], -1
                                        ; implicit-def: $vgpr1
.LBB48_826:
	s_mov_b64 s[56:57], 0
.LBB48_827:
	s_and_b64 vcc, exec, s[56:57]
	s_cbranch_vccz .LBB48_831
; %bb.828:
	v_mov_b32_e32 v1, 29
	v_cmp_eq_u16_sdwa s[54:55], v9, v1 src0_sel:BYTE_0 src1_sel:DWORD
	s_and_b64 vcc, exec, s[54:55]
	s_cbranch_vccz .LBB48_830
; %bb.829:
	global_load_dwordx2 v[10:11], v[4:5], off
	s_mov_b64 s[0:1], -1
	s_mov_b64 s[54:55], 0
	s_mov_b64 s[56:57], 0
	s_waitcnt vmcnt(0)
	v_ffbh_u32_e32 v1, v11
	v_min_u32_e32 v1, 32, v1
	v_lshlrev_b64 v[10:11], v1, v[10:11]
	v_min_u32_e32 v3, 1, v10
	v_or_b32_e32 v3, v11, v3
	v_cvt_f32_u32_e32 v3, v3
	v_sub_u32_e32 v1, 32, v1
	v_ldexp_f32 v1, v3, v1
	v_cvt_f16_f32_e32 v1, v1
	s_branch .LBB48_832
.LBB48_830:
	s_mov_b64 s[54:55], -1
                                        ; implicit-def: $vgpr1
.LBB48_831:
	s_mov_b64 s[56:57], 0
.LBB48_832:
	s_and_b64 vcc, exec, s[56:57]
	s_cbranch_vccz .LBB48_850
; %bb.833:
	v_mov_b32_e32 v1, 27
	v_cmp_lt_i16_sdwa s[0:1], v9, v1 src0_sel:BYTE_0 src1_sel:DWORD
	s_and_b64 vcc, exec, s[0:1]
	s_cbranch_vccnz .LBB48_836
; %bb.834:
	v_cmp_gt_i16_sdwa s[0:1], v9, v1 src0_sel:BYTE_0 src1_sel:DWORD
	s_and_b64 vcc, exec, s[0:1]
	s_cbranch_vccz .LBB48_837
; %bb.835:
	global_load_dword v1, v[4:5], off
	s_mov_b64 s[0:1], 0
	s_waitcnt vmcnt(0)
	v_cvt_f32_u32_e32 v1, v1
	v_cvt_f16_f32_e32 v1, v1
	s_branch .LBB48_838
.LBB48_836:
	s_mov_b64 s[0:1], -1
                                        ; implicit-def: $vgpr1
	s_branch .LBB48_841
.LBB48_837:
	s_mov_b64 s[0:1], -1
                                        ; implicit-def: $vgpr1
.LBB48_838:
	s_andn2_b64 vcc, exec, s[0:1]
	s_cbranch_vccnz .LBB48_840
; %bb.839:
	global_load_ushort v1, v[4:5], off
	s_waitcnt vmcnt(0)
	v_cvt_f16_u16_e32 v1, v1
.LBB48_840:
	s_mov_b64 s[0:1], 0
.LBB48_841:
	s_andn2_b64 vcc, exec, s[0:1]
	s_cbranch_vccnz .LBB48_849
; %bb.842:
	global_load_ubyte v3, v[4:5], off
	s_movk_i32 s0, 0x7f
                                        ; implicit-def: $sgpr60
	s_waitcnt vmcnt(0)
	v_cmp_lt_i16_e32 vcc, s0, v3
	s_mov_b64 s[0:1], 0
	s_and_saveexec_b64 s[56:57], vcc
	s_xor_b64 s[56:57], exec, s[56:57]
	s_cbranch_execz .LBB48_863
; %bb.843:
	s_movk_i32 s0, 0x80
	v_cmp_eq_u16_e32 vcc, s0, v3
	s_mov_b64 s[0:1], -1
                                        ; implicit-def: $sgpr60
	s_and_saveexec_b64 s[58:59], vcc
; %bb.844:
	s_movk_i32 s60, 0x7e00
	s_xor_b64 s[0:1], exec, -1
; %bb.845:
	s_or_b64 exec, exec, s[58:59]
	s_and_b64 s[0:1], s[0:1], exec
	s_or_saveexec_b64 s[56:57], s[56:57]
	v_mov_b32_e32 v1, s60
	s_xor_b64 exec, exec, s[56:57]
	s_cbranch_execnz .LBB48_864
.LBB48_846:
	s_or_b64 exec, exec, s[56:57]
	s_and_saveexec_b64 s[56:57], s[0:1]
	s_cbranch_execz .LBB48_848
.LBB48_847:
	v_lshlrev_b32_e32 v1, 24, v3
	v_and_b32_e32 v3, 0xffff, v3
	v_and_b32_e32 v10, 7, v3
	v_ffbh_u32_e32 v12, v10
	v_min_u32_e32 v12, 32, v12
	v_subrev_u32_e32 v13, 28, v12
	v_bfe_u32 v11, v3, 3, 4
	v_lshlrev_b32_e32 v3, v13, v3
	v_sub_u32_e32 v12, 29, v12
	v_and_b32_e32 v3, 7, v3
	v_cmp_eq_u32_e32 vcc, 0, v11
	v_cndmask_b32_e32 v11, v11, v12, vcc
	v_cndmask_b32_e32 v3, v10, v3, vcc
	v_mov_b32_e32 v10, 0x3b800000
	v_lshlrev_b32_e32 v3, 20, v3
	v_and_b32_e32 v1, 0x80000000, v1
	v_lshl_add_u32 v10, v11, 23, v10
	v_or3_b32 v1, v1, v10, v3
	v_cvt_f16_f32_e32 v1, v1
.LBB48_848:
	s_or_b64 exec, exec, s[56:57]
.LBB48_849:
	s_mov_b64 s[0:1], -1
.LBB48_850:
	s_mov_b64 s[56:57], 0
.LBB48_851:
	s_and_b64 vcc, exec, s[56:57]
	s_cbranch_vccz .LBB48_886
; %bb.852:
	v_mov_b32_e32 v1, 22
	v_cmp_gt_i16_sdwa s[56:57], v9, v1 src0_sel:BYTE_0 src1_sel:DWORD
	s_and_b64 vcc, exec, s[56:57]
	s_cbranch_vccz .LBB48_862
; %bb.853:
	v_mov_b32_e32 v1, 24
	v_cmp_lt_i16_sdwa s[0:1], v9, v1 src0_sel:BYTE_0 src1_sel:DWORD
	s_and_b64 vcc, exec, s[0:1]
	s_cbranch_vccnz .LBB48_865
; %bb.854:
	v_cmp_gt_i16_sdwa s[0:1], v9, v1 src0_sel:BYTE_0 src1_sel:DWORD
	s_and_b64 vcc, exec, s[0:1]
	s_cbranch_vccz .LBB48_866
; %bb.855:
	global_load_ubyte v3, v[4:5], off
	s_movk_i32 s0, 0x7f
                                        ; implicit-def: $sgpr60
	s_waitcnt vmcnt(0)
	v_cmp_lt_i16_e32 vcc, s0, v3
	s_mov_b64 s[0:1], 0
	s_and_saveexec_b64 s[56:57], vcc
	s_xor_b64 s[56:57], exec, s[56:57]
	s_cbranch_execz .LBB48_878
; %bb.856:
	s_movk_i32 s0, 0x80
	v_cmp_eq_u16_e32 vcc, s0, v3
	s_mov_b64 s[0:1], -1
                                        ; implicit-def: $sgpr60
	s_and_saveexec_b64 s[58:59], vcc
; %bb.857:
	s_movk_i32 s60, 0x7e00
	s_xor_b64 s[0:1], exec, -1
; %bb.858:
	s_or_b64 exec, exec, s[58:59]
	s_and_b64 s[0:1], s[0:1], exec
	s_or_saveexec_b64 s[56:57], s[56:57]
	v_mov_b32_e32 v1, s60
	s_xor_b64 exec, exec, s[56:57]
	s_cbranch_execnz .LBB48_879
.LBB48_859:
	s_or_b64 exec, exec, s[56:57]
	s_and_saveexec_b64 s[56:57], s[0:1]
	s_cbranch_execz .LBB48_861
.LBB48_860:
	v_lshlrev_b32_e32 v1, 24, v3
	v_and_b32_e32 v3, 0xffff, v3
	v_and_b32_e32 v10, 3, v3
	v_ffbh_u32_e32 v12, v10
	v_min_u32_e32 v12, 32, v12
	v_subrev_u32_e32 v13, 29, v12
	v_bfe_u32 v11, v3, 2, 5
	v_lshlrev_b32_e32 v3, v13, v3
	v_sub_u32_e32 v12, 30, v12
	v_and_b32_e32 v3, 3, v3
	v_cmp_eq_u32_e32 vcc, 0, v11
	v_cndmask_b32_e32 v11, v11, v12, vcc
	v_cndmask_b32_e32 v3, v10, v3, vcc
	v_mov_b32_e32 v10, 0x37800000
	v_lshlrev_b32_e32 v3, 21, v3
	v_and_b32_e32 v1, 0x80000000, v1
	v_lshl_add_u32 v10, v11, 23, v10
	v_or3_b32 v1, v1, v10, v3
	v_cvt_f16_f32_e32 v1, v1
.LBB48_861:
	s_or_b64 exec, exec, s[56:57]
	s_mov_b64 s[0:1], 0
	s_branch .LBB48_867
.LBB48_862:
	s_mov_b64 s[56:57], -1
                                        ; implicit-def: $vgpr1
	s_branch .LBB48_873
.LBB48_863:
	s_or_saveexec_b64 s[56:57], s[56:57]
	v_mov_b32_e32 v1, s60
	s_xor_b64 exec, exec, s[56:57]
	s_cbranch_execz .LBB48_846
.LBB48_864:
	v_cmp_ne_u16_e32 vcc, 0, v3
	s_andn2_b64 s[0:1], s[0:1], exec
	s_and_b64 s[58:59], vcc, exec
	s_or_b64 s[0:1], s[0:1], s[58:59]
	v_mov_b32_e32 v1, v3
	s_or_b64 exec, exec, s[56:57]
	s_and_saveexec_b64 s[56:57], s[0:1]
	s_cbranch_execnz .LBB48_847
	s_branch .LBB48_848
.LBB48_865:
	s_mov_b64 s[0:1], -1
                                        ; implicit-def: $vgpr1
	s_branch .LBB48_870
.LBB48_866:
	s_mov_b64 s[0:1], -1
                                        ; implicit-def: $vgpr1
.LBB48_867:
	s_and_b64 vcc, exec, s[0:1]
	s_cbranch_vccz .LBB48_869
; %bb.868:
	global_load_ubyte v1, v[4:5], off
	s_mov_b32 s0, 0x7f800000
	s_waitcnt vmcnt(0)
	v_lshlrev_b32_e32 v1, 24, v1
	v_and_b32_e32 v3, 0x7f000000, v1
	v_ffbh_u32_e32 v10, v3
	v_min_u32_e32 v10, 32, v10
	v_sub_u32_e64 v10, v10, 4 clamp
	v_lshlrev_b32_e32 v12, v10, v3
	v_lshlrev_b32_e32 v10, 23, v10
	v_lshrrev_b32_e32 v12, 4, v12
	v_add_u32_e32 v11, 0x1000000, v3
	v_sub_u32_e32 v10, v12, v10
	v_ashrrev_i32_e32 v11, 8, v11
	v_add_u32_e32 v10, 0x3c000000, v10
	v_and_or_b32 v10, v11, s0, v10
	v_cmp_ne_u32_e32 vcc, 0, v3
	v_cndmask_b32_e32 v3, 0, v10, vcc
	s_brev_b32 s0, 1
	v_and_or_b32 v1, v1, s0, v3
	v_cvt_f16_f32_e32 v1, v1
.LBB48_869:
	s_mov_b64 s[0:1], 0
.LBB48_870:
	s_andn2_b64 vcc, exec, s[0:1]
	s_cbranch_vccnz .LBB48_872
; %bb.871:
	global_load_ubyte v1, v[4:5], off
	s_movk_i32 s0, 0x7f00
	s_brev_b32 s1, 16
	s_waitcnt vmcnt(0)
	v_lshlrev_b16_e32 v3, 8, v1
	v_lshlrev_b32_e32 v1, 25, v1
	v_lshrrev_b32_e32 v10, 4, v1
	v_and_or_b32 v11, v3, s0, 0.5
	v_or_b32_e32 v10, 0x70000000, v10
	v_add_f32_e32 v11, -0.5, v11
	v_mul_f32_e32 v10, 0x7800000, v10
	v_cmp_gt_u32_e32 vcc, s1, v1
	v_bfe_i32 v3, v3, 0, 16
	v_cndmask_b32_e32 v1, v10, v11, vcc
	s_brev_b32 s0, 1
	v_and_or_b32 v1, v3, s0, v1
	v_cvt_f16_f32_e32 v1, v1
.LBB48_872:
	s_mov_b64 s[56:57], 0
	s_mov_b64 s[0:1], -1
.LBB48_873:
	s_andn2_b64 vcc, exec, s[56:57]
	s_cbranch_vccnz .LBB48_886
; %bb.874:
	v_mov_b32_e32 v1, 14
	v_cmp_gt_i16_sdwa s[56:57], v9, v1 src0_sel:BYTE_0 src1_sel:DWORD
	s_and_b64 vcc, exec, s[56:57]
	s_cbranch_vccz .LBB48_877
; %bb.875:
	v_mov_b32_e32 v1, 15
	v_cmp_eq_u16_sdwa s[54:55], v9, v1 src0_sel:BYTE_0 src1_sel:DWORD
	s_and_b64 vcc, exec, s[54:55]
	s_cbranch_vccz .LBB48_880
; %bb.876:
	global_load_ushort v1, v[4:5], off
	s_mov_b64 s[0:1], -1
	s_mov_b64 s[54:55], 0
	s_waitcnt vmcnt(0)
	v_lshlrev_b32_e32 v1, 16, v1
	v_cvt_f16_f32_e32 v1, v1
	s_branch .LBB48_881
.LBB48_877:
	s_mov_b64 s[56:57], -1
                                        ; implicit-def: $vgpr1
	s_branch .LBB48_882
.LBB48_878:
	s_or_saveexec_b64 s[56:57], s[56:57]
	v_mov_b32_e32 v1, s60
	s_xor_b64 exec, exec, s[56:57]
	s_cbranch_execz .LBB48_859
.LBB48_879:
	v_cmp_ne_u16_e32 vcc, 0, v3
	s_andn2_b64 s[0:1], s[0:1], exec
	s_and_b64 s[58:59], vcc, exec
	s_or_b64 s[0:1], s[0:1], s[58:59]
	v_mov_b32_e32 v1, v3
	s_or_b64 exec, exec, s[56:57]
	s_and_saveexec_b64 s[56:57], s[0:1]
	s_cbranch_execnz .LBB48_860
	s_branch .LBB48_861
.LBB48_880:
	s_mov_b64 s[54:55], -1
                                        ; implicit-def: $vgpr1
.LBB48_881:
	s_mov_b64 s[56:57], 0
.LBB48_882:
	s_and_b64 vcc, exec, s[56:57]
	s_cbranch_vccz .LBB48_886
; %bb.883:
	v_mov_b32_e32 v1, 11
	v_cmp_eq_u16_sdwa s[54:55], v9, v1 src0_sel:BYTE_0 src1_sel:DWORD
	s_and_b64 vcc, exec, s[54:55]
	s_cbranch_vccz .LBB48_885
; %bb.884:
	global_load_ubyte v1, v[4:5], off
	v_mov_b32_e32 v3, 0x3c00
	s_mov_b64 s[0:1], -1
	s_mov_b64 s[54:55], 0
	s_waitcnt vmcnt(0)
	v_cmp_ne_u16_e32 vcc, 0, v1
	v_cndmask_b32_e32 v1, 0, v3, vcc
	s_branch .LBB48_886
.LBB48_885:
	s_mov_b64 s[54:55], -1
                                        ; implicit-def: $vgpr1
.LBB48_886:
	s_mov_b64 s[56:57], 0
.LBB48_887:
	s_and_b64 vcc, exec, s[56:57]
	s_cbranch_vccz .LBB48_936
; %bb.888:
	v_mov_b32_e32 v1, 5
	v_cmp_lt_i16_sdwa s[0:1], v9, v1 src0_sel:BYTE_0 src1_sel:DWORD
	s_and_b64 vcc, exec, s[0:1]
	s_cbranch_vccnz .LBB48_893
; %bb.889:
	v_mov_b32_e32 v1, 8
	v_cmp_lt_i16_sdwa s[0:1], v9, v1 src0_sel:BYTE_0 src1_sel:DWORD
	s_and_b64 vcc, exec, s[0:1]
	s_cbranch_vccnz .LBB48_894
	;; [unrolled: 5-line block ×3, first 2 shown]
; %bb.891:
	v_cmp_gt_i16_sdwa s[0:1], v9, v1 src0_sel:BYTE_0 src1_sel:DWORD
	s_and_b64 vcc, exec, s[0:1]
	s_cbranch_vccz .LBB48_896
; %bb.892:
	global_load_dwordx2 v[10:11], v[4:5], off
	s_mov_b64 s[0:1], 0
	s_waitcnt vmcnt(0)
	v_cvt_f32_f64_e32 v1, v[10:11]
	v_cvt_f16_f32_e32 v1, v1
	s_branch .LBB48_897
.LBB48_893:
	s_mov_b64 s[0:1], -1
                                        ; implicit-def: $vgpr1
	s_branch .LBB48_915
.LBB48_894:
	s_mov_b64 s[0:1], -1
                                        ; implicit-def: $vgpr1
	s_branch .LBB48_903
.LBB48_895:
	s_mov_b64 s[0:1], -1
                                        ; implicit-def: $vgpr1
	s_branch .LBB48_900
.LBB48_896:
	s_mov_b64 s[0:1], -1
                                        ; implicit-def: $vgpr1
.LBB48_897:
	s_andn2_b64 vcc, exec, s[0:1]
	s_cbranch_vccnz .LBB48_899
; %bb.898:
	global_load_dword v1, v[4:5], off
	s_waitcnt vmcnt(0)
	v_cvt_f16_f32_e32 v1, v1
.LBB48_899:
	s_mov_b64 s[0:1], 0
.LBB48_900:
	s_andn2_b64 vcc, exec, s[0:1]
	s_cbranch_vccnz .LBB48_902
; %bb.901:
	global_load_dword v1, v[4:5], off
.LBB48_902:
	s_mov_b64 s[0:1], 0
.LBB48_903:
	s_andn2_b64 vcc, exec, s[0:1]
	s_cbranch_vccnz .LBB48_914
; %bb.904:
	s_waitcnt vmcnt(0)
	v_mov_b32_e32 v1, 6
	v_cmp_lt_i16_sdwa s[0:1], v9, v1 src0_sel:BYTE_0 src1_sel:DWORD
	s_and_b64 vcc, exec, s[0:1]
	s_cbranch_vccnz .LBB48_907
; %bb.905:
	v_cmp_gt_i16_sdwa s[0:1], v9, v1 src0_sel:BYTE_0 src1_sel:DWORD
	s_and_b64 vcc, exec, s[0:1]
	s_cbranch_vccz .LBB48_908
; %bb.906:
	global_load_dwordx2 v[10:11], v[4:5], off
	s_mov_b64 s[0:1], 0
	s_waitcnt vmcnt(0)
	v_cvt_f32_f64_e32 v1, v[10:11]
	v_cvt_f16_f32_e32 v1, v1
	s_branch .LBB48_909
.LBB48_907:
	s_mov_b64 s[0:1], -1
                                        ; implicit-def: $vgpr1
	s_branch .LBB48_912
.LBB48_908:
	s_mov_b64 s[0:1], -1
                                        ; implicit-def: $vgpr1
.LBB48_909:
	s_andn2_b64 vcc, exec, s[0:1]
	s_cbranch_vccnz .LBB48_911
; %bb.910:
	global_load_dword v1, v[4:5], off
	s_waitcnt vmcnt(0)
	v_cvt_f16_f32_e32 v1, v1
.LBB48_911:
	s_mov_b64 s[0:1], 0
.LBB48_912:
	s_andn2_b64 vcc, exec, s[0:1]
	s_cbranch_vccnz .LBB48_914
; %bb.913:
	global_load_ushort v1, v[4:5], off
.LBB48_914:
	s_mov_b64 s[0:1], 0
.LBB48_915:
	s_andn2_b64 vcc, exec, s[0:1]
	s_cbranch_vccnz .LBB48_935
; %bb.916:
	s_waitcnt vmcnt(0)
	v_mov_b32_e32 v1, 2
	v_cmp_lt_i16_sdwa s[0:1], v9, v1 src0_sel:BYTE_0 src1_sel:DWORD
	s_and_b64 vcc, exec, s[0:1]
	s_cbranch_vccnz .LBB48_920
; %bb.917:
	v_mov_b32_e32 v1, 3
	v_cmp_lt_i16_sdwa s[0:1], v9, v1 src0_sel:BYTE_0 src1_sel:DWORD
	s_and_b64 vcc, exec, s[0:1]
	s_cbranch_vccnz .LBB48_921
; %bb.918:
	v_cmp_gt_i16_sdwa s[0:1], v9, v1 src0_sel:BYTE_0 src1_sel:DWORD
	s_and_b64 vcc, exec, s[0:1]
	s_cbranch_vccz .LBB48_922
; %bb.919:
	global_load_dwordx2 v[10:11], v[4:5], off
	s_mov_b64 s[0:1], 0
	s_waitcnt vmcnt(0)
	v_xor_b32_e32 v3, v10, v11
	v_ffbh_i32_e32 v1, v11
	v_ashrrev_i32_e32 v3, 31, v3
	v_add_u32_e32 v1, -1, v1
	v_add_u32_e32 v3, 32, v3
	v_min_u32_e32 v1, v1, v3
	v_lshlrev_b64 v[10:11], v1, v[10:11]
	v_min_u32_e32 v3, 1, v10
	v_or_b32_e32 v3, v11, v3
	v_cvt_f32_i32_e32 v3, v3
	v_sub_u32_e32 v1, 32, v1
	v_ldexp_f32 v1, v3, v1
	v_cvt_f16_f32_e32 v1, v1
	s_branch .LBB48_923
.LBB48_920:
	s_mov_b64 s[0:1], -1
                                        ; implicit-def: $vgpr1
	s_branch .LBB48_929
.LBB48_921:
	s_mov_b64 s[0:1], -1
                                        ; implicit-def: $vgpr1
	s_branch .LBB48_926
.LBB48_922:
	s_mov_b64 s[0:1], -1
                                        ; implicit-def: $vgpr1
.LBB48_923:
	s_andn2_b64 vcc, exec, s[0:1]
	s_cbranch_vccnz .LBB48_925
; %bb.924:
	global_load_dword v1, v[4:5], off
	s_waitcnt vmcnt(0)
	v_cvt_f32_i32_e32 v1, v1
	v_cvt_f16_f32_e32 v1, v1
.LBB48_925:
	s_mov_b64 s[0:1], 0
.LBB48_926:
	s_andn2_b64 vcc, exec, s[0:1]
	s_cbranch_vccnz .LBB48_928
; %bb.927:
	global_load_ushort v1, v[4:5], off
	s_waitcnt vmcnt(0)
	v_cvt_f16_i16_e32 v1, v1
.LBB48_928:
	s_mov_b64 s[0:1], 0
.LBB48_929:
	s_andn2_b64 vcc, exec, s[0:1]
	s_cbranch_vccnz .LBB48_935
; %bb.930:
	v_mov_b32_e32 v1, 0
	v_cmp_gt_i16_sdwa s[0:1], v9, v1 src0_sel:BYTE_0 src1_sel:DWORD
	s_and_b64 vcc, exec, s[0:1]
	s_cbranch_vccz .LBB48_932
; %bb.931:
	global_load_sbyte v1, v[4:5], off
	s_mov_b64 s[0:1], 0
	s_waitcnt vmcnt(0)
	v_cvt_f16_i16_e32 v1, v1
	s_branch .LBB48_933
.LBB48_932:
	s_mov_b64 s[0:1], -1
                                        ; implicit-def: $vgpr1
.LBB48_933:
	s_andn2_b64 vcc, exec, s[0:1]
	s_cbranch_vccnz .LBB48_935
; %bb.934:
	global_load_ubyte v1, v[4:5], off
	s_waitcnt vmcnt(0)
	v_cvt_f16_u16_e32 v1, v1
.LBB48_935:
	s_mov_b64 s[0:1], -1
.LBB48_936:
	s_andn2_b64 vcc, exec, s[0:1]
	s_cbranch_vccnz .LBB48_944
; %bb.937:
	v_mov_b32_e32 v3, s25
	v_add_co_u32_e32 v2, vcc, s24, v2
	v_mov_b32_e32 v4, 11
	v_addc_co_u32_e32 v3, vcc, 0, v3, vcc
	v_cmp_lt_i16_sdwa s[0:1], v7, v4 src0_sel:BYTE_0 src1_sel:DWORD
	s_and_b64 vcc, exec, s[0:1]
	s_cbranch_vccnz .LBB48_946
; %bb.938:
	v_mov_b32_e32 v4, 25
	v_cmp_gt_i16_sdwa s[0:1], v7, v4 src0_sel:BYTE_0 src1_sel:DWORD
	s_and_b64 vcc, exec, s[0:1]
	s_cbranch_vccz .LBB48_947
; %bb.939:
	v_mov_b32_e32 v4, 28
	v_cmp_gt_i16_sdwa s[0:1], v7, v4 src0_sel:BYTE_0 src1_sel:DWORD
	s_and_b64 vcc, exec, s[0:1]
	s_cbranch_vccz .LBB48_948
	;; [unrolled: 5-line block ×4, first 2 shown]
; %bb.942:
	v_mov_b32_e32 v4, 46
	v_cmp_eq_u16_sdwa s[0:1], v7, v4 src0_sel:BYTE_0 src1_sel:DWORD
	s_mov_b64 s[58:59], 0
	s_and_b64 vcc, exec, s[0:1]
	s_cbranch_vccz .LBB48_953
; %bb.943:
	global_load_dword v4, v[2:3], off
	s_mov_b64 s[0:1], -1
	s_mov_b64 s[56:57], 0
	s_waitcnt vmcnt(0)
	v_lshlrev_b32_e32 v4, 16, v4
	v_cvt_f16_f32_e32 v4, v4
	s_branch .LBB48_954
.LBB48_944:
	s_mov_b64 s[60:61], 0
	s_mov_b64 s[0:1], s[48:49]
	;; [unrolled: 1-line block ×3, first 2 shown]
.LBB48_945:
                                        ; implicit-def: $vgpr8
	s_branch .LBB48_1192
.LBB48_946:
	s_mov_b64 s[58:59], -1
	s_mov_b64 s[0:1], 0
                                        ; implicit-def: $vgpr4
	s_mov_b64 s[56:57], s[46:47]
	s_branch .LBB48_1019
.LBB48_947:
	s_mov_b64 s[58:59], -1
	s_mov_b64 s[0:1], 0
	s_mov_b64 s[56:57], s[46:47]
                                        ; implicit-def: $vgpr4
	s_branch .LBB48_983
.LBB48_948:
	s_mov_b64 s[58:59], -1
	s_mov_b64 s[0:1], 0
	s_mov_b64 s[56:57], s[46:47]
                                        ; implicit-def: $vgpr4
	s_branch .LBB48_964
.LBB48_949:
	s_mov_b64 s[58:59], -1
	s_mov_b64 s[0:1], 0
	s_mov_b64 s[56:57], s[46:47]
                                        ; implicit-def: $vgpr4
	s_branch .LBB48_959
.LBB48_950:
	s_mov_b64 s[58:59], -1
	s_mov_b64 s[0:1], 0
	s_mov_b64 s[56:57], s[46:47]
                                        ; implicit-def: $vgpr4
	s_branch .LBB48_954
.LBB48_951:
	s_or_saveexec_b64 s[54:55], s[54:55]
                                        ; implicit-def: $sgpr56
	s_xor_b64 exec, exec, s[54:55]
	s_cbranch_execz .LBB48_716
.LBB48_952:
	s_mov_b32 s56, 0x42800000
	v_add_f32_e64 v4, |v3|, s56
	v_and_b32_e32 v4, 0xff, v4
	v_cmp_ne_u32_e32 vcc, 0, v4
	s_andn2_b64 s[52:53], s[52:53], exec
	s_and_b64 s[58:59], vcc, exec
	s_mov_b32 s56, 0
	s_or_b64 s[52:53], s[52:53], s[58:59]
	s_or_b64 exec, exec, s[54:55]
	v_mov_b32_e32 v5, s56
	s_and_saveexec_b64 s[54:55], s[52:53]
	s_cbranch_execnz .LBB48_717
	s_branch .LBB48_718
.LBB48_953:
	s_mov_b64 s[56:57], -1
                                        ; implicit-def: $vgpr4
	s_mov_b64 s[0:1], 0
.LBB48_954:
	s_and_b64 vcc, exec, s[58:59]
	s_cbranch_vccz .LBB48_958
; %bb.955:
	v_mov_b32_e32 v4, 44
	v_cmp_eq_u16_sdwa s[56:57], v7, v4 src0_sel:BYTE_0 src1_sel:DWORD
	s_and_b64 vcc, exec, s[56:57]
	s_cbranch_vccz .LBB48_957
; %bb.956:
	global_load_ubyte v4, v[2:3], off
	s_movk_i32 s56, 0xff
	v_mov_b32_e32 v10, 0x7e00
	s_mov_b64 s[0:1], -1
	s_waitcnt vmcnt(0)
	v_lshlrev_b32_e32 v5, 23, v4
	v_cvt_f16_f32_e32 v5, v5
	v_cmp_ne_u32_e32 vcc, s56, v4
	s_mov_b64 s[56:57], 0
	v_cndmask_b32_e32 v5, v10, v5, vcc
	v_cmp_ne_u32_e32 vcc, 0, v4
	v_cndmask_b32_e32 v4, 0, v5, vcc
	s_branch .LBB48_958
.LBB48_957:
	s_mov_b64 s[56:57], -1
                                        ; implicit-def: $vgpr4
.LBB48_958:
	s_mov_b64 s[58:59], 0
.LBB48_959:
	s_and_b64 vcc, exec, s[58:59]
	s_cbranch_vccz .LBB48_963
; %bb.960:
	v_mov_b32_e32 v4, 29
	v_cmp_eq_u16_sdwa s[56:57], v7, v4 src0_sel:BYTE_0 src1_sel:DWORD
	s_and_b64 vcc, exec, s[56:57]
	s_cbranch_vccz .LBB48_962
; %bb.961:
	global_load_dwordx2 v[4:5], v[2:3], off
	s_mov_b64 s[0:1], -1
	s_mov_b64 s[56:57], 0
	s_mov_b64 s[58:59], 0
	s_waitcnt vmcnt(0)
	v_ffbh_u32_e32 v10, v5
	v_min_u32_e32 v10, 32, v10
	v_lshlrev_b64 v[4:5], v10, v[4:5]
	v_min_u32_e32 v4, 1, v4
	v_or_b32_e32 v4, v5, v4
	v_cvt_f32_u32_e32 v4, v4
	v_sub_u32_e32 v5, 32, v10
	v_ldexp_f32 v4, v4, v5
	v_cvt_f16_f32_e32 v4, v4
	s_branch .LBB48_964
.LBB48_962:
	s_mov_b64 s[56:57], -1
                                        ; implicit-def: $vgpr4
.LBB48_963:
	s_mov_b64 s[58:59], 0
.LBB48_964:
	s_and_b64 vcc, exec, s[58:59]
	s_cbranch_vccz .LBB48_982
; %bb.965:
	v_mov_b32_e32 v4, 27
	v_cmp_lt_i16_sdwa s[0:1], v7, v4 src0_sel:BYTE_0 src1_sel:DWORD
	s_and_b64 vcc, exec, s[0:1]
	s_cbranch_vccnz .LBB48_968
; %bb.966:
	v_cmp_gt_i16_sdwa s[0:1], v7, v4 src0_sel:BYTE_0 src1_sel:DWORD
	s_and_b64 vcc, exec, s[0:1]
	s_cbranch_vccz .LBB48_969
; %bb.967:
	global_load_dword v4, v[2:3], off
	s_mov_b64 s[0:1], 0
	s_waitcnt vmcnt(0)
	v_cvt_f32_u32_e32 v4, v4
	v_cvt_f16_f32_e32 v4, v4
	s_branch .LBB48_970
.LBB48_968:
	s_mov_b64 s[0:1], -1
                                        ; implicit-def: $vgpr4
	s_branch .LBB48_973
.LBB48_969:
	s_mov_b64 s[0:1], -1
                                        ; implicit-def: $vgpr4
.LBB48_970:
	s_andn2_b64 vcc, exec, s[0:1]
	s_cbranch_vccnz .LBB48_972
; %bb.971:
	global_load_ushort v4, v[2:3], off
	s_waitcnt vmcnt(0)
	v_cvt_f16_u16_e32 v4, v4
.LBB48_972:
	s_mov_b64 s[0:1], 0
.LBB48_973:
	s_andn2_b64 vcc, exec, s[0:1]
	s_cbranch_vccnz .LBB48_981
; %bb.974:
	global_load_ubyte v5, v[2:3], off
	s_movk_i32 s0, 0x7f
                                        ; implicit-def: $sgpr62
	s_waitcnt vmcnt(0)
	v_cmp_lt_i16_e32 vcc, s0, v5
	s_mov_b64 s[0:1], 0
	s_and_saveexec_b64 s[58:59], vcc
	s_xor_b64 s[58:59], exec, s[58:59]
	s_cbranch_execz .LBB48_995
; %bb.975:
	s_movk_i32 s0, 0x80
	v_cmp_eq_u16_e32 vcc, s0, v5
	s_mov_b64 s[0:1], -1
                                        ; implicit-def: $sgpr62
	s_and_saveexec_b64 s[60:61], vcc
; %bb.976:
	s_movk_i32 s62, 0x7e00
	s_xor_b64 s[0:1], exec, -1
; %bb.977:
	s_or_b64 exec, exec, s[60:61]
	s_and_b64 s[0:1], s[0:1], exec
	s_or_saveexec_b64 s[58:59], s[58:59]
	v_mov_b32_e32 v4, s62
	s_xor_b64 exec, exec, s[58:59]
	s_cbranch_execnz .LBB48_996
.LBB48_978:
	s_or_b64 exec, exec, s[58:59]
	s_and_saveexec_b64 s[58:59], s[0:1]
	s_cbranch_execz .LBB48_980
.LBB48_979:
	v_lshlrev_b32_e32 v4, 24, v5
	v_and_b32_e32 v5, 0xffff, v5
	v_and_b32_e32 v10, 7, v5
	v_ffbh_u32_e32 v12, v10
	v_min_u32_e32 v12, 32, v12
	v_subrev_u32_e32 v13, 28, v12
	v_bfe_u32 v11, v5, 3, 4
	v_lshlrev_b32_e32 v5, v13, v5
	v_sub_u32_e32 v12, 29, v12
	v_and_b32_e32 v5, 7, v5
	v_cmp_eq_u32_e32 vcc, 0, v11
	v_cndmask_b32_e32 v11, v11, v12, vcc
	v_cndmask_b32_e32 v5, v10, v5, vcc
	v_mov_b32_e32 v10, 0x3b800000
	v_lshlrev_b32_e32 v5, 20, v5
	v_and_b32_e32 v4, 0x80000000, v4
	v_lshl_add_u32 v10, v11, 23, v10
	v_or3_b32 v4, v4, v10, v5
	v_cvt_f16_f32_e32 v4, v4
.LBB48_980:
	s_or_b64 exec, exec, s[58:59]
.LBB48_981:
	s_mov_b64 s[0:1], -1
.LBB48_982:
	s_mov_b64 s[58:59], 0
.LBB48_983:
	s_and_b64 vcc, exec, s[58:59]
	s_cbranch_vccz .LBB48_1018
; %bb.984:
	v_mov_b32_e32 v4, 22
	v_cmp_gt_i16_sdwa s[58:59], v7, v4 src0_sel:BYTE_0 src1_sel:DWORD
	s_and_b64 vcc, exec, s[58:59]
	s_cbranch_vccz .LBB48_994
; %bb.985:
	v_mov_b32_e32 v4, 24
	v_cmp_lt_i16_sdwa s[0:1], v7, v4 src0_sel:BYTE_0 src1_sel:DWORD
	s_and_b64 vcc, exec, s[0:1]
	s_cbranch_vccnz .LBB48_997
; %bb.986:
	v_cmp_gt_i16_sdwa s[0:1], v7, v4 src0_sel:BYTE_0 src1_sel:DWORD
	s_and_b64 vcc, exec, s[0:1]
	s_cbranch_vccz .LBB48_998
; %bb.987:
	global_load_ubyte v5, v[2:3], off
	s_movk_i32 s0, 0x7f
                                        ; implicit-def: $sgpr62
	s_waitcnt vmcnt(0)
	v_cmp_lt_i16_e32 vcc, s0, v5
	s_mov_b64 s[0:1], 0
	s_and_saveexec_b64 s[58:59], vcc
	s_xor_b64 s[58:59], exec, s[58:59]
	s_cbranch_execz .LBB48_1010
; %bb.988:
	s_movk_i32 s0, 0x80
	v_cmp_eq_u16_e32 vcc, s0, v5
	s_mov_b64 s[0:1], -1
                                        ; implicit-def: $sgpr62
	s_and_saveexec_b64 s[60:61], vcc
; %bb.989:
	s_movk_i32 s62, 0x7e00
	s_xor_b64 s[0:1], exec, -1
; %bb.990:
	s_or_b64 exec, exec, s[60:61]
	s_and_b64 s[0:1], s[0:1], exec
	s_or_saveexec_b64 s[58:59], s[58:59]
	v_mov_b32_e32 v4, s62
	s_xor_b64 exec, exec, s[58:59]
	s_cbranch_execnz .LBB48_1011
.LBB48_991:
	s_or_b64 exec, exec, s[58:59]
	s_and_saveexec_b64 s[58:59], s[0:1]
	s_cbranch_execz .LBB48_993
.LBB48_992:
	v_lshlrev_b32_e32 v4, 24, v5
	v_and_b32_e32 v5, 0xffff, v5
	v_and_b32_e32 v10, 3, v5
	v_ffbh_u32_e32 v12, v10
	v_min_u32_e32 v12, 32, v12
	v_subrev_u32_e32 v13, 29, v12
	v_bfe_u32 v11, v5, 2, 5
	v_lshlrev_b32_e32 v5, v13, v5
	v_sub_u32_e32 v12, 30, v12
	v_and_b32_e32 v5, 3, v5
	v_cmp_eq_u32_e32 vcc, 0, v11
	v_cndmask_b32_e32 v11, v11, v12, vcc
	v_cndmask_b32_e32 v5, v10, v5, vcc
	v_mov_b32_e32 v10, 0x37800000
	v_lshlrev_b32_e32 v5, 21, v5
	v_and_b32_e32 v4, 0x80000000, v4
	v_lshl_add_u32 v10, v11, 23, v10
	v_or3_b32 v4, v4, v10, v5
	v_cvt_f16_f32_e32 v4, v4
.LBB48_993:
	s_or_b64 exec, exec, s[58:59]
	s_mov_b64 s[0:1], 0
	s_branch .LBB48_999
.LBB48_994:
	s_mov_b64 s[58:59], -1
                                        ; implicit-def: $vgpr4
	s_branch .LBB48_1005
.LBB48_995:
	s_or_saveexec_b64 s[58:59], s[58:59]
	v_mov_b32_e32 v4, s62
	s_xor_b64 exec, exec, s[58:59]
	s_cbranch_execz .LBB48_978
.LBB48_996:
	v_cmp_ne_u16_e32 vcc, 0, v5
	s_andn2_b64 s[0:1], s[0:1], exec
	s_and_b64 s[60:61], vcc, exec
	s_or_b64 s[0:1], s[0:1], s[60:61]
	v_mov_b32_e32 v4, v5
	s_or_b64 exec, exec, s[58:59]
	s_and_saveexec_b64 s[58:59], s[0:1]
	s_cbranch_execnz .LBB48_979
	s_branch .LBB48_980
.LBB48_997:
	s_mov_b64 s[0:1], -1
                                        ; implicit-def: $vgpr4
	s_branch .LBB48_1002
.LBB48_998:
	s_mov_b64 s[0:1], -1
                                        ; implicit-def: $vgpr4
.LBB48_999:
	s_and_b64 vcc, exec, s[0:1]
	s_cbranch_vccz .LBB48_1001
; %bb.1000:
	global_load_ubyte v4, v[2:3], off
	s_mov_b32 s0, 0x7f800000
	s_waitcnt vmcnt(0)
	v_lshlrev_b32_e32 v4, 24, v4
	v_and_b32_e32 v5, 0x7f000000, v4
	v_ffbh_u32_e32 v10, v5
	v_min_u32_e32 v10, 32, v10
	v_sub_u32_e64 v10, v10, 4 clamp
	v_lshlrev_b32_e32 v12, v10, v5
	v_lshlrev_b32_e32 v10, 23, v10
	v_lshrrev_b32_e32 v12, 4, v12
	v_add_u32_e32 v11, 0x1000000, v5
	v_sub_u32_e32 v10, v12, v10
	v_ashrrev_i32_e32 v11, 8, v11
	v_add_u32_e32 v10, 0x3c000000, v10
	v_and_or_b32 v10, v11, s0, v10
	v_cmp_ne_u32_e32 vcc, 0, v5
	v_cndmask_b32_e32 v5, 0, v10, vcc
	s_brev_b32 s0, 1
	v_and_or_b32 v4, v4, s0, v5
	v_cvt_f16_f32_e32 v4, v4
.LBB48_1001:
	s_mov_b64 s[0:1], 0
.LBB48_1002:
	s_andn2_b64 vcc, exec, s[0:1]
	s_cbranch_vccnz .LBB48_1004
; %bb.1003:
	global_load_ubyte v4, v[2:3], off
	s_movk_i32 s0, 0x7f00
	s_brev_b32 s1, 16
	s_waitcnt vmcnt(0)
	v_lshlrev_b16_e32 v5, 8, v4
	v_lshlrev_b32_e32 v4, 25, v4
	v_lshrrev_b32_e32 v10, 4, v4
	v_and_or_b32 v11, v5, s0, 0.5
	v_or_b32_e32 v10, 0x70000000, v10
	v_add_f32_e32 v11, -0.5, v11
	v_mul_f32_e32 v10, 0x7800000, v10
	v_cmp_gt_u32_e32 vcc, s1, v4
	v_bfe_i32 v5, v5, 0, 16
	v_cndmask_b32_e32 v4, v10, v11, vcc
	s_brev_b32 s0, 1
	v_and_or_b32 v4, v5, s0, v4
	v_cvt_f16_f32_e32 v4, v4
.LBB48_1004:
	s_mov_b64 s[58:59], 0
	s_mov_b64 s[0:1], -1
.LBB48_1005:
	s_andn2_b64 vcc, exec, s[58:59]
	s_cbranch_vccnz .LBB48_1018
; %bb.1006:
	v_mov_b32_e32 v4, 14
	v_cmp_gt_i16_sdwa s[58:59], v7, v4 src0_sel:BYTE_0 src1_sel:DWORD
	s_and_b64 vcc, exec, s[58:59]
	s_cbranch_vccz .LBB48_1009
; %bb.1007:
	v_mov_b32_e32 v4, 15
	v_cmp_eq_u16_sdwa s[56:57], v7, v4 src0_sel:BYTE_0 src1_sel:DWORD
	s_and_b64 vcc, exec, s[56:57]
	s_cbranch_vccz .LBB48_1012
; %bb.1008:
	global_load_ushort v4, v[2:3], off
	s_mov_b64 s[0:1], -1
	s_mov_b64 s[56:57], 0
	s_waitcnt vmcnt(0)
	v_lshlrev_b32_e32 v4, 16, v4
	v_cvt_f16_f32_e32 v4, v4
	s_branch .LBB48_1013
.LBB48_1009:
	s_mov_b64 s[58:59], -1
                                        ; implicit-def: $vgpr4
	s_branch .LBB48_1014
.LBB48_1010:
	s_or_saveexec_b64 s[58:59], s[58:59]
	v_mov_b32_e32 v4, s62
	s_xor_b64 exec, exec, s[58:59]
	s_cbranch_execz .LBB48_991
.LBB48_1011:
	v_cmp_ne_u16_e32 vcc, 0, v5
	s_andn2_b64 s[0:1], s[0:1], exec
	s_and_b64 s[60:61], vcc, exec
	s_or_b64 s[0:1], s[0:1], s[60:61]
	v_mov_b32_e32 v4, v5
	s_or_b64 exec, exec, s[58:59]
	s_and_saveexec_b64 s[58:59], s[0:1]
	s_cbranch_execnz .LBB48_992
	s_branch .LBB48_993
.LBB48_1012:
	s_mov_b64 s[56:57], -1
                                        ; implicit-def: $vgpr4
.LBB48_1013:
	s_mov_b64 s[58:59], 0
.LBB48_1014:
	s_and_b64 vcc, exec, s[58:59]
	s_cbranch_vccz .LBB48_1018
; %bb.1015:
	v_mov_b32_e32 v4, 11
	v_cmp_eq_u16_sdwa s[56:57], v7, v4 src0_sel:BYTE_0 src1_sel:DWORD
	s_and_b64 vcc, exec, s[56:57]
	s_cbranch_vccz .LBB48_1017
; %bb.1016:
	global_load_ubyte v4, v[2:3], off
	v_mov_b32_e32 v5, 0x3c00
	s_mov_b64 s[0:1], -1
	s_mov_b64 s[56:57], 0
	s_waitcnt vmcnt(0)
	v_cmp_ne_u16_e32 vcc, 0, v4
	v_cndmask_b32_e32 v4, 0, v5, vcc
	s_branch .LBB48_1018
.LBB48_1017:
	s_mov_b64 s[56:57], -1
                                        ; implicit-def: $vgpr4
.LBB48_1018:
	s_mov_b64 s[58:59], 0
.LBB48_1019:
	s_and_b64 vcc, exec, s[58:59]
	s_cbranch_vccz .LBB48_1068
; %bb.1020:
	v_mov_b32_e32 v4, 5
	v_cmp_lt_i16_sdwa s[0:1], v7, v4 src0_sel:BYTE_0 src1_sel:DWORD
	s_and_b64 vcc, exec, s[0:1]
	s_cbranch_vccnz .LBB48_1025
; %bb.1021:
	v_mov_b32_e32 v4, 8
	v_cmp_lt_i16_sdwa s[0:1], v7, v4 src0_sel:BYTE_0 src1_sel:DWORD
	s_and_b64 vcc, exec, s[0:1]
	s_cbranch_vccnz .LBB48_1026
	;; [unrolled: 5-line block ×3, first 2 shown]
; %bb.1023:
	v_cmp_gt_i16_sdwa s[0:1], v7, v4 src0_sel:BYTE_0 src1_sel:DWORD
	s_and_b64 vcc, exec, s[0:1]
	s_cbranch_vccz .LBB48_1028
; %bb.1024:
	global_load_dwordx2 v[4:5], v[2:3], off
	s_mov_b64 s[0:1], 0
	s_waitcnt vmcnt(0)
	v_cvt_f32_f64_e32 v4, v[4:5]
	v_cvt_f16_f32_e32 v4, v4
	s_branch .LBB48_1029
.LBB48_1025:
	s_mov_b64 s[0:1], -1
                                        ; implicit-def: $vgpr4
	s_branch .LBB48_1047
.LBB48_1026:
	s_mov_b64 s[0:1], -1
                                        ; implicit-def: $vgpr4
	s_branch .LBB48_1035
.LBB48_1027:
	s_mov_b64 s[0:1], -1
                                        ; implicit-def: $vgpr4
	s_branch .LBB48_1032
.LBB48_1028:
	s_mov_b64 s[0:1], -1
                                        ; implicit-def: $vgpr4
.LBB48_1029:
	s_andn2_b64 vcc, exec, s[0:1]
	s_cbranch_vccnz .LBB48_1031
; %bb.1030:
	global_load_dword v4, v[2:3], off
	s_waitcnt vmcnt(0)
	v_cvt_f16_f32_e32 v4, v4
.LBB48_1031:
	s_mov_b64 s[0:1], 0
.LBB48_1032:
	s_andn2_b64 vcc, exec, s[0:1]
	s_cbranch_vccnz .LBB48_1034
; %bb.1033:
	global_load_dword v4, v[2:3], off
.LBB48_1034:
	s_mov_b64 s[0:1], 0
.LBB48_1035:
	s_andn2_b64 vcc, exec, s[0:1]
	s_cbranch_vccnz .LBB48_1046
; %bb.1036:
	s_waitcnt vmcnt(0)
	v_mov_b32_e32 v4, 6
	v_cmp_lt_i16_sdwa s[0:1], v7, v4 src0_sel:BYTE_0 src1_sel:DWORD
	s_and_b64 vcc, exec, s[0:1]
	s_cbranch_vccnz .LBB48_1039
; %bb.1037:
	v_cmp_gt_i16_sdwa s[0:1], v7, v4 src0_sel:BYTE_0 src1_sel:DWORD
	s_and_b64 vcc, exec, s[0:1]
	s_cbranch_vccz .LBB48_1040
; %bb.1038:
	global_load_dwordx2 v[4:5], v[2:3], off
	s_mov_b64 s[0:1], 0
	s_waitcnt vmcnt(0)
	v_cvt_f32_f64_e32 v4, v[4:5]
	v_cvt_f16_f32_e32 v4, v4
	s_branch .LBB48_1041
.LBB48_1039:
	s_mov_b64 s[0:1], -1
                                        ; implicit-def: $vgpr4
	s_branch .LBB48_1044
.LBB48_1040:
	s_mov_b64 s[0:1], -1
                                        ; implicit-def: $vgpr4
.LBB48_1041:
	s_andn2_b64 vcc, exec, s[0:1]
	s_cbranch_vccnz .LBB48_1043
; %bb.1042:
	global_load_dword v4, v[2:3], off
	s_waitcnt vmcnt(0)
	v_cvt_f16_f32_e32 v4, v4
.LBB48_1043:
	s_mov_b64 s[0:1], 0
.LBB48_1044:
	s_andn2_b64 vcc, exec, s[0:1]
	s_cbranch_vccnz .LBB48_1046
; %bb.1045:
	global_load_ushort v4, v[2:3], off
.LBB48_1046:
	s_mov_b64 s[0:1], 0
.LBB48_1047:
	s_andn2_b64 vcc, exec, s[0:1]
	s_cbranch_vccnz .LBB48_1067
; %bb.1048:
	s_waitcnt vmcnt(0)
	v_mov_b32_e32 v4, 2
	v_cmp_lt_i16_sdwa s[0:1], v7, v4 src0_sel:BYTE_0 src1_sel:DWORD
	s_and_b64 vcc, exec, s[0:1]
	s_cbranch_vccnz .LBB48_1052
; %bb.1049:
	v_mov_b32_e32 v4, 3
	v_cmp_lt_i16_sdwa s[0:1], v7, v4 src0_sel:BYTE_0 src1_sel:DWORD
	s_and_b64 vcc, exec, s[0:1]
	s_cbranch_vccnz .LBB48_1053
; %bb.1050:
	v_cmp_gt_i16_sdwa s[0:1], v7, v4 src0_sel:BYTE_0 src1_sel:DWORD
	s_and_b64 vcc, exec, s[0:1]
	s_cbranch_vccz .LBB48_1054
; %bb.1051:
	global_load_dwordx2 v[4:5], v[2:3], off
	s_mov_b64 s[0:1], 0
	s_waitcnt vmcnt(0)
	v_xor_b32_e32 v11, v4, v5
	v_ffbh_i32_e32 v10, v5
	v_ashrrev_i32_e32 v11, 31, v11
	v_add_u32_e32 v10, -1, v10
	v_add_u32_e32 v11, 32, v11
	v_min_u32_e32 v10, v10, v11
	v_lshlrev_b64 v[4:5], v10, v[4:5]
	v_min_u32_e32 v4, 1, v4
	v_or_b32_e32 v4, v5, v4
	v_cvt_f32_i32_e32 v4, v4
	v_sub_u32_e32 v5, 32, v10
	v_ldexp_f32 v4, v4, v5
	v_cvt_f16_f32_e32 v4, v4
	s_branch .LBB48_1055
.LBB48_1052:
	s_mov_b64 s[0:1], -1
                                        ; implicit-def: $vgpr4
	s_branch .LBB48_1061
.LBB48_1053:
	s_mov_b64 s[0:1], -1
                                        ; implicit-def: $vgpr4
	s_branch .LBB48_1058
.LBB48_1054:
	s_mov_b64 s[0:1], -1
                                        ; implicit-def: $vgpr4
.LBB48_1055:
	s_andn2_b64 vcc, exec, s[0:1]
	s_cbranch_vccnz .LBB48_1057
; %bb.1056:
	global_load_dword v4, v[2:3], off
	s_waitcnt vmcnt(0)
	v_cvt_f32_i32_e32 v4, v4
	v_cvt_f16_f32_e32 v4, v4
.LBB48_1057:
	s_mov_b64 s[0:1], 0
.LBB48_1058:
	s_andn2_b64 vcc, exec, s[0:1]
	s_cbranch_vccnz .LBB48_1060
; %bb.1059:
	global_load_ushort v4, v[2:3], off
	s_waitcnt vmcnt(0)
	v_cvt_f16_i16_e32 v4, v4
.LBB48_1060:
	s_mov_b64 s[0:1], 0
.LBB48_1061:
	s_andn2_b64 vcc, exec, s[0:1]
	s_cbranch_vccnz .LBB48_1067
; %bb.1062:
	v_mov_b32_e32 v4, 0
	v_cmp_gt_i16_sdwa s[0:1], v7, v4 src0_sel:BYTE_0 src1_sel:DWORD
	s_and_b64 vcc, exec, s[0:1]
	s_cbranch_vccz .LBB48_1064
; %bb.1063:
	global_load_sbyte v4, v[2:3], off
	s_mov_b64 s[0:1], 0
	s_waitcnt vmcnt(0)
	v_cvt_f16_i16_e32 v4, v4
	s_branch .LBB48_1065
.LBB48_1064:
	s_mov_b64 s[0:1], -1
                                        ; implicit-def: $vgpr4
.LBB48_1065:
	s_andn2_b64 vcc, exec, s[0:1]
	s_cbranch_vccnz .LBB48_1067
; %bb.1066:
	global_load_ubyte v2, v[2:3], off
	s_waitcnt vmcnt(0)
	v_cvt_f16_u16_e32 v4, v2
.LBB48_1067:
	s_mov_b64 s[0:1], -1
.LBB48_1068:
	s_andn2_b64 vcc, exec, s[0:1]
	s_cbranch_vccnz .LBB48_1076
; %bb.1069:
	s_waitcnt vmcnt(0)
	v_cvt_f32_f16_e32 v2, v4
	v_cvt_f32_f16_e32 v3, v1
	s_movk_i32 s0, 0x400
	v_mov_b32_e32 v10, 0x400
	v_rcp_f32_e32 v5, v2
	s_movk_i32 s1, 0x3bfe
	v_mul_f32_e32 v11, v3, v5
	v_mad_f32 v12, -v2, v11, v3
	v_mac_f32_e32 v11, v12, v5
	v_mad_f32 v2, -v2, v11, v3
	v_mul_f32_e32 v2, v2, v5
	v_and_b32_e32 v2, 0xff800000, v2
	v_add_f32_e32 v2, v2, v11
	v_cvt_f16_f32_e32 v2, v2
	v_mov_b32_e32 v3, 0x3bfe
	v_mov_b32_e32 v5, s9
	v_div_fixup_f16 v1, v2, v4, v1
	v_cmp_ngt_f16_e32 vcc, s0, v1
	v_cndmask_b32_e32 v1, v10, v1, vcc
	v_cmp_nlt_f16_e32 vcc, s1, v1
	v_cndmask_b32_e32 v2, v3, v1, vcc
	v_add_co_u32_e32 v0, vcc, s8, v0
	v_mov_b32_e32 v3, 11
	v_addc_co_u32_e32 v1, vcc, 0, v5, vcc
	v_cmp_lt_i16_sdwa s[0:1], v6, v3 src0_sel:BYTE_0 src1_sel:DWORD
	s_and_b64 vcc, exec, s[0:1]
	s_cbranch_vccnz .LBB48_1077
; %bb.1070:
	v_mov_b32_e32 v3, 25
	v_cmp_gt_i16_sdwa s[0:1], v6, v3 src0_sel:BYTE_0 src1_sel:DWORD
	s_and_b64 vcc, exec, s[0:1]
	s_cbranch_vccz .LBB48_1078
; %bb.1071:
	v_mov_b32_e32 v3, 28
	v_cmp_gt_i16_sdwa s[0:1], v6, v3 src0_sel:BYTE_0 src1_sel:DWORD
	s_and_b64 vcc, exec, s[0:1]
	s_cbranch_vccz .LBB48_1079
	;; [unrolled: 5-line block ×4, first 2 shown]
; %bb.1074:
	v_mov_b32_e32 v3, 46
	v_cmp_eq_u16_sdwa s[58:59], v6, v3 src0_sel:BYTE_0 src1_sel:DWORD
	s_mov_b64 s[60:61], 0
	s_mov_b64 s[0:1], -1
	s_and_b64 vcc, exec, s[58:59]
	s_mov_b64 s[58:59], 0
	s_cbranch_vccz .LBB48_1082
; %bb.1075:
	v_cvt_f32_f16_e32 v3, v2
	s_movk_i32 s0, 0x7fff
	v_mov_b32_e32 v4, 0x7fc0
	v_cmp_o_f16_e32 vcc, v2, v2
	v_bfe_u32 v5, v3, 16, 1
	v_add3_u32 v3, v3, v5, s0
	v_lshrrev_b32_e32 v3, 16, v3
	v_cndmask_b32_e32 v3, v4, v3, vcc
	global_store_dword v[0:1], v3, off
	s_mov_b64 s[58:59], -1
	s_mov_b64 s[0:1], 0
	s_branch .LBB48_1082
.LBB48_1076:
	s_mov_b64 s[60:61], 0
                                        ; implicit-def: $vgpr8
	s_mov_b64 s[0:1], s[48:49]
	s_branch .LBB48_1192
.LBB48_1077:
	s_mov_b64 s[60:61], -1
	s_mov_b64 s[58:59], 0
	s_mov_b64 s[0:1], s[48:49]
	s_branch .LBB48_1151
.LBB48_1078:
	s_mov_b64 s[60:61], -1
	s_mov_b64 s[58:59], 0
	s_mov_b64 s[0:1], s[48:49]
	s_branch .LBB48_1109
.LBB48_1079:
	s_mov_b64 s[60:61], -1
	s_mov_b64 s[58:59], 0
	s_mov_b64 s[0:1], s[48:49]
	s_branch .LBB48_1092
.LBB48_1080:
	s_mov_b64 s[60:61], -1
	s_mov_b64 s[58:59], 0
	s_mov_b64 s[0:1], s[48:49]
	s_branch .LBB48_1088
.LBB48_1081:
	s_mov_b64 s[60:61], -1
	s_mov_b64 s[58:59], 0
	s_mov_b64 s[0:1], s[48:49]
.LBB48_1082:
	s_and_b64 vcc, exec, s[60:61]
	s_cbranch_vccz .LBB48_1087
; %bb.1083:
	v_mov_b32_e32 v3, 44
	v_cmp_eq_u16_sdwa s[60:61], v6, v3 src0_sel:BYTE_0 src1_sel:DWORD
	s_mov_b64 s[0:1], -1
	s_and_b64 vcc, exec, s[60:61]
	s_cbranch_vccz .LBB48_1087
; %bb.1084:
	v_cvt_f32_f16_e32 v3, v2
	s_movk_i32 s0, 0xff
	v_mov_b32_e32 v5, 0xff
	v_bfe_u32 v4, v3, 23, 8
	v_cmp_ne_u32_e32 vcc, s0, v4
	s_and_saveexec_b64 s[58:59], vcc
; %bb.1085:
	s_mov_b32 s0, 0x3fffff
	v_lshrrev_b32_e32 v5, 23, v3
	v_and_b32_e32 v10, 0x400000, v3
	v_and_or_b32 v3, v3, s0, v4
	v_cmp_ne_u32_e32 vcc, 0, v10
	v_cmp_ne_u32_e64 s[0:1], 0, v3
	s_and_b64 s[0:1], vcc, s[0:1]
	v_cndmask_b32_e64 v3, 0, 1, s[0:1]
	v_add_u32_e32 v5, v5, v3
; %bb.1086:
	s_or_b64 exec, exec, s[58:59]
	s_mov_b64 s[58:59], -1
	s_mov_b64 s[0:1], 0
	global_store_byte v[0:1], v5, off
.LBB48_1087:
	s_mov_b64 s[60:61], 0
.LBB48_1088:
	s_and_b64 vcc, exec, s[60:61]
	s_cbranch_vccz .LBB48_1091
; %bb.1089:
	v_mov_b32_e32 v3, 29
	v_cmp_eq_u16_sdwa s[60:61], v6, v3 src0_sel:BYTE_0 src1_sel:DWORD
	s_mov_b64 s[0:1], -1
	s_and_b64 vcc, exec, s[60:61]
	s_cbranch_vccz .LBB48_1091
; %bb.1090:
	v_cvt_f32_f16_e32 v3, v2
	v_mov_b32_e32 v5, 0
	s_mov_b64 s[58:59], -1
	s_mov_b64 s[0:1], 0
	v_cvt_u32_f32_e32 v4, v3
	s_mov_b64 s[60:61], 0
	global_store_dwordx2 v[0:1], v[4:5], off
	s_branch .LBB48_1092
.LBB48_1091:
	s_mov_b64 s[60:61], 0
.LBB48_1092:
	s_and_b64 vcc, exec, s[60:61]
	s_cbranch_vccz .LBB48_1108
; %bb.1093:
	v_mov_b32_e32 v3, 27
	v_cmp_lt_i16_sdwa s[60:61], v6, v3 src0_sel:BYTE_0 src1_sel:DWORD
	s_mov_b64 s[58:59], -1
	s_and_b64 vcc, exec, s[60:61]
	s_cbranch_vccnz .LBB48_1099
; %bb.1094:
	v_cmp_gt_i16_sdwa s[60:61], v6, v3 src0_sel:BYTE_0 src1_sel:DWORD
	s_and_b64 vcc, exec, s[60:61]
	s_cbranch_vccz .LBB48_1096
; %bb.1095:
	v_cvt_f32_f16_e32 v3, v2
	s_mov_b64 s[58:59], 0
	v_cvt_u32_f32_e32 v3, v3
	global_store_dword v[0:1], v3, off
.LBB48_1096:
	s_andn2_b64 vcc, exec, s[58:59]
	s_cbranch_vccnz .LBB48_1098
; %bb.1097:
	v_cvt_u16_f16_e32 v3, v2
	global_store_short v[0:1], v3, off
.LBB48_1098:
	s_mov_b64 s[58:59], 0
.LBB48_1099:
	s_andn2_b64 vcc, exec, s[58:59]
	s_cbranch_vccnz .LBB48_1107
; %bb.1100:
	v_cvt_f32_f16_e32 v3, v2
	s_mov_b32 s58, 0x43800000
	v_mov_b32_e32 v5, 0x80
	v_and_b32_e32 v4, 0x7fffffff, v3
	v_cmp_gt_u32_e32 vcc, s58, v4
	s_and_saveexec_b64 s[58:59], vcc
	s_cbranch_execz .LBB48_1106
; %bb.1101:
	s_mov_b32 s60, 0x3bffffff
	v_cmp_lt_u32_e32 vcc, s60, v4
	s_mov_b64 s[60:61], 0
                                        ; implicit-def: $vgpr4
	s_and_saveexec_b64 s[62:63], vcc
	s_xor_b64 s[62:63], exec, s[62:63]
	s_cbranch_execz .LBB48_1219
; %bb.1102:
	v_bfe_u32 v4, v3, 20, 1
	s_mov_b32 s64, 0x487ffff
	v_add3_u32 v4, v3, v4, s64
	s_mov_b64 s[60:61], exec
	v_lshrrev_b32_e32 v4, 20, v4
	s_or_saveexec_b64 s[62:63], s[62:63]
                                        ; implicit-def: $sgpr64
	s_xor_b64 exec, exec, s[62:63]
	s_cbranch_execnz .LBB48_1220
.LBB48_1103:
	s_or_b64 exec, exec, s[62:63]
	v_mov_b32_e32 v5, s64
	s_and_saveexec_b64 s[62:63], s[60:61]
.LBB48_1104:
	v_lshrrev_b32_e32 v3, 24, v3
	s_movk_i32 s60, 0x80
	v_and_or_b32 v5, v3, s60, v4
.LBB48_1105:
	s_or_b64 exec, exec, s[62:63]
.LBB48_1106:
	s_or_b64 exec, exec, s[58:59]
	global_store_byte v[0:1], v5, off
.LBB48_1107:
	s_mov_b64 s[58:59], -1
.LBB48_1108:
	s_mov_b64 s[60:61], 0
.LBB48_1109:
	s_and_b64 vcc, exec, s[60:61]
	s_cbranch_vccz .LBB48_1150
; %bb.1110:
	v_mov_b32_e32 v3, 22
	v_cmp_gt_i16_sdwa s[62:63], v6, v3 src0_sel:BYTE_0 src1_sel:DWORD
	s_mov_b64 s[60:61], -1
	s_and_b64 vcc, exec, s[62:63]
	s_cbranch_vccz .LBB48_1142
; %bb.1111:
	v_mov_b32_e32 v3, 24
	v_cmp_lt_i16_sdwa s[60:61], v6, v3 src0_sel:BYTE_0 src1_sel:DWORD
	s_mov_b64 s[58:59], -1
	s_and_b64 vcc, exec, s[60:61]
	s_cbranch_vccnz .LBB48_1131
; %bb.1112:
	v_cmp_gt_i16_sdwa s[60:61], v6, v3 src0_sel:BYTE_0 src1_sel:DWORD
	s_and_b64 vcc, exec, s[60:61]
	s_cbranch_vccz .LBB48_1120
; %bb.1113:
	v_cvt_f32_f16_e32 v3, v2
	s_mov_b32 s58, 0x47800000
	v_mov_b32_e32 v5, 0x80
	v_and_b32_e32 v4, 0x7fffffff, v3
	v_cmp_gt_u32_e32 vcc, s58, v4
	s_and_saveexec_b64 s[58:59], vcc
	s_cbranch_execz .LBB48_1119
; %bb.1114:
	s_mov_b32 s60, 0x37ffffff
	v_cmp_lt_u32_e32 vcc, s60, v4
	s_mov_b64 s[60:61], 0
                                        ; implicit-def: $vgpr4
	s_and_saveexec_b64 s[62:63], vcc
	s_xor_b64 s[62:63], exec, s[62:63]
	s_cbranch_execz .LBB48_2281
; %bb.1115:
	v_bfe_u32 v4, v3, 21, 1
	s_mov_b32 s64, 0x88fffff
	v_add3_u32 v4, v3, v4, s64
	s_mov_b64 s[60:61], exec
	v_lshrrev_b32_e32 v4, 21, v4
	s_or_saveexec_b64 s[62:63], s[62:63]
                                        ; implicit-def: $sgpr64
	s_xor_b64 exec, exec, s[62:63]
	s_cbranch_execnz .LBB48_2282
.LBB48_1116:
	s_or_b64 exec, exec, s[62:63]
	v_mov_b32_e32 v5, s64
	s_and_saveexec_b64 s[62:63], s[60:61]
.LBB48_1117:
	v_lshrrev_b32_e32 v3, 24, v3
	s_movk_i32 s60, 0x80
	v_and_or_b32 v5, v3, s60, v4
.LBB48_1118:
	s_or_b64 exec, exec, s[62:63]
.LBB48_1119:
	s_or_b64 exec, exec, s[58:59]
	s_mov_b64 s[58:59], 0
	global_store_byte v[0:1], v5, off
.LBB48_1120:
	s_and_b64 vcc, exec, s[58:59]
	s_cbranch_vccz .LBB48_1130
; %bb.1121:
	v_cvt_f32_f16_e32 v3, v2
	s_mov_b32 s58, 0x43f00000
                                        ; implicit-def: $vgpr4
	v_and_b32_e32 v5, 0x7fffffff, v3
	v_cmp_gt_u32_e32 vcc, s58, v5
	s_and_saveexec_b64 s[58:59], vcc
	s_xor_b64 s[58:59], exec, s[58:59]
	s_cbranch_execz .LBB48_1127
; %bb.1122:
	s_mov_b32 s60, 0x3c7fffff
	v_cmp_lt_u32_e32 vcc, s60, v5
                                        ; implicit-def: $vgpr4
	s_and_saveexec_b64 s[60:61], vcc
	s_xor_b64 s[60:61], exec, s[60:61]
; %bb.1123:
	v_bfe_u32 v4, v3, 20, 1
	s_mov_b32 s62, 0x407ffff
	v_add3_u32 v4, v3, v4, s62
	v_lshrrev_b32_e32 v5, 20, v4
	v_and_b32_e32 v4, 0xff00000, v4
	s_mov_b32 s62, 0x7f00000
	v_mov_b32_e32 v10, 0x7e
	v_cmp_ne_u32_e32 vcc, s62, v4
	v_cndmask_b32_e32 v4, v10, v5, vcc
; %bb.1124:
	s_andn2_saveexec_b64 s[60:61], s[60:61]
; %bb.1125:
	s_mov_b32 s62, 0x46800000
	v_add_f32_e64 v4, |v3|, s62
; %bb.1126:
	s_or_b64 exec, exec, s[60:61]
                                        ; implicit-def: $vgpr5
.LBB48_1127:
	s_andn2_saveexec_b64 s[58:59], s[58:59]
; %bb.1128:
	s_mov_b32 s60, 0x7f800000
	v_mov_b32_e32 v4, 0x7e
	v_mov_b32_e32 v10, 0x7f
	v_cmp_lt_u32_e32 vcc, s60, v5
	v_cndmask_b32_e32 v4, v4, v10, vcc
; %bb.1129:
	s_or_b64 exec, exec, s[58:59]
	v_lshrrev_b32_e32 v3, 24, v3
	s_movk_i32 s58, 0x80
	v_and_or_b32 v3, v3, s58, v4
	global_store_byte v[0:1], v3, off
.LBB48_1130:
	s_mov_b64 s[58:59], 0
.LBB48_1131:
	s_andn2_b64 vcc, exec, s[58:59]
	s_cbranch_vccnz .LBB48_1141
; %bb.1132:
	v_cvt_f32_f16_e32 v3, v2
	s_mov_b32 s58, 0x47800000
                                        ; implicit-def: $vgpr4
	v_and_b32_e32 v5, 0x7fffffff, v3
	v_cmp_gt_u32_e32 vcc, s58, v5
	s_and_saveexec_b64 s[58:59], vcc
	s_xor_b64 s[58:59], exec, s[58:59]
	s_cbranch_execz .LBB48_1138
; %bb.1133:
	s_mov_b32 s60, 0x387fffff
	v_cmp_lt_u32_e32 vcc, s60, v5
                                        ; implicit-def: $vgpr4
	s_and_saveexec_b64 s[60:61], vcc
	s_xor_b64 s[60:61], exec, s[60:61]
; %bb.1134:
	v_bfe_u32 v4, v3, 21, 1
	s_mov_b32 s62, 0x80fffff
	v_add3_u32 v4, v3, v4, s62
	v_lshrrev_b32_e32 v4, 21, v4
; %bb.1135:
	s_andn2_saveexec_b64 s[60:61], s[60:61]
; %bb.1136:
	s_mov_b32 s62, 0x43000000
	v_add_f32_e64 v4, |v3|, s62
; %bb.1137:
	s_or_b64 exec, exec, s[60:61]
                                        ; implicit-def: $vgpr5
.LBB48_1138:
	s_andn2_saveexec_b64 s[58:59], s[58:59]
; %bb.1139:
	s_mov_b32 s60, 0x7f800000
	v_mov_b32_e32 v4, 0x7c
	v_mov_b32_e32 v10, 0x7f
	v_cmp_lt_u32_e32 vcc, s60, v5
	v_cndmask_b32_e32 v4, v4, v10, vcc
; %bb.1140:
	s_or_b64 exec, exec, s[58:59]
	v_lshrrev_b32_e32 v3, 24, v3
	s_movk_i32 s58, 0x80
	v_and_or_b32 v3, v3, s58, v4
	global_store_byte v[0:1], v3, off
.LBB48_1141:
	s_mov_b64 s[60:61], 0
	s_mov_b64 s[58:59], -1
.LBB48_1142:
	s_andn2_b64 vcc, exec, s[60:61]
	s_cbranch_vccnz .LBB48_1150
; %bb.1143:
	v_mov_b32_e32 v3, 14
	v_cmp_gt_i16_sdwa s[62:63], v6, v3 src0_sel:BYTE_0 src1_sel:DWORD
	s_mov_b64 s[60:61], -1
	s_and_b64 vcc, exec, s[62:63]
	s_cbranch_vccz .LBB48_1147
; %bb.1144:
	v_mov_b32_e32 v3, 15
	v_cmp_eq_u16_sdwa s[60:61], v6, v3 src0_sel:BYTE_0 src1_sel:DWORD
	s_mov_b64 s[0:1], -1
	s_and_b64 vcc, exec, s[60:61]
	s_cbranch_vccz .LBB48_1146
; %bb.1145:
	v_cvt_f32_f16_e32 v3, v2
	s_movk_i32 s0, 0x7fff
	v_mov_b32_e32 v4, 0x7fc0
	v_cmp_o_f16_e32 vcc, v2, v2
	v_bfe_u32 v5, v3, 16, 1
	v_add3_u32 v3, v3, v5, s0
	v_lshrrev_b32_e32 v3, 16, v3
	v_cndmask_b32_e32 v3, v4, v3, vcc
	global_store_short v[0:1], v3, off
	s_mov_b64 s[58:59], -1
	s_mov_b64 s[0:1], 0
.LBB48_1146:
	s_mov_b64 s[60:61], 0
.LBB48_1147:
	s_and_b64 vcc, exec, s[60:61]
	s_cbranch_vccz .LBB48_1150
; %bb.1148:
	v_mov_b32_e32 v3, 11
	v_cmp_eq_u16_sdwa s[60:61], v6, v3 src0_sel:BYTE_0 src1_sel:DWORD
	s_mov_b64 s[0:1], -1
	s_and_b64 vcc, exec, s[60:61]
	s_cbranch_vccz .LBB48_1150
; %bb.1149:
	v_and_b32_e32 v3, 0x7fff, v2
	v_cmp_ne_u16_e32 vcc, 0, v3
	v_cndmask_b32_e64 v3, 0, 1, vcc
	s_mov_b64 s[58:59], -1
	s_mov_b64 s[0:1], 0
	global_store_byte v[0:1], v3, off
.LBB48_1150:
	s_mov_b64 s[60:61], 0
.LBB48_1151:
	s_and_b64 vcc, exec, s[60:61]
	s_cbranch_vccz .LBB48_1190
; %bb.1152:
	v_mov_b32_e32 v3, 5
	v_cmp_lt_i16_sdwa s[60:61], v6, v3 src0_sel:BYTE_0 src1_sel:DWORD
	s_mov_b64 s[58:59], -1
	s_and_b64 vcc, exec, s[60:61]
	s_cbranch_vccnz .LBB48_1173
; %bb.1153:
	v_mov_b32_e32 v3, 8
	v_cmp_lt_i16_sdwa s[60:61], v6, v3 src0_sel:BYTE_0 src1_sel:DWORD
	s_and_b64 vcc, exec, s[60:61]
	s_cbranch_vccnz .LBB48_1163
; %bb.1154:
	v_mov_b32_e32 v3, 9
	v_cmp_lt_i16_sdwa s[60:61], v6, v3 src0_sel:BYTE_0 src1_sel:DWORD
	s_and_b64 vcc, exec, s[60:61]
	s_cbranch_vccnz .LBB48_1160
; %bb.1155:
	v_cmp_gt_i16_sdwa s[60:61], v6, v3 src0_sel:BYTE_0 src1_sel:DWORD
	s_and_b64 vcc, exec, s[60:61]
	s_cbranch_vccz .LBB48_1157
; %bb.1156:
	v_cvt_f32_f16_e32 v3, v2
	v_mov_b32_e32 v12, 0
	v_mov_b32_e32 v13, v12
	s_mov_b64 s[58:59], 0
	v_cvt_f64_f32_e32 v[10:11], v3
	global_store_dwordx4 v[0:1], v[10:13], off
.LBB48_1157:
	s_andn2_b64 vcc, exec, s[58:59]
	s_cbranch_vccnz .LBB48_1159
; %bb.1158:
	v_cvt_f32_f16_e32 v4, v2
	v_mov_b32_e32 v5, 0
	global_store_dwordx2 v[0:1], v[4:5], off
.LBB48_1159:
	s_mov_b64 s[58:59], 0
.LBB48_1160:
	s_andn2_b64 vcc, exec, s[58:59]
	s_cbranch_vccnz .LBB48_1162
; %bb.1161:
	v_and_b32_e32 v3, 0xffff, v2
	global_store_dword v[0:1], v3, off
.LBB48_1162:
	s_mov_b64 s[58:59], 0
.LBB48_1163:
	s_andn2_b64 vcc, exec, s[58:59]
	s_cbranch_vccnz .LBB48_1172
; %bb.1164:
	v_mov_b32_e32 v3, 6
	v_cmp_lt_i16_sdwa s[60:61], v6, v3 src0_sel:BYTE_0 src1_sel:DWORD
	s_mov_b64 s[58:59], -1
	s_and_b64 vcc, exec, s[60:61]
	s_cbranch_vccnz .LBB48_1170
; %bb.1165:
	v_cmp_gt_i16_sdwa s[60:61], v6, v3 src0_sel:BYTE_0 src1_sel:DWORD
	s_and_b64 vcc, exec, s[60:61]
	s_cbranch_vccz .LBB48_1167
; %bb.1166:
	v_cvt_f32_f16_e32 v3, v2
	s_mov_b64 s[58:59], 0
	v_cvt_f64_f32_e32 v[4:5], v3
	global_store_dwordx2 v[0:1], v[4:5], off
.LBB48_1167:
	s_andn2_b64 vcc, exec, s[58:59]
	s_cbranch_vccnz .LBB48_1169
; %bb.1168:
	v_cvt_f32_f16_e32 v3, v2
	global_store_dword v[0:1], v3, off
.LBB48_1169:
	s_mov_b64 s[58:59], 0
.LBB48_1170:
	s_andn2_b64 vcc, exec, s[58:59]
	s_cbranch_vccnz .LBB48_1172
; %bb.1171:
	global_store_short v[0:1], v2, off
.LBB48_1172:
	s_mov_b64 s[58:59], 0
.LBB48_1173:
	s_andn2_b64 vcc, exec, s[58:59]
	s_cbranch_vccnz .LBB48_1189
; %bb.1174:
	v_mov_b32_e32 v3, 2
	v_cmp_lt_i16_sdwa s[60:61], v6, v3 src0_sel:BYTE_0 src1_sel:DWORD
	s_mov_b64 s[58:59], -1
	s_and_b64 vcc, exec, s[60:61]
	s_cbranch_vccnz .LBB48_1184
; %bb.1175:
	v_mov_b32_e32 v3, 3
	v_cmp_lt_i16_sdwa s[60:61], v6, v3 src0_sel:BYTE_0 src1_sel:DWORD
	s_and_b64 vcc, exec, s[60:61]
	s_cbranch_vccnz .LBB48_1181
; %bb.1176:
	v_cmp_gt_i16_sdwa s[60:61], v6, v3 src0_sel:BYTE_0 src1_sel:DWORD
	s_and_b64 vcc, exec, s[60:61]
	s_cbranch_vccz .LBB48_1178
; %bb.1177:
	v_cvt_f32_f16_e32 v3, v2
	s_mov_b64 s[58:59], 0
	v_cvt_i32_f32_e32 v4, v3
	v_ashrrev_i32_e32 v5, 31, v4
	global_store_dwordx2 v[0:1], v[4:5], off
.LBB48_1178:
	s_andn2_b64 vcc, exec, s[58:59]
	s_cbranch_vccnz .LBB48_1180
; %bb.1179:
	v_cvt_f32_f16_e32 v3, v2
	v_cvt_i32_f32_e32 v3, v3
	global_store_dword v[0:1], v3, off
.LBB48_1180:
	s_mov_b64 s[58:59], 0
.LBB48_1181:
	s_andn2_b64 vcc, exec, s[58:59]
	s_cbranch_vccnz .LBB48_1183
; %bb.1182:
	v_cvt_i16_f16_e32 v3, v2
	global_store_short v[0:1], v3, off
.LBB48_1183:
	s_mov_b64 s[58:59], 0
.LBB48_1184:
	s_andn2_b64 vcc, exec, s[58:59]
	s_cbranch_vccnz .LBB48_1189
; %bb.1185:
	v_mov_b32_e32 v3, 0
	v_cmp_gt_i16_sdwa s[60:61], v6, v3 src0_sel:BYTE_0 src1_sel:DWORD
	s_mov_b64 s[58:59], -1
	s_and_b64 vcc, exec, s[60:61]
	s_cbranch_vccz .LBB48_1187
; %bb.1186:
	v_cvt_i16_f16_e32 v3, v2
	s_mov_b64 s[58:59], 0
	global_store_byte v[0:1], v3, off
.LBB48_1187:
	s_andn2_b64 vcc, exec, s[58:59]
	s_cbranch_vccnz .LBB48_1189
; %bb.1188:
	v_cvt_f32_f16_e32 v2, v2
	v_cvt_i32_f32_e32 v2, v2
	global_store_byte v[0:1], v2, off
.LBB48_1189:
	s_mov_b64 s[58:59], -1
.LBB48_1190:
	s_andn2_b64 vcc, exec, s[58:59]
	s_cbranch_vccnz .LBB48_1214
; %bb.1191:
	v_add_u32_e32 v8, 0x80, v8
	s_mov_b64 s[60:61], -1
.LBB48_1192:
	s_andn2_b64 s[58:59], s[48:49], exec
	s_and_b64 s[0:1], s[0:1], exec
	s_or_b64 s[58:59], s[58:59], s[0:1]
	s_andn2_b64 s[0:1], s[46:47], exec
	s_and_b64 s[56:57], s[56:57], exec
	s_or_b64 s[56:57], s[0:1], s[56:57]
	s_andn2_b64 s[0:1], s[44:45], exec
	s_and_b64 s[54:55], s[54:55], exec
	s_or_b64 s[0:1], s[0:1], s[54:55]
	s_orn2_b64 s[64:65], s[60:61], exec
.LBB48_1193:
	s_or_b64 exec, exec, s[52:53]
	s_mov_b64 s[60:61], 0
	s_mov_b64 s[54:55], 0
	;; [unrolled: 1-line block ×3, first 2 shown]
                                        ; implicit-def: $vgpr3
                                        ; implicit-def: $vgpr4_vgpr5
                                        ; implicit-def: $vgpr2
                                        ; implicit-def: $vgpr0
                                        ; implicit-def: $vgpr1
	s_and_saveexec_b64 s[52:53], s[64:65]
	s_cbranch_execz .LBB48_1287
; %bb.1194:
	v_cmp_gt_i32_e32 vcc, s66, v8
	s_mov_b64 s[64:65], s[0:1]
	s_mov_b64 s[66:67], 0
                                        ; implicit-def: $vgpr3
                                        ; implicit-def: $vgpr4_vgpr5
                                        ; implicit-def: $vgpr2
                                        ; implicit-def: $vgpr0
                                        ; implicit-def: $vgpr1
	s_and_saveexec_b64 s[54:55], vcc
	s_cbranch_execz .LBB48_1286
; %bb.1195:
	s_andn2_b64 vcc, exec, s[20:21]
	s_cbranch_vccnz .LBB48_1202
; %bb.1196:
	s_andn2_b64 vcc, exec, s[34:35]
	v_mov_b32_e32 v2, 0
	s_waitcnt vmcnt(0)
	v_mov_b32_e32 v4, 0
	v_mov_b32_e32 v0, 0
	s_cbranch_vccnz .LBB48_1201
; %bb.1197:
	s_add_i32 s34, s69, 1
	s_and_b32 s60, s34, 30
	s_add_u32 s34, s2, 0xffffffec
	s_addc_u32 s35, s3, -1
	v_mov_b32_e32 v0, 0
	v_mov_b32_e32 v1, v8
	;; [unrolled: 1-line block ×4, first 2 shown]
.LBB48_1198:                            ; =>This Inner Loop Header: Depth=1
	s_mov_b64 s[62:63], s[34:35]
	s_load_dwordx4 s[64:67], s[62:63], 0x18
	s_load_dwordx2 s[70:71], s[62:63], 0x28
	s_load_dwordx2 s[76:77], s[62:63], 0xe8
	s_load_dwordx4 s[72:75], s[62:63], 0xd8
	s_add_u32 s34, s62, 24
	s_waitcnt lgkmcnt(0)
	v_mul_hi_u32 v3, s65, v1
	v_add_u32_e32 v3, v1, v3
	v_lshrrev_b32_e32 v3, s66, v3
	v_mul_lo_u32 v5, v3, s64
	v_mul_hi_u32 v10, s70, v3
	v_sub_u32_e32 v1, v1, v5
	v_add_u32_e32 v5, v3, v10
	v_mul_lo_u32 v10, v1, s72
	v_mul_lo_u32 v11, v1, s73
	;; [unrolled: 1-line block ×3, first 2 shown]
	v_lshrrev_b32_e32 v1, s71, v5
	v_mul_lo_u32 v5, v1, s67
	v_sub_u32_e32 v3, v3, v5
	s_addc_u32 s35, s63, 0
	s_add_i32 s60, s60, -2
	v_mul_lo_u32 v5, v3, s75
	v_mul_lo_u32 v13, v3, s76
	;; [unrolled: 1-line block ×3, first 2 shown]
	s_cmp_eq_u32 s60, 0
	v_add3_u32 v0, v10, v0, v5
	v_add3_u32 v2, v12, v2, v3
	;; [unrolled: 1-line block ×3, first 2 shown]
	s_cbranch_scc0 .LBB48_1198
; %bb.1199:
	s_bitcmp1_b32 s69, 0
	s_cselect_b64 s[60:61], -1, 0
	s_and_b64 vcc, exec, s[60:61]
	s_cbranch_vccnz .LBB48_1201
; %bb.1200:
	s_load_dwordx2 s[60:61], s[34:35], 0x18
	s_load_dword s62, s[34:35], 0x20
	s_load_dword s63, s[34:35], 0xe0
	s_nop 0
	s_load_dwordx2 s[34:35], s[34:35], 0xd8
	s_waitcnt lgkmcnt(0)
	v_mul_hi_u32 v3, s61, v1
	v_add_u32_e32 v3, v1, v3
	v_lshrrev_b32_e32 v3, s62, v3
	v_mul_lo_u32 v3, v3, s60
	v_sub_u32_e32 v3, v1, v3
	v_mad_u64_u32 v[0:1], s[60:61], v3, s34, v[0:1]
	v_mad_u64_u32 v[4:5], s[34:35], v3, s35, v[4:5]
	;; [unrolled: 1-line block ×3, first 2 shown]
.LBB48_1201:
	s_mov_b64 s[34:35], 0
	s_branch .LBB48_1203
.LBB48_1202:
	s_mov_b64 s[34:35], -1
                                        ; implicit-def: $vgpr2
                                        ; implicit-def: $vgpr4
                                        ; implicit-def: $vgpr0
.LBB48_1203:
	s_andn2_b64 vcc, exec, s[34:35]
	s_cbranch_vccnz .LBB48_1206
; %bb.1204:
	s_waitcnt lgkmcnt(0)
	v_mul_hi_u32 v0, s17, v8
	v_add_u32_e32 v0, v8, v0
	s_waitcnt vmcnt(0)
	v_lshrrev_b32_e32 v1, s18, v0
	v_mul_lo_u32 v0, v1, s16
	v_sub_u32_e32 v3, v8, v0
	v_mul_lo_u32 v0, v3, s12
	v_mul_lo_u32 v2, v3, s14
	s_andn2_b64 vcc, exec, s[30:31]
	v_mul_lo_u32 v4, v3, s13
	s_cbranch_vccnz .LBB48_1206
; %bb.1205:
	v_mul_hi_u32 v3, s28, v1
	v_add_u32_e32 v3, v1, v3
	v_lshrrev_b32_e32 v3, s29, v3
	v_mul_lo_u32 v3, v3, s19
	v_sub_u32_e32 v3, v1, v3
	v_mad_u64_u32 v[0:1], s[12:13], v3, s15, v[0:1]
	v_mad_u64_u32 v[4:5], s[12:13], v3, s26, v[4:5]
	;; [unrolled: 1-line block ×3, first 2 shown]
.LBB48_1206:
	s_waitcnt vmcnt(0) lgkmcnt(0)
	v_mov_b32_e32 v1, s11
	v_add_co_u32_e32 v4, vcc, s10, v4
	v_addc_co_u32_e32 v5, vcc, 0, v1, vcc
	v_and_b32_e32 v3, 0xff, v9
	v_cmp_gt_i16_e32 vcc, 11, v3
	s_cbranch_vccnz .LBB48_1213
; %bb.1207:
	v_cmp_lt_i16_e32 vcc, 25, v3
	s_mov_b64 s[12:13], 0
	s_cbranch_vccz .LBB48_1215
; %bb.1208:
	v_cmp_lt_i16_e32 vcc, 28, v3
	s_cbranch_vccz .LBB48_1216
; %bb.1209:
	v_cmp_lt_i16_e32 vcc, 43, v3
	;; [unrolled: 3-line block ×3, first 2 shown]
	s_cbranch_vccz .LBB48_1218
; %bb.1211:
	v_cmp_eq_u16_e32 vcc, 46, v3
	s_mov_b64 s[16:17], 0
	s_cbranch_vccz .LBB48_1221
; %bb.1212:
	global_load_dword v1, v[4:5], off
	s_mov_b64 s[10:11], 0
	s_mov_b64 s[14:15], -1
	s_waitcnt vmcnt(0)
	v_lshlrev_b32_e32 v1, 16, v1
	v_cvt_f16_f32_e32 v1, v1
	s_branch .LBB48_1222
.LBB48_1213:
	s_mov_b64 s[16:17], -1
	s_mov_b64 s[14:15], 0
	s_mov_b64 s[12:13], 0
	;; [unrolled: 1-line block ×3, first 2 shown]
                                        ; implicit-def: $vgpr1
	s_branch .LBB48_1285
.LBB48_1214:
	s_mov_b64 s[60:61], 0
	s_branch .LBB48_945
.LBB48_1215:
	s_mov_b64 s[16:17], -1
	s_mov_b64 s[14:15], 0
	s_mov_b64 s[10:11], s[0:1]
                                        ; implicit-def: $vgpr1
	s_branch .LBB48_1251
.LBB48_1216:
	s_mov_b64 s[16:17], -1
	s_mov_b64 s[14:15], 0
	s_mov_b64 s[10:11], s[0:1]
                                        ; implicit-def: $vgpr1
	s_branch .LBB48_1232
.LBB48_1217:
	s_mov_b64 s[16:17], -1
	s_mov_b64 s[14:15], 0
	s_mov_b64 s[10:11], s[0:1]
                                        ; implicit-def: $vgpr1
	s_branch .LBB48_1227
.LBB48_1218:
	s_mov_b64 s[16:17], -1
	s_mov_b64 s[14:15], 0
	s_mov_b64 s[10:11], s[0:1]
                                        ; implicit-def: $vgpr1
	s_branch .LBB48_1222
.LBB48_1219:
	s_or_saveexec_b64 s[62:63], s[62:63]
                                        ; implicit-def: $sgpr64
	s_xor_b64 exec, exec, s[62:63]
	s_cbranch_execz .LBB48_1103
.LBB48_1220:
	s_mov_b32 s64, 0x46000000
	v_add_f32_e64 v4, |v3|, s64
	v_and_b32_e32 v4, 0xff, v4
	v_cmp_ne_u32_e32 vcc, 0, v4
	s_andn2_b64 s[60:61], s[60:61], exec
	s_and_b64 s[70:71], vcc, exec
	s_mov_b32 s64, 0
	s_or_b64 s[60:61], s[60:61], s[70:71]
	s_or_b64 exec, exec, s[62:63]
	v_mov_b32_e32 v5, s64
	s_and_saveexec_b64 s[62:63], s[60:61]
	s_cbranch_execnz .LBB48_1104
	s_branch .LBB48_1105
.LBB48_1221:
	s_mov_b64 s[10:11], -1
                                        ; implicit-def: $vgpr1
	s_mov_b64 s[14:15], 0
.LBB48_1222:
	s_and_b64 vcc, exec, s[16:17]
	s_cbranch_vccz .LBB48_1226
; %bb.1223:
	v_cmp_eq_u16_e32 vcc, 44, v3
	s_cbranch_vccz .LBB48_1225
; %bb.1224:
	global_load_ubyte v1, v[4:5], off
	s_movk_i32 s14, 0xff
	v_mov_b32_e32 v9, 0x7e00
	s_mov_b64 s[10:11], 0
	s_waitcnt vmcnt(0)
	v_lshlrev_b32_e32 v8, 23, v1
	v_cvt_f16_f32_e32 v8, v8
	v_cmp_ne_u32_e32 vcc, s14, v1
	s_mov_b64 s[14:15], -1
	v_cndmask_b32_e32 v8, v9, v8, vcc
	v_cmp_ne_u32_e32 vcc, 0, v1
	v_cndmask_b32_e32 v1, 0, v8, vcc
	s_branch .LBB48_1226
.LBB48_1225:
	s_mov_b64 s[10:11], -1
                                        ; implicit-def: $vgpr1
.LBB48_1226:
	s_mov_b64 s[16:17], 0
.LBB48_1227:
	s_and_b64 vcc, exec, s[16:17]
	s_cbranch_vccz .LBB48_1231
; %bb.1228:
	v_cmp_eq_u16_e32 vcc, 29, v3
	s_cbranch_vccz .LBB48_1230
; %bb.1229:
	global_load_dwordx2 v[8:9], v[4:5], off
	s_mov_b64 s[10:11], 0
	s_mov_b64 s[14:15], -1
	s_mov_b64 s[16:17], 0
	s_waitcnt vmcnt(0)
	v_ffbh_u32_e32 v1, v9
	v_min_u32_e32 v1, 32, v1
	v_lshlrev_b64 v[8:9], v1, v[8:9]
	v_min_u32_e32 v8, 1, v8
	v_or_b32_e32 v8, v9, v8
	v_cvt_f32_u32_e32 v8, v8
	v_sub_u32_e32 v1, 32, v1
	v_ldexp_f32 v1, v8, v1
	v_cvt_f16_f32_e32 v1, v1
	s_branch .LBB48_1232
.LBB48_1230:
	s_mov_b64 s[10:11], -1
                                        ; implicit-def: $vgpr1
.LBB48_1231:
	s_mov_b64 s[16:17], 0
.LBB48_1232:
	s_and_b64 vcc, exec, s[16:17]
	s_cbranch_vccz .LBB48_1250
; %bb.1233:
	v_cmp_gt_i16_e32 vcc, 27, v3
	s_cbranch_vccnz .LBB48_1236
; %bb.1234:
	v_cmp_lt_i16_e32 vcc, 27, v3
	s_cbranch_vccz .LBB48_1237
; %bb.1235:
	global_load_dword v1, v[4:5], off
	s_mov_b64 s[14:15], 0
	s_waitcnt vmcnt(0)
	v_cvt_f32_u32_e32 v1, v1
	v_cvt_f16_f32_e32 v1, v1
	s_branch .LBB48_1238
.LBB48_1236:
	s_mov_b64 s[14:15], -1
                                        ; implicit-def: $vgpr1
	s_branch .LBB48_1241
.LBB48_1237:
	s_mov_b64 s[14:15], -1
                                        ; implicit-def: $vgpr1
.LBB48_1238:
	s_andn2_b64 vcc, exec, s[14:15]
	s_cbranch_vccnz .LBB48_1240
; %bb.1239:
	global_load_ushort v1, v[4:5], off
	s_waitcnt vmcnt(0)
	v_cvt_f16_u16_e32 v1, v1
.LBB48_1240:
	s_mov_b64 s[14:15], 0
.LBB48_1241:
	s_andn2_b64 vcc, exec, s[14:15]
	s_cbranch_vccnz .LBB48_1249
; %bb.1242:
	global_load_ubyte v8, v[4:5], off
	s_movk_i32 s14, 0x7f
                                        ; implicit-def: $sgpr26
	s_waitcnt vmcnt(0)
	v_cmp_lt_i16_e32 vcc, s14, v8
	s_mov_b64 s[14:15], 0
	s_and_saveexec_b64 s[16:17], vcc
	s_xor_b64 s[16:17], exec, s[16:17]
	s_cbranch_execz .LBB48_1263
; %bb.1243:
	s_movk_i32 s14, 0x80
	v_cmp_eq_u16_e32 vcc, s14, v8
	s_mov_b64 s[14:15], -1
                                        ; implicit-def: $sgpr26
	s_and_saveexec_b64 s[18:19], vcc
; %bb.1244:
	s_movk_i32 s26, 0x7e00
	s_xor_b64 s[14:15], exec, -1
; %bb.1245:
	s_or_b64 exec, exec, s[18:19]
	s_and_b64 s[14:15], s[14:15], exec
	s_or_saveexec_b64 s[16:17], s[16:17]
	v_mov_b32_e32 v1, s26
	s_xor_b64 exec, exec, s[16:17]
	s_cbranch_execnz .LBB48_1264
.LBB48_1246:
	s_or_b64 exec, exec, s[16:17]
	s_and_saveexec_b64 s[16:17], s[14:15]
	s_cbranch_execz .LBB48_1248
.LBB48_1247:
	v_lshlrev_b32_e32 v1, 24, v8
	v_and_b32_e32 v8, 0xffff, v8
	v_and_b32_e32 v9, 7, v8
	v_ffbh_u32_e32 v11, v9
	v_min_u32_e32 v11, 32, v11
	v_subrev_u32_e32 v12, 28, v11
	v_bfe_u32 v10, v8, 3, 4
	v_lshlrev_b32_e32 v8, v12, v8
	v_sub_u32_e32 v11, 29, v11
	v_and_b32_e32 v8, 7, v8
	v_cmp_eq_u32_e32 vcc, 0, v10
	v_cndmask_b32_e32 v10, v10, v11, vcc
	v_cndmask_b32_e32 v8, v9, v8, vcc
	v_mov_b32_e32 v9, 0x3b800000
	v_lshlrev_b32_e32 v8, 20, v8
	v_and_b32_e32 v1, 0x80000000, v1
	v_lshl_add_u32 v9, v10, 23, v9
	v_or3_b32 v1, v1, v9, v8
	v_cvt_f16_f32_e32 v1, v1
.LBB48_1248:
	s_or_b64 exec, exec, s[16:17]
.LBB48_1249:
	s_mov_b64 s[14:15], -1
.LBB48_1250:
	s_mov_b64 s[16:17], 0
.LBB48_1251:
	s_and_b64 vcc, exec, s[16:17]
	s_cbranch_vccz .LBB48_1284
; %bb.1252:
	v_cmp_lt_i16_e32 vcc, 22, v3
	s_cbranch_vccz .LBB48_1262
; %bb.1253:
	v_cmp_gt_i16_e32 vcc, 24, v3
	s_cbranch_vccnz .LBB48_1265
; %bb.1254:
	v_cmp_lt_i16_e32 vcc, 24, v3
	s_cbranch_vccz .LBB48_1266
; %bb.1255:
	global_load_ubyte v8, v[4:5], off
	s_movk_i32 s12, 0x7f
                                        ; implicit-def: $sgpr18
	s_waitcnt vmcnt(0)
	v_cmp_lt_i16_e32 vcc, s12, v8
	s_mov_b64 s[12:13], 0
	s_and_saveexec_b64 s[14:15], vcc
	s_xor_b64 s[14:15], exec, s[14:15]
	s_cbranch_execz .LBB48_1278
; %bb.1256:
	s_movk_i32 s12, 0x80
	v_cmp_eq_u16_e32 vcc, s12, v8
	s_mov_b64 s[12:13], -1
                                        ; implicit-def: $sgpr18
	s_and_saveexec_b64 s[16:17], vcc
; %bb.1257:
	s_movk_i32 s18, 0x7e00
	s_xor_b64 s[12:13], exec, -1
; %bb.1258:
	s_or_b64 exec, exec, s[16:17]
	s_and_b64 s[12:13], s[12:13], exec
	s_or_saveexec_b64 s[14:15], s[14:15]
	v_mov_b32_e32 v1, s18
	s_xor_b64 exec, exec, s[14:15]
	s_cbranch_execnz .LBB48_1279
.LBB48_1259:
	s_or_b64 exec, exec, s[14:15]
	s_and_saveexec_b64 s[14:15], s[12:13]
	s_cbranch_execz .LBB48_1261
.LBB48_1260:
	v_lshlrev_b32_e32 v1, 24, v8
	v_and_b32_e32 v8, 0xffff, v8
	v_and_b32_e32 v9, 3, v8
	v_ffbh_u32_e32 v11, v9
	v_min_u32_e32 v11, 32, v11
	v_subrev_u32_e32 v12, 29, v11
	v_bfe_u32 v10, v8, 2, 5
	v_lshlrev_b32_e32 v8, v12, v8
	v_sub_u32_e32 v11, 30, v11
	v_and_b32_e32 v8, 3, v8
	v_cmp_eq_u32_e32 vcc, 0, v10
	v_cndmask_b32_e32 v10, v10, v11, vcc
	v_cndmask_b32_e32 v8, v9, v8, vcc
	v_mov_b32_e32 v9, 0x37800000
	v_lshlrev_b32_e32 v8, 21, v8
	v_and_b32_e32 v1, 0x80000000, v1
	v_lshl_add_u32 v9, v10, 23, v9
	v_or3_b32 v1, v1, v9, v8
	v_cvt_f16_f32_e32 v1, v1
.LBB48_1261:
	s_or_b64 exec, exec, s[14:15]
	s_mov_b64 s[12:13], 0
	s_branch .LBB48_1267
.LBB48_1262:
	s_mov_b64 s[12:13], -1
                                        ; implicit-def: $vgpr1
	s_branch .LBB48_1273
.LBB48_1263:
	s_or_saveexec_b64 s[16:17], s[16:17]
	v_mov_b32_e32 v1, s26
	s_xor_b64 exec, exec, s[16:17]
	s_cbranch_execz .LBB48_1246
.LBB48_1264:
	v_cmp_ne_u16_e32 vcc, 0, v8
	s_andn2_b64 s[14:15], s[14:15], exec
	s_and_b64 s[18:19], vcc, exec
	s_or_b64 s[14:15], s[14:15], s[18:19]
	v_mov_b32_e32 v1, v8
	s_or_b64 exec, exec, s[16:17]
	s_and_saveexec_b64 s[16:17], s[14:15]
	s_cbranch_execnz .LBB48_1247
	s_branch .LBB48_1248
.LBB48_1265:
	s_mov_b64 s[12:13], -1
                                        ; implicit-def: $vgpr1
	s_branch .LBB48_1270
.LBB48_1266:
	s_mov_b64 s[12:13], -1
                                        ; implicit-def: $vgpr1
.LBB48_1267:
	s_and_b64 vcc, exec, s[12:13]
	s_cbranch_vccz .LBB48_1269
; %bb.1268:
	global_load_ubyte v1, v[4:5], off
	s_mov_b32 s12, 0x7f800000
	s_waitcnt vmcnt(0)
	v_lshlrev_b32_e32 v1, 24, v1
	v_and_b32_e32 v8, 0x7f000000, v1
	v_ffbh_u32_e32 v9, v8
	v_min_u32_e32 v9, 32, v9
	v_sub_u32_e64 v9, v9, 4 clamp
	v_lshlrev_b32_e32 v11, v9, v8
	v_lshlrev_b32_e32 v9, 23, v9
	v_lshrrev_b32_e32 v11, 4, v11
	v_add_u32_e32 v10, 0x1000000, v8
	v_sub_u32_e32 v9, v11, v9
	v_ashrrev_i32_e32 v10, 8, v10
	v_add_u32_e32 v9, 0x3c000000, v9
	v_and_or_b32 v9, v10, s12, v9
	v_cmp_ne_u32_e32 vcc, 0, v8
	v_cndmask_b32_e32 v8, 0, v9, vcc
	s_brev_b32 s12, 1
	v_and_or_b32 v1, v1, s12, v8
	v_cvt_f16_f32_e32 v1, v1
.LBB48_1269:
	s_mov_b64 s[12:13], 0
.LBB48_1270:
	s_andn2_b64 vcc, exec, s[12:13]
	s_cbranch_vccnz .LBB48_1272
; %bb.1271:
	global_load_ubyte v1, v[4:5], off
	s_movk_i32 s12, 0x7f00
	s_brev_b32 s13, 16
	s_waitcnt vmcnt(0)
	v_lshlrev_b16_e32 v8, 8, v1
	v_lshlrev_b32_e32 v1, 25, v1
	v_lshrrev_b32_e32 v9, 4, v1
	v_and_or_b32 v10, v8, s12, 0.5
	v_or_b32_e32 v9, 0x70000000, v9
	v_add_f32_e32 v10, -0.5, v10
	v_mul_f32_e32 v9, 0x7800000, v9
	v_cmp_gt_u32_e32 vcc, s13, v1
	v_bfe_i32 v8, v8, 0, 16
	v_cndmask_b32_e32 v1, v9, v10, vcc
	s_brev_b32 s12, 1
	v_and_or_b32 v1, v8, s12, v1
	v_cvt_f16_f32_e32 v1, v1
.LBB48_1272:
	s_mov_b64 s[12:13], 0
	s_mov_b64 s[14:15], -1
.LBB48_1273:
	s_andn2_b64 vcc, exec, s[12:13]
	s_mov_b64 s[12:13], 0
	s_cbranch_vccnz .LBB48_1284
; %bb.1274:
	v_cmp_lt_i16_e32 vcc, 14, v3
	s_cbranch_vccz .LBB48_1277
; %bb.1275:
	v_cmp_eq_u16_e32 vcc, 15, v3
	s_cbranch_vccz .LBB48_1280
; %bb.1276:
	global_load_ushort v1, v[4:5], off
	s_mov_b64 s[10:11], 0
	s_mov_b64 s[14:15], -1
	s_waitcnt vmcnt(0)
	v_lshlrev_b32_e32 v1, 16, v1
	v_cvt_f16_f32_e32 v1, v1
	s_branch .LBB48_1281
.LBB48_1277:
	s_mov_b64 s[16:17], -1
                                        ; implicit-def: $vgpr1
	s_branch .LBB48_1282
.LBB48_1278:
	s_or_saveexec_b64 s[14:15], s[14:15]
	v_mov_b32_e32 v1, s18
	s_xor_b64 exec, exec, s[14:15]
	s_cbranch_execz .LBB48_1259
.LBB48_1279:
	v_cmp_ne_u16_e32 vcc, 0, v8
	s_andn2_b64 s[12:13], s[12:13], exec
	s_and_b64 s[16:17], vcc, exec
	s_or_b64 s[12:13], s[12:13], s[16:17]
	v_mov_b32_e32 v1, v8
	s_or_b64 exec, exec, s[14:15]
	s_and_saveexec_b64 s[14:15], s[12:13]
	s_cbranch_execnz .LBB48_1260
	s_branch .LBB48_1261
.LBB48_1280:
	s_mov_b64 s[10:11], -1
                                        ; implicit-def: $vgpr1
.LBB48_1281:
	s_mov_b64 s[16:17], 0
.LBB48_1282:
	s_and_b64 vcc, exec, s[16:17]
	s_cbranch_vccz .LBB48_1284
; %bb.1283:
	v_cmp_ne_u16_e32 vcc, 11, v3
	s_andn2_b64 s[10:11], s[10:11], exec
	s_and_b64 s[16:17], vcc, exec
	s_mov_b64 s[12:13], -1
	s_or_b64 s[10:11], s[10:11], s[16:17]
                                        ; implicit-def: $vgpr1
.LBB48_1284:
	s_mov_b64 s[16:17], 0
.LBB48_1285:
	s_and_b64 s[60:61], s[12:13], exec
	s_andn2_b64 s[12:13], s[0:1], exec
	s_and_b64 s[10:11], s[10:11], exec
	s_and_b64 s[62:63], s[14:15], exec
	;; [unrolled: 1-line block ×3, first 2 shown]
	s_or_b64 s[64:65], s[12:13], s[10:11]
.LBB48_1286:
	s_or_b64 exec, exec, s[54:55]
	s_andn2_b64 s[0:1], s[0:1], exec
	s_waitcnt lgkmcnt(0)
	s_and_b64 s[10:11], s[64:65], exec
	s_and_b64 s[62:63], s[62:63], exec
	s_and_b64 s[54:55], s[66:67], exec
	s_and_b64 s[60:61], s[60:61], exec
	s_or_b64 s[0:1], s[0:1], s[10:11]
.LBB48_1287:
	s_or_b64 exec, exec, s[52:53]
	s_waitcnt lgkmcnt(0)
	s_andn2_b64 s[10:11], s[48:49], exec
	s_and_b64 s[12:13], s[58:59], exec
	s_or_b64 s[48:49], s[10:11], s[12:13]
	s_andn2_b64 s[10:11], s[46:47], exec
	s_and_b64 s[12:13], s[56:57], exec
	s_or_b64 s[46:47], s[10:11], s[12:13]
	s_andn2_b64 s[10:11], s[44:45], exec
	s_and_b64 s[0:1], s[0:1], exec
	s_and_b64 s[56:57], s[62:63], exec
	;; [unrolled: 1-line block ×4, first 2 shown]
	s_or_b64 s[44:45], s[10:11], s[0:1]
.LBB48_1288:
	s_or_b64 exec, exec, s[50:51]
	s_andn2_b64 s[0:1], s[36:37], exec
	s_waitcnt lgkmcnt(0)
	s_and_b64 s[10:11], s[48:49], exec
	s_or_b64 s[36:37], s[0:1], s[10:11]
	s_andn2_b64 s[0:1], s[38:39], exec
	s_and_b64 s[10:11], s[46:47], exec
	s_or_b64 s[38:39], s[0:1], s[10:11]
	s_andn2_b64 s[0:1], s[40:41], exec
	s_and_b64 s[10:11], s[44:45], exec
	s_and_b64 s[48:49], s[56:57], exec
	;; [unrolled: 1-line block ×4, first 2 shown]
	s_or_b64 s[40:41], s[0:1], s[10:11]
	s_or_b64 exec, exec, s[42:43]
	s_mov_b64 s[10:11], 0
	s_and_saveexec_b64 s[0:1], s[40:41]
	s_cbranch_execz .LBB48_403
.LBB48_1289:
	s_mov_b64 s[10:11], exec
	s_andn2_b64 s[46:47], s[46:47], exec
	s_trap 2
                                        ; implicit-def: $vgpr1
	s_or_b64 exec, exec, s[0:1]
	s_and_saveexec_b64 s[0:1], s[46:47]
	s_xor_b64 s[0:1], exec, s[0:1]
	s_cbranch_execnz .LBB48_404
.LBB48_1290:
	s_or_b64 exec, exec, s[0:1]
	s_and_saveexec_b64 s[0:1], s[50:51]
	s_cbranch_execz .LBB48_1336
.LBB48_1291:
	v_cmp_gt_i16_e32 vcc, 5, v3
	s_cbranch_vccnz .LBB48_1296
; %bb.1292:
	v_cmp_gt_i16_e32 vcc, 8, v3
	s_cbranch_vccnz .LBB48_1297
; %bb.1293:
	;; [unrolled: 3-line block ×3, first 2 shown]
	v_cmp_lt_i16_e32 vcc, 9, v3
	s_cbranch_vccz .LBB48_1299
; %bb.1295:
	s_waitcnt vmcnt(0)
	global_load_dwordx2 v[8:9], v[4:5], off
	s_mov_b64 s[12:13], 0
	s_waitcnt vmcnt(0)
	v_cvt_f32_f64_e32 v1, v[8:9]
	v_cvt_f16_f32_e32 v1, v1
	s_branch .LBB48_1300
.LBB48_1296:
                                        ; implicit-def: $vgpr1
	s_branch .LBB48_1317
.LBB48_1297:
                                        ; implicit-def: $vgpr1
	s_branch .LBB48_1306
.LBB48_1298:
	s_mov_b64 s[12:13], -1
                                        ; implicit-def: $vgpr1
	s_branch .LBB48_1303
.LBB48_1299:
	s_mov_b64 s[12:13], -1
                                        ; implicit-def: $vgpr1
.LBB48_1300:
	s_andn2_b64 vcc, exec, s[12:13]
	s_cbranch_vccnz .LBB48_1302
; %bb.1301:
	s_waitcnt vmcnt(0)
	global_load_dword v1, v[4:5], off
	s_waitcnt vmcnt(0)
	v_cvt_f16_f32_e32 v1, v1
.LBB48_1302:
	s_mov_b64 s[12:13], 0
.LBB48_1303:
	s_andn2_b64 vcc, exec, s[12:13]
	s_cbranch_vccnz .LBB48_1305
; %bb.1304:
	s_waitcnt vmcnt(0)
	global_load_dword v1, v[4:5], off
.LBB48_1305:
	s_cbranch_execnz .LBB48_1316
.LBB48_1306:
	v_cmp_gt_i16_e32 vcc, 6, v3
	s_cbranch_vccnz .LBB48_1309
; %bb.1307:
	v_cmp_lt_i16_e32 vcc, 6, v3
	s_cbranch_vccz .LBB48_1310
; %bb.1308:
	s_waitcnt vmcnt(0)
	global_load_dwordx2 v[8:9], v[4:5], off
	s_mov_b64 s[12:13], 0
	s_waitcnt vmcnt(0)
	v_cvt_f32_f64_e32 v1, v[8:9]
	v_cvt_f16_f32_e32 v1, v1
	s_branch .LBB48_1311
.LBB48_1309:
	s_mov_b64 s[12:13], -1
                                        ; implicit-def: $vgpr1
	s_branch .LBB48_1314
.LBB48_1310:
	s_mov_b64 s[12:13], -1
                                        ; implicit-def: $vgpr1
.LBB48_1311:
	s_andn2_b64 vcc, exec, s[12:13]
	s_cbranch_vccnz .LBB48_1313
; %bb.1312:
	s_waitcnt vmcnt(0)
	global_load_dword v1, v[4:5], off
	s_waitcnt vmcnt(0)
	v_cvt_f16_f32_e32 v1, v1
.LBB48_1313:
	s_mov_b64 s[12:13], 0
.LBB48_1314:
	s_andn2_b64 vcc, exec, s[12:13]
	s_cbranch_vccnz .LBB48_1316
; %bb.1315:
	s_waitcnt vmcnt(0)
	global_load_ushort v1, v[4:5], off
.LBB48_1316:
	s_cbranch_execnz .LBB48_1335
.LBB48_1317:
	v_cmp_gt_i16_e32 vcc, 2, v3
	s_cbranch_vccnz .LBB48_1321
; %bb.1318:
	v_cmp_gt_i16_e32 vcc, 3, v3
	s_cbranch_vccnz .LBB48_1322
; %bb.1319:
	v_cmp_lt_i16_e32 vcc, 3, v3
	s_cbranch_vccz .LBB48_1323
; %bb.1320:
	s_waitcnt vmcnt(0)
	global_load_dwordx2 v[8:9], v[4:5], off
	s_mov_b64 s[12:13], 0
	s_waitcnt vmcnt(0)
	v_xor_b32_e32 v10, v8, v9
	v_ffbh_i32_e32 v1, v9
	v_ashrrev_i32_e32 v10, 31, v10
	v_add_u32_e32 v1, -1, v1
	v_add_u32_e32 v10, 32, v10
	v_min_u32_e32 v1, v1, v10
	v_lshlrev_b64 v[8:9], v1, v[8:9]
	v_min_u32_e32 v8, 1, v8
	v_or_b32_e32 v8, v9, v8
	v_cvt_f32_i32_e32 v8, v8
	v_sub_u32_e32 v1, 32, v1
	v_ldexp_f32 v1, v8, v1
	v_cvt_f16_f32_e32 v1, v1
	s_branch .LBB48_1324
.LBB48_1321:
                                        ; implicit-def: $vgpr1
	s_branch .LBB48_1330
.LBB48_1322:
	s_mov_b64 s[12:13], -1
                                        ; implicit-def: $vgpr1
	s_branch .LBB48_1327
.LBB48_1323:
	s_mov_b64 s[12:13], -1
                                        ; implicit-def: $vgpr1
.LBB48_1324:
	s_andn2_b64 vcc, exec, s[12:13]
	s_cbranch_vccnz .LBB48_1326
; %bb.1325:
	s_waitcnt vmcnt(0)
	global_load_dword v1, v[4:5], off
	s_waitcnt vmcnt(0)
	v_cvt_f32_i32_e32 v1, v1
	v_cvt_f16_f32_e32 v1, v1
.LBB48_1326:
	s_mov_b64 s[12:13], 0
.LBB48_1327:
	s_andn2_b64 vcc, exec, s[12:13]
	s_cbranch_vccnz .LBB48_1329
; %bb.1328:
	s_waitcnt vmcnt(0)
	global_load_ushort v1, v[4:5], off
	s_waitcnt vmcnt(0)
	v_cvt_f16_i16_e32 v1, v1
.LBB48_1329:
	s_cbranch_execnz .LBB48_1335
.LBB48_1330:
	v_cmp_lt_i16_e32 vcc, 0, v3
	s_cbranch_vccz .LBB48_1332
; %bb.1331:
	s_waitcnt vmcnt(0)
	global_load_sbyte v1, v[4:5], off
	s_mov_b64 s[12:13], 0
	s_waitcnt vmcnt(0)
	v_cvt_f16_i16_e32 v1, v1
	s_branch .LBB48_1333
.LBB48_1332:
	s_mov_b64 s[12:13], -1
                                        ; implicit-def: $vgpr1
.LBB48_1333:
	s_andn2_b64 vcc, exec, s[12:13]
	s_cbranch_vccnz .LBB48_1335
; %bb.1334:
	s_waitcnt vmcnt(0)
	global_load_ubyte v1, v[4:5], off
	s_waitcnt vmcnt(0)
	v_cvt_f16_u16_e32 v1, v1
.LBB48_1335:
	s_or_b64 s[48:49], s[48:49], exec
.LBB48_1336:
	s_or_b64 exec, exec, s[0:1]
	s_mov_b64 s[14:15], 0
	s_mov_b64 s[18:19], 0
	;; [unrolled: 1-line block ×3, first 2 shown]
                                        ; implicit-def: $vgpr3
                                        ; implicit-def: $vgpr4_vgpr5
                                        ; implicit-def: $vgpr8
	s_and_saveexec_b64 s[0:1], s[48:49]
	s_cbranch_execz .LBB48_1344
; %bb.1337:
	v_mov_b32_e32 v3, s25
	s_waitcnt vmcnt(0)
	v_add_co_u32_e32 v4, vcc, s24, v2
	v_addc_co_u32_e32 v5, vcc, 0, v3, vcc
	v_and_b32_e32 v3, 0xff, v7
	v_cmp_gt_i16_e32 vcc, 11, v3
	s_cbranch_vccnz .LBB48_1347
; %bb.1338:
	v_cmp_lt_i16_e32 vcc, 25, v3
	s_cbranch_vccz .LBB48_1348
; %bb.1339:
	v_cmp_lt_i16_e32 vcc, 28, v3
	s_cbranch_vccz .LBB48_1349
	;; [unrolled: 3-line block ×4, first 2 shown]
; %bb.1342:
	v_cmp_eq_u16_e32 vcc, 46, v3
	s_cbranch_vccz .LBB48_1352
; %bb.1343:
	global_load_dword v2, v[4:5], off
	s_mov_b64 s[12:13], 0
	s_mov_b64 s[16:17], -1
	s_waitcnt vmcnt(0)
	v_lshlrev_b32_e32 v2, 16, v2
	v_cvt_f16_f32_e32 v8, v2
	s_branch .LBB48_1354
.LBB48_1344:
	s_or_b64 exec, exec, s[0:1]
	s_and_saveexec_b64 s[0:1], s[38:39]
	s_cbranch_execnz .LBB48_1417
.LBB48_1345:
	s_or_b64 exec, exec, s[0:1]
	s_and_saveexec_b64 s[0:1], s[14:15]
	s_xor_b64 s[0:1], exec, s[0:1]
	s_cbranch_execz .LBB48_1418
.LBB48_1346:
	s_waitcnt vmcnt(0)
	global_load_ubyte v2, v[4:5], off
	v_mov_b32_e32 v7, 0x3c00
	s_or_b64 s[16:17], s[16:17], exec
	s_waitcnt vmcnt(0)
	v_cmp_ne_u16_e32 vcc, 0, v2
	v_cndmask_b32_e32 v8, 0, v7, vcc
	s_or_b64 exec, exec, s[0:1]
	s_and_saveexec_b64 s[0:1], s[18:19]
	s_cbranch_execz .LBB48_1464
	s_branch .LBB48_1419
.LBB48_1347:
	s_mov_b64 s[18:19], -1
                                        ; implicit-def: $vgpr8
	s_mov_b64 s[12:13], s[38:39]
	s_branch .LBB48_1416
.LBB48_1348:
	s_mov_b64 s[12:13], s[38:39]
                                        ; implicit-def: $vgpr8
	s_cbranch_execnz .LBB48_1383
	s_branch .LBB48_1415
.LBB48_1349:
	s_mov_b64 s[18:19], -1
	s_mov_b64 s[12:13], s[38:39]
                                        ; implicit-def: $vgpr8
	s_branch .LBB48_1364
.LBB48_1350:
	s_mov_b64 s[18:19], -1
	s_mov_b64 s[12:13], s[38:39]
                                        ; implicit-def: $vgpr8
	s_branch .LBB48_1359
.LBB48_1351:
	s_mov_b64 s[18:19], -1
	s_mov_b64 s[12:13], s[38:39]
	s_branch .LBB48_1353
.LBB48_1352:
	s_mov_b64 s[12:13], -1
.LBB48_1353:
                                        ; implicit-def: $vgpr8
.LBB48_1354:
	s_and_b64 vcc, exec, s[18:19]
	s_cbranch_vccz .LBB48_1358
; %bb.1355:
	v_cmp_eq_u16_e32 vcc, 44, v3
	s_cbranch_vccz .LBB48_1357
; %bb.1356:
	global_load_ubyte v2, v[4:5], off
	s_movk_i32 s16, 0xff
	v_mov_b32_e32 v8, 0x7e00
	s_mov_b64 s[12:13], 0
	s_waitcnt vmcnt(0)
	v_lshlrev_b32_e32 v7, 23, v2
	v_cvt_f16_f32_e32 v7, v7
	v_cmp_ne_u32_e32 vcc, s16, v2
	s_mov_b64 s[16:17], -1
	v_cndmask_b32_e32 v7, v8, v7, vcc
	v_cmp_ne_u32_e32 vcc, 0, v2
	v_cndmask_b32_e32 v8, 0, v7, vcc
	s_branch .LBB48_1358
.LBB48_1357:
	s_mov_b64 s[12:13], -1
                                        ; implicit-def: $vgpr8
.LBB48_1358:
	s_mov_b64 s[18:19], 0
.LBB48_1359:
	s_and_b64 vcc, exec, s[18:19]
	s_cbranch_vccz .LBB48_1363
; %bb.1360:
	v_cmp_eq_u16_e32 vcc, 29, v3
	s_cbranch_vccz .LBB48_1362
; %bb.1361:
	global_load_dwordx2 v[8:9], v[4:5], off
	s_mov_b64 s[12:13], 0
	s_mov_b64 s[16:17], -1
	s_mov_b64 s[18:19], 0
	s_waitcnt vmcnt(0)
	v_ffbh_u32_e32 v2, v9
	v_min_u32_e32 v2, 32, v2
	v_lshlrev_b64 v[8:9], v2, v[8:9]
	v_min_u32_e32 v7, 1, v8
	v_or_b32_e32 v7, v9, v7
	v_cvt_f32_u32_e32 v7, v7
	v_sub_u32_e32 v2, 32, v2
	v_ldexp_f32 v2, v7, v2
	v_cvt_f16_f32_e32 v8, v2
	s_branch .LBB48_1364
.LBB48_1362:
	s_mov_b64 s[12:13], -1
                                        ; implicit-def: $vgpr8
.LBB48_1363:
	s_mov_b64 s[18:19], 0
.LBB48_1364:
	s_and_b64 vcc, exec, s[18:19]
	s_cbranch_vccz .LBB48_1382
; %bb.1365:
	v_cmp_gt_i16_e32 vcc, 27, v3
	s_cbranch_vccnz .LBB48_1368
; %bb.1366:
	v_cmp_lt_i16_e32 vcc, 27, v3
	s_cbranch_vccz .LBB48_1369
; %bb.1367:
	global_load_dword v2, v[4:5], off
	s_mov_b64 s[16:17], 0
	s_waitcnt vmcnt(0)
	v_cvt_f32_u32_e32 v2, v2
	v_cvt_f16_f32_e32 v8, v2
	s_branch .LBB48_1370
.LBB48_1368:
	s_mov_b64 s[16:17], -1
                                        ; implicit-def: $vgpr8
	s_branch .LBB48_1373
.LBB48_1369:
	s_mov_b64 s[16:17], -1
                                        ; implicit-def: $vgpr8
.LBB48_1370:
	s_andn2_b64 vcc, exec, s[16:17]
	s_cbranch_vccnz .LBB48_1372
; %bb.1371:
	global_load_ushort v2, v[4:5], off
	s_waitcnt vmcnt(0)
	v_cvt_f16_u16_e32 v8, v2
.LBB48_1372:
	s_mov_b64 s[16:17], 0
.LBB48_1373:
	s_andn2_b64 vcc, exec, s[16:17]
	s_cbranch_vccnz .LBB48_1381
; %bb.1374:
	global_load_ubyte v2, v[4:5], off
	s_movk_i32 s16, 0x7f
                                        ; implicit-def: $sgpr26
	s_waitcnt vmcnt(0)
	v_cmp_lt_i16_e32 vcc, s16, v2
	s_mov_b64 s[16:17], 0
	s_and_saveexec_b64 s[18:19], vcc
	s_xor_b64 s[18:19], exec, s[18:19]
	s_cbranch_execz .LBB48_1394
; %bb.1375:
	s_movk_i32 s16, 0x80
	v_cmp_eq_u16_e32 vcc, s16, v2
	s_mov_b64 s[16:17], -1
                                        ; implicit-def: $sgpr26
	s_and_saveexec_b64 s[24:25], vcc
; %bb.1376:
	s_movk_i32 s26, 0x7e00
	s_xor_b64 s[16:17], exec, -1
; %bb.1377:
	s_or_b64 exec, exec, s[24:25]
	s_and_b64 s[16:17], s[16:17], exec
	s_or_saveexec_b64 s[18:19], s[18:19]
	v_mov_b32_e32 v8, s26
	s_xor_b64 exec, exec, s[18:19]
	s_cbranch_execnz .LBB48_1395
.LBB48_1378:
	s_or_b64 exec, exec, s[18:19]
	s_and_saveexec_b64 s[18:19], s[16:17]
	s_cbranch_execz .LBB48_1380
.LBB48_1379:
	v_lshlrev_b32_e32 v7, 24, v2
	v_and_b32_e32 v2, 0xffff, v2
	v_and_b32_e32 v8, 7, v2
	v_ffbh_u32_e32 v10, v8
	v_min_u32_e32 v10, 32, v10
	v_subrev_u32_e32 v11, 28, v10
	v_bfe_u32 v9, v2, 3, 4
	v_lshlrev_b32_e32 v2, v11, v2
	v_sub_u32_e32 v10, 29, v10
	v_and_b32_e32 v2, 7, v2
	v_cmp_eq_u32_e32 vcc, 0, v9
	v_cndmask_b32_e32 v9, v9, v10, vcc
	v_cndmask_b32_e32 v2, v8, v2, vcc
	v_mov_b32_e32 v8, 0x3b800000
	v_lshlrev_b32_e32 v2, 20, v2
	v_and_b32_e32 v7, 0x80000000, v7
	v_lshl_add_u32 v8, v9, 23, v8
	v_or3_b32 v2, v7, v8, v2
	v_cvt_f16_f32_e32 v8, v2
.LBB48_1380:
	s_or_b64 exec, exec, s[18:19]
.LBB48_1381:
	s_mov_b64 s[16:17], -1
.LBB48_1382:
	s_branch .LBB48_1415
.LBB48_1383:
	v_cmp_lt_i16_e32 vcc, 22, v3
	s_cbranch_vccz .LBB48_1393
; %bb.1384:
	v_cmp_gt_i16_e32 vcc, 24, v3
	s_cbranch_vccnz .LBB48_1396
; %bb.1385:
	v_cmp_lt_i16_e32 vcc, 24, v3
	s_cbranch_vccz .LBB48_1397
; %bb.1386:
	global_load_ubyte v2, v[4:5], off
	s_movk_i32 s14, 0x7f
                                        ; implicit-def: $sgpr24
	s_waitcnt vmcnt(0)
	v_cmp_lt_i16_e32 vcc, s14, v2
	s_mov_b64 s[14:15], 0
	s_and_saveexec_b64 s[16:17], vcc
	s_xor_b64 s[16:17], exec, s[16:17]
	s_cbranch_execz .LBB48_1409
; %bb.1387:
	s_movk_i32 s14, 0x80
	v_cmp_eq_u16_e32 vcc, s14, v2
	s_mov_b64 s[14:15], -1
                                        ; implicit-def: $sgpr24
	s_and_saveexec_b64 s[18:19], vcc
; %bb.1388:
	s_movk_i32 s24, 0x7e00
	s_xor_b64 s[14:15], exec, -1
; %bb.1389:
	s_or_b64 exec, exec, s[18:19]
	s_and_b64 s[14:15], s[14:15], exec
	s_or_saveexec_b64 s[16:17], s[16:17]
	v_mov_b32_e32 v8, s24
	s_xor_b64 exec, exec, s[16:17]
	s_cbranch_execnz .LBB48_1410
.LBB48_1390:
	s_or_b64 exec, exec, s[16:17]
	s_and_saveexec_b64 s[16:17], s[14:15]
	s_cbranch_execz .LBB48_1392
.LBB48_1391:
	v_lshlrev_b32_e32 v7, 24, v2
	v_and_b32_e32 v2, 0xffff, v2
	v_and_b32_e32 v8, 3, v2
	v_ffbh_u32_e32 v10, v8
	v_min_u32_e32 v10, 32, v10
	v_subrev_u32_e32 v11, 29, v10
	v_bfe_u32 v9, v2, 2, 5
	v_lshlrev_b32_e32 v2, v11, v2
	v_sub_u32_e32 v10, 30, v10
	v_and_b32_e32 v2, 3, v2
	v_cmp_eq_u32_e32 vcc, 0, v9
	v_cndmask_b32_e32 v9, v9, v10, vcc
	v_cndmask_b32_e32 v2, v8, v2, vcc
	v_mov_b32_e32 v8, 0x37800000
	v_lshlrev_b32_e32 v2, 21, v2
	v_and_b32_e32 v7, 0x80000000, v7
	v_lshl_add_u32 v8, v9, 23, v8
	v_or3_b32 v2, v7, v8, v2
	v_cvt_f16_f32_e32 v8, v2
.LBB48_1392:
	s_or_b64 exec, exec, s[16:17]
	s_mov_b64 s[14:15], 0
	s_branch .LBB48_1398
.LBB48_1393:
	s_mov_b64 s[14:15], -1
                                        ; implicit-def: $vgpr8
	s_branch .LBB48_1404
.LBB48_1394:
	s_or_saveexec_b64 s[18:19], s[18:19]
	v_mov_b32_e32 v8, s26
	s_xor_b64 exec, exec, s[18:19]
	s_cbranch_execz .LBB48_1378
.LBB48_1395:
	v_cmp_ne_u16_e32 vcc, 0, v2
	s_andn2_b64 s[16:17], s[16:17], exec
	s_and_b64 s[24:25], vcc, exec
	s_or_b64 s[16:17], s[16:17], s[24:25]
	v_mov_b32_e32 v8, v2
	s_or_b64 exec, exec, s[18:19]
	s_and_saveexec_b64 s[18:19], s[16:17]
	s_cbranch_execnz .LBB48_1379
	s_branch .LBB48_1380
.LBB48_1396:
	s_mov_b64 s[14:15], -1
                                        ; implicit-def: $vgpr8
	s_branch .LBB48_1401
.LBB48_1397:
	s_mov_b64 s[14:15], -1
                                        ; implicit-def: $vgpr8
.LBB48_1398:
	s_and_b64 vcc, exec, s[14:15]
	s_cbranch_vccz .LBB48_1400
; %bb.1399:
	global_load_ubyte v2, v[4:5], off
	s_mov_b32 s14, 0x7f800000
	s_waitcnt vmcnt(0)
	v_lshlrev_b32_e32 v2, 24, v2
	v_and_b32_e32 v7, 0x7f000000, v2
	v_ffbh_u32_e32 v8, v7
	v_min_u32_e32 v8, 32, v8
	v_sub_u32_e64 v8, v8, 4 clamp
	v_lshlrev_b32_e32 v10, v8, v7
	v_lshlrev_b32_e32 v8, 23, v8
	v_lshrrev_b32_e32 v10, 4, v10
	v_add_u32_e32 v9, 0x1000000, v7
	v_sub_u32_e32 v8, v10, v8
	v_ashrrev_i32_e32 v9, 8, v9
	v_add_u32_e32 v8, 0x3c000000, v8
	v_and_or_b32 v8, v9, s14, v8
	v_cmp_ne_u32_e32 vcc, 0, v7
	v_cndmask_b32_e32 v7, 0, v8, vcc
	s_brev_b32 s14, 1
	v_and_or_b32 v2, v2, s14, v7
	v_cvt_f16_f32_e32 v8, v2
.LBB48_1400:
	s_mov_b64 s[14:15], 0
.LBB48_1401:
	s_andn2_b64 vcc, exec, s[14:15]
	s_cbranch_vccnz .LBB48_1403
; %bb.1402:
	global_load_ubyte v2, v[4:5], off
	s_movk_i32 s14, 0x7f00
	s_brev_b32 s15, 16
	s_waitcnt vmcnt(0)
	v_lshlrev_b16_e32 v7, 8, v2
	v_lshlrev_b32_e32 v2, 25, v2
	v_lshrrev_b32_e32 v8, 4, v2
	v_and_or_b32 v9, v7, s14, 0.5
	v_or_b32_e32 v8, 0x70000000, v8
	v_add_f32_e32 v9, -0.5, v9
	v_mul_f32_e32 v8, 0x7800000, v8
	v_cmp_gt_u32_e32 vcc, s15, v2
	v_bfe_i32 v7, v7, 0, 16
	v_cndmask_b32_e32 v2, v8, v9, vcc
	s_brev_b32 s14, 1
	v_and_or_b32 v2, v7, s14, v2
	v_cvt_f16_f32_e32 v8, v2
.LBB48_1403:
	s_mov_b64 s[14:15], 0
	s_mov_b64 s[16:17], -1
.LBB48_1404:
	s_andn2_b64 vcc, exec, s[14:15]
	s_mov_b64 s[14:15], 0
	s_cbranch_vccnz .LBB48_1415
; %bb.1405:
	v_cmp_lt_i16_e32 vcc, 14, v3
	s_cbranch_vccz .LBB48_1408
; %bb.1406:
	v_cmp_eq_u16_e32 vcc, 15, v3
	s_cbranch_vccz .LBB48_1411
; %bb.1407:
	global_load_ushort v2, v[4:5], off
	s_mov_b64 s[12:13], 0
	s_mov_b64 s[16:17], -1
	s_waitcnt vmcnt(0)
	v_lshlrev_b32_e32 v2, 16, v2
	v_cvt_f16_f32_e32 v8, v2
	s_branch .LBB48_1412
.LBB48_1408:
	s_mov_b64 s[18:19], -1
                                        ; implicit-def: $vgpr8
	s_branch .LBB48_1413
.LBB48_1409:
	s_or_saveexec_b64 s[16:17], s[16:17]
	v_mov_b32_e32 v8, s24
	s_xor_b64 exec, exec, s[16:17]
	s_cbranch_execz .LBB48_1390
.LBB48_1410:
	v_cmp_ne_u16_e32 vcc, 0, v2
	s_andn2_b64 s[14:15], s[14:15], exec
	s_and_b64 s[18:19], vcc, exec
	s_or_b64 s[14:15], s[14:15], s[18:19]
	v_mov_b32_e32 v8, v2
	s_or_b64 exec, exec, s[16:17]
	s_and_saveexec_b64 s[16:17], s[14:15]
	s_cbranch_execnz .LBB48_1391
	s_branch .LBB48_1392
.LBB48_1411:
	s_mov_b64 s[12:13], -1
                                        ; implicit-def: $vgpr8
.LBB48_1412:
	s_mov_b64 s[18:19], 0
.LBB48_1413:
	s_and_b64 vcc, exec, s[18:19]
	s_cbranch_vccz .LBB48_1415
; %bb.1414:
	v_cmp_ne_u16_e32 vcc, 11, v3
	s_andn2_b64 s[12:13], s[12:13], exec
	s_and_b64 s[18:19], vcc, exec
	s_mov_b64 s[14:15], -1
	s_or_b64 s[12:13], s[12:13], s[18:19]
                                        ; implicit-def: $vgpr8
.LBB48_1415:
	s_mov_b64 s[18:19], 0
.LBB48_1416:
	s_andn2_b64 s[24:25], s[38:39], exec
	s_and_b64 s[12:13], s[12:13], exec
	s_and_b64 s[16:17], s[16:17], exec
	s_and_b64 s[18:19], s[18:19], exec
	s_and_b64 s[14:15], s[14:15], exec
	s_or_b64 s[38:39], s[24:25], s[12:13]
	s_or_b64 exec, exec, s[0:1]
	s_and_saveexec_b64 s[0:1], s[38:39]
	s_cbranch_execz .LBB48_1345
.LBB48_1417:
	s_or_b64 s[10:11], s[10:11], exec
	s_andn2_b64 s[14:15], s[14:15], exec
	s_trap 2
                                        ; implicit-def: $vgpr8
	s_or_b64 exec, exec, s[0:1]
	s_and_saveexec_b64 s[0:1], s[14:15]
	s_xor_b64 s[0:1], exec, s[0:1]
	s_cbranch_execnz .LBB48_1346
.LBB48_1418:
	s_or_b64 exec, exec, s[0:1]
	s_and_saveexec_b64 s[0:1], s[18:19]
	s_cbranch_execz .LBB48_1464
.LBB48_1419:
	v_cmp_gt_i16_e32 vcc, 5, v3
	s_cbranch_vccnz .LBB48_1424
; %bb.1420:
	v_cmp_gt_i16_e32 vcc, 8, v3
	s_cbranch_vccnz .LBB48_1425
; %bb.1421:
	;; [unrolled: 3-line block ×3, first 2 shown]
	v_cmp_lt_i16_e32 vcc, 9, v3
	s_cbranch_vccz .LBB48_1427
; %bb.1423:
	s_waitcnt vmcnt(0)
	global_load_dwordx2 v[8:9], v[4:5], off
	s_mov_b64 s[12:13], 0
	s_waitcnt vmcnt(0)
	v_cvt_f32_f64_e32 v2, v[8:9]
	v_cvt_f16_f32_e32 v8, v2
	s_branch .LBB48_1428
.LBB48_1424:
                                        ; implicit-def: $vgpr8
	s_branch .LBB48_1445
.LBB48_1425:
                                        ; implicit-def: $vgpr8
	s_branch .LBB48_1434
.LBB48_1426:
	s_mov_b64 s[12:13], -1
                                        ; implicit-def: $vgpr8
	s_branch .LBB48_1431
.LBB48_1427:
	s_mov_b64 s[12:13], -1
                                        ; implicit-def: $vgpr8
.LBB48_1428:
	s_andn2_b64 vcc, exec, s[12:13]
	s_cbranch_vccnz .LBB48_1430
; %bb.1429:
	s_waitcnt vmcnt(0)
	global_load_dword v2, v[4:5], off
	s_waitcnt vmcnt(0)
	v_cvt_f16_f32_e32 v8, v2
.LBB48_1430:
	s_mov_b64 s[12:13], 0
.LBB48_1431:
	s_andn2_b64 vcc, exec, s[12:13]
	s_cbranch_vccnz .LBB48_1433
; %bb.1432:
	s_waitcnt vmcnt(0)
	global_load_dword v8, v[4:5], off
.LBB48_1433:
	s_cbranch_execnz .LBB48_1444
.LBB48_1434:
	v_cmp_gt_i16_e32 vcc, 6, v3
	s_cbranch_vccnz .LBB48_1437
; %bb.1435:
	v_cmp_lt_i16_e32 vcc, 6, v3
	s_cbranch_vccz .LBB48_1438
; %bb.1436:
	s_waitcnt vmcnt(0)
	global_load_dwordx2 v[8:9], v[4:5], off
	s_mov_b64 s[12:13], 0
	s_waitcnt vmcnt(0)
	v_cvt_f32_f64_e32 v2, v[8:9]
	v_cvt_f16_f32_e32 v8, v2
	s_branch .LBB48_1439
.LBB48_1437:
	s_mov_b64 s[12:13], -1
                                        ; implicit-def: $vgpr8
	s_branch .LBB48_1442
.LBB48_1438:
	s_mov_b64 s[12:13], -1
                                        ; implicit-def: $vgpr8
.LBB48_1439:
	s_andn2_b64 vcc, exec, s[12:13]
	s_cbranch_vccnz .LBB48_1441
; %bb.1440:
	s_waitcnt vmcnt(0)
	global_load_dword v2, v[4:5], off
	s_waitcnt vmcnt(0)
	v_cvt_f16_f32_e32 v8, v2
.LBB48_1441:
	s_mov_b64 s[12:13], 0
.LBB48_1442:
	s_andn2_b64 vcc, exec, s[12:13]
	s_cbranch_vccnz .LBB48_1444
; %bb.1443:
	s_waitcnt vmcnt(0)
	global_load_ushort v8, v[4:5], off
.LBB48_1444:
	s_cbranch_execnz .LBB48_1463
.LBB48_1445:
	v_cmp_gt_i16_e32 vcc, 2, v3
	s_cbranch_vccnz .LBB48_1449
; %bb.1446:
	v_cmp_gt_i16_e32 vcc, 3, v3
	s_cbranch_vccnz .LBB48_1450
; %bb.1447:
	v_cmp_lt_i16_e32 vcc, 3, v3
	s_cbranch_vccz .LBB48_1451
; %bb.1448:
	s_waitcnt vmcnt(0)
	global_load_dwordx2 v[8:9], v[4:5], off
	s_mov_b64 s[12:13], 0
	s_waitcnt vmcnt(0)
	v_xor_b32_e32 v7, v8, v9
	v_ffbh_i32_e32 v2, v9
	v_ashrrev_i32_e32 v7, 31, v7
	v_add_u32_e32 v2, -1, v2
	v_add_u32_e32 v7, 32, v7
	v_min_u32_e32 v2, v2, v7
	v_lshlrev_b64 v[8:9], v2, v[8:9]
	v_min_u32_e32 v7, 1, v8
	v_or_b32_e32 v7, v9, v7
	v_cvt_f32_i32_e32 v7, v7
	v_sub_u32_e32 v2, 32, v2
	v_ldexp_f32 v2, v7, v2
	v_cvt_f16_f32_e32 v8, v2
	s_branch .LBB48_1452
.LBB48_1449:
                                        ; implicit-def: $vgpr8
	s_branch .LBB48_1458
.LBB48_1450:
	s_mov_b64 s[12:13], -1
                                        ; implicit-def: $vgpr8
	s_branch .LBB48_1455
.LBB48_1451:
	s_mov_b64 s[12:13], -1
                                        ; implicit-def: $vgpr8
.LBB48_1452:
	s_andn2_b64 vcc, exec, s[12:13]
	s_cbranch_vccnz .LBB48_1454
; %bb.1453:
	s_waitcnt vmcnt(0)
	global_load_dword v2, v[4:5], off
	s_waitcnt vmcnt(0)
	v_cvt_f32_i32_e32 v2, v2
	v_cvt_f16_f32_e32 v8, v2
.LBB48_1454:
	s_mov_b64 s[12:13], 0
.LBB48_1455:
	s_andn2_b64 vcc, exec, s[12:13]
	s_cbranch_vccnz .LBB48_1457
; %bb.1456:
	s_waitcnt vmcnt(0)
	global_load_ushort v2, v[4:5], off
	s_waitcnt vmcnt(0)
	v_cvt_f16_i16_e32 v8, v2
.LBB48_1457:
	s_cbranch_execnz .LBB48_1463
.LBB48_1458:
	v_cmp_lt_i16_e32 vcc, 0, v3
	s_cbranch_vccz .LBB48_1460
; %bb.1459:
	s_waitcnt vmcnt(0)
	global_load_sbyte v2, v[4:5], off
	s_mov_b64 s[12:13], 0
	s_waitcnt vmcnt(0)
	v_cvt_f16_i16_e32 v8, v2
	s_branch .LBB48_1461
.LBB48_1460:
	s_mov_b64 s[12:13], -1
                                        ; implicit-def: $vgpr8
.LBB48_1461:
	s_andn2_b64 vcc, exec, s[12:13]
	s_cbranch_vccnz .LBB48_1463
; %bb.1462:
	s_waitcnt vmcnt(0)
	global_load_ubyte v2, v[4:5], off
	s_waitcnt vmcnt(0)
	v_cvt_f16_u16_e32 v8, v2
.LBB48_1463:
	s_or_b64 s[16:17], s[16:17], exec
.LBB48_1464:
	s_or_b64 exec, exec, s[0:1]
	s_mov_b64 s[18:19], 0
	s_mov_b64 s[14:15], 0
                                        ; implicit-def: $vgpr5
                                        ; implicit-def: $vgpr2_vgpr3
                                        ; implicit-def: $vgpr4
	s_and_saveexec_b64 s[12:13], s[16:17]
	s_cbranch_execz .LBB48_1482
; %bb.1465:
	s_waitcnt vmcnt(0)
	v_cvt_f32_f16_e32 v2, v8
	v_cvt_f32_f16_e32 v3, v1
	s_movk_i32 s0, 0x400
	v_mov_b32_e32 v5, 0x400
	v_rcp_f32_e32 v4, v2
	s_movk_i32 s1, 0x3bfe
	v_mul_f32_e32 v7, v3, v4
	v_mad_f32 v9, -v2, v7, v3
	v_mac_f32_e32 v7, v9, v4
	v_mad_f32 v2, -v2, v7, v3
	v_mul_f32_e32 v2, v2, v4
	v_and_b32_e32 v2, 0xff800000, v2
	v_add_f32_e32 v2, v2, v7
	v_cvt_f16_f32_e32 v2, v2
	v_mov_b32_e32 v3, 0x3bfe
	v_mov_b32_e32 v7, s9
	v_div_fixup_f16 v1, v2, v8, v1
	v_cmp_ngt_f16_e32 vcc, s0, v1
	v_cndmask_b32_e32 v1, v5, v1, vcc
	v_cmp_nlt_f16_e32 vcc, s1, v1
	v_cndmask_b32_e32 v4, v3, v1, vcc
	v_add_co_u32_e32 v2, vcc, s8, v0
	v_addc_co_u32_e32 v3, vcc, 0, v7, vcc
	v_and_b32_e32 v5, 0xff, v6
	v_cmp_gt_i16_e32 vcc, 11, v5
	s_cbranch_vccnz .LBB48_1485
; %bb.1466:
	v_cmp_lt_i16_e32 vcc, 25, v5
	s_mov_b64 s[14:15], -1
	s_mov_b64 s[0:1], s[36:37]
	s_cbranch_vccz .LBB48_1503
; %bb.1467:
	v_cmp_lt_i16_e32 vcc, 28, v5
	s_mov_b64 s[8:9], -1
	s_mov_b64 s[0:1], s[36:37]
	s_cbranch_vccz .LBB48_1487
; %bb.1468:
	v_cmp_lt_i16_e32 vcc, 43, v5
	s_mov_b64 s[0:1], s[36:37]
	s_cbranch_vccz .LBB48_1479
; %bb.1469:
	v_cmp_lt_i16_e32 vcc, 45, v5
	s_mov_b64 s[0:1], s[36:37]
	s_cbranch_vccz .LBB48_1473
; %bb.1470:
	v_cmp_eq_u16_e32 vcc, 46, v5
	s_mov_b64 s[0:1], -1
	s_cbranch_vccz .LBB48_1472
; %bb.1471:
	v_cvt_f32_f16_e32 v0, v4
	s_movk_i32 s0, 0x7fff
	v_mov_b32_e32 v1, 0x7fc0
	v_cmp_o_f16_e32 vcc, v4, v4
	v_bfe_u32 v6, v0, 16, 1
	v_add3_u32 v0, v0, v6, s0
	v_lshrrev_b32_e32 v0, 16, v0
	v_cndmask_b32_e32 v0, v1, v0, vcc
	global_store_dword v[2:3], v0, off
	s_mov_b64 s[0:1], 0
.LBB48_1472:
	s_mov_b64 s[8:9], 0
.LBB48_1473:
	s_and_b64 vcc, exec, s[8:9]
	s_cbranch_vccz .LBB48_1478
; %bb.1474:
	v_cmp_eq_u16_e32 vcc, 44, v5
	s_mov_b64 s[0:1], -1
	s_cbranch_vccz .LBB48_1478
; %bb.1475:
	v_cvt_f32_f16_e32 v0, v4
	s_movk_i32 s0, 0xff
	v_mov_b32_e32 v6, 0xff
	v_bfe_u32 v1, v0, 23, 8
	v_cmp_ne_u32_e32 vcc, s0, v1
	s_and_saveexec_b64 s[8:9], vcc
; %bb.1476:
	s_mov_b32 s0, 0x3fffff
	v_lshrrev_b32_e32 v6, 23, v0
	v_and_b32_e32 v7, 0x400000, v0
	v_and_or_b32 v0, v0, s0, v1
	v_cmp_ne_u32_e32 vcc, 0, v7
	v_cmp_ne_u32_e64 s[0:1], 0, v0
	s_and_b64 s[0:1], vcc, s[0:1]
	v_cndmask_b32_e64 v0, 0, 1, s[0:1]
	v_add_u32_e32 v6, v6, v0
; %bb.1477:
	s_or_b64 exec, exec, s[8:9]
	s_mov_b64 s[0:1], 0
	global_store_byte v[2:3], v6, off
.LBB48_1478:
	s_mov_b64 s[8:9], 0
.LBB48_1479:
	s_and_b64 vcc, exec, s[8:9]
	s_cbranch_vccz .LBB48_1486
; %bb.1480:
	v_cmp_eq_u16_e32 vcc, 29, v5
	s_mov_b64 s[0:1], -1
	s_cbranch_vccz .LBB48_1486
; %bb.1481:
	v_cvt_f32_f16_e32 v0, v4
	v_mov_b32_e32 v1, 0
	s_mov_b64 s[0:1], 0
	s_mov_b64 s[8:9], 0
	v_cvt_u32_f32_e32 v0, v0
	global_store_dwordx2 v[2:3], v[0:1], off
	s_branch .LBB48_1487
.LBB48_1482:
	s_or_b64 exec, exec, s[12:13]
	s_and_saveexec_b64 s[0:1], s[36:37]
	s_cbranch_execnz .LBB48_1545
.LBB48_1483:
	s_or_b64 exec, exec, s[0:1]
	s_and_saveexec_b64 s[0:1], s[18:19]
	s_xor_b64 s[0:1], exec, s[0:1]
	s_cbranch_execz .LBB48_1546
.LBB48_1484:
	s_waitcnt vmcnt(0)
	v_and_b32_e32 v0, 0x7fff, v4
	v_cmp_ne_u16_e32 vcc, 0, v0
	v_cndmask_b32_e64 v0, 0, 1, vcc
	global_store_byte v[2:3], v0, off
	s_or_b64 exec, exec, s[0:1]
	s_and_saveexec_b64 s[0:1], s[14:15]
	s_xor_b64 s[0:1], exec, s[0:1]
	s_cbranch_execz .LBB48_1584
	s_branch .LBB48_1547
.LBB48_1485:
	s_mov_b64 s[16:17], 0
	s_mov_b64 s[8:9], -1
	s_mov_b64 s[0:1], s[36:37]
	s_branch .LBB48_1544
.LBB48_1486:
	s_mov_b64 s[8:9], 0
.LBB48_1487:
	s_and_b64 vcc, exec, s[8:9]
	s_cbranch_vccz .LBB48_1502
; %bb.1488:
	v_cmp_gt_i16_e32 vcc, 27, v5
	s_mov_b64 s[8:9], -1
	s_cbranch_vccnz .LBB48_1494
; %bb.1489:
	v_cmp_lt_i16_e32 vcc, 27, v5
	s_cbranch_vccz .LBB48_1491
; %bb.1490:
	v_cvt_f32_f16_e32 v0, v4
	s_mov_b64 s[8:9], 0
	v_cvt_u32_f32_e32 v0, v0
	global_store_dword v[2:3], v0, off
.LBB48_1491:
	s_andn2_b64 vcc, exec, s[8:9]
	s_cbranch_vccnz .LBB48_1493
; %bb.1492:
	v_cvt_u16_f16_e32 v0, v4
	global_store_short v[2:3], v0, off
.LBB48_1493:
	s_mov_b64 s[8:9], 0
.LBB48_1494:
	s_andn2_b64 vcc, exec, s[8:9]
	s_cbranch_vccnz .LBB48_1502
; %bb.1495:
	v_cvt_f32_f16_e32 v0, v4
	s_mov_b32 s8, 0x43800000
	v_mov_b32_e32 v6, 0x80
	v_and_b32_e32 v1, 0x7fffffff, v0
	v_cmp_gt_u32_e32 vcc, s8, v1
	s_and_saveexec_b64 s[8:9], vcc
	s_cbranch_execz .LBB48_1501
; %bb.1496:
	s_mov_b32 s14, 0x3bffffff
	v_cmp_lt_u32_e32 vcc, s14, v1
	s_mov_b64 s[14:15], 0
                                        ; implicit-def: $vgpr1
	s_and_saveexec_b64 s[16:17], vcc
	s_xor_b64 s[16:17], exec, s[16:17]
	s_cbranch_execz .LBB48_1639
; %bb.1497:
	v_bfe_u32 v1, v0, 20, 1
	s_mov_b32 s18, 0x487ffff
	v_add3_u32 v1, v0, v1, s18
	s_mov_b64 s[14:15], exec
	v_lshrrev_b32_e32 v1, 20, v1
	s_or_saveexec_b64 s[16:17], s[16:17]
                                        ; implicit-def: $sgpr18
	s_xor_b64 exec, exec, s[16:17]
	s_cbranch_execnz .LBB48_1640
.LBB48_1498:
	s_or_b64 exec, exec, s[16:17]
	v_mov_b32_e32 v6, s18
	s_and_saveexec_b64 s[16:17], s[14:15]
.LBB48_1499:
	v_lshrrev_b32_e32 v0, 24, v0
	s_movk_i32 s14, 0x80
	v_and_or_b32 v6, v0, s14, v1
.LBB48_1500:
	s_or_b64 exec, exec, s[16:17]
.LBB48_1501:
	s_or_b64 exec, exec, s[8:9]
	global_store_byte v[2:3], v6, off
.LBB48_1502:
	s_mov_b64 s[14:15], 0
.LBB48_1503:
	s_mov_b64 s[8:9], 0
	s_and_b64 vcc, exec, s[14:15]
	s_cbranch_vccz .LBB48_1543
; %bb.1504:
	v_cmp_lt_i16_e32 vcc, 22, v5
	s_mov_b64 s[14:15], -1
	s_cbranch_vccz .LBB48_1536
; %bb.1505:
	v_cmp_gt_i16_e32 vcc, 24, v5
	s_cbranch_vccnz .LBB48_1525
; %bb.1506:
	v_cmp_lt_i16_e32 vcc, 24, v5
	s_cbranch_vccz .LBB48_1514
; %bb.1507:
	v_cvt_f32_f16_e32 v0, v4
	s_mov_b32 s14, 0x47800000
	v_mov_b32_e32 v6, 0x80
	v_and_b32_e32 v1, 0x7fffffff, v0
	v_cmp_gt_u32_e32 vcc, s14, v1
	s_and_saveexec_b64 s[14:15], vcc
	s_cbranch_execz .LBB48_1513
; %bb.1508:
	s_mov_b32 s16, 0x37ffffff
	v_cmp_lt_u32_e32 vcc, s16, v1
	s_mov_b64 s[16:17], 0
                                        ; implicit-def: $vgpr1
	s_and_saveexec_b64 s[18:19], vcc
	s_xor_b64 s[18:19], exec, s[18:19]
	s_cbranch_execz .LBB48_1764
; %bb.1509:
	v_bfe_u32 v1, v0, 21, 1
	s_mov_b32 s24, 0x88fffff
	v_add3_u32 v1, v0, v1, s24
	s_mov_b64 s[16:17], exec
	v_lshrrev_b32_e32 v1, 21, v1
	s_or_saveexec_b64 s[18:19], s[18:19]
                                        ; implicit-def: $sgpr24
	s_xor_b64 exec, exec, s[18:19]
	s_cbranch_execnz .LBB48_1765
.LBB48_1510:
	s_or_b64 exec, exec, s[18:19]
	v_mov_b32_e32 v6, s24
	s_and_saveexec_b64 s[18:19], s[16:17]
.LBB48_1511:
	v_lshrrev_b32_e32 v0, 24, v0
	s_movk_i32 s16, 0x80
	v_and_or_b32 v6, v0, s16, v1
.LBB48_1512:
	s_or_b64 exec, exec, s[18:19]
.LBB48_1513:
	s_or_b64 exec, exec, s[14:15]
	s_mov_b64 s[14:15], 0
	global_store_byte v[2:3], v6, off
.LBB48_1514:
	s_and_b64 vcc, exec, s[14:15]
	s_cbranch_vccz .LBB48_1524
; %bb.1515:
	v_cvt_f32_f16_e32 v0, v4
	s_mov_b32 s14, 0x43f00000
                                        ; implicit-def: $vgpr1
	v_and_b32_e32 v6, 0x7fffffff, v0
	v_cmp_gt_u32_e32 vcc, s14, v6
	s_and_saveexec_b64 s[14:15], vcc
	s_xor_b64 s[14:15], exec, s[14:15]
	s_cbranch_execz .LBB48_1521
; %bb.1516:
	s_mov_b32 s16, 0x3c7fffff
	v_cmp_lt_u32_e32 vcc, s16, v6
                                        ; implicit-def: $vgpr1
	s_and_saveexec_b64 s[16:17], vcc
	s_xor_b64 s[16:17], exec, s[16:17]
; %bb.1517:
	v_bfe_u32 v1, v0, 20, 1
	s_mov_b32 s18, 0x407ffff
	v_add3_u32 v1, v0, v1, s18
	v_lshrrev_b32_e32 v6, 20, v1
	v_and_b32_e32 v1, 0xff00000, v1
	s_mov_b32 s18, 0x7f00000
	v_mov_b32_e32 v7, 0x7e
	v_cmp_ne_u32_e32 vcc, s18, v1
	v_cndmask_b32_e32 v1, v7, v6, vcc
; %bb.1518:
	s_andn2_saveexec_b64 s[16:17], s[16:17]
; %bb.1519:
	s_mov_b32 s18, 0x46800000
	v_add_f32_e64 v1, |v0|, s18
; %bb.1520:
	s_or_b64 exec, exec, s[16:17]
                                        ; implicit-def: $vgpr6
.LBB48_1521:
	s_andn2_saveexec_b64 s[14:15], s[14:15]
; %bb.1522:
	s_mov_b32 s16, 0x7f800000
	v_mov_b32_e32 v1, 0x7e
	v_mov_b32_e32 v7, 0x7f
	v_cmp_lt_u32_e32 vcc, s16, v6
	v_cndmask_b32_e32 v1, v1, v7, vcc
; %bb.1523:
	s_or_b64 exec, exec, s[14:15]
	v_lshrrev_b32_e32 v0, 24, v0
	s_movk_i32 s14, 0x80
	v_and_or_b32 v0, v0, s14, v1
	global_store_byte v[2:3], v0, off
.LBB48_1524:
	s_mov_b64 s[14:15], 0
.LBB48_1525:
	s_andn2_b64 vcc, exec, s[14:15]
	s_cbranch_vccnz .LBB48_1535
; %bb.1526:
	v_cvt_f32_f16_e32 v0, v4
	s_mov_b32 s14, 0x47800000
                                        ; implicit-def: $vgpr1
	v_and_b32_e32 v6, 0x7fffffff, v0
	v_cmp_gt_u32_e32 vcc, s14, v6
	s_and_saveexec_b64 s[14:15], vcc
	s_xor_b64 s[14:15], exec, s[14:15]
	s_cbranch_execz .LBB48_1532
; %bb.1527:
	s_mov_b32 s16, 0x387fffff
	v_cmp_lt_u32_e32 vcc, s16, v6
                                        ; implicit-def: $vgpr1
	s_and_saveexec_b64 s[16:17], vcc
	s_xor_b64 s[16:17], exec, s[16:17]
; %bb.1528:
	v_bfe_u32 v1, v0, 21, 1
	s_mov_b32 s18, 0x80fffff
	v_add3_u32 v1, v0, v1, s18
	v_lshrrev_b32_e32 v1, 21, v1
; %bb.1529:
	s_andn2_saveexec_b64 s[16:17], s[16:17]
; %bb.1530:
	s_mov_b32 s18, 0x43000000
	v_add_f32_e64 v1, |v0|, s18
; %bb.1531:
	s_or_b64 exec, exec, s[16:17]
                                        ; implicit-def: $vgpr6
.LBB48_1532:
	s_andn2_saveexec_b64 s[14:15], s[14:15]
; %bb.1533:
	s_mov_b32 s16, 0x7f800000
	v_mov_b32_e32 v1, 0x7c
	v_mov_b32_e32 v7, 0x7f
	v_cmp_lt_u32_e32 vcc, s16, v6
	v_cndmask_b32_e32 v1, v1, v7, vcc
; %bb.1534:
	s_or_b64 exec, exec, s[14:15]
	v_lshrrev_b32_e32 v0, 24, v0
	s_movk_i32 s14, 0x80
	v_and_or_b32 v0, v0, s14, v1
	global_store_byte v[2:3], v0, off
.LBB48_1535:
	s_mov_b64 s[14:15], 0
.LBB48_1536:
	s_andn2_b64 vcc, exec, s[14:15]
	s_mov_b64 s[16:17], 0
	s_cbranch_vccnz .LBB48_1544
; %bb.1537:
	v_cmp_lt_i16_e32 vcc, 14, v5
	s_mov_b64 s[14:15], -1
	s_cbranch_vccz .LBB48_1541
; %bb.1538:
	v_cmp_eq_u16_e32 vcc, 15, v5
	s_mov_b64 s[0:1], -1
	s_cbranch_vccz .LBB48_1540
; %bb.1539:
	v_cvt_f32_f16_e32 v0, v4
	s_movk_i32 s0, 0x7fff
	v_mov_b32_e32 v1, 0x7fc0
	v_cmp_o_f16_e32 vcc, v4, v4
	v_bfe_u32 v6, v0, 16, 1
	v_add3_u32 v0, v0, v6, s0
	v_lshrrev_b32_e32 v0, 16, v0
	v_cndmask_b32_e32 v0, v1, v0, vcc
	global_store_short v[2:3], v0, off
	s_mov_b64 s[0:1], 0
.LBB48_1540:
	s_mov_b64 s[14:15], 0
.LBB48_1541:
	s_and_b64 vcc, exec, s[14:15]
	s_cbranch_vccz .LBB48_1544
; %bb.1542:
	v_cmp_ne_u16_e32 vcc, 11, v5
	s_andn2_b64 s[0:1], s[0:1], exec
	s_and_b64 s[14:15], vcc, exec
	s_mov_b64 s[16:17], -1
	s_or_b64 s[0:1], s[0:1], s[14:15]
	s_branch .LBB48_1544
.LBB48_1543:
	s_mov_b64 s[16:17], 0
.LBB48_1544:
	s_and_b64 s[14:15], s[8:9], exec
	s_andn2_b64 s[8:9], s[36:37], exec
	s_and_b64 s[0:1], s[0:1], exec
	s_and_b64 s[18:19], s[16:17], exec
	s_or_b64 s[36:37], s[8:9], s[0:1]
	s_or_b64 exec, exec, s[12:13]
	s_and_saveexec_b64 s[0:1], s[36:37]
	s_cbranch_execz .LBB48_1483
.LBB48_1545:
	s_or_b64 s[10:11], s[10:11], exec
	s_andn2_b64 s[18:19], s[18:19], exec
	s_trap 2
	s_or_b64 exec, exec, s[0:1]
	s_and_saveexec_b64 s[0:1], s[18:19]
	s_xor_b64 s[0:1], exec, s[0:1]
	s_cbranch_execnz .LBB48_1484
.LBB48_1546:
	s_or_b64 exec, exec, s[0:1]
	s_and_saveexec_b64 s[0:1], s[14:15]
	s_xor_b64 s[0:1], exec, s[0:1]
	s_cbranch_execz .LBB48_1584
.LBB48_1547:
	v_cmp_gt_i16_e32 vcc, 5, v5
	s_mov_b64 s[8:9], -1
	s_cbranch_vccnz .LBB48_1568
; %bb.1548:
	v_cmp_gt_i16_e32 vcc, 8, v5
	s_cbranch_vccnz .LBB48_1558
; %bb.1549:
	v_cmp_gt_i16_e32 vcc, 9, v5
	s_cbranch_vccnz .LBB48_1555
; %bb.1550:
	v_cmp_lt_i16_e32 vcc, 9, v5
	s_cbranch_vccz .LBB48_1552
; %bb.1551:
	s_waitcnt vmcnt(0)
	v_cvt_f32_f16_e32 v0, v4
	v_mov_b32_e32 v8, 0
	v_mov_b32_e32 v9, v8
	s_mov_b64 s[8:9], 0
	v_cvt_f64_f32_e32 v[6:7], v0
	global_store_dwordx4 v[2:3], v[6:9], off
.LBB48_1552:
	s_andn2_b64 vcc, exec, s[8:9]
	s_cbranch_vccnz .LBB48_1554
; %bb.1553:
	s_waitcnt vmcnt(0)
	v_cvt_f32_f16_e32 v0, v4
	v_mov_b32_e32 v1, 0
	global_store_dwordx2 v[2:3], v[0:1], off
.LBB48_1554:
	s_mov_b64 s[8:9], 0
.LBB48_1555:
	s_andn2_b64 vcc, exec, s[8:9]
	s_cbranch_vccnz .LBB48_1557
; %bb.1556:
	s_waitcnt vmcnt(0)
	v_and_b32_e32 v0, 0xffff, v4
	global_store_dword v[2:3], v0, off
.LBB48_1557:
	s_mov_b64 s[8:9], 0
.LBB48_1558:
	s_andn2_b64 vcc, exec, s[8:9]
	s_cbranch_vccnz .LBB48_1567
; %bb.1559:
	v_cmp_gt_i16_e32 vcc, 6, v5
	s_mov_b64 s[8:9], -1
	s_cbranch_vccnz .LBB48_1565
; %bb.1560:
	v_cmp_lt_i16_e32 vcc, 6, v5
	s_cbranch_vccz .LBB48_1562
; %bb.1561:
	s_waitcnt vmcnt(0)
	v_cvt_f32_f16_e32 v0, v4
	s_mov_b64 s[8:9], 0
	v_cvt_f64_f32_e32 v[0:1], v0
	global_store_dwordx2 v[2:3], v[0:1], off
.LBB48_1562:
	s_andn2_b64 vcc, exec, s[8:9]
	s_cbranch_vccnz .LBB48_1564
; %bb.1563:
	s_waitcnt vmcnt(0)
	v_cvt_f32_f16_e32 v0, v4
	global_store_dword v[2:3], v0, off
.LBB48_1564:
	s_mov_b64 s[8:9], 0
.LBB48_1565:
	s_andn2_b64 vcc, exec, s[8:9]
	s_cbranch_vccnz .LBB48_1567
; %bb.1566:
	s_waitcnt vmcnt(0)
	global_store_short v[2:3], v4, off
.LBB48_1567:
	s_mov_b64 s[8:9], 0
.LBB48_1568:
	s_andn2_b64 vcc, exec, s[8:9]
	s_cbranch_vccnz .LBB48_1584
; %bb.1569:
	v_cmp_gt_i16_e32 vcc, 2, v5
	s_mov_b64 s[8:9], -1
	s_cbranch_vccnz .LBB48_1579
; %bb.1570:
	v_cmp_gt_i16_e32 vcc, 3, v5
	s_cbranch_vccnz .LBB48_1576
; %bb.1571:
	v_cmp_lt_i16_e32 vcc, 3, v5
	s_cbranch_vccz .LBB48_1573
; %bb.1572:
	s_waitcnt vmcnt(0)
	v_cvt_f32_f16_e32 v0, v4
	s_mov_b64 s[8:9], 0
	v_cvt_i32_f32_e32 v0, v0
	v_ashrrev_i32_e32 v1, 31, v0
	global_store_dwordx2 v[2:3], v[0:1], off
.LBB48_1573:
	s_andn2_b64 vcc, exec, s[8:9]
	s_cbranch_vccnz .LBB48_1575
; %bb.1574:
	s_waitcnt vmcnt(0)
	v_cvt_f32_f16_e32 v0, v4
	v_cvt_i32_f32_e32 v0, v0
	global_store_dword v[2:3], v0, off
.LBB48_1575:
	s_mov_b64 s[8:9], 0
.LBB48_1576:
	s_andn2_b64 vcc, exec, s[8:9]
	s_cbranch_vccnz .LBB48_1578
; %bb.1577:
	s_waitcnt vmcnt(0)
	v_cvt_i16_f16_e32 v0, v4
	global_store_short v[2:3], v0, off
.LBB48_1578:
	s_mov_b64 s[8:9], 0
.LBB48_1579:
	s_andn2_b64 vcc, exec, s[8:9]
	s_cbranch_vccnz .LBB48_1584
; %bb.1580:
	v_cmp_lt_i16_e32 vcc, 0, v5
	s_mov_b64 s[8:9], -1
	s_cbranch_vccz .LBB48_1582
; %bb.1581:
	s_waitcnt vmcnt(0)
	v_cvt_i16_f16_e32 v0, v4
	s_mov_b64 s[8:9], 0
	global_store_byte v[2:3], v0, off
.LBB48_1582:
	s_andn2_b64 vcc, exec, s[8:9]
	s_cbranch_vccnz .LBB48_1584
; %bb.1583:
	s_waitcnt vmcnt(0)
	v_cvt_f32_f16_e32 v0, v4
	v_cvt_i32_f32_e32 v0, v0
	global_store_byte v[2:3], v0, off
.LBB48_1584:
	s_or_b64 exec, exec, s[0:1]
	s_and_b64 s[12:13], s[10:11], exec
                                        ; implicit-def: $vgpr24
                                        ; implicit-def: $vgpr8
.LBB48_1585:
	s_or_saveexec_b64 s[14:15], s[22:23]
	s_mov_b64 s[0:1], 0
                                        ; implicit-def: $vgpr0_vgpr1
                                        ; implicit-def: $vgpr3
                                        ; implicit-def: $vgpr2
	s_xor_b64 exec, exec, s[14:15]
	s_cbranch_execz .LBB48_3115
; %bb.1586:
	v_cndmask_b32_e64 v0, 0, 1, s[20:21]
	v_cmp_ne_u32_e64 s[0:1], 1, v0
	s_andn2_b64 vcc, exec, s[20:21]
	s_cbranch_vccnz .LBB48_1592
; %bb.1587:
	s_cmp_lg_u32 s33, 0
	v_mov_b32_e32 v20, 0
	v_mov_b32_e32 v22, 0
	;; [unrolled: 1-line block ×3, first 2 shown]
	s_cbranch_scc0 .LBB48_1593
; %bb.1588:
	s_min_u32 s8, s68, 15
	s_add_i32 s6, s8, 1
	s_and_b32 s9, s6, 30
	s_add_u32 s6, s2, 0xffffffec
	s_addc_u32 s7, s3, -1
	v_mov_b32_e32 v6, 0
	s_waitcnt vmcnt(0)
	v_mov_b32_e32 v0, v8
	v_mov_b32_e32 v22, 0
	;; [unrolled: 1-line block ×3, first 2 shown]
.LBB48_1589:                            ; =>This Inner Loop Header: Depth=1
	s_mov_b64 s[10:11], s[6:7]
	s_load_dwordx4 s[16:19], s[10:11], 0x18
	s_load_dwordx2 s[24:25], s[10:11], 0x28
	s_load_dwordx2 s[26:27], s[10:11], 0xe8
	s_load_dwordx4 s[20:23], s[10:11], 0xd8
	s_add_u32 s6, s10, 24
	s_waitcnt lgkmcnt(0)
	v_mul_hi_u32 v1, s17, v0
	v_add_u32_e32 v1, v0, v1
	v_lshrrev_b32_e32 v1, s18, v1
	v_mul_lo_u32 v2, v1, s16
	v_mul_hi_u32 v3, s24, v1
	v_sub_u32_e32 v0, v0, v2
	v_add_u32_e32 v2, v1, v3
	v_mul_lo_u32 v3, v0, s20
	v_mul_lo_u32 v4, v0, s21
	;; [unrolled: 1-line block ×3, first 2 shown]
	v_lshrrev_b32_e32 v0, s25, v2
	v_mul_lo_u32 v2, v0, s19
	v_sub_u32_e32 v1, v1, v2
	s_addc_u32 s7, s11, 0
	s_add_i32 s9, s9, -2
	v_mul_lo_u32 v2, v1, s23
	v_mul_lo_u32 v7, v1, s26
	;; [unrolled: 1-line block ×3, first 2 shown]
	s_cmp_lg_u32 s9, 0
	v_add3_u32 v6, v3, v6, v2
	v_add3_u32 v20, v5, v20, v1
	;; [unrolled: 1-line block ×3, first 2 shown]
	s_cbranch_scc1 .LBB48_1589
; %bb.1590:
	s_bitcmp1_b32 s8, 0
	s_cselect_b64 s[8:9], -1, 0
	s_and_b64 vcc, exec, s[8:9]
	s_cbranch_vccnz .LBB48_1593
; %bb.1591:
	s_load_dwordx2 s[8:9], s[6:7], 0x18
	s_load_dword s16, s[6:7], 0x20
	s_load_dword s17, s[6:7], 0xe0
	s_load_dwordx2 s[10:11], s[6:7], 0xd8
	s_waitcnt lgkmcnt(0)
	v_mul_hi_u32 v1, s9, v0
	v_add_u32_e32 v1, v0, v1
	v_lshrrev_b32_e32 v1, s16, v1
	v_mul_lo_u32 v1, v1, s8
	v_sub_u32_e32 v0, v0, v1
	v_mad_u64_u32 v[6:7], s[6:7], v0, s10, v[6:7]
	v_mad_u64_u32 v[22:23], s[6:7], v0, s11, v[22:23]
	;; [unrolled: 1-line block ×3, first 2 shown]
	s_cbranch_execz .LBB48_1594
	s_branch .LBB48_1596
.LBB48_1592:
                                        ; implicit-def: $vgpr20
                                        ; implicit-def: $vgpr22
                                        ; implicit-def: $vgpr6
	s_branch .LBB48_1594
.LBB48_1593:
	s_cbranch_execnz .LBB48_1596
.LBB48_1594:
	s_load_dwordx4 s[8:11], s[2:3], 0x4
	s_load_dwordx4 s[16:19], s[2:3], 0xc4
	s_cmp_lt_u32 s33, 2
	s_waitcnt vmcnt(0) lgkmcnt(0)
	v_mul_hi_u32 v0, s9, v8
	v_add_u32_e32 v0, v8, v0
	v_lshrrev_b32_e32 v0, s10, v0
	v_mul_lo_u32 v1, v0, s8
	v_sub_u32_e32 v1, v8, v1
	v_mul_lo_u32 v6, v1, s16
	v_mul_lo_u32 v20, v1, s18
	;; [unrolled: 1-line block ×3, first 2 shown]
	s_cbranch_scc1 .LBB48_1596
; %bb.1595:
	s_load_dwordx4 s[8:11], s[2:3], 0x10
	s_load_dwordx4 s[16:19], s[2:3], 0xd0
	s_waitcnt lgkmcnt(0)
	v_mul_hi_u32 v1, s9, v0
	v_add_u32_e32 v1, v0, v1
	v_lshrrev_b32_e32 v1, s10, v1
	v_mul_lo_u32 v1, v1, s8
	v_sub_u32_e32 v0, v0, v1
	v_mad_u64_u32 v[6:7], s[6:7], v0, s16, v[6:7]
	v_mad_u64_u32 v[22:23], s[6:7], v0, s17, v[22:23]
	;; [unrolled: 1-line block ×3, first 2 shown]
.LBB48_1596:
	s_and_b64 vcc, exec, s[0:1]
	s_waitcnt vmcnt(0)
	v_add_u32_e32 v0, 0x80, v8
	s_cbranch_vccnz .LBB48_1602
; %bb.1597:
	s_cmp_lg_u32 s33, 0
	v_mov_b32_e32 v16, 0
	v_mov_b32_e32 v18, 0
	;; [unrolled: 1-line block ×3, first 2 shown]
	s_cbranch_scc0 .LBB48_1603
; %bb.1598:
	s_min_u32 s8, s68, 15
	s_add_i32 s6, s8, 1
	s_and_b32 s9, s6, 30
	s_add_u32 s6, s2, 0xffffffec
	s_addc_u32 s7, s3, -1
	v_mov_b32_e32 v4, 0
	v_mov_b32_e32 v1, v0
	v_mov_b32_e32 v18, 0
	v_mov_b32_e32 v16, 0
.LBB48_1599:                            ; =>This Inner Loop Header: Depth=1
	s_mov_b64 s[10:11], s[6:7]
	s_load_dwordx4 s[16:19], s[10:11], 0x18
	s_load_dwordx2 s[24:25], s[10:11], 0x28
	s_load_dwordx2 s[26:27], s[10:11], 0xe8
	s_load_dwordx4 s[20:23], s[10:11], 0xd8
	s_add_u32 s6, s10, 24
	s_waitcnt lgkmcnt(0)
	v_mul_hi_u32 v2, s17, v1
	v_add_u32_e32 v2, v1, v2
	v_lshrrev_b32_e32 v2, s18, v2
	v_mul_lo_u32 v3, v2, s16
	v_mul_hi_u32 v5, s24, v2
	v_sub_u32_e32 v1, v1, v3
	v_add_u32_e32 v3, v2, v5
	v_mul_lo_u32 v5, v1, s20
	v_mul_lo_u32 v7, v1, s21
	;; [unrolled: 1-line block ×3, first 2 shown]
	v_lshrrev_b32_e32 v1, s25, v3
	v_mul_lo_u32 v3, v1, s19
	v_sub_u32_e32 v2, v2, v3
	s_addc_u32 s7, s11, 0
	s_add_i32 s9, s9, -2
	v_mul_lo_u32 v3, v2, s23
	v_mul_lo_u32 v10, v2, s26
	;; [unrolled: 1-line block ×3, first 2 shown]
	s_cmp_lg_u32 s9, 0
	v_add3_u32 v4, v5, v4, v3
	v_add3_u32 v16, v9, v16, v2
	;; [unrolled: 1-line block ×3, first 2 shown]
	s_cbranch_scc1 .LBB48_1599
; %bb.1600:
	s_bitcmp1_b32 s8, 0
	s_cselect_b64 s[8:9], -1, 0
	s_and_b64 vcc, exec, s[8:9]
	s_cbranch_vccnz .LBB48_1603
; %bb.1601:
	s_load_dwordx2 s[8:9], s[6:7], 0x18
	s_load_dword s16, s[6:7], 0x20
	s_load_dword s17, s[6:7], 0xe0
	s_load_dwordx2 s[10:11], s[6:7], 0xd8
	s_waitcnt lgkmcnt(0)
	v_mul_hi_u32 v2, s9, v1
	v_add_u32_e32 v2, v1, v2
	v_lshrrev_b32_e32 v2, s16, v2
	v_mul_lo_u32 v2, v2, s8
	v_sub_u32_e32 v1, v1, v2
	v_mad_u64_u32 v[4:5], s[6:7], v1, s10, v[4:5]
	v_mad_u64_u32 v[18:19], s[6:7], v1, s11, v[18:19]
	;; [unrolled: 1-line block ×3, first 2 shown]
	s_cbranch_execz .LBB48_1604
	s_branch .LBB48_1606
.LBB48_1602:
                                        ; implicit-def: $vgpr16
                                        ; implicit-def: $vgpr18
                                        ; implicit-def: $vgpr4
	s_branch .LBB48_1604
.LBB48_1603:
	s_cbranch_execnz .LBB48_1606
.LBB48_1604:
	s_load_dwordx4 s[8:11], s[2:3], 0x4
	s_load_dwordx4 s[16:19], s[2:3], 0xc4
	s_cmp_lt_u32 s33, 2
	s_waitcnt lgkmcnt(0)
	v_mul_hi_u32 v1, s9, v0
	v_add_u32_e32 v1, v0, v1
	v_lshrrev_b32_e32 v1, s10, v1
	v_mul_lo_u32 v2, v1, s8
	v_sub_u32_e32 v0, v0, v2
	v_mul_lo_u32 v4, v0, s16
	v_mul_lo_u32 v16, v0, s18
	;; [unrolled: 1-line block ×3, first 2 shown]
	s_cbranch_scc1 .LBB48_1606
; %bb.1605:
	s_load_dwordx4 s[8:11], s[2:3], 0x10
	s_load_dwordx4 s[16:19], s[2:3], 0xd0
	s_waitcnt lgkmcnt(0)
	v_mul_hi_u32 v0, s9, v1
	v_add_u32_e32 v0, v1, v0
	v_lshrrev_b32_e32 v0, s10, v0
	v_mul_lo_u32 v0, v0, s8
	v_sub_u32_e32 v0, v1, v0
	v_mad_u64_u32 v[4:5], s[6:7], v0, s16, v[4:5]
	v_mad_u64_u32 v[18:19], s[6:7], v0, s17, v[18:19]
	;; [unrolled: 1-line block ×3, first 2 shown]
.LBB48_1606:
	s_and_b64 vcc, exec, s[0:1]
	v_add_u32_e32 v0, 0x100, v8
	s_cbranch_vccnz .LBB48_1612
; %bb.1607:
	s_cmp_lg_u32 s33, 0
	v_mov_b32_e32 v12, 0
	v_mov_b32_e32 v14, 0
	v_mov_b32_e32 v2, 0
	s_cbranch_scc0 .LBB48_1613
; %bb.1608:
	s_min_u32 s8, s68, 15
	s_add_i32 s6, s8, 1
	s_and_b32 s9, s6, 30
	s_add_u32 s6, s2, 0xffffffec
	s_addc_u32 s7, s3, -1
	v_mov_b32_e32 v2, 0
	v_mov_b32_e32 v1, v0
	;; [unrolled: 1-line block ×4, first 2 shown]
.LBB48_1609:                            ; =>This Inner Loop Header: Depth=1
	s_mov_b64 s[10:11], s[6:7]
	s_load_dwordx4 s[16:19], s[10:11], 0x18
	s_load_dwordx2 s[24:25], s[10:11], 0x28
	s_load_dwordx2 s[26:27], s[10:11], 0xe8
	s_load_dwordx4 s[20:23], s[10:11], 0xd8
	s_add_u32 s6, s10, 24
	s_waitcnt lgkmcnt(0)
	v_mul_hi_u32 v3, s17, v1
	v_add_u32_e32 v3, v1, v3
	v_lshrrev_b32_e32 v3, s18, v3
	v_mul_lo_u32 v5, v3, s16
	v_mul_hi_u32 v7, s24, v3
	v_sub_u32_e32 v1, v1, v5
	v_add_u32_e32 v5, v3, v7
	v_mul_lo_u32 v7, v1, s20
	v_mul_lo_u32 v8, v1, s21
	v_mul_lo_u32 v9, v1, s22
	v_lshrrev_b32_e32 v1, s25, v5
	v_mul_lo_u32 v5, v1, s19
	v_sub_u32_e32 v3, v3, v5
	s_addc_u32 s7, s11, 0
	s_add_i32 s9, s9, -2
	v_mul_lo_u32 v5, v3, s23
	v_mul_lo_u32 v10, v3, s26
	;; [unrolled: 1-line block ×3, first 2 shown]
	s_cmp_lg_u32 s9, 0
	v_add3_u32 v2, v7, v2, v5
	v_add3_u32 v12, v9, v12, v3
	;; [unrolled: 1-line block ×3, first 2 shown]
	s_cbranch_scc1 .LBB48_1609
; %bb.1610:
	s_bitcmp1_b32 s8, 0
	s_cselect_b64 s[8:9], -1, 0
	s_and_b64 vcc, exec, s[8:9]
	s_cbranch_vccnz .LBB48_1613
; %bb.1611:
	s_load_dwordx2 s[8:9], s[6:7], 0x18
	s_load_dword s16, s[6:7], 0x20
	s_load_dword s17, s[6:7], 0xe0
	s_load_dwordx2 s[10:11], s[6:7], 0xd8
	s_waitcnt lgkmcnt(0)
	v_mul_hi_u32 v3, s9, v1
	v_add_u32_e32 v3, v1, v3
	v_lshrrev_b32_e32 v3, s16, v3
	v_mul_lo_u32 v3, v3, s8
	v_sub_u32_e32 v1, v1, v3
	v_mad_u64_u32 v[2:3], s[6:7], v1, s10, v[2:3]
	v_mad_u64_u32 v[14:15], s[6:7], v1, s11, v[14:15]
	;; [unrolled: 1-line block ×3, first 2 shown]
	s_cbranch_execz .LBB48_1614
	s_branch .LBB48_1616
.LBB48_1612:
                                        ; implicit-def: $vgpr12
                                        ; implicit-def: $vgpr14
                                        ; implicit-def: $vgpr2
	s_branch .LBB48_1614
.LBB48_1613:
	s_cbranch_execnz .LBB48_1616
.LBB48_1614:
	s_load_dwordx4 s[8:11], s[2:3], 0x4
	s_load_dwordx4 s[16:19], s[2:3], 0xc4
	s_cmp_lt_u32 s33, 2
	s_waitcnt lgkmcnt(0)
	v_mul_hi_u32 v1, s9, v0
	v_add_u32_e32 v1, v0, v1
	v_lshrrev_b32_e32 v1, s10, v1
	v_mul_lo_u32 v2, v1, s8
	v_sub_u32_e32 v0, v0, v2
	v_mul_lo_u32 v2, v0, s16
	v_mul_lo_u32 v12, v0, s18
	;; [unrolled: 1-line block ×3, first 2 shown]
	s_cbranch_scc1 .LBB48_1616
; %bb.1615:
	s_load_dwordx4 s[8:11], s[2:3], 0x10
	s_load_dwordx4 s[16:19], s[2:3], 0xd0
	s_waitcnt lgkmcnt(0)
	v_mul_hi_u32 v0, s9, v1
	v_add_u32_e32 v0, v1, v0
	v_lshrrev_b32_e32 v0, s10, v0
	v_mul_lo_u32 v0, v0, s8
	v_sub_u32_e32 v0, v1, v0
	v_mad_u64_u32 v[2:3], s[6:7], v0, s16, v[2:3]
	v_mad_u64_u32 v[14:15], s[6:7], v0, s17, v[14:15]
	;; [unrolled: 1-line block ×3, first 2 shown]
.LBB48_1616:
	s_and_b64 vcc, exec, s[0:1]
	s_cbranch_vccnz .LBB48_1622
; %bb.1617:
	s_cmp_lg_u32 s33, 0
	v_mov_b32_e32 v8, 0
	v_mov_b32_e32 v10, 0
	;; [unrolled: 1-line block ×3, first 2 shown]
	s_cbranch_scc0 .LBB48_1623
; %bb.1618:
	s_min_u32 s6, s68, 15
	s_add_i32 s0, s6, 1
	s_and_b32 s7, s0, 30
	s_add_u32 s0, s2, 0xffffffec
	s_addc_u32 s1, s3, -1
	v_mov_b32_e32 v0, 0
	v_mov_b32_e32 v1, v24
	;; [unrolled: 1-line block ×4, first 2 shown]
.LBB48_1619:                            ; =>This Inner Loop Header: Depth=1
	s_mov_b64 s[20:21], s[0:1]
	s_load_dwordx4 s[8:11], s[20:21], 0x18
	s_load_dwordx2 s[22:23], s[20:21], 0x28
	s_load_dwordx2 s[24:25], s[20:21], 0xe8
	s_load_dwordx4 s[16:19], s[20:21], 0xd8
	s_add_u32 s0, s20, 24
	s_waitcnt lgkmcnt(0)
	v_mul_hi_u32 v3, s9, v1
	v_add_u32_e32 v3, v1, v3
	v_lshrrev_b32_e32 v3, s10, v3
	v_mul_lo_u32 v5, v3, s8
	v_mul_hi_u32 v7, s22, v3
	v_sub_u32_e32 v1, v1, v5
	v_add_u32_e32 v5, v3, v7
	v_mul_lo_u32 v7, v1, s16
	v_mul_lo_u32 v9, v1, s17
	;; [unrolled: 1-line block ×3, first 2 shown]
	v_lshrrev_b32_e32 v1, s23, v5
	v_mul_lo_u32 v5, v1, s11
	v_sub_u32_e32 v3, v3, v5
	s_addc_u32 s1, s21, 0
	s_add_i32 s7, s7, -2
	v_mul_lo_u32 v5, v3, s19
	v_mul_lo_u32 v13, v3, s24
	;; [unrolled: 1-line block ×3, first 2 shown]
	s_cmp_lg_u32 s7, 0
	v_add3_u32 v0, v7, v0, v5
	v_add3_u32 v8, v11, v8, v3
	;; [unrolled: 1-line block ×3, first 2 shown]
	s_cbranch_scc1 .LBB48_1619
; %bb.1620:
	s_bitcmp1_b32 s6, 0
	s_cselect_b64 s[6:7], -1, 0
	s_and_b64 vcc, exec, s[6:7]
	s_cbranch_vccnz .LBB48_1623
; %bb.1621:
	s_load_dwordx2 s[6:7], s[0:1], 0x18
	s_load_dword s10, s[0:1], 0x20
	s_load_dword s11, s[0:1], 0xe0
	s_load_dwordx2 s[8:9], s[0:1], 0xd8
	s_waitcnt lgkmcnt(0)
	v_mul_hi_u32 v3, s7, v1
	v_add_u32_e32 v3, v1, v3
	v_lshrrev_b32_e32 v3, s10, v3
	v_mul_lo_u32 v3, v3, s6
	v_sub_u32_e32 v3, v1, v3
	v_mad_u64_u32 v[0:1], s[0:1], v3, s8, v[0:1]
	v_mad_u64_u32 v[10:11], s[0:1], v3, s9, v[10:11]
	;; [unrolled: 1-line block ×3, first 2 shown]
	s_cbranch_execz .LBB48_1624
	s_branch .LBB48_1626
.LBB48_1622:
                                        ; implicit-def: $vgpr8
                                        ; implicit-def: $vgpr10
                                        ; implicit-def: $vgpr0
	s_branch .LBB48_1624
.LBB48_1623:
	s_cbranch_execnz .LBB48_1626
.LBB48_1624:
	s_load_dwordx4 s[8:11], s[2:3], 0x4
	s_load_dwordx4 s[16:19], s[2:3], 0xc4
	s_cmp_lt_u32 s33, 2
	s_waitcnt lgkmcnt(0)
	v_mul_hi_u32 v0, s9, v24
	v_add_u32_e32 v0, v24, v0
	v_lshrrev_b32_e32 v1, s10, v0
	v_mul_lo_u32 v0, v1, s8
	v_sub_u32_e32 v3, v24, v0
	v_mul_lo_u32 v0, v3, s16
	v_mul_lo_u32 v8, v3, s18
	;; [unrolled: 1-line block ×3, first 2 shown]
	s_cbranch_scc1 .LBB48_1626
; %bb.1625:
	s_load_dwordx4 s[8:11], s[2:3], 0x10
	s_load_dwordx4 s[16:19], s[2:3], 0xd0
	s_waitcnt lgkmcnt(0)
	v_mul_hi_u32 v3, s9, v1
	v_add_u32_e32 v3, v1, v3
	v_lshrrev_b32_e32 v3, s10, v3
	v_mul_lo_u32 v3, v3, s8
	v_sub_u32_e32 v3, v1, v3
	v_mad_u64_u32 v[0:1], s[0:1], v3, s16, v[0:1]
	v_mad_u64_u32 v[10:11], s[0:1], v3, s17, v[10:11]
	v_mad_u64_u32 v[8:9], s[0:1], v3, s18, v[8:9]
.LBB48_1626:
	s_load_dword s24, s[4:5], 0x1a8
	s_load_dwordx4 s[8:11], s[2:3], 0x188
	s_waitcnt lgkmcnt(0)
	s_lshr_b32 s25, s24, 16
	v_mov_b32_e32 v1, s11
	v_add_co_u32_e32 v22, vcc, s10, v22
	v_addc_co_u32_e32 v23, vcc, 0, v1, vcc
	v_mov_b32_e32 v1, 11
	v_cmp_lt_i16_sdwa s[0:1], s25, v1 src0_sel:BYTE_0 src1_sel:DWORD
	s_and_b64 vcc, exec, s[0:1]
	s_cbranch_vccnz .LBB48_1633
; %bb.1627:
	v_mov_b32_e32 v1, 25
	v_cmp_gt_i16_sdwa s[0:1], s25, v1 src0_sel:BYTE_0 src1_sel:DWORD
	s_mov_b64 s[6:7], 0
	s_and_b64 vcc, exec, s[0:1]
	s_cbranch_vccz .LBB48_1635
; %bb.1628:
	v_mov_b32_e32 v1, 28
	v_cmp_gt_i16_sdwa s[0:1], s25, v1 src0_sel:BYTE_0 src1_sel:DWORD
	s_and_b64 vcc, exec, s[0:1]
	s_cbranch_vccz .LBB48_1636
; %bb.1629:
	v_mov_b32_e32 v1, 43
	v_cmp_gt_i16_sdwa s[0:1], s25, v1 src0_sel:BYTE_0 src1_sel:DWORD
	;; [unrolled: 5-line block ×3, first 2 shown]
	s_and_b64 vcc, exec, s[0:1]
	s_cbranch_vccz .LBB48_1638
; %bb.1631:
	v_mov_b32_e32 v1, 46
	v_cmp_eq_u16_sdwa s[0:1], s25, v1 src0_sel:BYTE_0 src1_sel:DWORD
	s_mov_b64 s[4:5], 0
	s_and_b64 vcc, exec, s[0:1]
	s_cbranch_vccz .LBB48_1641
; %bb.1632:
	global_load_dword v1, v[22:23], off
	s_mov_b64 s[0:1], 0
	s_mov_b64 s[16:17], -1
	s_waitcnt vmcnt(0)
	v_lshlrev_b32_e32 v1, 16, v1
	v_cvt_f16_f32_e32 v1, v1
	s_branch .LBB48_1642
.LBB48_1633:
	s_mov_b64 s[16:17], 0
                                        ; implicit-def: $vgpr1
	s_mov_b64 s[4:5], s[12:13]
	s_cbranch_execnz .LBB48_1705
.LBB48_1634:
	s_andn2_b64 vcc, exec, s[16:17]
	s_cbranch_vccz .LBB48_1750
	s_branch .LBB48_3113
.LBB48_1635:
	s_mov_b64 s[16:17], 0
	s_mov_b64 s[0:1], 0
                                        ; implicit-def: $vgpr1
	s_cbranch_execnz .LBB48_1670
	s_branch .LBB48_1701
.LBB48_1636:
	s_mov_b64 s[4:5], -1
	s_mov_b64 s[16:17], 0
	s_mov_b64 s[0:1], 0
                                        ; implicit-def: $vgpr1
	s_branch .LBB48_1651
.LBB48_1637:
	s_mov_b64 s[16:17], 0
	s_mov_b64 s[0:1], 0
                                        ; implicit-def: $vgpr1
	s_cbranch_execnz .LBB48_1647
	s_branch .LBB48_1650
.LBB48_1638:
	s_mov_b64 s[4:5], -1
	s_mov_b64 s[16:17], 0
	s_mov_b64 s[0:1], 0
                                        ; implicit-def: $vgpr1
	s_branch .LBB48_1642
.LBB48_1639:
	s_or_saveexec_b64 s[16:17], s[16:17]
                                        ; implicit-def: $sgpr18
	s_xor_b64 exec, exec, s[16:17]
	s_cbranch_execz .LBB48_1498
.LBB48_1640:
	s_mov_b32 s18, 0x46000000
	v_add_f32_e64 v1, |v0|, s18
	v_and_b32_e32 v1, 0xff, v1
	v_cmp_ne_u32_e32 vcc, 0, v1
	s_andn2_b64 s[14:15], s[14:15], exec
	s_and_b64 s[24:25], vcc, exec
	s_mov_b32 s18, 0
	s_or_b64 s[14:15], s[14:15], s[24:25]
	s_or_b64 exec, exec, s[16:17]
	v_mov_b32_e32 v6, s18
	s_and_saveexec_b64 s[16:17], s[14:15]
	s_cbranch_execnz .LBB48_1499
	s_branch .LBB48_1500
.LBB48_1641:
	s_mov_b64 s[0:1], -1
                                        ; implicit-def: $vgpr1
	s_mov_b64 s[16:17], 0
.LBB48_1642:
	s_and_b64 vcc, exec, s[4:5]
	s_cbranch_vccz .LBB48_1645
; %bb.1643:
	v_mov_b32_e32 v1, 44
	v_cmp_eq_u16_sdwa s[0:1], s25, v1 src0_sel:BYTE_0 src1_sel:DWORD
	s_and_b64 vcc, exec, s[0:1]
	s_cbranch_vccz .LBB48_1646
; %bb.1644:
	global_load_ubyte v1, v[22:23], off
	s_movk_i32 s4, 0xff
	v_mov_b32_e32 v5, 0x7e00
	s_mov_b64 s[0:1], 0
	s_mov_b64 s[16:17], -1
	s_waitcnt vmcnt(0)
	v_lshlrev_b32_e32 v3, 23, v1
	v_cvt_f16_f32_e32 v3, v3
	v_cmp_ne_u32_e32 vcc, s4, v1
	v_cndmask_b32_e32 v3, v5, v3, vcc
	v_cmp_ne_u32_e32 vcc, 0, v1
	v_cndmask_b32_e32 v1, 0, v3, vcc
.LBB48_1645:
	s_branch .LBB48_1650
.LBB48_1646:
	s_mov_b64 s[0:1], -1
                                        ; implicit-def: $vgpr1
	s_branch .LBB48_1650
.LBB48_1647:
	v_mov_b32_e32 v1, 29
	v_cmp_eq_u16_sdwa s[0:1], s25, v1 src0_sel:BYTE_0 src1_sel:DWORD
	s_and_b64 vcc, exec, s[0:1]
	s_cbranch_vccz .LBB48_1649
; %bb.1648:
	global_load_dwordx2 v[24:25], v[22:23], off
	s_mov_b64 s[0:1], 0
	s_mov_b64 s[16:17], -1
	s_mov_b64 s[4:5], 0
	s_waitcnt vmcnt(0)
	v_ffbh_u32_e32 v1, v25
	v_min_u32_e32 v1, 32, v1
	v_lshlrev_b64 v[24:25], v1, v[24:25]
	v_min_u32_e32 v3, 1, v24
	v_or_b32_e32 v3, v25, v3
	v_cvt_f32_u32_e32 v3, v3
	v_sub_u32_e32 v1, 32, v1
	v_ldexp_f32 v1, v3, v1
	v_cvt_f16_f32_e32 v1, v1
	s_branch .LBB48_1651
.LBB48_1649:
	s_mov_b64 s[0:1], -1
                                        ; implicit-def: $vgpr1
.LBB48_1650:
	s_mov_b64 s[4:5], 0
.LBB48_1651:
	s_and_b64 vcc, exec, s[4:5]
	s_cbranch_vccz .LBB48_1669
; %bb.1652:
	v_mov_b32_e32 v1, 27
	v_cmp_lt_i16_sdwa s[4:5], s25, v1 src0_sel:BYTE_0 src1_sel:DWORD
	s_and_b64 vcc, exec, s[4:5]
	s_cbranch_vccnz .LBB48_1655
; %bb.1653:
	v_cmp_gt_i16_sdwa s[4:5], s25, v1 src0_sel:BYTE_0 src1_sel:DWORD
	s_and_b64 vcc, exec, s[4:5]
	s_cbranch_vccz .LBB48_1656
; %bb.1654:
	global_load_dword v1, v[22:23], off
	s_mov_b64 s[4:5], 0
	s_waitcnt vmcnt(0)
	v_cvt_f32_u32_e32 v1, v1
	v_cvt_f16_f32_e32 v1, v1
	s_branch .LBB48_1657
.LBB48_1655:
	s_mov_b64 s[4:5], -1
                                        ; implicit-def: $vgpr1
	s_branch .LBB48_1660
.LBB48_1656:
	s_mov_b64 s[4:5], -1
                                        ; implicit-def: $vgpr1
.LBB48_1657:
	s_andn2_b64 vcc, exec, s[4:5]
	s_cbranch_vccnz .LBB48_1659
; %bb.1658:
	global_load_ushort v1, v[22:23], off
	s_waitcnt vmcnt(0)
	v_cvt_f16_u16_e32 v1, v1
.LBB48_1659:
	s_mov_b64 s[4:5], 0
.LBB48_1660:
	s_andn2_b64 vcc, exec, s[4:5]
	s_cbranch_vccnz .LBB48_1668
; %bb.1661:
	global_load_ubyte v3, v[22:23], off
	s_movk_i32 s4, 0x7f
                                        ; implicit-def: $sgpr20
	s_waitcnt vmcnt(0)
	v_cmp_lt_i16_e32 vcc, s4, v3
	s_mov_b64 s[4:5], 0
	s_and_saveexec_b64 s[16:17], vcc
	s_xor_b64 s[16:17], exec, s[16:17]
	s_cbranch_execz .LBB48_1681
; %bb.1662:
	s_movk_i32 s4, 0x80
	v_cmp_eq_u16_e32 vcc, s4, v3
	s_mov_b64 s[4:5], -1
                                        ; implicit-def: $sgpr20
	s_and_saveexec_b64 s[18:19], vcc
; %bb.1663:
	s_movk_i32 s20, 0x7e00
	s_xor_b64 s[4:5], exec, -1
; %bb.1664:
	s_or_b64 exec, exec, s[18:19]
	s_and_b64 s[4:5], s[4:5], exec
	s_or_saveexec_b64 s[16:17], s[16:17]
	v_mov_b32_e32 v1, s20
	s_xor_b64 exec, exec, s[16:17]
	s_cbranch_execnz .LBB48_1682
.LBB48_1665:
	s_or_b64 exec, exec, s[16:17]
	s_and_saveexec_b64 s[16:17], s[4:5]
	s_cbranch_execz .LBB48_1667
.LBB48_1666:
	v_lshlrev_b32_e32 v1, 24, v3
	v_and_b32_e32 v3, 0xffff, v3
	v_and_b32_e32 v5, 7, v3
	v_ffbh_u32_e32 v9, v5
	v_min_u32_e32 v9, 32, v9
	v_subrev_u32_e32 v11, 28, v9
	v_bfe_u32 v7, v3, 3, 4
	v_lshlrev_b32_e32 v3, v11, v3
	v_sub_u32_e32 v9, 29, v9
	v_and_b32_e32 v3, 7, v3
	v_cmp_eq_u32_e32 vcc, 0, v7
	v_cndmask_b32_e32 v7, v7, v9, vcc
	v_cndmask_b32_e32 v3, v5, v3, vcc
	v_mov_b32_e32 v5, 0x3b800000
	v_lshlrev_b32_e32 v3, 20, v3
	v_and_b32_e32 v1, 0x80000000, v1
	v_lshl_add_u32 v5, v7, 23, v5
	v_or3_b32 v1, v1, v5, v3
	v_cvt_f16_f32_e32 v1, v1
.LBB48_1667:
	s_or_b64 exec, exec, s[16:17]
.LBB48_1668:
	s_mov_b64 s[16:17], -1
.LBB48_1669:
	s_branch .LBB48_1701
.LBB48_1670:
	v_mov_b32_e32 v1, 22
	v_cmp_gt_i16_sdwa s[4:5], s25, v1 src0_sel:BYTE_0 src1_sel:DWORD
	s_and_b64 vcc, exec, s[4:5]
	s_cbranch_vccz .LBB48_1680
; %bb.1671:
	v_mov_b32_e32 v1, 24
	v_cmp_lt_i16_sdwa s[4:5], s25, v1 src0_sel:BYTE_0 src1_sel:DWORD
	s_and_b64 vcc, exec, s[4:5]
	s_cbranch_vccnz .LBB48_1683
; %bb.1672:
	v_cmp_gt_i16_sdwa s[4:5], s25, v1 src0_sel:BYTE_0 src1_sel:DWORD
	s_and_b64 vcc, exec, s[4:5]
	s_cbranch_vccz .LBB48_1684
; %bb.1673:
	global_load_ubyte v3, v[22:23], off
	s_movk_i32 s4, 0x7f
                                        ; implicit-def: $sgpr18
	s_waitcnt vmcnt(0)
	v_cmp_lt_i16_e32 vcc, s4, v3
	s_mov_b64 s[4:5], 0
	s_and_saveexec_b64 s[6:7], vcc
	s_xor_b64 s[6:7], exec, s[6:7]
	s_cbranch_execz .LBB48_1695
; %bb.1674:
	s_movk_i32 s4, 0x80
	v_cmp_eq_u16_e32 vcc, s4, v3
	s_mov_b64 s[4:5], -1
                                        ; implicit-def: $sgpr18
	s_and_saveexec_b64 s[16:17], vcc
; %bb.1675:
	s_movk_i32 s18, 0x7e00
	s_xor_b64 s[4:5], exec, -1
; %bb.1676:
	s_or_b64 exec, exec, s[16:17]
	s_and_b64 s[4:5], s[4:5], exec
	s_or_saveexec_b64 s[6:7], s[6:7]
	v_mov_b32_e32 v1, s18
	s_xor_b64 exec, exec, s[6:7]
	s_cbranch_execnz .LBB48_1696
.LBB48_1677:
	s_or_b64 exec, exec, s[6:7]
	s_and_saveexec_b64 s[6:7], s[4:5]
	s_cbranch_execz .LBB48_1679
.LBB48_1678:
	v_lshlrev_b32_e32 v1, 24, v3
	v_and_b32_e32 v3, 0xffff, v3
	v_and_b32_e32 v5, 3, v3
	v_ffbh_u32_e32 v9, v5
	v_min_u32_e32 v9, 32, v9
	v_subrev_u32_e32 v11, 29, v9
	v_bfe_u32 v7, v3, 2, 5
	v_lshlrev_b32_e32 v3, v11, v3
	v_sub_u32_e32 v9, 30, v9
	v_and_b32_e32 v3, 3, v3
	v_cmp_eq_u32_e32 vcc, 0, v7
	v_cndmask_b32_e32 v7, v7, v9, vcc
	v_cndmask_b32_e32 v3, v5, v3, vcc
	v_mov_b32_e32 v5, 0x37800000
	v_lshlrev_b32_e32 v3, 21, v3
	v_and_b32_e32 v1, 0x80000000, v1
	v_lshl_add_u32 v5, v7, 23, v5
	v_or3_b32 v1, v1, v5, v3
	v_cvt_f16_f32_e32 v1, v1
.LBB48_1679:
	s_or_b64 exec, exec, s[6:7]
	s_mov_b64 s[4:5], 0
	s_branch .LBB48_1685
.LBB48_1680:
                                        ; implicit-def: $vgpr1
	s_mov_b64 s[6:7], 0
	s_branch .LBB48_1691
.LBB48_1681:
	s_or_saveexec_b64 s[16:17], s[16:17]
	v_mov_b32_e32 v1, s20
	s_xor_b64 exec, exec, s[16:17]
	s_cbranch_execz .LBB48_1665
.LBB48_1682:
	v_cmp_ne_u16_e32 vcc, 0, v3
	s_andn2_b64 s[4:5], s[4:5], exec
	s_and_b64 s[18:19], vcc, exec
	s_or_b64 s[4:5], s[4:5], s[18:19]
	v_mov_b32_e32 v1, v3
	s_or_b64 exec, exec, s[16:17]
	s_and_saveexec_b64 s[16:17], s[4:5]
	s_cbranch_execnz .LBB48_1666
	s_branch .LBB48_1667
.LBB48_1683:
	s_mov_b64 s[4:5], -1
                                        ; implicit-def: $vgpr1
	s_branch .LBB48_1688
.LBB48_1684:
	s_mov_b64 s[4:5], -1
                                        ; implicit-def: $vgpr1
.LBB48_1685:
	s_and_b64 vcc, exec, s[4:5]
	s_cbranch_vccz .LBB48_1687
; %bb.1686:
	global_load_ubyte v1, v[22:23], off
	s_mov_b32 s4, 0x7f800000
	s_waitcnt vmcnt(0)
	v_lshlrev_b32_e32 v1, 24, v1
	v_and_b32_e32 v3, 0x7f000000, v1
	v_ffbh_u32_e32 v5, v3
	v_min_u32_e32 v5, 32, v5
	v_sub_u32_e64 v5, v5, 4 clamp
	v_lshlrev_b32_e32 v9, v5, v3
	v_lshlrev_b32_e32 v5, 23, v5
	v_lshrrev_b32_e32 v9, 4, v9
	v_add_u32_e32 v7, 0x1000000, v3
	v_sub_u32_e32 v5, v9, v5
	v_ashrrev_i32_e32 v7, 8, v7
	v_add_u32_e32 v5, 0x3c000000, v5
	v_and_or_b32 v5, v7, s4, v5
	v_cmp_ne_u32_e32 vcc, 0, v3
	v_cndmask_b32_e32 v3, 0, v5, vcc
	s_brev_b32 s4, 1
	v_and_or_b32 v1, v1, s4, v3
	v_cvt_f16_f32_e32 v1, v1
.LBB48_1687:
	s_mov_b64 s[4:5], 0
.LBB48_1688:
	s_andn2_b64 vcc, exec, s[4:5]
	s_cbranch_vccnz .LBB48_1690
; %bb.1689:
	global_load_ubyte v1, v[22:23], off
	s_movk_i32 s4, 0x7f00
	s_brev_b32 s5, 16
	s_waitcnt vmcnt(0)
	v_lshlrev_b16_e32 v3, 8, v1
	v_lshlrev_b32_e32 v1, 25, v1
	v_lshrrev_b32_e32 v5, 4, v1
	v_and_or_b32 v7, v3, s4, 0.5
	v_or_b32_e32 v5, 0x70000000, v5
	v_add_f32_e32 v7, -0.5, v7
	v_mul_f32_e32 v5, 0x7800000, v5
	v_cmp_gt_u32_e32 vcc, s5, v1
	v_bfe_i32 v3, v3, 0, 16
	v_cndmask_b32_e32 v1, v5, v7, vcc
	s_brev_b32 s4, 1
	v_and_or_b32 v1, v3, s4, v1
	v_cvt_f16_f32_e32 v1, v1
.LBB48_1690:
	s_mov_b64 s[16:17], -1
	s_mov_b64 s[6:7], 0
	s_cbranch_execnz .LBB48_1701
.LBB48_1691:
	v_mov_b32_e32 v1, 14
	v_cmp_gt_i16_sdwa s[4:5], s25, v1 src0_sel:BYTE_0 src1_sel:DWORD
	s_and_b64 vcc, exec, s[4:5]
	s_cbranch_vccz .LBB48_1694
; %bb.1692:
	v_mov_b32_e32 v1, 15
	v_cmp_eq_u16_sdwa s[0:1], s25, v1 src0_sel:BYTE_0 src1_sel:DWORD
	s_and_b64 vcc, exec, s[0:1]
	s_cbranch_vccz .LBB48_1697
; %bb.1693:
	global_load_ushort v1, v[22:23], off
	s_mov_b64 s[0:1], 0
	s_mov_b64 s[16:17], -1
	s_waitcnt vmcnt(0)
	v_lshlrev_b32_e32 v1, 16, v1
	v_cvt_f16_f32_e32 v1, v1
	s_branch .LBB48_1698
.LBB48_1694:
	s_mov_b64 s[4:5], -1
                                        ; implicit-def: $vgpr1
	s_branch .LBB48_1699
.LBB48_1695:
	s_or_saveexec_b64 s[6:7], s[6:7]
	v_mov_b32_e32 v1, s18
	s_xor_b64 exec, exec, s[6:7]
	s_cbranch_execz .LBB48_1677
.LBB48_1696:
	v_cmp_ne_u16_e32 vcc, 0, v3
	s_andn2_b64 s[4:5], s[4:5], exec
	s_and_b64 s[16:17], vcc, exec
	s_or_b64 s[4:5], s[4:5], s[16:17]
	v_mov_b32_e32 v1, v3
	s_or_b64 exec, exec, s[6:7]
	s_and_saveexec_b64 s[6:7], s[4:5]
	s_cbranch_execnz .LBB48_1678
	s_branch .LBB48_1679
.LBB48_1697:
	s_mov_b64 s[0:1], -1
                                        ; implicit-def: $vgpr1
.LBB48_1698:
	s_mov_b64 s[4:5], 0
.LBB48_1699:
	s_and_b64 vcc, exec, s[4:5]
	s_cbranch_vccz .LBB48_1701
; %bb.1700:
	v_mov_b32_e32 v1, 11
	v_cmp_ne_u16_sdwa s[0:1], s25, v1 src0_sel:BYTE_0 src1_sel:DWORD
	s_mov_b64 s[6:7], -1
                                        ; implicit-def: $vgpr1
.LBB48_1701:
	s_and_b64 vcc, exec, s[0:1]
	s_mov_b64 s[4:5], s[12:13]
	s_cbranch_vccnz .LBB48_1762
; %bb.1702:
	s_andn2_b64 vcc, exec, s[6:7]
	s_cbranch_vccnz .LBB48_1704
.LBB48_1703:
	global_load_ubyte v1, v[22:23], off
	v_mov_b32_e32 v3, 0x3c00
	s_mov_b64 s[16:17], -1
	s_waitcnt vmcnt(0)
	v_cmp_ne_u16_e32 vcc, 0, v1
	v_cndmask_b32_e32 v1, 0, v3, vcc
.LBB48_1704:
	s_branch .LBB48_1634
.LBB48_1705:
	v_mov_b32_e32 v1, 5
	v_cmp_lt_i16_sdwa s[0:1], s25, v1 src0_sel:BYTE_0 src1_sel:DWORD
	s_and_b64 vcc, exec, s[0:1]
	s_cbranch_vccnz .LBB48_1710
; %bb.1706:
	v_mov_b32_e32 v1, 8
	v_cmp_lt_i16_sdwa s[0:1], s25, v1 src0_sel:BYTE_0 src1_sel:DWORD
	s_and_b64 vcc, exec, s[0:1]
	s_cbranch_vccnz .LBB48_1711
; %bb.1707:
	;; [unrolled: 5-line block ×3, first 2 shown]
	v_cmp_gt_i16_sdwa s[0:1], s25, v1 src0_sel:BYTE_0 src1_sel:DWORD
	s_and_b64 vcc, exec, s[0:1]
	s_cbranch_vccz .LBB48_1713
; %bb.1709:
	global_load_dwordx2 v[24:25], v[22:23], off
	s_mov_b64 s[0:1], 0
	s_waitcnt vmcnt(0)
	v_cvt_f32_f64_e32 v1, v[24:25]
	v_cvt_f16_f32_e32 v1, v1
	s_branch .LBB48_1714
.LBB48_1710:
                                        ; implicit-def: $vgpr1
	s_branch .LBB48_1731
.LBB48_1711:
                                        ; implicit-def: $vgpr1
	s_branch .LBB48_1720
.LBB48_1712:
	s_mov_b64 s[0:1], -1
                                        ; implicit-def: $vgpr1
	s_branch .LBB48_1717
.LBB48_1713:
	s_mov_b64 s[0:1], -1
                                        ; implicit-def: $vgpr1
.LBB48_1714:
	s_andn2_b64 vcc, exec, s[0:1]
	s_cbranch_vccnz .LBB48_1716
; %bb.1715:
	global_load_dword v1, v[22:23], off
	s_waitcnt vmcnt(0)
	v_cvt_f16_f32_e32 v1, v1
.LBB48_1716:
	s_mov_b64 s[0:1], 0
.LBB48_1717:
	s_andn2_b64 vcc, exec, s[0:1]
	s_cbranch_vccnz .LBB48_1719
; %bb.1718:
	global_load_dword v1, v[22:23], off
.LBB48_1719:
	s_cbranch_execnz .LBB48_1730
.LBB48_1720:
	s_waitcnt vmcnt(0)
	v_mov_b32_e32 v1, 6
	v_cmp_lt_i16_sdwa s[0:1], s25, v1 src0_sel:BYTE_0 src1_sel:DWORD
	s_and_b64 vcc, exec, s[0:1]
	s_cbranch_vccnz .LBB48_1723
; %bb.1721:
	v_cmp_gt_i16_sdwa s[0:1], s25, v1 src0_sel:BYTE_0 src1_sel:DWORD
	s_and_b64 vcc, exec, s[0:1]
	s_cbranch_vccz .LBB48_1724
; %bb.1722:
	global_load_dwordx2 v[24:25], v[22:23], off
	s_mov_b64 s[0:1], 0
	s_waitcnt vmcnt(0)
	v_cvt_f32_f64_e32 v1, v[24:25]
	v_cvt_f16_f32_e32 v1, v1
	s_branch .LBB48_1725
.LBB48_1723:
	s_mov_b64 s[0:1], -1
                                        ; implicit-def: $vgpr1
	s_branch .LBB48_1728
.LBB48_1724:
	s_mov_b64 s[0:1], -1
                                        ; implicit-def: $vgpr1
.LBB48_1725:
	s_andn2_b64 vcc, exec, s[0:1]
	s_cbranch_vccnz .LBB48_1727
; %bb.1726:
	global_load_dword v1, v[22:23], off
	s_waitcnt vmcnt(0)
	v_cvt_f16_f32_e32 v1, v1
.LBB48_1727:
	s_mov_b64 s[0:1], 0
.LBB48_1728:
	s_andn2_b64 vcc, exec, s[0:1]
	s_cbranch_vccnz .LBB48_1730
; %bb.1729:
	global_load_ushort v1, v[22:23], off
.LBB48_1730:
	s_cbranch_execnz .LBB48_1749
.LBB48_1731:
	s_waitcnt vmcnt(0)
	v_mov_b32_e32 v1, 2
	v_cmp_lt_i16_sdwa s[0:1], s25, v1 src0_sel:BYTE_0 src1_sel:DWORD
	s_and_b64 vcc, exec, s[0:1]
	s_cbranch_vccnz .LBB48_1735
; %bb.1732:
	v_mov_b32_e32 v1, 3
	v_cmp_lt_i16_sdwa s[0:1], s25, v1 src0_sel:BYTE_0 src1_sel:DWORD
	s_and_b64 vcc, exec, s[0:1]
	s_cbranch_vccnz .LBB48_1736
; %bb.1733:
	v_cmp_gt_i16_sdwa s[0:1], s25, v1 src0_sel:BYTE_0 src1_sel:DWORD
	s_and_b64 vcc, exec, s[0:1]
	s_cbranch_vccz .LBB48_1737
; %bb.1734:
	global_load_dwordx2 v[24:25], v[22:23], off
	s_mov_b64 s[0:1], 0
	s_waitcnt vmcnt(0)
	v_xor_b32_e32 v3, v24, v25
	v_ffbh_i32_e32 v1, v25
	v_ashrrev_i32_e32 v3, 31, v3
	v_add_u32_e32 v1, -1, v1
	v_add_u32_e32 v3, 32, v3
	v_min_u32_e32 v1, v1, v3
	v_lshlrev_b64 v[24:25], v1, v[24:25]
	v_min_u32_e32 v3, 1, v24
	v_or_b32_e32 v3, v25, v3
	v_cvt_f32_i32_e32 v3, v3
	v_sub_u32_e32 v1, 32, v1
	v_ldexp_f32 v1, v3, v1
	v_cvt_f16_f32_e32 v1, v1
	s_branch .LBB48_1738
.LBB48_1735:
                                        ; implicit-def: $vgpr1
	s_branch .LBB48_1744
.LBB48_1736:
	s_mov_b64 s[0:1], -1
                                        ; implicit-def: $vgpr1
	s_branch .LBB48_1741
.LBB48_1737:
	s_mov_b64 s[0:1], -1
                                        ; implicit-def: $vgpr1
.LBB48_1738:
	s_andn2_b64 vcc, exec, s[0:1]
	s_cbranch_vccnz .LBB48_1740
; %bb.1739:
	global_load_dword v1, v[22:23], off
	s_waitcnt vmcnt(0)
	v_cvt_f32_i32_e32 v1, v1
	v_cvt_f16_f32_e32 v1, v1
.LBB48_1740:
	s_mov_b64 s[0:1], 0
.LBB48_1741:
	s_andn2_b64 vcc, exec, s[0:1]
	s_cbranch_vccnz .LBB48_1743
; %bb.1742:
	global_load_ushort v1, v[22:23], off
	s_waitcnt vmcnt(0)
	v_cvt_f16_i16_e32 v1, v1
.LBB48_1743:
	s_cbranch_execnz .LBB48_1749
.LBB48_1744:
	v_mov_b32_e32 v1, 0
	v_cmp_gt_i16_sdwa s[0:1], s25, v1 src0_sel:BYTE_0 src1_sel:DWORD
	s_and_b64 vcc, exec, s[0:1]
	s_cbranch_vccz .LBB48_1746
; %bb.1745:
	global_load_sbyte v1, v[22:23], off
	s_mov_b64 s[0:1], 0
	s_waitcnt vmcnt(0)
	v_cvt_f16_i16_e32 v1, v1
	s_branch .LBB48_1747
.LBB48_1746:
	s_mov_b64 s[0:1], -1
                                        ; implicit-def: $vgpr1
.LBB48_1747:
	s_andn2_b64 vcc, exec, s[0:1]
	s_cbranch_vccnz .LBB48_1749
; %bb.1748:
	global_load_ubyte v1, v[22:23], off
	s_waitcnt vmcnt(0)
	v_cvt_f16_u16_e32 v1, v1
.LBB48_1749:
.LBB48_1750:
	s_load_dwordx2 s[0:1], s[2:3], 0x198
	s_lshr_b32 s26, s24, 24
	v_cmp_lt_i16_e64 s[2:3], s26, 11
	s_waitcnt lgkmcnt(0)
	v_mov_b32_e32 v3, s1
	v_add_co_u32_e32 v20, vcc, s0, v20
	v_addc_co_u32_e32 v21, vcc, 0, v3, vcc
	s_and_b64 vcc, exec, s[2:3]
	s_cbranch_vccnz .LBB48_1757
; %bb.1751:
	v_cmp_gt_i16_e64 s[6:7], s26, 25
	s_mov_b64 s[16:17], 0
	s_and_b64 vcc, exec, s[6:7]
	s_cbranch_vccz .LBB48_1759
; %bb.1752:
	v_cmp_gt_i16_e64 s[6:7], s26, 28
	s_and_b64 vcc, exec, s[6:7]
	s_cbranch_vccz .LBB48_1760
; %bb.1753:
	v_cmp_gt_i16_e64 s[6:7], s26, 43
	;; [unrolled: 4-line block ×3, first 2 shown]
	s_and_b64 vcc, exec, s[6:7]
	s_cbranch_vccz .LBB48_1763
; %bb.1755:
	v_cmp_eq_u16_e64 s[6:7], s26, 46
	s_mov_b64 s[20:21], 0
	s_and_b64 vcc, exec, s[6:7]
	s_cbranch_vccz .LBB48_1766
; %bb.1756:
	global_load_dword v3, v[20:21], off
	s_mov_b64 s[6:7], 0
	s_mov_b64 s[18:19], -1
	s_waitcnt vmcnt(0)
	v_lshlrev_b32_e32 v3, 16, v3
	v_cvt_f16_f32_e32 v3, v3
	s_branch .LBB48_1767
.LBB48_1757:
	s_mov_b64 s[18:19], 0
                                        ; implicit-def: $vgpr3
	s_cbranch_execnz .LBB48_1832
.LBB48_1758:
	s_andn2_b64 vcc, exec, s[18:19]
	s_cbranch_vccnz .LBB48_3113
	s_branch .LBB48_1879
.LBB48_1759:
	s_mov_b64 s[18:19], 0
	s_mov_b64 s[6:7], 0
                                        ; implicit-def: $vgpr3
	s_cbranch_execnz .LBB48_1796
	s_branch .LBB48_1828
.LBB48_1760:
	s_mov_b64 s[20:21], -1
	s_mov_b64 s[18:19], 0
	s_mov_b64 s[6:7], 0
                                        ; implicit-def: $vgpr3
	s_branch .LBB48_1777
.LBB48_1761:
	s_mov_b64 s[20:21], -1
	s_mov_b64 s[18:19], 0
	s_mov_b64 s[6:7], 0
                                        ; implicit-def: $vgpr3
	s_branch .LBB48_1772
.LBB48_1762:
	s_or_b64 s[4:5], s[12:13], exec
	s_trap 2
                                        ; implicit-def: $vgpr1
	s_cbranch_execz .LBB48_1703
	s_branch .LBB48_1704
.LBB48_1763:
	s_mov_b64 s[20:21], -1
	s_mov_b64 s[18:19], 0
	s_mov_b64 s[6:7], 0
                                        ; implicit-def: $vgpr3
	s_branch .LBB48_1767
.LBB48_1764:
	s_or_saveexec_b64 s[18:19], s[18:19]
                                        ; implicit-def: $sgpr24
	s_xor_b64 exec, exec, s[18:19]
	s_cbranch_execz .LBB48_1510
.LBB48_1765:
	s_mov_b32 s24, 0x42800000
	v_add_f32_e64 v1, |v0|, s24
	v_and_b32_e32 v1, 0xff, v1
	v_cmp_ne_u32_e32 vcc, 0, v1
	s_andn2_b64 s[16:17], s[16:17], exec
	s_and_b64 s[26:27], vcc, exec
	s_mov_b32 s24, 0
	s_or_b64 s[16:17], s[16:17], s[26:27]
	s_or_b64 exec, exec, s[18:19]
	v_mov_b32_e32 v6, s24
	s_and_saveexec_b64 s[18:19], s[16:17]
	s_cbranch_execnz .LBB48_1511
	s_branch .LBB48_1512
.LBB48_1766:
	s_mov_b64 s[6:7], -1
                                        ; implicit-def: $vgpr3
	s_mov_b64 s[18:19], 0
.LBB48_1767:
	s_and_b64 vcc, exec, s[20:21]
	s_cbranch_vccz .LBB48_1771
; %bb.1768:
	v_cmp_eq_u16_e64 s[6:7], s26, 44
	s_and_b64 vcc, exec, s[6:7]
	s_cbranch_vccz .LBB48_1770
; %bb.1769:
	global_load_ubyte v3, v[20:21], off
	s_movk_i32 s18, 0xff
	v_mov_b32_e32 v7, 0x7e00
	s_mov_b64 s[6:7], 0
	s_waitcnt vmcnt(0)
	v_lshlrev_b32_e32 v5, 23, v3
	v_cvt_f16_f32_e32 v5, v5
	v_cmp_ne_u32_e32 vcc, s18, v3
	s_mov_b64 s[18:19], -1
	v_cndmask_b32_e32 v5, v7, v5, vcc
	v_cmp_ne_u32_e32 vcc, 0, v3
	v_cndmask_b32_e32 v3, 0, v5, vcc
	s_branch .LBB48_1771
.LBB48_1770:
	s_mov_b64 s[6:7], -1
                                        ; implicit-def: $vgpr3
.LBB48_1771:
	s_mov_b64 s[20:21], 0
.LBB48_1772:
	s_and_b64 vcc, exec, s[20:21]
	s_cbranch_vccz .LBB48_1776
; %bb.1773:
	v_cmp_eq_u16_e64 s[6:7], s26, 29
	s_and_b64 vcc, exec, s[6:7]
	s_cbranch_vccz .LBB48_1775
; %bb.1774:
	global_load_dwordx2 v[22:23], v[20:21], off
	s_mov_b64 s[6:7], 0
	s_mov_b64 s[18:19], -1
	s_mov_b64 s[20:21], 0
	s_waitcnt vmcnt(0)
	v_ffbh_u32_e32 v3, v23
	v_min_u32_e32 v3, 32, v3
	v_lshlrev_b64 v[22:23], v3, v[22:23]
	v_min_u32_e32 v5, 1, v22
	v_or_b32_e32 v5, v23, v5
	v_cvt_f32_u32_e32 v5, v5
	v_sub_u32_e32 v3, 32, v3
	v_ldexp_f32 v3, v5, v3
	v_cvt_f16_f32_e32 v3, v3
	s_branch .LBB48_1777
.LBB48_1775:
	s_mov_b64 s[6:7], -1
                                        ; implicit-def: $vgpr3
.LBB48_1776:
	s_mov_b64 s[20:21], 0
.LBB48_1777:
	s_and_b64 vcc, exec, s[20:21]
	s_cbranch_vccz .LBB48_1795
; %bb.1778:
	v_cmp_lt_i16_e64 s[18:19], s26, 27
	s_and_b64 vcc, exec, s[18:19]
	s_cbranch_vccnz .LBB48_1781
; %bb.1779:
	v_cmp_gt_i16_e64 s[18:19], s26, 27
	s_and_b64 vcc, exec, s[18:19]
	s_cbranch_vccz .LBB48_1782
; %bb.1780:
	global_load_dword v3, v[20:21], off
	s_mov_b64 s[18:19], 0
	s_waitcnt vmcnt(0)
	v_cvt_f32_u32_e32 v3, v3
	v_cvt_f16_f32_e32 v3, v3
	s_branch .LBB48_1783
.LBB48_1781:
	s_mov_b64 s[18:19], -1
                                        ; implicit-def: $vgpr3
	s_branch .LBB48_1786
.LBB48_1782:
	s_mov_b64 s[18:19], -1
                                        ; implicit-def: $vgpr3
.LBB48_1783:
	s_andn2_b64 vcc, exec, s[18:19]
	s_cbranch_vccnz .LBB48_1785
; %bb.1784:
	global_load_ushort v3, v[20:21], off
	s_waitcnt vmcnt(0)
	v_cvt_f16_u16_e32 v3, v3
.LBB48_1785:
	s_mov_b64 s[18:19], 0
.LBB48_1786:
	s_andn2_b64 vcc, exec, s[18:19]
	s_cbranch_vccnz .LBB48_1794
; %bb.1787:
	global_load_ubyte v5, v[20:21], off
	s_movk_i32 s18, 0x7f
                                        ; implicit-def: $sgpr27
	s_waitcnt vmcnt(0)
	v_cmp_lt_i16_e32 vcc, s18, v5
	s_mov_b64 s[18:19], 0
	s_and_saveexec_b64 s[20:21], vcc
	s_xor_b64 s[20:21], exec, s[20:21]
	s_cbranch_execz .LBB48_1807
; %bb.1788:
	s_movk_i32 s18, 0x80
	v_cmp_eq_u16_e32 vcc, s18, v5
	s_mov_b64 s[18:19], -1
                                        ; implicit-def: $sgpr27
	s_and_saveexec_b64 s[22:23], vcc
; %bb.1789:
	s_movk_i32 s27, 0x7e00
	s_xor_b64 s[18:19], exec, -1
; %bb.1790:
	s_or_b64 exec, exec, s[22:23]
	s_and_b64 s[18:19], s[18:19], exec
	s_or_saveexec_b64 s[20:21], s[20:21]
	v_mov_b32_e32 v3, s27
	s_xor_b64 exec, exec, s[20:21]
	s_cbranch_execnz .LBB48_1808
.LBB48_1791:
	s_or_b64 exec, exec, s[20:21]
	s_and_saveexec_b64 s[20:21], s[18:19]
	s_cbranch_execz .LBB48_1793
.LBB48_1792:
	v_lshlrev_b32_e32 v3, 24, v5
	v_and_b32_e32 v5, 0xffff, v5
	v_and_b32_e32 v7, 7, v5
	v_ffbh_u32_e32 v11, v7
	v_min_u32_e32 v11, 32, v11
	v_subrev_u32_e32 v13, 28, v11
	v_bfe_u32 v9, v5, 3, 4
	v_lshlrev_b32_e32 v5, v13, v5
	v_sub_u32_e32 v11, 29, v11
	v_and_b32_e32 v5, 7, v5
	v_cmp_eq_u32_e32 vcc, 0, v9
	v_cndmask_b32_e32 v9, v9, v11, vcc
	v_cndmask_b32_e32 v5, v7, v5, vcc
	v_mov_b32_e32 v7, 0x3b800000
	v_lshlrev_b32_e32 v5, 20, v5
	v_and_b32_e32 v3, 0x80000000, v3
	v_lshl_add_u32 v7, v9, 23, v7
	v_or3_b32 v3, v3, v7, v5
	v_cvt_f16_f32_e32 v3, v3
.LBB48_1793:
	s_or_b64 exec, exec, s[20:21]
.LBB48_1794:
	s_mov_b64 s[18:19], -1
.LBB48_1795:
	s_branch .LBB48_1828
.LBB48_1796:
	v_cmp_gt_i16_e64 s[16:17], s26, 22
	s_and_b64 vcc, exec, s[16:17]
	s_cbranch_vccz .LBB48_1806
; %bb.1797:
	v_cmp_lt_i16_e64 s[16:17], s26, 24
	s_and_b64 vcc, exec, s[16:17]
	s_cbranch_vccnz .LBB48_1809
; %bb.1798:
	v_cmp_gt_i16_e64 s[16:17], s26, 24
	s_and_b64 vcc, exec, s[16:17]
	s_cbranch_vccz .LBB48_1810
; %bb.1799:
	global_load_ubyte v5, v[20:21], off
	s_movk_i32 s16, 0x7f
                                        ; implicit-def: $sgpr22
	s_waitcnt vmcnt(0)
	v_cmp_lt_i16_e32 vcc, s16, v5
	s_mov_b64 s[16:17], 0
	s_and_saveexec_b64 s[18:19], vcc
	s_xor_b64 s[18:19], exec, s[18:19]
	s_cbranch_execz .LBB48_1822
; %bb.1800:
	s_movk_i32 s16, 0x80
	v_cmp_eq_u16_e32 vcc, s16, v5
	s_mov_b64 s[16:17], -1
                                        ; implicit-def: $sgpr22
	s_and_saveexec_b64 s[20:21], vcc
; %bb.1801:
	s_movk_i32 s22, 0x7e00
	s_xor_b64 s[16:17], exec, -1
; %bb.1802:
	s_or_b64 exec, exec, s[20:21]
	s_and_b64 s[16:17], s[16:17], exec
	s_or_saveexec_b64 s[18:19], s[18:19]
	v_mov_b32_e32 v3, s22
	s_xor_b64 exec, exec, s[18:19]
	s_cbranch_execnz .LBB48_1823
.LBB48_1803:
	s_or_b64 exec, exec, s[18:19]
	s_and_saveexec_b64 s[18:19], s[16:17]
	s_cbranch_execz .LBB48_1805
.LBB48_1804:
	v_lshlrev_b32_e32 v3, 24, v5
	v_and_b32_e32 v5, 0xffff, v5
	v_and_b32_e32 v7, 3, v5
	v_ffbh_u32_e32 v11, v7
	v_min_u32_e32 v11, 32, v11
	v_subrev_u32_e32 v13, 29, v11
	v_bfe_u32 v9, v5, 2, 5
	v_lshlrev_b32_e32 v5, v13, v5
	v_sub_u32_e32 v11, 30, v11
	v_and_b32_e32 v5, 3, v5
	v_cmp_eq_u32_e32 vcc, 0, v9
	v_cndmask_b32_e32 v9, v9, v11, vcc
	v_cndmask_b32_e32 v5, v7, v5, vcc
	v_mov_b32_e32 v7, 0x37800000
	v_lshlrev_b32_e32 v5, 21, v5
	v_and_b32_e32 v3, 0x80000000, v3
	v_lshl_add_u32 v7, v9, 23, v7
	v_or3_b32 v3, v3, v7, v5
	v_cvt_f16_f32_e32 v3, v3
.LBB48_1805:
	s_or_b64 exec, exec, s[18:19]
	s_mov_b64 s[16:17], 0
	s_branch .LBB48_1811
.LBB48_1806:
	s_mov_b64 s[16:17], -1
                                        ; implicit-def: $vgpr3
	s_branch .LBB48_1817
.LBB48_1807:
	s_or_saveexec_b64 s[20:21], s[20:21]
	v_mov_b32_e32 v3, s27
	s_xor_b64 exec, exec, s[20:21]
	s_cbranch_execz .LBB48_1791
.LBB48_1808:
	v_cmp_ne_u16_e32 vcc, 0, v5
	s_andn2_b64 s[18:19], s[18:19], exec
	s_and_b64 s[22:23], vcc, exec
	s_or_b64 s[18:19], s[18:19], s[22:23]
	v_mov_b32_e32 v3, v5
	s_or_b64 exec, exec, s[20:21]
	s_and_saveexec_b64 s[20:21], s[18:19]
	s_cbranch_execnz .LBB48_1792
	s_branch .LBB48_1793
.LBB48_1809:
	s_mov_b64 s[16:17], -1
                                        ; implicit-def: $vgpr3
	s_branch .LBB48_1814
.LBB48_1810:
	s_mov_b64 s[16:17], -1
                                        ; implicit-def: $vgpr3
.LBB48_1811:
	s_and_b64 vcc, exec, s[16:17]
	s_cbranch_vccz .LBB48_1813
; %bb.1812:
	global_load_ubyte v3, v[20:21], off
	s_mov_b32 s16, 0x7f800000
	s_waitcnt vmcnt(0)
	v_lshlrev_b32_e32 v3, 24, v3
	v_and_b32_e32 v5, 0x7f000000, v3
	v_ffbh_u32_e32 v7, v5
	v_min_u32_e32 v7, 32, v7
	v_sub_u32_e64 v7, v7, 4 clamp
	v_lshlrev_b32_e32 v11, v7, v5
	v_lshlrev_b32_e32 v7, 23, v7
	v_lshrrev_b32_e32 v11, 4, v11
	v_add_u32_e32 v9, 0x1000000, v5
	v_sub_u32_e32 v7, v11, v7
	v_ashrrev_i32_e32 v9, 8, v9
	v_add_u32_e32 v7, 0x3c000000, v7
	v_and_or_b32 v7, v9, s16, v7
	v_cmp_ne_u32_e32 vcc, 0, v5
	v_cndmask_b32_e32 v5, 0, v7, vcc
	s_brev_b32 s16, 1
	v_and_or_b32 v3, v3, s16, v5
	v_cvt_f16_f32_e32 v3, v3
.LBB48_1813:
	s_mov_b64 s[16:17], 0
.LBB48_1814:
	s_andn2_b64 vcc, exec, s[16:17]
	s_cbranch_vccnz .LBB48_1816
; %bb.1815:
	global_load_ubyte v3, v[20:21], off
	s_movk_i32 s16, 0x7f00
	s_brev_b32 s17, 16
	s_waitcnt vmcnt(0)
	v_lshlrev_b16_e32 v5, 8, v3
	v_lshlrev_b32_e32 v3, 25, v3
	v_lshrrev_b32_e32 v7, 4, v3
	v_and_or_b32 v9, v5, s16, 0.5
	v_or_b32_e32 v7, 0x70000000, v7
	v_add_f32_e32 v9, -0.5, v9
	v_mul_f32_e32 v7, 0x7800000, v7
	v_cmp_gt_u32_e32 vcc, s17, v3
	v_bfe_i32 v5, v5, 0, 16
	v_cndmask_b32_e32 v3, v7, v9, vcc
	s_brev_b32 s16, 1
	v_and_or_b32 v3, v5, s16, v3
	v_cvt_f16_f32_e32 v3, v3
.LBB48_1816:
	s_mov_b64 s[16:17], 0
	s_mov_b64 s[18:19], -1
.LBB48_1817:
	s_andn2_b64 vcc, exec, s[16:17]
	s_mov_b64 s[16:17], 0
	s_cbranch_vccnz .LBB48_1828
; %bb.1818:
	v_cmp_gt_i16_e64 s[16:17], s26, 14
	s_and_b64 vcc, exec, s[16:17]
	s_cbranch_vccz .LBB48_1821
; %bb.1819:
	v_cmp_eq_u16_e64 s[6:7], s26, 15
	s_and_b64 vcc, exec, s[6:7]
	s_cbranch_vccz .LBB48_1824
; %bb.1820:
	global_load_ushort v3, v[20:21], off
	s_mov_b64 s[6:7], 0
	s_mov_b64 s[18:19], -1
	s_waitcnt vmcnt(0)
	v_lshlrev_b32_e32 v3, 16, v3
	v_cvt_f16_f32_e32 v3, v3
	s_branch .LBB48_1825
.LBB48_1821:
	s_mov_b64 s[20:21], -1
                                        ; implicit-def: $vgpr3
	s_branch .LBB48_1826
.LBB48_1822:
	s_or_saveexec_b64 s[18:19], s[18:19]
	v_mov_b32_e32 v3, s22
	s_xor_b64 exec, exec, s[18:19]
	s_cbranch_execz .LBB48_1803
.LBB48_1823:
	v_cmp_ne_u16_e32 vcc, 0, v5
	s_andn2_b64 s[16:17], s[16:17], exec
	s_and_b64 s[20:21], vcc, exec
	s_or_b64 s[16:17], s[16:17], s[20:21]
	v_mov_b32_e32 v3, v5
	s_or_b64 exec, exec, s[18:19]
	s_and_saveexec_b64 s[18:19], s[16:17]
	s_cbranch_execnz .LBB48_1804
	s_branch .LBB48_1805
.LBB48_1824:
	s_mov_b64 s[6:7], -1
                                        ; implicit-def: $vgpr3
.LBB48_1825:
	s_mov_b64 s[20:21], 0
.LBB48_1826:
	s_mov_b64 s[16:17], 0
	s_and_b64 vcc, exec, s[20:21]
	s_cbranch_vccz .LBB48_1828
; %bb.1827:
	v_cmp_ne_u16_e64 s[6:7], s26, 11
	s_mov_b64 s[16:17], -1
                                        ; implicit-def: $vgpr3
.LBB48_1828:
	s_and_b64 vcc, exec, s[6:7]
	s_cbranch_vccnz .LBB48_1891
; %bb.1829:
	s_andn2_b64 vcc, exec, s[16:17]
	s_cbranch_vccnz .LBB48_1831
.LBB48_1830:
	global_load_ubyte v3, v[20:21], off
	v_mov_b32_e32 v5, 0x3c00
	s_mov_b64 s[18:19], -1
	s_waitcnt vmcnt(0)
	v_cmp_ne_u16_e32 vcc, 0, v3
	v_cndmask_b32_e32 v3, 0, v5, vcc
.LBB48_1831:
	s_branch .LBB48_1758
.LBB48_1832:
	v_cmp_lt_i16_e64 s[6:7], s26, 5
	s_and_b64 vcc, exec, s[6:7]
	s_cbranch_vccnz .LBB48_1837
; %bb.1833:
	v_cmp_lt_i16_e64 s[6:7], s26, 8
	s_and_b64 vcc, exec, s[6:7]
	s_cbranch_vccnz .LBB48_1838
; %bb.1834:
	;; [unrolled: 4-line block ×3, first 2 shown]
	v_cmp_gt_i16_e64 s[6:7], s26, 9
	s_and_b64 vcc, exec, s[6:7]
	s_cbranch_vccz .LBB48_1840
; %bb.1836:
	global_load_dwordx2 v[22:23], v[20:21], off
	s_mov_b64 s[6:7], 0
	s_waitcnt vmcnt(0)
	v_cvt_f32_f64_e32 v3, v[22:23]
	v_cvt_f16_f32_e32 v3, v3
	s_branch .LBB48_1841
.LBB48_1837:
                                        ; implicit-def: $vgpr3
	s_branch .LBB48_1859
.LBB48_1838:
	s_mov_b64 s[6:7], -1
                                        ; implicit-def: $vgpr3
	s_branch .LBB48_1847
.LBB48_1839:
	s_mov_b64 s[6:7], -1
                                        ; implicit-def: $vgpr3
	s_branch .LBB48_1844
.LBB48_1840:
	s_mov_b64 s[6:7], -1
                                        ; implicit-def: $vgpr3
.LBB48_1841:
	s_andn2_b64 vcc, exec, s[6:7]
	s_cbranch_vccnz .LBB48_1843
; %bb.1842:
	global_load_dword v3, v[20:21], off
	s_waitcnt vmcnt(0)
	v_cvt_f16_f32_e32 v3, v3
.LBB48_1843:
	s_mov_b64 s[6:7], 0
.LBB48_1844:
	s_andn2_b64 vcc, exec, s[6:7]
	s_cbranch_vccnz .LBB48_1846
; %bb.1845:
	global_load_dword v3, v[20:21], off
.LBB48_1846:
	s_mov_b64 s[6:7], 0
.LBB48_1847:
	s_andn2_b64 vcc, exec, s[6:7]
	s_cbranch_vccnz .LBB48_1858
; %bb.1848:
	v_cmp_lt_i16_e64 s[6:7], s26, 6
	s_and_b64 vcc, exec, s[6:7]
	s_cbranch_vccnz .LBB48_1851
; %bb.1849:
	v_cmp_gt_i16_e64 s[6:7], s26, 6
	s_and_b64 vcc, exec, s[6:7]
	s_cbranch_vccz .LBB48_1852
; %bb.1850:
	global_load_dwordx2 v[22:23], v[20:21], off
	s_mov_b64 s[6:7], 0
	s_waitcnt vmcnt(0)
	v_cvt_f32_f64_e32 v3, v[22:23]
	v_cvt_f16_f32_e32 v3, v3
	s_branch .LBB48_1853
.LBB48_1851:
	s_mov_b64 s[6:7], -1
                                        ; implicit-def: $vgpr3
	s_branch .LBB48_1856
.LBB48_1852:
	s_mov_b64 s[6:7], -1
                                        ; implicit-def: $vgpr3
.LBB48_1853:
	s_andn2_b64 vcc, exec, s[6:7]
	s_cbranch_vccnz .LBB48_1855
; %bb.1854:
	global_load_dword v3, v[20:21], off
	s_waitcnt vmcnt(0)
	v_cvt_f16_f32_e32 v3, v3
.LBB48_1855:
	s_mov_b64 s[6:7], 0
.LBB48_1856:
	s_andn2_b64 vcc, exec, s[6:7]
	s_cbranch_vccnz .LBB48_1858
; %bb.1857:
	global_load_ushort v3, v[20:21], off
.LBB48_1858:
	s_cbranch_execnz .LBB48_1878
.LBB48_1859:
	v_cmp_lt_i16_e64 s[6:7], s26, 2
	s_and_b64 vcc, exec, s[6:7]
	s_cbranch_vccnz .LBB48_1863
; %bb.1860:
	v_cmp_lt_i16_e64 s[6:7], s26, 3
	s_and_b64 vcc, exec, s[6:7]
	s_cbranch_vccnz .LBB48_1864
; %bb.1861:
	v_cmp_gt_i16_e64 s[6:7], s26, 3
	s_and_b64 vcc, exec, s[6:7]
	s_cbranch_vccz .LBB48_1865
; %bb.1862:
	global_load_dwordx2 v[22:23], v[20:21], off
	s_mov_b64 s[6:7], 0
	s_waitcnt vmcnt(0)
	v_xor_b32_e32 v5, v22, v23
	v_ffbh_i32_e32 v3, v23
	v_ashrrev_i32_e32 v5, 31, v5
	v_add_u32_e32 v3, -1, v3
	v_add_u32_e32 v5, 32, v5
	v_min_u32_e32 v3, v3, v5
	v_lshlrev_b64 v[22:23], v3, v[22:23]
	v_min_u32_e32 v5, 1, v22
	v_or_b32_e32 v5, v23, v5
	v_cvt_f32_i32_e32 v5, v5
	v_sub_u32_e32 v3, 32, v3
	v_ldexp_f32 v3, v5, v3
	v_cvt_f16_f32_e32 v3, v3
	s_branch .LBB48_1866
.LBB48_1863:
	s_mov_b64 s[6:7], -1
                                        ; implicit-def: $vgpr3
	s_branch .LBB48_1872
.LBB48_1864:
	s_mov_b64 s[6:7], -1
                                        ; implicit-def: $vgpr3
	s_branch .LBB48_1869
.LBB48_1865:
	s_mov_b64 s[6:7], -1
                                        ; implicit-def: $vgpr3
.LBB48_1866:
	s_andn2_b64 vcc, exec, s[6:7]
	s_cbranch_vccnz .LBB48_1868
; %bb.1867:
	global_load_dword v3, v[20:21], off
	s_waitcnt vmcnt(0)
	v_cvt_f32_i32_e32 v3, v3
	v_cvt_f16_f32_e32 v3, v3
.LBB48_1868:
	s_mov_b64 s[6:7], 0
.LBB48_1869:
	s_andn2_b64 vcc, exec, s[6:7]
	s_cbranch_vccnz .LBB48_1871
; %bb.1870:
	global_load_ushort v3, v[20:21], off
	s_waitcnt vmcnt(0)
	v_cvt_f16_i16_e32 v3, v3
.LBB48_1871:
	s_mov_b64 s[6:7], 0
.LBB48_1872:
	s_andn2_b64 vcc, exec, s[6:7]
	s_cbranch_vccnz .LBB48_1878
; %bb.1873:
	v_cmp_gt_i16_e64 s[6:7], s26, 0
	s_and_b64 vcc, exec, s[6:7]
	s_cbranch_vccz .LBB48_1875
; %bb.1874:
	global_load_sbyte v3, v[20:21], off
	s_mov_b64 s[6:7], 0
	s_waitcnt vmcnt(0)
	v_cvt_f16_i16_e32 v3, v3
	s_branch .LBB48_1876
.LBB48_1875:
	s_mov_b64 s[6:7], -1
                                        ; implicit-def: $vgpr3
.LBB48_1876:
	s_andn2_b64 vcc, exec, s[6:7]
	s_cbranch_vccnz .LBB48_1878
; %bb.1877:
	global_load_ubyte v3, v[20:21], off
	s_waitcnt vmcnt(0)
	v_cvt_f16_u16_e32 v3, v3
.LBB48_1878:
.LBB48_1879:
	v_mov_b32_e32 v5, s11
	v_add_co_u32_e32 v18, vcc, s10, v18
	v_addc_co_u32_e32 v19, vcc, 0, v5, vcc
	v_mov_b32_e32 v5, 11
	v_cmp_lt_i16_sdwa s[6:7], s25, v5 src0_sel:BYTE_0 src1_sel:DWORD
	s_and_b64 vcc, exec, s[6:7]
	s_cbranch_vccnz .LBB48_1886
; %bb.1880:
	v_mov_b32_e32 v5, 25
	v_cmp_gt_i16_sdwa s[6:7], s25, v5 src0_sel:BYTE_0 src1_sel:DWORD
	s_mov_b64 s[16:17], 0
	s_and_b64 vcc, exec, s[6:7]
	s_cbranch_vccz .LBB48_1888
; %bb.1881:
	v_mov_b32_e32 v5, 28
	v_cmp_gt_i16_sdwa s[6:7], s25, v5 src0_sel:BYTE_0 src1_sel:DWORD
	s_and_b64 vcc, exec, s[6:7]
	s_cbranch_vccz .LBB48_1889
; %bb.1882:
	v_mov_b32_e32 v5, 43
	v_cmp_gt_i16_sdwa s[6:7], s25, v5 src0_sel:BYTE_0 src1_sel:DWORD
	;; [unrolled: 5-line block ×3, first 2 shown]
	s_and_b64 vcc, exec, s[6:7]
	s_cbranch_vccz .LBB48_1892
; %bb.1884:
	v_mov_b32_e32 v5, 46
	v_cmp_eq_u16_sdwa s[6:7], s25, v5 src0_sel:BYTE_0 src1_sel:DWORD
	s_mov_b64 s[20:21], 0
	s_and_b64 vcc, exec, s[6:7]
	s_cbranch_vccz .LBB48_1893
; %bb.1885:
	global_load_dword v5, v[18:19], off
	s_mov_b64 s[6:7], 0
	s_mov_b64 s[18:19], -1
	s_waitcnt vmcnt(0)
	v_lshlrev_b32_e32 v5, 16, v5
	v_cvt_f16_f32_e32 v5, v5
	s_branch .LBB48_1894
.LBB48_1886:
	s_mov_b64 s[18:19], 0
                                        ; implicit-def: $vgpr5
	s_cbranch_execnz .LBB48_1960
.LBB48_1887:
	s_andn2_b64 vcc, exec, s[18:19]
	s_cbranch_vccnz .LBB48_3113
	s_branch .LBB48_2008
.LBB48_1888:
	s_mov_b64 s[20:21], -1
	s_mov_b64 s[18:19], 0
	s_mov_b64 s[6:7], 0
                                        ; implicit-def: $vgpr5
	s_branch .LBB48_1923
.LBB48_1889:
	s_mov_b64 s[20:21], -1
	s_mov_b64 s[18:19], 0
	s_mov_b64 s[6:7], 0
                                        ; implicit-def: $vgpr5
	s_branch .LBB48_1904
.LBB48_1890:
	s_mov_b64 s[20:21], -1
	s_mov_b64 s[18:19], 0
	s_mov_b64 s[6:7], 0
                                        ; implicit-def: $vgpr5
	s_branch .LBB48_1899
.LBB48_1891:
	s_trap 2
	s_or_b64 s[4:5], s[4:5], exec
                                        ; implicit-def: $vgpr3
	s_cbranch_execz .LBB48_1830
	s_branch .LBB48_1831
.LBB48_1892:
	s_mov_b64 s[20:21], -1
	s_mov_b64 s[18:19], 0
	s_mov_b64 s[6:7], 0
                                        ; implicit-def: $vgpr5
	s_branch .LBB48_1894
.LBB48_1893:
	s_mov_b64 s[6:7], -1
                                        ; implicit-def: $vgpr5
	s_mov_b64 s[18:19], 0
.LBB48_1894:
	s_and_b64 vcc, exec, s[20:21]
	s_cbranch_vccz .LBB48_1898
; %bb.1895:
	v_mov_b32_e32 v5, 44
	v_cmp_eq_u16_sdwa s[6:7], s25, v5 src0_sel:BYTE_0 src1_sel:DWORD
	s_and_b64 vcc, exec, s[6:7]
	s_cbranch_vccz .LBB48_1897
; %bb.1896:
	global_load_ubyte v5, v[18:19], off
	s_movk_i32 s18, 0xff
	v_mov_b32_e32 v9, 0x7e00
	s_mov_b64 s[6:7], 0
	s_waitcnt vmcnt(0)
	v_lshlrev_b32_e32 v7, 23, v5
	v_cvt_f16_f32_e32 v7, v7
	v_cmp_ne_u32_e32 vcc, s18, v5
	s_mov_b64 s[18:19], -1
	v_cndmask_b32_e32 v7, v9, v7, vcc
	v_cmp_ne_u32_e32 vcc, 0, v5
	v_cndmask_b32_e32 v5, 0, v7, vcc
	s_branch .LBB48_1898
.LBB48_1897:
	s_mov_b64 s[6:7], -1
                                        ; implicit-def: $vgpr5
.LBB48_1898:
	s_mov_b64 s[20:21], 0
.LBB48_1899:
	s_and_b64 vcc, exec, s[20:21]
	s_cbranch_vccz .LBB48_1903
; %bb.1900:
	v_mov_b32_e32 v5, 29
	v_cmp_eq_u16_sdwa s[6:7], s25, v5 src0_sel:BYTE_0 src1_sel:DWORD
	s_and_b64 vcc, exec, s[6:7]
	s_cbranch_vccz .LBB48_1902
; %bb.1901:
	global_load_dwordx2 v[20:21], v[18:19], off
	s_mov_b64 s[6:7], 0
	s_mov_b64 s[18:19], -1
	s_mov_b64 s[20:21], 0
	s_waitcnt vmcnt(0)
	v_ffbh_u32_e32 v5, v21
	v_min_u32_e32 v5, 32, v5
	v_lshlrev_b64 v[20:21], v5, v[20:21]
	v_min_u32_e32 v7, 1, v20
	v_or_b32_e32 v7, v21, v7
	v_cvt_f32_u32_e32 v7, v7
	v_sub_u32_e32 v5, 32, v5
	v_ldexp_f32 v5, v7, v5
	v_cvt_f16_f32_e32 v5, v5
	s_branch .LBB48_1904
.LBB48_1902:
	s_mov_b64 s[6:7], -1
                                        ; implicit-def: $vgpr5
.LBB48_1903:
	s_mov_b64 s[20:21], 0
.LBB48_1904:
	s_and_b64 vcc, exec, s[20:21]
	s_cbranch_vccz .LBB48_1922
; %bb.1905:
	v_mov_b32_e32 v5, 27
	v_cmp_lt_i16_sdwa s[18:19], s25, v5 src0_sel:BYTE_0 src1_sel:DWORD
	s_and_b64 vcc, exec, s[18:19]
	s_cbranch_vccnz .LBB48_1908
; %bb.1906:
	v_cmp_gt_i16_sdwa s[18:19], s25, v5 src0_sel:BYTE_0 src1_sel:DWORD
	s_and_b64 vcc, exec, s[18:19]
	s_cbranch_vccz .LBB48_1909
; %bb.1907:
	global_load_dword v5, v[18:19], off
	s_mov_b64 s[18:19], 0
	s_waitcnt vmcnt(0)
	v_cvt_f32_u32_e32 v5, v5
	v_cvt_f16_f32_e32 v5, v5
	s_branch .LBB48_1910
.LBB48_1908:
	s_mov_b64 s[18:19], -1
                                        ; implicit-def: $vgpr5
	s_branch .LBB48_1913
.LBB48_1909:
	s_mov_b64 s[18:19], -1
                                        ; implicit-def: $vgpr5
.LBB48_1910:
	s_andn2_b64 vcc, exec, s[18:19]
	s_cbranch_vccnz .LBB48_1912
; %bb.1911:
	global_load_ushort v5, v[18:19], off
	s_waitcnt vmcnt(0)
	v_cvt_f16_u16_e32 v5, v5
.LBB48_1912:
	s_mov_b64 s[18:19], 0
.LBB48_1913:
	s_andn2_b64 vcc, exec, s[18:19]
	s_cbranch_vccnz .LBB48_1921
; %bb.1914:
	global_load_ubyte v7, v[18:19], off
	s_movk_i32 s18, 0x7f
                                        ; implicit-def: $sgpr27
	s_waitcnt vmcnt(0)
	v_cmp_lt_i16_e32 vcc, s18, v7
	s_mov_b64 s[18:19], 0
	s_and_saveexec_b64 s[20:21], vcc
	s_xor_b64 s[20:21], exec, s[20:21]
	s_cbranch_execz .LBB48_1935
; %bb.1915:
	s_movk_i32 s18, 0x80
	v_cmp_eq_u16_e32 vcc, s18, v7
	s_mov_b64 s[18:19], -1
                                        ; implicit-def: $sgpr27
	s_and_saveexec_b64 s[22:23], vcc
; %bb.1916:
	s_movk_i32 s27, 0x7e00
	s_xor_b64 s[18:19], exec, -1
; %bb.1917:
	s_or_b64 exec, exec, s[22:23]
	s_and_b64 s[18:19], s[18:19], exec
	s_or_saveexec_b64 s[20:21], s[20:21]
	v_mov_b32_e32 v5, s27
	s_xor_b64 exec, exec, s[20:21]
	s_cbranch_execnz .LBB48_1936
.LBB48_1918:
	s_or_b64 exec, exec, s[20:21]
	s_and_saveexec_b64 s[20:21], s[18:19]
	s_cbranch_execz .LBB48_1920
.LBB48_1919:
	v_lshlrev_b32_e32 v5, 24, v7
	v_and_b32_e32 v7, 0xffff, v7
	v_and_b32_e32 v9, 7, v7
	v_ffbh_u32_e32 v13, v9
	v_min_u32_e32 v13, 32, v13
	v_subrev_u32_e32 v15, 28, v13
	v_bfe_u32 v11, v7, 3, 4
	v_lshlrev_b32_e32 v7, v15, v7
	v_sub_u32_e32 v13, 29, v13
	v_and_b32_e32 v7, 7, v7
	v_cmp_eq_u32_e32 vcc, 0, v11
	v_cndmask_b32_e32 v11, v11, v13, vcc
	v_cndmask_b32_e32 v7, v9, v7, vcc
	v_mov_b32_e32 v9, 0x3b800000
	v_lshlrev_b32_e32 v7, 20, v7
	v_and_b32_e32 v5, 0x80000000, v5
	v_lshl_add_u32 v9, v11, 23, v9
	v_or3_b32 v5, v5, v9, v7
	v_cvt_f16_f32_e32 v5, v5
.LBB48_1920:
	s_or_b64 exec, exec, s[20:21]
.LBB48_1921:
	s_mov_b64 s[18:19], -1
.LBB48_1922:
	s_mov_b64 s[20:21], 0
.LBB48_1923:
	s_and_b64 vcc, exec, s[20:21]
	s_cbranch_vccz .LBB48_1956
; %bb.1924:
	v_mov_b32_e32 v5, 22
	v_cmp_gt_i16_sdwa s[16:17], s25, v5 src0_sel:BYTE_0 src1_sel:DWORD
	s_and_b64 vcc, exec, s[16:17]
	s_cbranch_vccz .LBB48_1934
; %bb.1925:
	v_mov_b32_e32 v5, 24
	v_cmp_lt_i16_sdwa s[16:17], s25, v5 src0_sel:BYTE_0 src1_sel:DWORD
	s_and_b64 vcc, exec, s[16:17]
	s_cbranch_vccnz .LBB48_1937
; %bb.1926:
	v_cmp_gt_i16_sdwa s[16:17], s25, v5 src0_sel:BYTE_0 src1_sel:DWORD
	s_and_b64 vcc, exec, s[16:17]
	s_cbranch_vccz .LBB48_1938
; %bb.1927:
	global_load_ubyte v7, v[18:19], off
	s_movk_i32 s16, 0x7f
                                        ; implicit-def: $sgpr22
	s_waitcnt vmcnt(0)
	v_cmp_lt_i16_e32 vcc, s16, v7
	s_mov_b64 s[16:17], 0
	s_and_saveexec_b64 s[18:19], vcc
	s_xor_b64 s[18:19], exec, s[18:19]
	s_cbranch_execz .LBB48_1950
; %bb.1928:
	s_movk_i32 s16, 0x80
	v_cmp_eq_u16_e32 vcc, s16, v7
	s_mov_b64 s[16:17], -1
                                        ; implicit-def: $sgpr22
	s_and_saveexec_b64 s[20:21], vcc
; %bb.1929:
	s_movk_i32 s22, 0x7e00
	s_xor_b64 s[16:17], exec, -1
; %bb.1930:
	s_or_b64 exec, exec, s[20:21]
	s_and_b64 s[16:17], s[16:17], exec
	s_or_saveexec_b64 s[18:19], s[18:19]
	v_mov_b32_e32 v5, s22
	s_xor_b64 exec, exec, s[18:19]
	s_cbranch_execnz .LBB48_1951
.LBB48_1931:
	s_or_b64 exec, exec, s[18:19]
	s_and_saveexec_b64 s[18:19], s[16:17]
	s_cbranch_execz .LBB48_1933
.LBB48_1932:
	v_lshlrev_b32_e32 v5, 24, v7
	v_and_b32_e32 v7, 0xffff, v7
	v_and_b32_e32 v9, 3, v7
	v_ffbh_u32_e32 v13, v9
	v_min_u32_e32 v13, 32, v13
	v_subrev_u32_e32 v15, 29, v13
	v_bfe_u32 v11, v7, 2, 5
	v_lshlrev_b32_e32 v7, v15, v7
	v_sub_u32_e32 v13, 30, v13
	v_and_b32_e32 v7, 3, v7
	v_cmp_eq_u32_e32 vcc, 0, v11
	v_cndmask_b32_e32 v11, v11, v13, vcc
	v_cndmask_b32_e32 v7, v9, v7, vcc
	v_mov_b32_e32 v9, 0x37800000
	v_lshlrev_b32_e32 v7, 21, v7
	v_and_b32_e32 v5, 0x80000000, v5
	v_lshl_add_u32 v9, v11, 23, v9
	v_or3_b32 v5, v5, v9, v7
	v_cvt_f16_f32_e32 v5, v5
.LBB48_1933:
	s_or_b64 exec, exec, s[18:19]
	s_mov_b64 s[16:17], 0
	s_branch .LBB48_1939
.LBB48_1934:
	s_mov_b64 s[16:17], -1
                                        ; implicit-def: $vgpr5
	s_branch .LBB48_1945
.LBB48_1935:
	s_or_saveexec_b64 s[20:21], s[20:21]
	v_mov_b32_e32 v5, s27
	s_xor_b64 exec, exec, s[20:21]
	s_cbranch_execz .LBB48_1918
.LBB48_1936:
	v_cmp_ne_u16_e32 vcc, 0, v7
	s_andn2_b64 s[18:19], s[18:19], exec
	s_and_b64 s[22:23], vcc, exec
	s_or_b64 s[18:19], s[18:19], s[22:23]
	v_mov_b32_e32 v5, v7
	s_or_b64 exec, exec, s[20:21]
	s_and_saveexec_b64 s[20:21], s[18:19]
	s_cbranch_execnz .LBB48_1919
	s_branch .LBB48_1920
.LBB48_1937:
	s_mov_b64 s[16:17], -1
                                        ; implicit-def: $vgpr5
	s_branch .LBB48_1942
.LBB48_1938:
	s_mov_b64 s[16:17], -1
                                        ; implicit-def: $vgpr5
.LBB48_1939:
	s_and_b64 vcc, exec, s[16:17]
	s_cbranch_vccz .LBB48_1941
; %bb.1940:
	global_load_ubyte v5, v[18:19], off
	s_mov_b32 s16, 0x7f800000
	s_waitcnt vmcnt(0)
	v_lshlrev_b32_e32 v5, 24, v5
	v_and_b32_e32 v7, 0x7f000000, v5
	v_ffbh_u32_e32 v9, v7
	v_min_u32_e32 v9, 32, v9
	v_sub_u32_e64 v9, v9, 4 clamp
	v_lshlrev_b32_e32 v13, v9, v7
	v_lshlrev_b32_e32 v9, 23, v9
	v_lshrrev_b32_e32 v13, 4, v13
	v_add_u32_e32 v11, 0x1000000, v7
	v_sub_u32_e32 v9, v13, v9
	v_ashrrev_i32_e32 v11, 8, v11
	v_add_u32_e32 v9, 0x3c000000, v9
	v_and_or_b32 v9, v11, s16, v9
	v_cmp_ne_u32_e32 vcc, 0, v7
	v_cndmask_b32_e32 v7, 0, v9, vcc
	s_brev_b32 s16, 1
	v_and_or_b32 v5, v5, s16, v7
	v_cvt_f16_f32_e32 v5, v5
.LBB48_1941:
	s_mov_b64 s[16:17], 0
.LBB48_1942:
	s_andn2_b64 vcc, exec, s[16:17]
	s_cbranch_vccnz .LBB48_1944
; %bb.1943:
	global_load_ubyte v5, v[18:19], off
	s_movk_i32 s16, 0x7f00
	s_brev_b32 s17, 16
	s_waitcnt vmcnt(0)
	v_lshlrev_b16_e32 v7, 8, v5
	v_lshlrev_b32_e32 v5, 25, v5
	v_lshrrev_b32_e32 v9, 4, v5
	v_and_or_b32 v11, v7, s16, 0.5
	v_or_b32_e32 v9, 0x70000000, v9
	v_add_f32_e32 v11, -0.5, v11
	v_mul_f32_e32 v9, 0x7800000, v9
	v_cmp_gt_u32_e32 vcc, s17, v5
	v_bfe_i32 v7, v7, 0, 16
	v_cndmask_b32_e32 v5, v9, v11, vcc
	s_brev_b32 s16, 1
	v_and_or_b32 v5, v7, s16, v5
	v_cvt_f16_f32_e32 v5, v5
.LBB48_1944:
	s_mov_b64 s[16:17], 0
	s_mov_b64 s[18:19], -1
.LBB48_1945:
	s_andn2_b64 vcc, exec, s[16:17]
	s_mov_b64 s[16:17], 0
	s_cbranch_vccnz .LBB48_1956
; %bb.1946:
	v_mov_b32_e32 v5, 14
	v_cmp_gt_i16_sdwa s[16:17], s25, v5 src0_sel:BYTE_0 src1_sel:DWORD
	s_and_b64 vcc, exec, s[16:17]
	s_cbranch_vccz .LBB48_1949
; %bb.1947:
	v_mov_b32_e32 v5, 15
	v_cmp_eq_u16_sdwa s[6:7], s25, v5 src0_sel:BYTE_0 src1_sel:DWORD
	s_and_b64 vcc, exec, s[6:7]
	s_cbranch_vccz .LBB48_1952
; %bb.1948:
	global_load_ushort v5, v[18:19], off
	s_mov_b64 s[6:7], 0
	s_mov_b64 s[18:19], -1
	s_waitcnt vmcnt(0)
	v_lshlrev_b32_e32 v5, 16, v5
	v_cvt_f16_f32_e32 v5, v5
	s_branch .LBB48_1953
.LBB48_1949:
	s_mov_b64 s[20:21], -1
                                        ; implicit-def: $vgpr5
	s_branch .LBB48_1954
.LBB48_1950:
	s_or_saveexec_b64 s[18:19], s[18:19]
	v_mov_b32_e32 v5, s22
	s_xor_b64 exec, exec, s[18:19]
	s_cbranch_execz .LBB48_1931
.LBB48_1951:
	v_cmp_ne_u16_e32 vcc, 0, v7
	s_andn2_b64 s[16:17], s[16:17], exec
	s_and_b64 s[20:21], vcc, exec
	s_or_b64 s[16:17], s[16:17], s[20:21]
	v_mov_b32_e32 v5, v7
	s_or_b64 exec, exec, s[18:19]
	s_and_saveexec_b64 s[18:19], s[16:17]
	s_cbranch_execnz .LBB48_1932
	s_branch .LBB48_1933
.LBB48_1952:
	s_mov_b64 s[6:7], -1
                                        ; implicit-def: $vgpr5
.LBB48_1953:
	s_mov_b64 s[20:21], 0
.LBB48_1954:
	s_mov_b64 s[16:17], 0
	s_and_b64 vcc, exec, s[20:21]
	s_cbranch_vccz .LBB48_1956
; %bb.1955:
	v_mov_b32_e32 v5, 11
	v_cmp_ne_u16_sdwa s[6:7], s25, v5 src0_sel:BYTE_0 src1_sel:DWORD
	s_mov_b64 s[16:17], -1
                                        ; implicit-def: $vgpr5
.LBB48_1956:
	s_and_b64 vcc, exec, s[6:7]
	s_cbranch_vccnz .LBB48_2019
; %bb.1957:
	s_andn2_b64 vcc, exec, s[16:17]
	s_cbranch_vccnz .LBB48_1959
.LBB48_1958:
	global_load_ubyte v5, v[18:19], off
	v_mov_b32_e32 v7, 0x3c00
	s_mov_b64 s[18:19], -1
	s_waitcnt vmcnt(0)
	v_cmp_ne_u16_e32 vcc, 0, v5
	v_cndmask_b32_e32 v5, 0, v7, vcc
.LBB48_1959:
	s_branch .LBB48_1887
.LBB48_1960:
	v_mov_b32_e32 v5, 5
	v_cmp_lt_i16_sdwa s[6:7], s25, v5 src0_sel:BYTE_0 src1_sel:DWORD
	s_and_b64 vcc, exec, s[6:7]
	s_cbranch_vccnz .LBB48_1965
; %bb.1961:
	v_mov_b32_e32 v5, 8
	v_cmp_lt_i16_sdwa s[6:7], s25, v5 src0_sel:BYTE_0 src1_sel:DWORD
	s_and_b64 vcc, exec, s[6:7]
	s_cbranch_vccnz .LBB48_1966
; %bb.1962:
	;; [unrolled: 5-line block ×3, first 2 shown]
	v_cmp_gt_i16_sdwa s[6:7], s25, v5 src0_sel:BYTE_0 src1_sel:DWORD
	s_and_b64 vcc, exec, s[6:7]
	s_cbranch_vccz .LBB48_1968
; %bb.1964:
	global_load_dwordx2 v[20:21], v[18:19], off
	s_mov_b64 s[6:7], 0
	s_waitcnt vmcnt(0)
	v_cvt_f32_f64_e32 v5, v[20:21]
	v_cvt_f16_f32_e32 v5, v5
	s_branch .LBB48_1969
.LBB48_1965:
	s_mov_b64 s[6:7], -1
                                        ; implicit-def: $vgpr5
	s_branch .LBB48_1987
.LBB48_1966:
	s_mov_b64 s[6:7], -1
                                        ; implicit-def: $vgpr5
	s_branch .LBB48_1975
.LBB48_1967:
	s_mov_b64 s[6:7], -1
                                        ; implicit-def: $vgpr5
	s_branch .LBB48_1972
.LBB48_1968:
	s_mov_b64 s[6:7], -1
                                        ; implicit-def: $vgpr5
.LBB48_1969:
	s_andn2_b64 vcc, exec, s[6:7]
	s_cbranch_vccnz .LBB48_1971
; %bb.1970:
	global_load_dword v5, v[18:19], off
	s_waitcnt vmcnt(0)
	v_cvt_f16_f32_e32 v5, v5
.LBB48_1971:
	s_mov_b64 s[6:7], 0
.LBB48_1972:
	s_andn2_b64 vcc, exec, s[6:7]
	s_cbranch_vccnz .LBB48_1974
; %bb.1973:
	global_load_dword v5, v[18:19], off
.LBB48_1974:
	s_mov_b64 s[6:7], 0
.LBB48_1975:
	s_andn2_b64 vcc, exec, s[6:7]
	s_cbranch_vccnz .LBB48_1986
; %bb.1976:
	s_waitcnt vmcnt(0)
	v_mov_b32_e32 v5, 6
	v_cmp_lt_i16_sdwa s[6:7], s25, v5 src0_sel:BYTE_0 src1_sel:DWORD
	s_and_b64 vcc, exec, s[6:7]
	s_cbranch_vccnz .LBB48_1979
; %bb.1977:
	v_cmp_gt_i16_sdwa s[6:7], s25, v5 src0_sel:BYTE_0 src1_sel:DWORD
	s_and_b64 vcc, exec, s[6:7]
	s_cbranch_vccz .LBB48_1980
; %bb.1978:
	global_load_dwordx2 v[20:21], v[18:19], off
	s_mov_b64 s[6:7], 0
	s_waitcnt vmcnt(0)
	v_cvt_f32_f64_e32 v5, v[20:21]
	v_cvt_f16_f32_e32 v5, v5
	s_branch .LBB48_1981
.LBB48_1979:
	s_mov_b64 s[6:7], -1
                                        ; implicit-def: $vgpr5
	s_branch .LBB48_1984
.LBB48_1980:
	s_mov_b64 s[6:7], -1
                                        ; implicit-def: $vgpr5
.LBB48_1981:
	s_andn2_b64 vcc, exec, s[6:7]
	s_cbranch_vccnz .LBB48_1983
; %bb.1982:
	global_load_dword v5, v[18:19], off
	s_waitcnt vmcnt(0)
	v_cvt_f16_f32_e32 v5, v5
.LBB48_1983:
	s_mov_b64 s[6:7], 0
.LBB48_1984:
	s_andn2_b64 vcc, exec, s[6:7]
	s_cbranch_vccnz .LBB48_1986
; %bb.1985:
	global_load_ushort v5, v[18:19], off
.LBB48_1986:
	s_mov_b64 s[6:7], 0
.LBB48_1987:
	s_andn2_b64 vcc, exec, s[6:7]
	s_cbranch_vccnz .LBB48_2007
; %bb.1988:
	s_waitcnt vmcnt(0)
	v_mov_b32_e32 v5, 2
	v_cmp_lt_i16_sdwa s[6:7], s25, v5 src0_sel:BYTE_0 src1_sel:DWORD
	s_and_b64 vcc, exec, s[6:7]
	s_cbranch_vccnz .LBB48_1992
; %bb.1989:
	v_mov_b32_e32 v5, 3
	v_cmp_lt_i16_sdwa s[6:7], s25, v5 src0_sel:BYTE_0 src1_sel:DWORD
	s_and_b64 vcc, exec, s[6:7]
	s_cbranch_vccnz .LBB48_1993
; %bb.1990:
	v_cmp_gt_i16_sdwa s[6:7], s25, v5 src0_sel:BYTE_0 src1_sel:DWORD
	s_and_b64 vcc, exec, s[6:7]
	s_cbranch_vccz .LBB48_1994
; %bb.1991:
	global_load_dwordx2 v[20:21], v[18:19], off
	s_mov_b64 s[6:7], 0
	s_waitcnt vmcnt(0)
	v_xor_b32_e32 v7, v20, v21
	v_ffbh_i32_e32 v5, v21
	v_ashrrev_i32_e32 v7, 31, v7
	v_add_u32_e32 v5, -1, v5
	v_add_u32_e32 v7, 32, v7
	v_min_u32_e32 v5, v5, v7
	v_lshlrev_b64 v[20:21], v5, v[20:21]
	v_min_u32_e32 v7, 1, v20
	v_or_b32_e32 v7, v21, v7
	v_cvt_f32_i32_e32 v7, v7
	v_sub_u32_e32 v5, 32, v5
	v_ldexp_f32 v5, v7, v5
	v_cvt_f16_f32_e32 v5, v5
	s_branch .LBB48_1995
.LBB48_1992:
	s_mov_b64 s[6:7], -1
                                        ; implicit-def: $vgpr5
	s_branch .LBB48_2001
.LBB48_1993:
	s_mov_b64 s[6:7], -1
                                        ; implicit-def: $vgpr5
	s_branch .LBB48_1998
.LBB48_1994:
	s_mov_b64 s[6:7], -1
                                        ; implicit-def: $vgpr5
.LBB48_1995:
	s_andn2_b64 vcc, exec, s[6:7]
	s_cbranch_vccnz .LBB48_1997
; %bb.1996:
	global_load_dword v5, v[18:19], off
	s_waitcnt vmcnt(0)
	v_cvt_f32_i32_e32 v5, v5
	v_cvt_f16_f32_e32 v5, v5
.LBB48_1997:
	s_mov_b64 s[6:7], 0
.LBB48_1998:
	s_andn2_b64 vcc, exec, s[6:7]
	s_cbranch_vccnz .LBB48_2000
; %bb.1999:
	global_load_ushort v5, v[18:19], off
	s_waitcnt vmcnt(0)
	v_cvt_f16_i16_e32 v5, v5
.LBB48_2000:
	s_mov_b64 s[6:7], 0
.LBB48_2001:
	s_andn2_b64 vcc, exec, s[6:7]
	s_cbranch_vccnz .LBB48_2007
; %bb.2002:
	v_mov_b32_e32 v5, 0
	v_cmp_gt_i16_sdwa s[6:7], s25, v5 src0_sel:BYTE_0 src1_sel:DWORD
	s_and_b64 vcc, exec, s[6:7]
	s_cbranch_vccz .LBB48_2004
; %bb.2003:
	global_load_sbyte v5, v[18:19], off
	s_mov_b64 s[6:7], 0
	s_waitcnt vmcnt(0)
	v_cvt_f16_i16_e32 v5, v5
	s_branch .LBB48_2005
.LBB48_2004:
	s_mov_b64 s[6:7], -1
                                        ; implicit-def: $vgpr5
.LBB48_2005:
	s_andn2_b64 vcc, exec, s[6:7]
	s_cbranch_vccnz .LBB48_2007
; %bb.2006:
	global_load_ubyte v5, v[18:19], off
	s_waitcnt vmcnt(0)
	v_cvt_f16_u16_e32 v5, v5
.LBB48_2007:
.LBB48_2008:
	v_mov_b32_e32 v7, s1
	v_add_co_u32_e32 v16, vcc, s0, v16
	v_addc_co_u32_e32 v17, vcc, 0, v7, vcc
	s_and_b64 vcc, exec, s[2:3]
	s_cbranch_vccnz .LBB48_2015
; %bb.2009:
	v_cmp_gt_i16_e64 s[6:7], s26, 25
	s_mov_b64 s[16:17], 0
	s_and_b64 vcc, exec, s[6:7]
	s_cbranch_vccz .LBB48_2016
; %bb.2010:
	v_cmp_gt_i16_e64 s[6:7], s26, 28
	s_and_b64 vcc, exec, s[6:7]
	s_cbranch_vccz .LBB48_2017
; %bb.2011:
	v_cmp_gt_i16_e64 s[6:7], s26, 43
	;; [unrolled: 4-line block ×3, first 2 shown]
	s_and_b64 vcc, exec, s[6:7]
	s_cbranch_vccz .LBB48_2020
; %bb.2013:
	v_cmp_eq_u16_e64 s[6:7], s26, 46
	s_mov_b64 s[20:21], 0
	s_and_b64 vcc, exec, s[6:7]
	s_cbranch_vccz .LBB48_2021
; %bb.2014:
	global_load_dword v7, v[16:17], off
	s_mov_b64 s[6:7], 0
	s_mov_b64 s[18:19], -1
	s_waitcnt vmcnt(0)
	v_lshlrev_b32_e32 v7, 16, v7
	v_cvt_f16_f32_e32 v18, v7
	s_branch .LBB48_2022
.LBB48_2015:
	s_mov_b64 s[6:7], -1
	s_mov_b64 s[18:19], 0
                                        ; implicit-def: $vgpr18
	s_branch .LBB48_2088
.LBB48_2016:
	s_mov_b64 s[20:21], -1
	s_mov_b64 s[18:19], 0
	s_mov_b64 s[6:7], 0
                                        ; implicit-def: $vgpr18
	s_branch .LBB48_2051
.LBB48_2017:
	s_mov_b64 s[20:21], -1
	s_mov_b64 s[18:19], 0
	s_mov_b64 s[6:7], 0
                                        ; implicit-def: $vgpr18
	s_branch .LBB48_2032
.LBB48_2018:
	s_mov_b64 s[20:21], -1
	s_mov_b64 s[18:19], 0
	s_mov_b64 s[6:7], 0
                                        ; implicit-def: $vgpr18
	s_branch .LBB48_2027
.LBB48_2019:
	s_trap 2
	s_or_b64 s[4:5], s[4:5], exec
                                        ; implicit-def: $vgpr5
	s_cbranch_execz .LBB48_1958
	s_branch .LBB48_1959
.LBB48_2020:
	s_mov_b64 s[20:21], -1
	s_mov_b64 s[18:19], 0
	s_mov_b64 s[6:7], 0
                                        ; implicit-def: $vgpr18
	s_branch .LBB48_2022
.LBB48_2021:
	s_mov_b64 s[6:7], -1
                                        ; implicit-def: $vgpr18
	s_mov_b64 s[18:19], 0
.LBB48_2022:
	s_and_b64 vcc, exec, s[20:21]
	s_cbranch_vccz .LBB48_2026
; %bb.2023:
	v_cmp_eq_u16_e64 s[6:7], s26, 44
	s_and_b64 vcc, exec, s[6:7]
	s_cbranch_vccz .LBB48_2025
; %bb.2024:
	global_load_ubyte v7, v[16:17], off
	s_movk_i32 s18, 0xff
	v_mov_b32_e32 v11, 0x7e00
	s_mov_b64 s[6:7], 0
	s_waitcnt vmcnt(0)
	v_lshlrev_b32_e32 v9, 23, v7
	v_cvt_f16_f32_e32 v9, v9
	v_cmp_ne_u32_e32 vcc, s18, v7
	s_mov_b64 s[18:19], -1
	v_cndmask_b32_e32 v9, v11, v9, vcc
	v_cmp_ne_u32_e32 vcc, 0, v7
	v_cndmask_b32_e32 v18, 0, v9, vcc
	s_branch .LBB48_2026
.LBB48_2025:
	s_mov_b64 s[6:7], -1
                                        ; implicit-def: $vgpr18
.LBB48_2026:
	s_mov_b64 s[20:21], 0
.LBB48_2027:
	s_and_b64 vcc, exec, s[20:21]
	s_cbranch_vccz .LBB48_2031
; %bb.2028:
	v_cmp_eq_u16_e64 s[6:7], s26, 29
	s_and_b64 vcc, exec, s[6:7]
	s_cbranch_vccz .LBB48_2030
; %bb.2029:
	global_load_dwordx2 v[18:19], v[16:17], off
	s_mov_b64 s[6:7], 0
	s_mov_b64 s[18:19], -1
	s_mov_b64 s[20:21], 0
	s_waitcnt vmcnt(0)
	v_ffbh_u32_e32 v7, v19
	v_min_u32_e32 v7, 32, v7
	v_lshlrev_b64 v[18:19], v7, v[18:19]
	v_min_u32_e32 v9, 1, v18
	v_or_b32_e32 v9, v19, v9
	v_cvt_f32_u32_e32 v9, v9
	v_sub_u32_e32 v7, 32, v7
	v_ldexp_f32 v7, v9, v7
	v_cvt_f16_f32_e32 v18, v7
	s_branch .LBB48_2032
.LBB48_2030:
	s_mov_b64 s[6:7], -1
                                        ; implicit-def: $vgpr18
.LBB48_2031:
	s_mov_b64 s[20:21], 0
.LBB48_2032:
	s_and_b64 vcc, exec, s[20:21]
	s_cbranch_vccz .LBB48_2050
; %bb.2033:
	v_cmp_lt_i16_e64 s[18:19], s26, 27
	s_and_b64 vcc, exec, s[18:19]
	s_cbranch_vccnz .LBB48_2036
; %bb.2034:
	v_cmp_gt_i16_e64 s[18:19], s26, 27
	s_and_b64 vcc, exec, s[18:19]
	s_cbranch_vccz .LBB48_2037
; %bb.2035:
	global_load_dword v7, v[16:17], off
	s_mov_b64 s[18:19], 0
	s_waitcnt vmcnt(0)
	v_cvt_f32_u32_e32 v7, v7
	v_cvt_f16_f32_e32 v18, v7
	s_branch .LBB48_2038
.LBB48_2036:
	s_mov_b64 s[18:19], -1
                                        ; implicit-def: $vgpr18
	s_branch .LBB48_2041
.LBB48_2037:
	s_mov_b64 s[18:19], -1
                                        ; implicit-def: $vgpr18
.LBB48_2038:
	s_andn2_b64 vcc, exec, s[18:19]
	s_cbranch_vccnz .LBB48_2040
; %bb.2039:
	global_load_ushort v7, v[16:17], off
	s_waitcnt vmcnt(0)
	v_cvt_f16_u16_e32 v18, v7
.LBB48_2040:
	s_mov_b64 s[18:19], 0
.LBB48_2041:
	s_andn2_b64 vcc, exec, s[18:19]
	s_cbranch_vccnz .LBB48_2049
; %bb.2042:
	global_load_ubyte v7, v[16:17], off
	s_movk_i32 s18, 0x7f
                                        ; implicit-def: $sgpr27
	s_waitcnt vmcnt(0)
	v_cmp_lt_i16_e32 vcc, s18, v7
	s_mov_b64 s[18:19], 0
	s_and_saveexec_b64 s[20:21], vcc
	s_xor_b64 s[20:21], exec, s[20:21]
	s_cbranch_execz .LBB48_2063
; %bb.2043:
	s_movk_i32 s18, 0x80
	v_cmp_eq_u16_e32 vcc, s18, v7
	s_mov_b64 s[18:19], -1
                                        ; implicit-def: $sgpr27
	s_and_saveexec_b64 s[22:23], vcc
; %bb.2044:
	s_movk_i32 s27, 0x7e00
	s_xor_b64 s[18:19], exec, -1
; %bb.2045:
	s_or_b64 exec, exec, s[22:23]
	s_and_b64 s[18:19], s[18:19], exec
	s_or_saveexec_b64 s[20:21], s[20:21]
	v_mov_b32_e32 v18, s27
	s_xor_b64 exec, exec, s[20:21]
	s_cbranch_execnz .LBB48_2064
.LBB48_2046:
	s_or_b64 exec, exec, s[20:21]
	s_and_saveexec_b64 s[20:21], s[18:19]
	s_cbranch_execz .LBB48_2048
.LBB48_2047:
	v_lshlrev_b32_e32 v9, 24, v7
	v_and_b32_e32 v7, 0xffff, v7
	v_and_b32_e32 v11, 7, v7
	v_ffbh_u32_e32 v15, v11
	v_min_u32_e32 v15, 32, v15
	v_subrev_u32_e32 v18, 28, v15
	v_bfe_u32 v13, v7, 3, 4
	v_lshlrev_b32_e32 v7, v18, v7
	v_sub_u32_e32 v15, 29, v15
	v_and_b32_e32 v7, 7, v7
	v_cmp_eq_u32_e32 vcc, 0, v13
	v_cndmask_b32_e32 v13, v13, v15, vcc
	v_cndmask_b32_e32 v7, v11, v7, vcc
	v_mov_b32_e32 v11, 0x3b800000
	v_lshlrev_b32_e32 v7, 20, v7
	v_and_b32_e32 v9, 0x80000000, v9
	v_lshl_add_u32 v11, v13, 23, v11
	v_or3_b32 v7, v9, v11, v7
	v_cvt_f16_f32_e32 v18, v7
.LBB48_2048:
	s_or_b64 exec, exec, s[20:21]
.LBB48_2049:
	s_mov_b64 s[18:19], -1
.LBB48_2050:
	s_mov_b64 s[20:21], 0
.LBB48_2051:
	s_and_b64 vcc, exec, s[20:21]
	s_cbranch_vccz .LBB48_2084
; %bb.2052:
	v_cmp_gt_i16_e64 s[16:17], s26, 22
	s_and_b64 vcc, exec, s[16:17]
	s_cbranch_vccz .LBB48_2062
; %bb.2053:
	v_cmp_lt_i16_e64 s[16:17], s26, 24
	s_and_b64 vcc, exec, s[16:17]
	s_cbranch_vccnz .LBB48_2065
; %bb.2054:
	v_cmp_gt_i16_e64 s[16:17], s26, 24
	s_and_b64 vcc, exec, s[16:17]
	s_cbranch_vccz .LBB48_2066
; %bb.2055:
	global_load_ubyte v7, v[16:17], off
	s_movk_i32 s16, 0x7f
                                        ; implicit-def: $sgpr22
	s_waitcnt vmcnt(0)
	v_cmp_lt_i16_e32 vcc, s16, v7
	s_mov_b64 s[16:17], 0
	s_and_saveexec_b64 s[18:19], vcc
	s_xor_b64 s[18:19], exec, s[18:19]
	s_cbranch_execz .LBB48_2078
; %bb.2056:
	s_movk_i32 s16, 0x80
	v_cmp_eq_u16_e32 vcc, s16, v7
	s_mov_b64 s[16:17], -1
                                        ; implicit-def: $sgpr22
	s_and_saveexec_b64 s[20:21], vcc
; %bb.2057:
	s_movk_i32 s22, 0x7e00
	s_xor_b64 s[16:17], exec, -1
; %bb.2058:
	s_or_b64 exec, exec, s[20:21]
	s_and_b64 s[16:17], s[16:17], exec
	s_or_saveexec_b64 s[18:19], s[18:19]
	v_mov_b32_e32 v18, s22
	s_xor_b64 exec, exec, s[18:19]
	s_cbranch_execnz .LBB48_2079
.LBB48_2059:
	s_or_b64 exec, exec, s[18:19]
	s_and_saveexec_b64 s[18:19], s[16:17]
	s_cbranch_execz .LBB48_2061
.LBB48_2060:
	v_lshlrev_b32_e32 v9, 24, v7
	v_and_b32_e32 v7, 0xffff, v7
	v_and_b32_e32 v11, 3, v7
	v_ffbh_u32_e32 v15, v11
	v_min_u32_e32 v15, 32, v15
	v_subrev_u32_e32 v18, 29, v15
	v_bfe_u32 v13, v7, 2, 5
	v_lshlrev_b32_e32 v7, v18, v7
	v_sub_u32_e32 v15, 30, v15
	v_and_b32_e32 v7, 3, v7
	v_cmp_eq_u32_e32 vcc, 0, v13
	v_cndmask_b32_e32 v13, v13, v15, vcc
	v_cndmask_b32_e32 v7, v11, v7, vcc
	v_mov_b32_e32 v11, 0x37800000
	v_lshlrev_b32_e32 v7, 21, v7
	v_and_b32_e32 v9, 0x80000000, v9
	v_lshl_add_u32 v11, v13, 23, v11
	v_or3_b32 v7, v9, v11, v7
	v_cvt_f16_f32_e32 v18, v7
.LBB48_2061:
	s_or_b64 exec, exec, s[18:19]
	s_mov_b64 s[16:17], 0
	s_branch .LBB48_2067
.LBB48_2062:
	s_mov_b64 s[16:17], -1
                                        ; implicit-def: $vgpr18
	s_branch .LBB48_2073
.LBB48_2063:
	s_or_saveexec_b64 s[20:21], s[20:21]
	v_mov_b32_e32 v18, s27
	s_xor_b64 exec, exec, s[20:21]
	s_cbranch_execz .LBB48_2046
.LBB48_2064:
	v_cmp_ne_u16_e32 vcc, 0, v7
	s_andn2_b64 s[18:19], s[18:19], exec
	s_and_b64 s[22:23], vcc, exec
	s_or_b64 s[18:19], s[18:19], s[22:23]
	v_mov_b32_e32 v18, v7
	s_or_b64 exec, exec, s[20:21]
	s_and_saveexec_b64 s[20:21], s[18:19]
	s_cbranch_execnz .LBB48_2047
	s_branch .LBB48_2048
.LBB48_2065:
	s_mov_b64 s[16:17], -1
                                        ; implicit-def: $vgpr18
	s_branch .LBB48_2070
.LBB48_2066:
	s_mov_b64 s[16:17], -1
                                        ; implicit-def: $vgpr18
.LBB48_2067:
	s_and_b64 vcc, exec, s[16:17]
	s_cbranch_vccz .LBB48_2069
; %bb.2068:
	global_load_ubyte v7, v[16:17], off
	s_mov_b32 s16, 0x7f800000
	s_waitcnt vmcnt(0)
	v_lshlrev_b32_e32 v7, 24, v7
	v_and_b32_e32 v9, 0x7f000000, v7
	v_ffbh_u32_e32 v11, v9
	v_min_u32_e32 v11, 32, v11
	v_sub_u32_e64 v11, v11, 4 clamp
	v_lshlrev_b32_e32 v15, v11, v9
	v_lshlrev_b32_e32 v11, 23, v11
	v_lshrrev_b32_e32 v15, 4, v15
	v_add_u32_e32 v13, 0x1000000, v9
	v_sub_u32_e32 v11, v15, v11
	v_ashrrev_i32_e32 v13, 8, v13
	v_add_u32_e32 v11, 0x3c000000, v11
	v_and_or_b32 v11, v13, s16, v11
	v_cmp_ne_u32_e32 vcc, 0, v9
	v_cndmask_b32_e32 v9, 0, v11, vcc
	s_brev_b32 s16, 1
	v_and_or_b32 v7, v7, s16, v9
	v_cvt_f16_f32_e32 v18, v7
.LBB48_2069:
	s_mov_b64 s[16:17], 0
.LBB48_2070:
	s_andn2_b64 vcc, exec, s[16:17]
	s_cbranch_vccnz .LBB48_2072
; %bb.2071:
	global_load_ubyte v7, v[16:17], off
	s_movk_i32 s16, 0x7f00
	s_brev_b32 s17, 16
	s_waitcnt vmcnt(0)
	v_lshlrev_b16_e32 v9, 8, v7
	v_lshlrev_b32_e32 v7, 25, v7
	v_lshrrev_b32_e32 v11, 4, v7
	v_and_or_b32 v13, v9, s16, 0.5
	v_or_b32_e32 v11, 0x70000000, v11
	v_add_f32_e32 v13, -0.5, v13
	v_mul_f32_e32 v11, 0x7800000, v11
	v_cmp_gt_u32_e32 vcc, s17, v7
	v_bfe_i32 v9, v9, 0, 16
	v_cndmask_b32_e32 v7, v11, v13, vcc
	s_brev_b32 s16, 1
	v_and_or_b32 v7, v9, s16, v7
	v_cvt_f16_f32_e32 v18, v7
.LBB48_2072:
	s_mov_b64 s[16:17], 0
	s_mov_b64 s[18:19], -1
.LBB48_2073:
	s_andn2_b64 vcc, exec, s[16:17]
	s_mov_b64 s[16:17], 0
	s_cbranch_vccnz .LBB48_2084
; %bb.2074:
	v_cmp_gt_i16_e64 s[16:17], s26, 14
	s_and_b64 vcc, exec, s[16:17]
	s_cbranch_vccz .LBB48_2077
; %bb.2075:
	v_cmp_eq_u16_e64 s[6:7], s26, 15
	s_and_b64 vcc, exec, s[6:7]
	s_cbranch_vccz .LBB48_2080
; %bb.2076:
	global_load_ushort v7, v[16:17], off
	s_mov_b64 s[6:7], 0
	s_mov_b64 s[18:19], -1
	s_waitcnt vmcnt(0)
	v_lshlrev_b32_e32 v7, 16, v7
	v_cvt_f16_f32_e32 v18, v7
	s_branch .LBB48_2081
.LBB48_2077:
	s_mov_b64 s[20:21], -1
                                        ; implicit-def: $vgpr18
	s_branch .LBB48_2082
.LBB48_2078:
	s_or_saveexec_b64 s[18:19], s[18:19]
	v_mov_b32_e32 v18, s22
	s_xor_b64 exec, exec, s[18:19]
	s_cbranch_execz .LBB48_2059
.LBB48_2079:
	v_cmp_ne_u16_e32 vcc, 0, v7
	s_andn2_b64 s[16:17], s[16:17], exec
	s_and_b64 s[20:21], vcc, exec
	s_or_b64 s[16:17], s[16:17], s[20:21]
	v_mov_b32_e32 v18, v7
	s_or_b64 exec, exec, s[18:19]
	s_and_saveexec_b64 s[18:19], s[16:17]
	s_cbranch_execnz .LBB48_2060
	s_branch .LBB48_2061
.LBB48_2080:
	s_mov_b64 s[6:7], -1
                                        ; implicit-def: $vgpr18
.LBB48_2081:
	s_mov_b64 s[20:21], 0
.LBB48_2082:
	s_mov_b64 s[16:17], 0
	s_and_b64 vcc, exec, s[20:21]
	s_cbranch_vccz .LBB48_2084
; %bb.2083:
	v_cmp_ne_u16_e64 s[6:7], s26, 11
	s_mov_b64 s[16:17], -1
                                        ; implicit-def: $vgpr18
.LBB48_2084:
	s_and_b64 vcc, exec, s[6:7]
	s_cbranch_vccnz .LBB48_2149
; %bb.2085:
	s_andn2_b64 vcc, exec, s[16:17]
	s_cbranch_vccnz .LBB48_2087
.LBB48_2086:
	global_load_ubyte v7, v[16:17], off
	v_mov_b32_e32 v9, 0x3c00
	s_mov_b64 s[18:19], -1
	s_waitcnt vmcnt(0)
	v_cmp_ne_u16_e32 vcc, 0, v7
	v_cndmask_b32_e32 v18, 0, v9, vcc
.LBB48_2087:
	s_mov_b64 s[6:7], 0
.LBB48_2088:
	s_and_b64 vcc, exec, s[6:7]
	s_cbranch_vccz .LBB48_2137
; %bb.2089:
	v_cmp_lt_i16_e64 s[6:7], s26, 5
	s_and_b64 vcc, exec, s[6:7]
	s_cbranch_vccnz .LBB48_2094
; %bb.2090:
	v_cmp_lt_i16_e64 s[6:7], s26, 8
	s_and_b64 vcc, exec, s[6:7]
	s_cbranch_vccnz .LBB48_2095
; %bb.2091:
	v_cmp_lt_i16_e64 s[6:7], s26, 9
	s_and_b64 vcc, exec, s[6:7]
	s_cbranch_vccnz .LBB48_2096
; %bb.2092:
	v_cmp_gt_i16_e64 s[6:7], s26, 9
	s_and_b64 vcc, exec, s[6:7]
	s_cbranch_vccz .LBB48_2097
; %bb.2093:
	global_load_dwordx2 v[18:19], v[16:17], off
	s_mov_b64 s[6:7], 0
	s_waitcnt vmcnt(0)
	v_cvt_f32_f64_e32 v7, v[18:19]
	v_cvt_f16_f32_e32 v18, v7
	s_branch .LBB48_2098
.LBB48_2094:
	s_mov_b64 s[6:7], -1
                                        ; implicit-def: $vgpr18
	s_branch .LBB48_2116
.LBB48_2095:
	s_mov_b64 s[6:7], -1
                                        ; implicit-def: $vgpr18
	s_branch .LBB48_2104
.LBB48_2096:
	s_mov_b64 s[6:7], -1
                                        ; implicit-def: $vgpr18
	s_branch .LBB48_2101
.LBB48_2097:
	s_mov_b64 s[6:7], -1
                                        ; implicit-def: $vgpr18
.LBB48_2098:
	s_andn2_b64 vcc, exec, s[6:7]
	s_cbranch_vccnz .LBB48_2100
; %bb.2099:
	global_load_dword v7, v[16:17], off
	s_waitcnt vmcnt(0)
	v_cvt_f16_f32_e32 v18, v7
.LBB48_2100:
	s_mov_b64 s[6:7], 0
.LBB48_2101:
	s_andn2_b64 vcc, exec, s[6:7]
	s_cbranch_vccnz .LBB48_2103
; %bb.2102:
	global_load_dword v18, v[16:17], off
.LBB48_2103:
	s_mov_b64 s[6:7], 0
.LBB48_2104:
	s_andn2_b64 vcc, exec, s[6:7]
	s_cbranch_vccnz .LBB48_2115
; %bb.2105:
	v_cmp_lt_i16_e64 s[6:7], s26, 6
	s_and_b64 vcc, exec, s[6:7]
	s_cbranch_vccnz .LBB48_2108
; %bb.2106:
	v_cmp_gt_i16_e64 s[6:7], s26, 6
	s_and_b64 vcc, exec, s[6:7]
	s_cbranch_vccz .LBB48_2109
; %bb.2107:
	global_load_dwordx2 v[18:19], v[16:17], off
	s_mov_b64 s[6:7], 0
	s_waitcnt vmcnt(0)
	v_cvt_f32_f64_e32 v7, v[18:19]
	v_cvt_f16_f32_e32 v18, v7
	s_branch .LBB48_2110
.LBB48_2108:
	s_mov_b64 s[6:7], -1
                                        ; implicit-def: $vgpr18
	s_branch .LBB48_2113
.LBB48_2109:
	s_mov_b64 s[6:7], -1
                                        ; implicit-def: $vgpr18
.LBB48_2110:
	s_andn2_b64 vcc, exec, s[6:7]
	s_cbranch_vccnz .LBB48_2112
; %bb.2111:
	global_load_dword v7, v[16:17], off
	s_waitcnt vmcnt(0)
	v_cvt_f16_f32_e32 v18, v7
.LBB48_2112:
	s_mov_b64 s[6:7], 0
.LBB48_2113:
	s_andn2_b64 vcc, exec, s[6:7]
	s_cbranch_vccnz .LBB48_2115
; %bb.2114:
	global_load_ushort v18, v[16:17], off
.LBB48_2115:
	s_mov_b64 s[6:7], 0
.LBB48_2116:
	s_andn2_b64 vcc, exec, s[6:7]
	s_cbranch_vccnz .LBB48_2136
; %bb.2117:
	v_cmp_lt_i16_e64 s[6:7], s26, 2
	s_and_b64 vcc, exec, s[6:7]
	s_cbranch_vccnz .LBB48_2121
; %bb.2118:
	v_cmp_lt_i16_e64 s[6:7], s26, 3
	s_and_b64 vcc, exec, s[6:7]
	s_cbranch_vccnz .LBB48_2122
; %bb.2119:
	v_cmp_gt_i16_e64 s[6:7], s26, 3
	s_and_b64 vcc, exec, s[6:7]
	s_cbranch_vccz .LBB48_2123
; %bb.2120:
	global_load_dwordx2 v[18:19], v[16:17], off
	s_mov_b64 s[6:7], 0
	s_waitcnt vmcnt(0)
	v_xor_b32_e32 v9, v18, v19
	v_ffbh_i32_e32 v7, v19
	v_ashrrev_i32_e32 v9, 31, v9
	v_add_u32_e32 v7, -1, v7
	v_add_u32_e32 v9, 32, v9
	v_min_u32_e32 v7, v7, v9
	v_lshlrev_b64 v[18:19], v7, v[18:19]
	v_min_u32_e32 v9, 1, v18
	v_or_b32_e32 v9, v19, v9
	v_cvt_f32_i32_e32 v9, v9
	v_sub_u32_e32 v7, 32, v7
	v_ldexp_f32 v7, v9, v7
	v_cvt_f16_f32_e32 v18, v7
	s_branch .LBB48_2124
.LBB48_2121:
	s_mov_b64 s[6:7], -1
                                        ; implicit-def: $vgpr18
	s_branch .LBB48_2130
.LBB48_2122:
	s_mov_b64 s[6:7], -1
                                        ; implicit-def: $vgpr18
	s_branch .LBB48_2127
.LBB48_2123:
	s_mov_b64 s[6:7], -1
                                        ; implicit-def: $vgpr18
.LBB48_2124:
	s_andn2_b64 vcc, exec, s[6:7]
	s_cbranch_vccnz .LBB48_2126
; %bb.2125:
	global_load_dword v7, v[16:17], off
	s_waitcnt vmcnt(0)
	v_cvt_f32_i32_e32 v7, v7
	v_cvt_f16_f32_e32 v18, v7
.LBB48_2126:
	s_mov_b64 s[6:7], 0
.LBB48_2127:
	s_andn2_b64 vcc, exec, s[6:7]
	s_cbranch_vccnz .LBB48_2129
; %bb.2128:
	global_load_ushort v7, v[16:17], off
	s_waitcnt vmcnt(0)
	v_cvt_f16_i16_e32 v18, v7
.LBB48_2129:
	s_mov_b64 s[6:7], 0
.LBB48_2130:
	s_andn2_b64 vcc, exec, s[6:7]
	s_cbranch_vccnz .LBB48_2136
; %bb.2131:
	v_cmp_gt_i16_e64 s[6:7], s26, 0
	s_and_b64 vcc, exec, s[6:7]
	s_cbranch_vccz .LBB48_2133
; %bb.2132:
	global_load_sbyte v7, v[16:17], off
	s_mov_b64 s[6:7], 0
	s_waitcnt vmcnt(0)
	v_cvt_f16_i16_e32 v18, v7
	s_branch .LBB48_2134
.LBB48_2133:
	s_mov_b64 s[6:7], -1
                                        ; implicit-def: $vgpr18
.LBB48_2134:
	s_andn2_b64 vcc, exec, s[6:7]
	s_cbranch_vccnz .LBB48_2136
; %bb.2135:
	global_load_ubyte v7, v[16:17], off
	s_waitcnt vmcnt(0)
	v_cvt_f16_u16_e32 v18, v7
.LBB48_2136:
	s_mov_b64 s[18:19], -1
.LBB48_2137:
	s_andn2_b64 vcc, exec, s[18:19]
	s_cbranch_vccnz .LBB48_3113
; %bb.2138:
	v_mov_b32_e32 v7, s11
	v_add_co_u32_e32 v14, vcc, s10, v14
	v_addc_co_u32_e32 v15, vcc, 0, v7, vcc
	v_mov_b32_e32 v7, 11
	v_cmp_lt_i16_sdwa s[6:7], s25, v7 src0_sel:BYTE_0 src1_sel:DWORD
	s_and_b64 vcc, exec, s[6:7]
	s_cbranch_vccnz .LBB48_2145
; %bb.2139:
	v_mov_b32_e32 v7, 25
	v_cmp_gt_i16_sdwa s[6:7], s25, v7 src0_sel:BYTE_0 src1_sel:DWORD
	s_mov_b64 s[16:17], 0
	s_and_b64 vcc, exec, s[6:7]
	s_cbranch_vccz .LBB48_2146
; %bb.2140:
	v_mov_b32_e32 v7, 28
	v_cmp_gt_i16_sdwa s[6:7], s25, v7 src0_sel:BYTE_0 src1_sel:DWORD
	s_and_b64 vcc, exec, s[6:7]
	s_cbranch_vccz .LBB48_2147
; %bb.2141:
	v_mov_b32_e32 v7, 43
	v_cmp_gt_i16_sdwa s[6:7], s25, v7 src0_sel:BYTE_0 src1_sel:DWORD
	s_and_b64 vcc, exec, s[6:7]
	s_cbranch_vccz .LBB48_2148
; %bb.2142:
	v_mov_b32_e32 v7, 45
	v_cmp_gt_i16_sdwa s[6:7], s25, v7 src0_sel:BYTE_0 src1_sel:DWORD
	s_and_b64 vcc, exec, s[6:7]
	s_cbranch_vccz .LBB48_2150
; %bb.2143:
	v_mov_b32_e32 v7, 46
	v_cmp_eq_u16_sdwa s[6:7], s25, v7 src0_sel:BYTE_0 src1_sel:DWORD
	s_mov_b64 s[20:21], 0
	s_and_b64 vcc, exec, s[6:7]
	s_cbranch_vccz .LBB48_2151
; %bb.2144:
	global_load_dword v7, v[14:15], off
	s_mov_b64 s[6:7], 0
	s_mov_b64 s[18:19], -1
	s_waitcnt vmcnt(0)
	v_lshlrev_b32_e32 v7, 16, v7
	v_cvt_f16_f32_e32 v16, v7
	s_branch .LBB48_2152
.LBB48_2145:
	s_mov_b64 s[6:7], -1
	s_mov_b64 s[18:19], 0
                                        ; implicit-def: $vgpr16
	s_branch .LBB48_2218
.LBB48_2146:
	s_mov_b64 s[20:21], -1
	s_mov_b64 s[18:19], 0
	s_mov_b64 s[6:7], 0
                                        ; implicit-def: $vgpr16
	s_branch .LBB48_2181
.LBB48_2147:
	s_mov_b64 s[20:21], -1
	s_mov_b64 s[18:19], 0
	s_mov_b64 s[6:7], 0
                                        ; implicit-def: $vgpr16
	s_branch .LBB48_2162
.LBB48_2148:
	s_mov_b64 s[20:21], -1
	s_mov_b64 s[18:19], 0
	s_mov_b64 s[6:7], 0
                                        ; implicit-def: $vgpr16
	s_branch .LBB48_2157
.LBB48_2149:
	s_trap 2
	s_or_b64 s[4:5], s[4:5], exec
                                        ; implicit-def: $vgpr18
	s_cbranch_execz .LBB48_2086
	s_branch .LBB48_2087
.LBB48_2150:
	s_mov_b64 s[20:21], -1
	s_mov_b64 s[18:19], 0
	s_mov_b64 s[6:7], 0
                                        ; implicit-def: $vgpr16
	s_branch .LBB48_2152
.LBB48_2151:
	s_mov_b64 s[6:7], -1
                                        ; implicit-def: $vgpr16
	s_mov_b64 s[18:19], 0
.LBB48_2152:
	s_and_b64 vcc, exec, s[20:21]
	s_cbranch_vccz .LBB48_2156
; %bb.2153:
	v_mov_b32_e32 v7, 44
	v_cmp_eq_u16_sdwa s[6:7], s25, v7 src0_sel:BYTE_0 src1_sel:DWORD
	s_and_b64 vcc, exec, s[6:7]
	s_cbranch_vccz .LBB48_2155
; %bb.2154:
	global_load_ubyte v7, v[14:15], off
	s_movk_i32 s18, 0xff
	v_mov_b32_e32 v11, 0x7e00
	s_mov_b64 s[6:7], 0
	s_waitcnt vmcnt(0)
	v_lshlrev_b32_e32 v9, 23, v7
	v_cvt_f16_f32_e32 v9, v9
	v_cmp_ne_u32_e32 vcc, s18, v7
	s_mov_b64 s[18:19], -1
	v_cndmask_b32_e32 v9, v11, v9, vcc
	v_cmp_ne_u32_e32 vcc, 0, v7
	v_cndmask_b32_e32 v16, 0, v9, vcc
	s_branch .LBB48_2156
.LBB48_2155:
	s_mov_b64 s[6:7], -1
                                        ; implicit-def: $vgpr16
.LBB48_2156:
	s_mov_b64 s[20:21], 0
.LBB48_2157:
	s_and_b64 vcc, exec, s[20:21]
	s_cbranch_vccz .LBB48_2161
; %bb.2158:
	v_mov_b32_e32 v7, 29
	v_cmp_eq_u16_sdwa s[6:7], s25, v7 src0_sel:BYTE_0 src1_sel:DWORD
	s_and_b64 vcc, exec, s[6:7]
	s_cbranch_vccz .LBB48_2160
; %bb.2159:
	global_load_dwordx2 v[16:17], v[14:15], off
	s_mov_b64 s[6:7], 0
	s_mov_b64 s[18:19], -1
	s_mov_b64 s[20:21], 0
	s_waitcnt vmcnt(0)
	v_ffbh_u32_e32 v7, v17
	v_min_u32_e32 v7, 32, v7
	v_lshlrev_b64 v[16:17], v7, v[16:17]
	v_min_u32_e32 v9, 1, v16
	v_or_b32_e32 v9, v17, v9
	v_cvt_f32_u32_e32 v9, v9
	v_sub_u32_e32 v7, 32, v7
	v_ldexp_f32 v7, v9, v7
	v_cvt_f16_f32_e32 v16, v7
	s_branch .LBB48_2162
.LBB48_2160:
	s_mov_b64 s[6:7], -1
                                        ; implicit-def: $vgpr16
.LBB48_2161:
	s_mov_b64 s[20:21], 0
.LBB48_2162:
	s_and_b64 vcc, exec, s[20:21]
	s_cbranch_vccz .LBB48_2180
; %bb.2163:
	v_mov_b32_e32 v7, 27
	v_cmp_lt_i16_sdwa s[18:19], s25, v7 src0_sel:BYTE_0 src1_sel:DWORD
	s_and_b64 vcc, exec, s[18:19]
	s_cbranch_vccnz .LBB48_2166
; %bb.2164:
	v_cmp_gt_i16_sdwa s[18:19], s25, v7 src0_sel:BYTE_0 src1_sel:DWORD
	s_and_b64 vcc, exec, s[18:19]
	s_cbranch_vccz .LBB48_2167
; %bb.2165:
	global_load_dword v7, v[14:15], off
	s_mov_b64 s[18:19], 0
	s_waitcnt vmcnt(0)
	v_cvt_f32_u32_e32 v7, v7
	v_cvt_f16_f32_e32 v16, v7
	s_branch .LBB48_2168
.LBB48_2166:
	s_mov_b64 s[18:19], -1
                                        ; implicit-def: $vgpr16
	s_branch .LBB48_2171
.LBB48_2167:
	s_mov_b64 s[18:19], -1
                                        ; implicit-def: $vgpr16
.LBB48_2168:
	s_andn2_b64 vcc, exec, s[18:19]
	s_cbranch_vccnz .LBB48_2170
; %bb.2169:
	global_load_ushort v7, v[14:15], off
	s_waitcnt vmcnt(0)
	v_cvt_f16_u16_e32 v16, v7
.LBB48_2170:
	s_mov_b64 s[18:19], 0
.LBB48_2171:
	s_andn2_b64 vcc, exec, s[18:19]
	s_cbranch_vccnz .LBB48_2179
; %bb.2172:
	global_load_ubyte v7, v[14:15], off
	s_movk_i32 s18, 0x7f
                                        ; implicit-def: $sgpr27
	s_waitcnt vmcnt(0)
	v_cmp_lt_i16_e32 vcc, s18, v7
	s_mov_b64 s[18:19], 0
	s_and_saveexec_b64 s[20:21], vcc
	s_xor_b64 s[20:21], exec, s[20:21]
	s_cbranch_execz .LBB48_2193
; %bb.2173:
	s_movk_i32 s18, 0x80
	v_cmp_eq_u16_e32 vcc, s18, v7
	s_mov_b64 s[18:19], -1
                                        ; implicit-def: $sgpr27
	s_and_saveexec_b64 s[22:23], vcc
; %bb.2174:
	s_movk_i32 s27, 0x7e00
	s_xor_b64 s[18:19], exec, -1
; %bb.2175:
	s_or_b64 exec, exec, s[22:23]
	s_and_b64 s[18:19], s[18:19], exec
	s_or_saveexec_b64 s[20:21], s[20:21]
	v_mov_b32_e32 v16, s27
	s_xor_b64 exec, exec, s[20:21]
	s_cbranch_execnz .LBB48_2194
.LBB48_2176:
	s_or_b64 exec, exec, s[20:21]
	s_and_saveexec_b64 s[20:21], s[18:19]
	s_cbranch_execz .LBB48_2178
.LBB48_2177:
	v_lshlrev_b32_e32 v9, 24, v7
	v_and_b32_e32 v7, 0xffff, v7
	v_and_b32_e32 v11, 7, v7
	v_ffbh_u32_e32 v16, v11
	v_min_u32_e32 v16, 32, v16
	v_subrev_u32_e32 v17, 28, v16
	v_bfe_u32 v13, v7, 3, 4
	v_lshlrev_b32_e32 v7, v17, v7
	v_sub_u32_e32 v16, 29, v16
	v_and_b32_e32 v7, 7, v7
	v_cmp_eq_u32_e32 vcc, 0, v13
	v_cndmask_b32_e32 v13, v13, v16, vcc
	v_cndmask_b32_e32 v7, v11, v7, vcc
	v_mov_b32_e32 v11, 0x3b800000
	v_lshlrev_b32_e32 v7, 20, v7
	v_and_b32_e32 v9, 0x80000000, v9
	v_lshl_add_u32 v11, v13, 23, v11
	v_or3_b32 v7, v9, v11, v7
	v_cvt_f16_f32_e32 v16, v7
.LBB48_2178:
	s_or_b64 exec, exec, s[20:21]
.LBB48_2179:
	s_mov_b64 s[18:19], -1
.LBB48_2180:
	s_mov_b64 s[20:21], 0
.LBB48_2181:
	s_and_b64 vcc, exec, s[20:21]
	s_cbranch_vccz .LBB48_2214
; %bb.2182:
	v_mov_b32_e32 v7, 22
	v_cmp_gt_i16_sdwa s[16:17], s25, v7 src0_sel:BYTE_0 src1_sel:DWORD
	s_and_b64 vcc, exec, s[16:17]
	s_cbranch_vccz .LBB48_2192
; %bb.2183:
	v_mov_b32_e32 v7, 24
	v_cmp_lt_i16_sdwa s[16:17], s25, v7 src0_sel:BYTE_0 src1_sel:DWORD
	s_and_b64 vcc, exec, s[16:17]
	s_cbranch_vccnz .LBB48_2195
; %bb.2184:
	v_cmp_gt_i16_sdwa s[16:17], s25, v7 src0_sel:BYTE_0 src1_sel:DWORD
	s_and_b64 vcc, exec, s[16:17]
	s_cbranch_vccz .LBB48_2196
; %bb.2185:
	global_load_ubyte v7, v[14:15], off
	s_movk_i32 s16, 0x7f
                                        ; implicit-def: $sgpr22
	s_waitcnt vmcnt(0)
	v_cmp_lt_i16_e32 vcc, s16, v7
	s_mov_b64 s[16:17], 0
	s_and_saveexec_b64 s[18:19], vcc
	s_xor_b64 s[18:19], exec, s[18:19]
	s_cbranch_execz .LBB48_2208
; %bb.2186:
	s_movk_i32 s16, 0x80
	v_cmp_eq_u16_e32 vcc, s16, v7
	s_mov_b64 s[16:17], -1
                                        ; implicit-def: $sgpr22
	s_and_saveexec_b64 s[20:21], vcc
; %bb.2187:
	s_movk_i32 s22, 0x7e00
	s_xor_b64 s[16:17], exec, -1
; %bb.2188:
	s_or_b64 exec, exec, s[20:21]
	s_and_b64 s[16:17], s[16:17], exec
	s_or_saveexec_b64 s[18:19], s[18:19]
	v_mov_b32_e32 v16, s22
	s_xor_b64 exec, exec, s[18:19]
	s_cbranch_execnz .LBB48_2209
.LBB48_2189:
	s_or_b64 exec, exec, s[18:19]
	s_and_saveexec_b64 s[18:19], s[16:17]
	s_cbranch_execz .LBB48_2191
.LBB48_2190:
	v_lshlrev_b32_e32 v9, 24, v7
	v_and_b32_e32 v7, 0xffff, v7
	v_and_b32_e32 v11, 3, v7
	v_ffbh_u32_e32 v16, v11
	v_min_u32_e32 v16, 32, v16
	v_subrev_u32_e32 v17, 29, v16
	v_bfe_u32 v13, v7, 2, 5
	v_lshlrev_b32_e32 v7, v17, v7
	v_sub_u32_e32 v16, 30, v16
	v_and_b32_e32 v7, 3, v7
	v_cmp_eq_u32_e32 vcc, 0, v13
	v_cndmask_b32_e32 v13, v13, v16, vcc
	v_cndmask_b32_e32 v7, v11, v7, vcc
	v_mov_b32_e32 v11, 0x37800000
	v_lshlrev_b32_e32 v7, 21, v7
	v_and_b32_e32 v9, 0x80000000, v9
	v_lshl_add_u32 v11, v13, 23, v11
	v_or3_b32 v7, v9, v11, v7
	v_cvt_f16_f32_e32 v16, v7
.LBB48_2191:
	s_or_b64 exec, exec, s[18:19]
	s_mov_b64 s[16:17], 0
	s_branch .LBB48_2197
.LBB48_2192:
	s_mov_b64 s[16:17], -1
                                        ; implicit-def: $vgpr16
	s_branch .LBB48_2203
.LBB48_2193:
	s_or_saveexec_b64 s[20:21], s[20:21]
	v_mov_b32_e32 v16, s27
	s_xor_b64 exec, exec, s[20:21]
	s_cbranch_execz .LBB48_2176
.LBB48_2194:
	v_cmp_ne_u16_e32 vcc, 0, v7
	s_andn2_b64 s[18:19], s[18:19], exec
	s_and_b64 s[22:23], vcc, exec
	s_or_b64 s[18:19], s[18:19], s[22:23]
	v_mov_b32_e32 v16, v7
	s_or_b64 exec, exec, s[20:21]
	s_and_saveexec_b64 s[20:21], s[18:19]
	s_cbranch_execnz .LBB48_2177
	s_branch .LBB48_2178
.LBB48_2195:
	s_mov_b64 s[16:17], -1
                                        ; implicit-def: $vgpr16
	s_branch .LBB48_2200
.LBB48_2196:
	s_mov_b64 s[16:17], -1
                                        ; implicit-def: $vgpr16
.LBB48_2197:
	s_and_b64 vcc, exec, s[16:17]
	s_cbranch_vccz .LBB48_2199
; %bb.2198:
	global_load_ubyte v7, v[14:15], off
	s_mov_b32 s16, 0x7f800000
	s_waitcnt vmcnt(0)
	v_lshlrev_b32_e32 v7, 24, v7
	v_and_b32_e32 v9, 0x7f000000, v7
	v_ffbh_u32_e32 v11, v9
	v_min_u32_e32 v11, 32, v11
	v_sub_u32_e64 v11, v11, 4 clamp
	v_lshlrev_b32_e32 v16, v11, v9
	v_lshlrev_b32_e32 v11, 23, v11
	v_lshrrev_b32_e32 v16, 4, v16
	v_add_u32_e32 v13, 0x1000000, v9
	v_sub_u32_e32 v11, v16, v11
	v_ashrrev_i32_e32 v13, 8, v13
	v_add_u32_e32 v11, 0x3c000000, v11
	v_and_or_b32 v11, v13, s16, v11
	v_cmp_ne_u32_e32 vcc, 0, v9
	v_cndmask_b32_e32 v9, 0, v11, vcc
	s_brev_b32 s16, 1
	v_and_or_b32 v7, v7, s16, v9
	v_cvt_f16_f32_e32 v16, v7
.LBB48_2199:
	s_mov_b64 s[16:17], 0
.LBB48_2200:
	s_andn2_b64 vcc, exec, s[16:17]
	s_cbranch_vccnz .LBB48_2202
; %bb.2201:
	global_load_ubyte v7, v[14:15], off
	s_movk_i32 s16, 0x7f00
	s_brev_b32 s17, 16
	s_waitcnt vmcnt(0)
	v_lshlrev_b16_e32 v9, 8, v7
	v_lshlrev_b32_e32 v7, 25, v7
	v_lshrrev_b32_e32 v11, 4, v7
	v_and_or_b32 v13, v9, s16, 0.5
	v_or_b32_e32 v11, 0x70000000, v11
	v_add_f32_e32 v13, -0.5, v13
	v_mul_f32_e32 v11, 0x7800000, v11
	v_cmp_gt_u32_e32 vcc, s17, v7
	v_bfe_i32 v9, v9, 0, 16
	v_cndmask_b32_e32 v7, v11, v13, vcc
	s_brev_b32 s16, 1
	v_and_or_b32 v7, v9, s16, v7
	v_cvt_f16_f32_e32 v16, v7
.LBB48_2202:
	s_mov_b64 s[16:17], 0
	s_mov_b64 s[18:19], -1
.LBB48_2203:
	s_andn2_b64 vcc, exec, s[16:17]
	s_mov_b64 s[16:17], 0
	s_cbranch_vccnz .LBB48_2214
; %bb.2204:
	v_mov_b32_e32 v7, 14
	v_cmp_gt_i16_sdwa s[16:17], s25, v7 src0_sel:BYTE_0 src1_sel:DWORD
	s_and_b64 vcc, exec, s[16:17]
	s_cbranch_vccz .LBB48_2207
; %bb.2205:
	v_mov_b32_e32 v7, 15
	v_cmp_eq_u16_sdwa s[6:7], s25, v7 src0_sel:BYTE_0 src1_sel:DWORD
	s_and_b64 vcc, exec, s[6:7]
	s_cbranch_vccz .LBB48_2210
; %bb.2206:
	global_load_ushort v7, v[14:15], off
	s_mov_b64 s[6:7], 0
	s_mov_b64 s[18:19], -1
	s_waitcnt vmcnt(0)
	v_lshlrev_b32_e32 v7, 16, v7
	v_cvt_f16_f32_e32 v16, v7
	s_branch .LBB48_2211
.LBB48_2207:
	s_mov_b64 s[20:21], -1
                                        ; implicit-def: $vgpr16
	s_branch .LBB48_2212
.LBB48_2208:
	s_or_saveexec_b64 s[18:19], s[18:19]
	v_mov_b32_e32 v16, s22
	s_xor_b64 exec, exec, s[18:19]
	s_cbranch_execz .LBB48_2189
.LBB48_2209:
	v_cmp_ne_u16_e32 vcc, 0, v7
	s_andn2_b64 s[16:17], s[16:17], exec
	s_and_b64 s[20:21], vcc, exec
	s_or_b64 s[16:17], s[16:17], s[20:21]
	v_mov_b32_e32 v16, v7
	s_or_b64 exec, exec, s[18:19]
	s_and_saveexec_b64 s[18:19], s[16:17]
	s_cbranch_execnz .LBB48_2190
	s_branch .LBB48_2191
.LBB48_2210:
	s_mov_b64 s[6:7], -1
                                        ; implicit-def: $vgpr16
.LBB48_2211:
	s_mov_b64 s[20:21], 0
.LBB48_2212:
	s_mov_b64 s[16:17], 0
	s_and_b64 vcc, exec, s[20:21]
	s_cbranch_vccz .LBB48_2214
; %bb.2213:
	v_mov_b32_e32 v7, 11
	v_cmp_ne_u16_sdwa s[6:7], s25, v7 src0_sel:BYTE_0 src1_sel:DWORD
	s_mov_b64 s[16:17], -1
                                        ; implicit-def: $vgpr16
.LBB48_2214:
	s_and_b64 vcc, exec, s[6:7]
	s_cbranch_vccnz .LBB48_2279
; %bb.2215:
	s_andn2_b64 vcc, exec, s[16:17]
	s_cbranch_vccnz .LBB48_2217
.LBB48_2216:
	global_load_ubyte v7, v[14:15], off
	v_mov_b32_e32 v9, 0x3c00
	s_mov_b64 s[18:19], -1
	s_waitcnt vmcnt(0)
	v_cmp_ne_u16_e32 vcc, 0, v7
	v_cndmask_b32_e32 v16, 0, v9, vcc
.LBB48_2217:
	s_mov_b64 s[6:7], 0
.LBB48_2218:
	s_and_b64 vcc, exec, s[6:7]
	s_cbranch_vccz .LBB48_2267
; %bb.2219:
	v_mov_b32_e32 v7, 5
	v_cmp_lt_i16_sdwa s[6:7], s25, v7 src0_sel:BYTE_0 src1_sel:DWORD
	s_and_b64 vcc, exec, s[6:7]
	s_cbranch_vccnz .LBB48_2224
; %bb.2220:
	v_mov_b32_e32 v7, 8
	v_cmp_lt_i16_sdwa s[6:7], s25, v7 src0_sel:BYTE_0 src1_sel:DWORD
	s_and_b64 vcc, exec, s[6:7]
	s_cbranch_vccnz .LBB48_2225
; %bb.2221:
	v_mov_b32_e32 v7, 9
	v_cmp_lt_i16_sdwa s[6:7], s25, v7 src0_sel:BYTE_0 src1_sel:DWORD
	s_and_b64 vcc, exec, s[6:7]
	s_cbranch_vccnz .LBB48_2226
; %bb.2222:
	v_cmp_gt_i16_sdwa s[6:7], s25, v7 src0_sel:BYTE_0 src1_sel:DWORD
	s_and_b64 vcc, exec, s[6:7]
	s_cbranch_vccz .LBB48_2227
; %bb.2223:
	global_load_dwordx2 v[16:17], v[14:15], off
	s_mov_b64 s[6:7], 0
	s_waitcnt vmcnt(0)
	v_cvt_f32_f64_e32 v7, v[16:17]
	v_cvt_f16_f32_e32 v16, v7
	s_branch .LBB48_2228
.LBB48_2224:
	s_mov_b64 s[6:7], -1
                                        ; implicit-def: $vgpr16
	s_branch .LBB48_2246
.LBB48_2225:
	s_mov_b64 s[6:7], -1
                                        ; implicit-def: $vgpr16
	s_branch .LBB48_2234
.LBB48_2226:
	s_mov_b64 s[6:7], -1
                                        ; implicit-def: $vgpr16
	s_branch .LBB48_2231
.LBB48_2227:
	s_mov_b64 s[6:7], -1
                                        ; implicit-def: $vgpr16
.LBB48_2228:
	s_andn2_b64 vcc, exec, s[6:7]
	s_cbranch_vccnz .LBB48_2230
; %bb.2229:
	global_load_dword v7, v[14:15], off
	s_waitcnt vmcnt(0)
	v_cvt_f16_f32_e32 v16, v7
.LBB48_2230:
	s_mov_b64 s[6:7], 0
.LBB48_2231:
	s_andn2_b64 vcc, exec, s[6:7]
	s_cbranch_vccnz .LBB48_2233
; %bb.2232:
	global_load_dword v16, v[14:15], off
.LBB48_2233:
	s_mov_b64 s[6:7], 0
.LBB48_2234:
	s_andn2_b64 vcc, exec, s[6:7]
	s_cbranch_vccnz .LBB48_2245
; %bb.2235:
	v_mov_b32_e32 v7, 6
	v_cmp_lt_i16_sdwa s[6:7], s25, v7 src0_sel:BYTE_0 src1_sel:DWORD
	s_and_b64 vcc, exec, s[6:7]
	s_cbranch_vccnz .LBB48_2238
; %bb.2236:
	v_cmp_gt_i16_sdwa s[6:7], s25, v7 src0_sel:BYTE_0 src1_sel:DWORD
	s_and_b64 vcc, exec, s[6:7]
	s_cbranch_vccz .LBB48_2239
; %bb.2237:
	global_load_dwordx2 v[16:17], v[14:15], off
	s_mov_b64 s[6:7], 0
	s_waitcnt vmcnt(0)
	v_cvt_f32_f64_e32 v7, v[16:17]
	v_cvt_f16_f32_e32 v16, v7
	s_branch .LBB48_2240
.LBB48_2238:
	s_mov_b64 s[6:7], -1
                                        ; implicit-def: $vgpr16
	s_branch .LBB48_2243
.LBB48_2239:
	s_mov_b64 s[6:7], -1
                                        ; implicit-def: $vgpr16
.LBB48_2240:
	s_andn2_b64 vcc, exec, s[6:7]
	s_cbranch_vccnz .LBB48_2242
; %bb.2241:
	global_load_dword v7, v[14:15], off
	s_waitcnt vmcnt(0)
	v_cvt_f16_f32_e32 v16, v7
.LBB48_2242:
	s_mov_b64 s[6:7], 0
.LBB48_2243:
	s_andn2_b64 vcc, exec, s[6:7]
	s_cbranch_vccnz .LBB48_2245
; %bb.2244:
	global_load_ushort v16, v[14:15], off
.LBB48_2245:
	s_mov_b64 s[6:7], 0
.LBB48_2246:
	s_andn2_b64 vcc, exec, s[6:7]
	s_cbranch_vccnz .LBB48_2266
; %bb.2247:
	v_mov_b32_e32 v7, 2
	v_cmp_lt_i16_sdwa s[6:7], s25, v7 src0_sel:BYTE_0 src1_sel:DWORD
	s_and_b64 vcc, exec, s[6:7]
	s_cbranch_vccnz .LBB48_2251
; %bb.2248:
	v_mov_b32_e32 v7, 3
	v_cmp_lt_i16_sdwa s[6:7], s25, v7 src0_sel:BYTE_0 src1_sel:DWORD
	s_and_b64 vcc, exec, s[6:7]
	s_cbranch_vccnz .LBB48_2252
; %bb.2249:
	v_cmp_gt_i16_sdwa s[6:7], s25, v7 src0_sel:BYTE_0 src1_sel:DWORD
	s_and_b64 vcc, exec, s[6:7]
	s_cbranch_vccz .LBB48_2253
; %bb.2250:
	global_load_dwordx2 v[16:17], v[14:15], off
	s_mov_b64 s[6:7], 0
	s_waitcnt vmcnt(0)
	v_xor_b32_e32 v9, v16, v17
	v_ffbh_i32_e32 v7, v17
	v_ashrrev_i32_e32 v9, 31, v9
	v_add_u32_e32 v7, -1, v7
	v_add_u32_e32 v9, 32, v9
	v_min_u32_e32 v7, v7, v9
	v_lshlrev_b64 v[16:17], v7, v[16:17]
	v_min_u32_e32 v9, 1, v16
	v_or_b32_e32 v9, v17, v9
	v_cvt_f32_i32_e32 v9, v9
	v_sub_u32_e32 v7, 32, v7
	v_ldexp_f32 v7, v9, v7
	v_cvt_f16_f32_e32 v16, v7
	s_branch .LBB48_2254
.LBB48_2251:
	s_mov_b64 s[6:7], -1
                                        ; implicit-def: $vgpr16
	s_branch .LBB48_2260
.LBB48_2252:
	s_mov_b64 s[6:7], -1
                                        ; implicit-def: $vgpr16
	s_branch .LBB48_2257
.LBB48_2253:
	s_mov_b64 s[6:7], -1
                                        ; implicit-def: $vgpr16
.LBB48_2254:
	s_andn2_b64 vcc, exec, s[6:7]
	s_cbranch_vccnz .LBB48_2256
; %bb.2255:
	global_load_dword v7, v[14:15], off
	s_waitcnt vmcnt(0)
	v_cvt_f32_i32_e32 v7, v7
	v_cvt_f16_f32_e32 v16, v7
.LBB48_2256:
	s_mov_b64 s[6:7], 0
.LBB48_2257:
	s_andn2_b64 vcc, exec, s[6:7]
	s_cbranch_vccnz .LBB48_2259
; %bb.2258:
	global_load_ushort v7, v[14:15], off
	s_waitcnt vmcnt(0)
	v_cvt_f16_i16_e32 v16, v7
.LBB48_2259:
	s_mov_b64 s[6:7], 0
.LBB48_2260:
	s_andn2_b64 vcc, exec, s[6:7]
	s_cbranch_vccnz .LBB48_2266
; %bb.2261:
	v_mov_b32_e32 v7, 0
	v_cmp_gt_i16_sdwa s[6:7], s25, v7 src0_sel:BYTE_0 src1_sel:DWORD
	s_and_b64 vcc, exec, s[6:7]
	s_cbranch_vccz .LBB48_2263
; %bb.2262:
	global_load_sbyte v7, v[14:15], off
	s_mov_b64 s[6:7], 0
	s_waitcnt vmcnt(0)
	v_cvt_f16_i16_e32 v16, v7
	s_branch .LBB48_2264
.LBB48_2263:
	s_mov_b64 s[6:7], -1
                                        ; implicit-def: $vgpr16
.LBB48_2264:
	s_andn2_b64 vcc, exec, s[6:7]
	s_cbranch_vccnz .LBB48_2266
; %bb.2265:
	global_load_ubyte v7, v[14:15], off
	s_waitcnt vmcnt(0)
	v_cvt_f16_u16_e32 v16, v7
.LBB48_2266:
	s_mov_b64 s[18:19], -1
.LBB48_2267:
	s_andn2_b64 vcc, exec, s[18:19]
	s_cbranch_vccnz .LBB48_3113
; %bb.2268:
	v_mov_b32_e32 v7, s1
	v_add_co_u32_e32 v12, vcc, s0, v12
	v_addc_co_u32_e32 v13, vcc, 0, v7, vcc
	s_and_b64 vcc, exec, s[2:3]
	s_cbranch_vccnz .LBB48_2275
; %bb.2269:
	v_cmp_gt_i16_e64 s[6:7], s26, 25
	s_mov_b64 s[16:17], 0
	s_and_b64 vcc, exec, s[6:7]
	s_cbranch_vccz .LBB48_2276
; %bb.2270:
	v_cmp_gt_i16_e64 s[6:7], s26, 28
	s_and_b64 vcc, exec, s[6:7]
	s_cbranch_vccz .LBB48_2277
; %bb.2271:
	v_cmp_gt_i16_e64 s[6:7], s26, 43
	;; [unrolled: 4-line block ×3, first 2 shown]
	s_and_b64 vcc, exec, s[6:7]
	s_cbranch_vccz .LBB48_2280
; %bb.2273:
	v_cmp_eq_u16_e64 s[6:7], s26, 46
	s_mov_b64 s[20:21], 0
	s_and_b64 vcc, exec, s[6:7]
	s_cbranch_vccz .LBB48_2283
; %bb.2274:
	global_load_dword v7, v[12:13], off
	s_mov_b64 s[6:7], 0
	s_mov_b64 s[18:19], -1
	s_waitcnt vmcnt(0)
	v_lshlrev_b32_e32 v7, 16, v7
	v_cvt_f16_f32_e32 v14, v7
	s_branch .LBB48_2284
.LBB48_2275:
	s_mov_b64 s[6:7], -1
	s_mov_b64 s[18:19], 0
                                        ; implicit-def: $vgpr14
	s_branch .LBB48_2350
.LBB48_2276:
	s_mov_b64 s[20:21], -1
	s_mov_b64 s[18:19], 0
	s_mov_b64 s[6:7], 0
                                        ; implicit-def: $vgpr14
	s_branch .LBB48_2313
.LBB48_2277:
	s_mov_b64 s[20:21], -1
	s_mov_b64 s[18:19], 0
	s_mov_b64 s[6:7], 0
                                        ; implicit-def: $vgpr14
	s_branch .LBB48_2294
.LBB48_2278:
	s_mov_b64 s[20:21], -1
	s_mov_b64 s[18:19], 0
	s_mov_b64 s[6:7], 0
                                        ; implicit-def: $vgpr14
	s_branch .LBB48_2289
.LBB48_2279:
	s_trap 2
	s_or_b64 s[4:5], s[4:5], exec
                                        ; implicit-def: $vgpr16
	s_cbranch_execz .LBB48_2216
	s_branch .LBB48_2217
.LBB48_2280:
	s_mov_b64 s[20:21], -1
	s_mov_b64 s[18:19], 0
	s_mov_b64 s[6:7], 0
                                        ; implicit-def: $vgpr14
	s_branch .LBB48_2284
.LBB48_2281:
	s_or_saveexec_b64 s[62:63], s[62:63]
                                        ; implicit-def: $sgpr64
	s_xor_b64 exec, exec, s[62:63]
	s_cbranch_execz .LBB48_1116
.LBB48_2282:
	s_mov_b32 s64, 0x42800000
	v_add_f32_e64 v4, |v3|, s64
	v_and_b32_e32 v4, 0xff, v4
	v_cmp_ne_u32_e32 vcc, 0, v4
	s_andn2_b64 s[60:61], s[60:61], exec
	s_and_b64 s[70:71], vcc, exec
	s_mov_b32 s64, 0
	s_or_b64 s[60:61], s[60:61], s[70:71]
	s_or_b64 exec, exec, s[62:63]
	v_mov_b32_e32 v5, s64
	s_and_saveexec_b64 s[62:63], s[60:61]
	s_cbranch_execnz .LBB48_1117
	s_branch .LBB48_1118
.LBB48_2283:
	s_mov_b64 s[6:7], -1
                                        ; implicit-def: $vgpr14
	s_mov_b64 s[18:19], 0
.LBB48_2284:
	s_and_b64 vcc, exec, s[20:21]
	s_cbranch_vccz .LBB48_2288
; %bb.2285:
	v_cmp_eq_u16_e64 s[6:7], s26, 44
	s_and_b64 vcc, exec, s[6:7]
	s_cbranch_vccz .LBB48_2287
; %bb.2286:
	global_load_ubyte v7, v[12:13], off
	s_movk_i32 s18, 0xff
	v_mov_b32_e32 v11, 0x7e00
	s_mov_b64 s[6:7], 0
	s_waitcnt vmcnt(0)
	v_lshlrev_b32_e32 v9, 23, v7
	v_cvt_f16_f32_e32 v9, v9
	v_cmp_ne_u32_e32 vcc, s18, v7
	s_mov_b64 s[18:19], -1
	v_cndmask_b32_e32 v9, v11, v9, vcc
	v_cmp_ne_u32_e32 vcc, 0, v7
	v_cndmask_b32_e32 v14, 0, v9, vcc
	s_branch .LBB48_2288
.LBB48_2287:
	s_mov_b64 s[6:7], -1
                                        ; implicit-def: $vgpr14
.LBB48_2288:
	s_mov_b64 s[20:21], 0
.LBB48_2289:
	s_and_b64 vcc, exec, s[20:21]
	s_cbranch_vccz .LBB48_2293
; %bb.2290:
	v_cmp_eq_u16_e64 s[6:7], s26, 29
	s_and_b64 vcc, exec, s[6:7]
	s_cbranch_vccz .LBB48_2292
; %bb.2291:
	global_load_dwordx2 v[14:15], v[12:13], off
	s_mov_b64 s[6:7], 0
	s_mov_b64 s[18:19], -1
	s_mov_b64 s[20:21], 0
	s_waitcnt vmcnt(0)
	v_ffbh_u32_e32 v7, v15
	v_min_u32_e32 v7, 32, v7
	v_lshlrev_b64 v[14:15], v7, v[14:15]
	v_min_u32_e32 v9, 1, v14
	v_or_b32_e32 v9, v15, v9
	v_cvt_f32_u32_e32 v9, v9
	v_sub_u32_e32 v7, 32, v7
	v_ldexp_f32 v7, v9, v7
	v_cvt_f16_f32_e32 v14, v7
	s_branch .LBB48_2294
.LBB48_2292:
	s_mov_b64 s[6:7], -1
                                        ; implicit-def: $vgpr14
.LBB48_2293:
	s_mov_b64 s[20:21], 0
.LBB48_2294:
	s_and_b64 vcc, exec, s[20:21]
	s_cbranch_vccz .LBB48_2312
; %bb.2295:
	v_cmp_lt_i16_e64 s[18:19], s26, 27
	s_and_b64 vcc, exec, s[18:19]
	s_cbranch_vccnz .LBB48_2298
; %bb.2296:
	v_cmp_gt_i16_e64 s[18:19], s26, 27
	s_and_b64 vcc, exec, s[18:19]
	s_cbranch_vccz .LBB48_2299
; %bb.2297:
	global_load_dword v7, v[12:13], off
	s_mov_b64 s[18:19], 0
	s_waitcnt vmcnt(0)
	v_cvt_f32_u32_e32 v7, v7
	v_cvt_f16_f32_e32 v14, v7
	s_branch .LBB48_2300
.LBB48_2298:
	s_mov_b64 s[18:19], -1
                                        ; implicit-def: $vgpr14
	s_branch .LBB48_2303
.LBB48_2299:
	s_mov_b64 s[18:19], -1
                                        ; implicit-def: $vgpr14
.LBB48_2300:
	s_andn2_b64 vcc, exec, s[18:19]
	s_cbranch_vccnz .LBB48_2302
; %bb.2301:
	global_load_ushort v7, v[12:13], off
	s_waitcnt vmcnt(0)
	v_cvt_f16_u16_e32 v14, v7
.LBB48_2302:
	s_mov_b64 s[18:19], 0
.LBB48_2303:
	s_andn2_b64 vcc, exec, s[18:19]
	s_cbranch_vccnz .LBB48_2311
; %bb.2304:
	global_load_ubyte v7, v[12:13], off
	s_movk_i32 s18, 0x7f
                                        ; implicit-def: $sgpr27
	s_waitcnt vmcnt(0)
	v_cmp_lt_i16_e32 vcc, s18, v7
	s_mov_b64 s[18:19], 0
	s_and_saveexec_b64 s[20:21], vcc
	s_xor_b64 s[20:21], exec, s[20:21]
	s_cbranch_execz .LBB48_2325
; %bb.2305:
	s_movk_i32 s18, 0x80
	v_cmp_eq_u16_e32 vcc, s18, v7
	s_mov_b64 s[18:19], -1
                                        ; implicit-def: $sgpr27
	s_and_saveexec_b64 s[22:23], vcc
; %bb.2306:
	s_movk_i32 s27, 0x7e00
	s_xor_b64 s[18:19], exec, -1
; %bb.2307:
	s_or_b64 exec, exec, s[22:23]
	s_and_b64 s[18:19], s[18:19], exec
	s_or_saveexec_b64 s[20:21], s[20:21]
	v_mov_b32_e32 v14, s27
	s_xor_b64 exec, exec, s[20:21]
	s_cbranch_execnz .LBB48_2326
.LBB48_2308:
	s_or_b64 exec, exec, s[20:21]
	s_and_saveexec_b64 s[20:21], s[18:19]
	s_cbranch_execz .LBB48_2310
.LBB48_2309:
	v_lshlrev_b32_e32 v9, 24, v7
	v_and_b32_e32 v7, 0xffff, v7
	v_and_b32_e32 v11, 7, v7
	v_ffbh_u32_e32 v15, v11
	v_min_u32_e32 v15, 32, v15
	v_subrev_u32_e32 v17, 28, v15
	v_bfe_u32 v14, v7, 3, 4
	v_lshlrev_b32_e32 v7, v17, v7
	v_sub_u32_e32 v15, 29, v15
	v_and_b32_e32 v7, 7, v7
	v_cmp_eq_u32_e32 vcc, 0, v14
	v_cndmask_b32_e32 v14, v14, v15, vcc
	v_cndmask_b32_e32 v7, v11, v7, vcc
	v_mov_b32_e32 v11, 0x3b800000
	v_lshlrev_b32_e32 v7, 20, v7
	v_and_b32_e32 v9, 0x80000000, v9
	v_lshl_add_u32 v11, v14, 23, v11
	v_or3_b32 v7, v9, v11, v7
	v_cvt_f16_f32_e32 v14, v7
.LBB48_2310:
	s_or_b64 exec, exec, s[20:21]
.LBB48_2311:
	s_mov_b64 s[18:19], -1
.LBB48_2312:
	s_mov_b64 s[20:21], 0
.LBB48_2313:
	s_and_b64 vcc, exec, s[20:21]
	s_cbranch_vccz .LBB48_2346
; %bb.2314:
	v_cmp_gt_i16_e64 s[16:17], s26, 22
	s_and_b64 vcc, exec, s[16:17]
	s_cbranch_vccz .LBB48_2324
; %bb.2315:
	v_cmp_lt_i16_e64 s[16:17], s26, 24
	s_and_b64 vcc, exec, s[16:17]
	s_cbranch_vccnz .LBB48_2327
; %bb.2316:
	v_cmp_gt_i16_e64 s[16:17], s26, 24
	s_and_b64 vcc, exec, s[16:17]
	s_cbranch_vccz .LBB48_2328
; %bb.2317:
	global_load_ubyte v7, v[12:13], off
	s_movk_i32 s16, 0x7f
                                        ; implicit-def: $sgpr22
	s_waitcnt vmcnt(0)
	v_cmp_lt_i16_e32 vcc, s16, v7
	s_mov_b64 s[16:17], 0
	s_and_saveexec_b64 s[18:19], vcc
	s_xor_b64 s[18:19], exec, s[18:19]
	s_cbranch_execz .LBB48_2340
; %bb.2318:
	s_movk_i32 s16, 0x80
	v_cmp_eq_u16_e32 vcc, s16, v7
	s_mov_b64 s[16:17], -1
                                        ; implicit-def: $sgpr22
	s_and_saveexec_b64 s[20:21], vcc
; %bb.2319:
	s_movk_i32 s22, 0x7e00
	s_xor_b64 s[16:17], exec, -1
; %bb.2320:
	s_or_b64 exec, exec, s[20:21]
	s_and_b64 s[16:17], s[16:17], exec
	s_or_saveexec_b64 s[18:19], s[18:19]
	v_mov_b32_e32 v14, s22
	s_xor_b64 exec, exec, s[18:19]
	s_cbranch_execnz .LBB48_2341
.LBB48_2321:
	s_or_b64 exec, exec, s[18:19]
	s_and_saveexec_b64 s[18:19], s[16:17]
	s_cbranch_execz .LBB48_2323
.LBB48_2322:
	v_lshlrev_b32_e32 v9, 24, v7
	v_and_b32_e32 v7, 0xffff, v7
	v_and_b32_e32 v11, 3, v7
	v_ffbh_u32_e32 v15, v11
	v_min_u32_e32 v15, 32, v15
	v_subrev_u32_e32 v17, 29, v15
	v_bfe_u32 v14, v7, 2, 5
	v_lshlrev_b32_e32 v7, v17, v7
	v_sub_u32_e32 v15, 30, v15
	v_and_b32_e32 v7, 3, v7
	v_cmp_eq_u32_e32 vcc, 0, v14
	v_cndmask_b32_e32 v14, v14, v15, vcc
	v_cndmask_b32_e32 v7, v11, v7, vcc
	v_mov_b32_e32 v11, 0x37800000
	v_lshlrev_b32_e32 v7, 21, v7
	v_and_b32_e32 v9, 0x80000000, v9
	v_lshl_add_u32 v11, v14, 23, v11
	v_or3_b32 v7, v9, v11, v7
	v_cvt_f16_f32_e32 v14, v7
.LBB48_2323:
	s_or_b64 exec, exec, s[18:19]
	s_mov_b64 s[16:17], 0
	s_branch .LBB48_2329
.LBB48_2324:
	s_mov_b64 s[16:17], -1
                                        ; implicit-def: $vgpr14
	s_branch .LBB48_2335
.LBB48_2325:
	s_or_saveexec_b64 s[20:21], s[20:21]
	v_mov_b32_e32 v14, s27
	s_xor_b64 exec, exec, s[20:21]
	s_cbranch_execz .LBB48_2308
.LBB48_2326:
	v_cmp_ne_u16_e32 vcc, 0, v7
	s_andn2_b64 s[18:19], s[18:19], exec
	s_and_b64 s[22:23], vcc, exec
	s_or_b64 s[18:19], s[18:19], s[22:23]
	v_mov_b32_e32 v14, v7
	s_or_b64 exec, exec, s[20:21]
	s_and_saveexec_b64 s[20:21], s[18:19]
	s_cbranch_execnz .LBB48_2309
	s_branch .LBB48_2310
.LBB48_2327:
	s_mov_b64 s[16:17], -1
                                        ; implicit-def: $vgpr14
	s_branch .LBB48_2332
.LBB48_2328:
	s_mov_b64 s[16:17], -1
                                        ; implicit-def: $vgpr14
.LBB48_2329:
	s_and_b64 vcc, exec, s[16:17]
	s_cbranch_vccz .LBB48_2331
; %bb.2330:
	global_load_ubyte v7, v[12:13], off
	s_mov_b32 s16, 0x7f800000
	s_waitcnt vmcnt(0)
	v_lshlrev_b32_e32 v7, 24, v7
	v_and_b32_e32 v9, 0x7f000000, v7
	v_ffbh_u32_e32 v11, v9
	v_min_u32_e32 v11, 32, v11
	v_sub_u32_e64 v11, v11, 4 clamp
	v_lshlrev_b32_e32 v15, v11, v9
	v_lshlrev_b32_e32 v11, 23, v11
	v_lshrrev_b32_e32 v15, 4, v15
	v_add_u32_e32 v14, 0x1000000, v9
	v_sub_u32_e32 v11, v15, v11
	v_ashrrev_i32_e32 v14, 8, v14
	v_add_u32_e32 v11, 0x3c000000, v11
	v_and_or_b32 v11, v14, s16, v11
	v_cmp_ne_u32_e32 vcc, 0, v9
	v_cndmask_b32_e32 v9, 0, v11, vcc
	s_brev_b32 s16, 1
	v_and_or_b32 v7, v7, s16, v9
	v_cvt_f16_f32_e32 v14, v7
.LBB48_2331:
	s_mov_b64 s[16:17], 0
.LBB48_2332:
	s_andn2_b64 vcc, exec, s[16:17]
	s_cbranch_vccnz .LBB48_2334
; %bb.2333:
	global_load_ubyte v7, v[12:13], off
	s_movk_i32 s16, 0x7f00
	s_brev_b32 s17, 16
	s_waitcnt vmcnt(0)
	v_lshlrev_b16_e32 v9, 8, v7
	v_lshlrev_b32_e32 v7, 25, v7
	v_lshrrev_b32_e32 v11, 4, v7
	v_and_or_b32 v14, v9, s16, 0.5
	v_or_b32_e32 v11, 0x70000000, v11
	v_add_f32_e32 v14, -0.5, v14
	v_mul_f32_e32 v11, 0x7800000, v11
	v_cmp_gt_u32_e32 vcc, s17, v7
	v_bfe_i32 v9, v9, 0, 16
	v_cndmask_b32_e32 v7, v11, v14, vcc
	s_brev_b32 s16, 1
	v_and_or_b32 v7, v9, s16, v7
	v_cvt_f16_f32_e32 v14, v7
.LBB48_2334:
	s_mov_b64 s[16:17], 0
	s_mov_b64 s[18:19], -1
.LBB48_2335:
	s_andn2_b64 vcc, exec, s[16:17]
	s_mov_b64 s[16:17], 0
	s_cbranch_vccnz .LBB48_2346
; %bb.2336:
	v_cmp_gt_i16_e64 s[16:17], s26, 14
	s_and_b64 vcc, exec, s[16:17]
	s_cbranch_vccz .LBB48_2339
; %bb.2337:
	v_cmp_eq_u16_e64 s[6:7], s26, 15
	s_and_b64 vcc, exec, s[6:7]
	s_cbranch_vccz .LBB48_2342
; %bb.2338:
	global_load_ushort v7, v[12:13], off
	s_mov_b64 s[6:7], 0
	s_mov_b64 s[18:19], -1
	s_waitcnt vmcnt(0)
	v_lshlrev_b32_e32 v7, 16, v7
	v_cvt_f16_f32_e32 v14, v7
	s_branch .LBB48_2343
.LBB48_2339:
	s_mov_b64 s[20:21], -1
                                        ; implicit-def: $vgpr14
	s_branch .LBB48_2344
.LBB48_2340:
	s_or_saveexec_b64 s[18:19], s[18:19]
	v_mov_b32_e32 v14, s22
	s_xor_b64 exec, exec, s[18:19]
	s_cbranch_execz .LBB48_2321
.LBB48_2341:
	v_cmp_ne_u16_e32 vcc, 0, v7
	s_andn2_b64 s[16:17], s[16:17], exec
	s_and_b64 s[20:21], vcc, exec
	s_or_b64 s[16:17], s[16:17], s[20:21]
	v_mov_b32_e32 v14, v7
	s_or_b64 exec, exec, s[18:19]
	s_and_saveexec_b64 s[18:19], s[16:17]
	s_cbranch_execnz .LBB48_2322
	s_branch .LBB48_2323
.LBB48_2342:
	s_mov_b64 s[6:7], -1
                                        ; implicit-def: $vgpr14
.LBB48_2343:
	s_mov_b64 s[20:21], 0
.LBB48_2344:
	s_mov_b64 s[16:17], 0
	s_and_b64 vcc, exec, s[20:21]
	s_cbranch_vccz .LBB48_2346
; %bb.2345:
	v_cmp_ne_u16_e64 s[6:7], s26, 11
	s_mov_b64 s[16:17], -1
                                        ; implicit-def: $vgpr14
.LBB48_2346:
	s_and_b64 vcc, exec, s[6:7]
	s_cbranch_vccnz .LBB48_2411
; %bb.2347:
	s_andn2_b64 vcc, exec, s[16:17]
	s_cbranch_vccnz .LBB48_2349
.LBB48_2348:
	global_load_ubyte v7, v[12:13], off
	v_mov_b32_e32 v9, 0x3c00
	s_mov_b64 s[18:19], -1
	s_waitcnt vmcnt(0)
	v_cmp_ne_u16_e32 vcc, 0, v7
	v_cndmask_b32_e32 v14, 0, v9, vcc
.LBB48_2349:
	s_mov_b64 s[6:7], 0
.LBB48_2350:
	s_and_b64 vcc, exec, s[6:7]
	s_cbranch_vccz .LBB48_2399
; %bb.2351:
	v_cmp_lt_i16_e64 s[6:7], s26, 5
	s_and_b64 vcc, exec, s[6:7]
	s_cbranch_vccnz .LBB48_2356
; %bb.2352:
	v_cmp_lt_i16_e64 s[6:7], s26, 8
	s_and_b64 vcc, exec, s[6:7]
	s_cbranch_vccnz .LBB48_2357
	;; [unrolled: 4-line block ×3, first 2 shown]
; %bb.2354:
	v_cmp_gt_i16_e64 s[6:7], s26, 9
	s_and_b64 vcc, exec, s[6:7]
	s_cbranch_vccz .LBB48_2359
; %bb.2355:
	global_load_dwordx2 v[14:15], v[12:13], off
	s_mov_b64 s[6:7], 0
	s_waitcnt vmcnt(0)
	v_cvt_f32_f64_e32 v7, v[14:15]
	v_cvt_f16_f32_e32 v14, v7
	s_branch .LBB48_2360
.LBB48_2356:
	s_mov_b64 s[6:7], -1
                                        ; implicit-def: $vgpr14
	s_branch .LBB48_2378
.LBB48_2357:
	s_mov_b64 s[6:7], -1
                                        ; implicit-def: $vgpr14
	s_branch .LBB48_2366
.LBB48_2358:
	s_mov_b64 s[6:7], -1
                                        ; implicit-def: $vgpr14
	s_branch .LBB48_2363
.LBB48_2359:
	s_mov_b64 s[6:7], -1
                                        ; implicit-def: $vgpr14
.LBB48_2360:
	s_andn2_b64 vcc, exec, s[6:7]
	s_cbranch_vccnz .LBB48_2362
; %bb.2361:
	global_load_dword v7, v[12:13], off
	s_waitcnt vmcnt(0)
	v_cvt_f16_f32_e32 v14, v7
.LBB48_2362:
	s_mov_b64 s[6:7], 0
.LBB48_2363:
	s_andn2_b64 vcc, exec, s[6:7]
	s_cbranch_vccnz .LBB48_2365
; %bb.2364:
	global_load_dword v14, v[12:13], off
.LBB48_2365:
	s_mov_b64 s[6:7], 0
.LBB48_2366:
	s_andn2_b64 vcc, exec, s[6:7]
	s_cbranch_vccnz .LBB48_2377
; %bb.2367:
	v_cmp_lt_i16_e64 s[6:7], s26, 6
	s_and_b64 vcc, exec, s[6:7]
	s_cbranch_vccnz .LBB48_2370
; %bb.2368:
	v_cmp_gt_i16_e64 s[6:7], s26, 6
	s_and_b64 vcc, exec, s[6:7]
	s_cbranch_vccz .LBB48_2371
; %bb.2369:
	global_load_dwordx2 v[14:15], v[12:13], off
	s_mov_b64 s[6:7], 0
	s_waitcnt vmcnt(0)
	v_cvt_f32_f64_e32 v7, v[14:15]
	v_cvt_f16_f32_e32 v14, v7
	s_branch .LBB48_2372
.LBB48_2370:
	s_mov_b64 s[6:7], -1
                                        ; implicit-def: $vgpr14
	s_branch .LBB48_2375
.LBB48_2371:
	s_mov_b64 s[6:7], -1
                                        ; implicit-def: $vgpr14
.LBB48_2372:
	s_andn2_b64 vcc, exec, s[6:7]
	s_cbranch_vccnz .LBB48_2374
; %bb.2373:
	global_load_dword v7, v[12:13], off
	s_waitcnt vmcnt(0)
	v_cvt_f16_f32_e32 v14, v7
.LBB48_2374:
	s_mov_b64 s[6:7], 0
.LBB48_2375:
	s_andn2_b64 vcc, exec, s[6:7]
	s_cbranch_vccnz .LBB48_2377
; %bb.2376:
	global_load_ushort v14, v[12:13], off
.LBB48_2377:
	s_mov_b64 s[6:7], 0
.LBB48_2378:
	s_andn2_b64 vcc, exec, s[6:7]
	s_cbranch_vccnz .LBB48_2398
; %bb.2379:
	v_cmp_lt_i16_e64 s[6:7], s26, 2
	s_and_b64 vcc, exec, s[6:7]
	s_cbranch_vccnz .LBB48_2383
; %bb.2380:
	v_cmp_lt_i16_e64 s[6:7], s26, 3
	s_and_b64 vcc, exec, s[6:7]
	s_cbranch_vccnz .LBB48_2384
; %bb.2381:
	v_cmp_gt_i16_e64 s[6:7], s26, 3
	s_and_b64 vcc, exec, s[6:7]
	s_cbranch_vccz .LBB48_2385
; %bb.2382:
	global_load_dwordx2 v[14:15], v[12:13], off
	s_mov_b64 s[6:7], 0
	s_waitcnt vmcnt(0)
	v_xor_b32_e32 v9, v14, v15
	v_ffbh_i32_e32 v7, v15
	v_ashrrev_i32_e32 v9, 31, v9
	v_add_u32_e32 v7, -1, v7
	v_add_u32_e32 v9, 32, v9
	v_min_u32_e32 v7, v7, v9
	v_lshlrev_b64 v[14:15], v7, v[14:15]
	v_min_u32_e32 v9, 1, v14
	v_or_b32_e32 v9, v15, v9
	v_cvt_f32_i32_e32 v9, v9
	v_sub_u32_e32 v7, 32, v7
	v_ldexp_f32 v7, v9, v7
	v_cvt_f16_f32_e32 v14, v7
	s_branch .LBB48_2386
.LBB48_2383:
	s_mov_b64 s[6:7], -1
                                        ; implicit-def: $vgpr14
	s_branch .LBB48_2392
.LBB48_2384:
	s_mov_b64 s[6:7], -1
                                        ; implicit-def: $vgpr14
	s_branch .LBB48_2389
.LBB48_2385:
	s_mov_b64 s[6:7], -1
                                        ; implicit-def: $vgpr14
.LBB48_2386:
	s_andn2_b64 vcc, exec, s[6:7]
	s_cbranch_vccnz .LBB48_2388
; %bb.2387:
	global_load_dword v7, v[12:13], off
	s_waitcnt vmcnt(0)
	v_cvt_f32_i32_e32 v7, v7
	v_cvt_f16_f32_e32 v14, v7
.LBB48_2388:
	s_mov_b64 s[6:7], 0
.LBB48_2389:
	s_andn2_b64 vcc, exec, s[6:7]
	s_cbranch_vccnz .LBB48_2391
; %bb.2390:
	global_load_ushort v7, v[12:13], off
	s_waitcnt vmcnt(0)
	v_cvt_f16_i16_e32 v14, v7
.LBB48_2391:
	s_mov_b64 s[6:7], 0
.LBB48_2392:
	s_andn2_b64 vcc, exec, s[6:7]
	s_cbranch_vccnz .LBB48_2398
; %bb.2393:
	v_cmp_gt_i16_e64 s[6:7], s26, 0
	s_and_b64 vcc, exec, s[6:7]
	s_cbranch_vccz .LBB48_2395
; %bb.2394:
	global_load_sbyte v7, v[12:13], off
	s_mov_b64 s[6:7], 0
	s_waitcnt vmcnt(0)
	v_cvt_f16_i16_e32 v14, v7
	s_branch .LBB48_2396
.LBB48_2395:
	s_mov_b64 s[6:7], -1
                                        ; implicit-def: $vgpr14
.LBB48_2396:
	s_andn2_b64 vcc, exec, s[6:7]
	s_cbranch_vccnz .LBB48_2398
; %bb.2397:
	global_load_ubyte v7, v[12:13], off
	s_waitcnt vmcnt(0)
	v_cvt_f16_u16_e32 v14, v7
.LBB48_2398:
	s_mov_b64 s[18:19], -1
.LBB48_2399:
	s_andn2_b64 vcc, exec, s[18:19]
	s_cbranch_vccnz .LBB48_3113
; %bb.2400:
	v_mov_b32_e32 v7, s11
	v_add_co_u32_e32 v10, vcc, s10, v10
	v_addc_co_u32_e32 v11, vcc, 0, v7, vcc
	v_mov_b32_e32 v7, 11
	v_cmp_lt_i16_sdwa s[6:7], s25, v7 src0_sel:BYTE_0 src1_sel:DWORD
	s_and_b64 vcc, exec, s[6:7]
	s_cbranch_vccnz .LBB48_2407
; %bb.2401:
	v_mov_b32_e32 v7, 25
	v_cmp_gt_i16_sdwa s[6:7], s25, v7 src0_sel:BYTE_0 src1_sel:DWORD
	s_mov_b64 s[10:11], 0
	s_and_b64 vcc, exec, s[6:7]
	s_cbranch_vccz .LBB48_2408
; %bb.2402:
	v_mov_b32_e32 v7, 28
	v_cmp_gt_i16_sdwa s[6:7], s25, v7 src0_sel:BYTE_0 src1_sel:DWORD
	s_and_b64 vcc, exec, s[6:7]
	s_cbranch_vccz .LBB48_2409
; %bb.2403:
	v_mov_b32_e32 v7, 43
	v_cmp_gt_i16_sdwa s[6:7], s25, v7 src0_sel:BYTE_0 src1_sel:DWORD
	;; [unrolled: 5-line block ×3, first 2 shown]
	s_and_b64 vcc, exec, s[6:7]
	s_cbranch_vccz .LBB48_2412
; %bb.2405:
	v_mov_b32_e32 v7, 46
	v_cmp_eq_u16_sdwa s[6:7], s25, v7 src0_sel:BYTE_0 src1_sel:DWORD
	s_mov_b64 s[18:19], 0
	s_and_b64 vcc, exec, s[6:7]
	s_cbranch_vccz .LBB48_2413
; %bb.2406:
	global_load_dword v7, v[10:11], off
	s_mov_b64 s[6:7], 0
	s_mov_b64 s[16:17], -1
	s_waitcnt vmcnt(0)
	v_lshlrev_b32_e32 v7, 16, v7
	v_cvt_f16_f32_e32 v12, v7
	s_branch .LBB48_2414
.LBB48_2407:
	s_mov_b64 s[6:7], -1
	s_mov_b64 s[16:17], 0
                                        ; implicit-def: $vgpr12
	s_branch .LBB48_2480
.LBB48_2408:
	s_mov_b64 s[18:19], -1
	s_mov_b64 s[16:17], 0
	s_mov_b64 s[6:7], 0
                                        ; implicit-def: $vgpr12
	s_branch .LBB48_2443
.LBB48_2409:
	s_mov_b64 s[18:19], -1
	s_mov_b64 s[16:17], 0
	s_mov_b64 s[6:7], 0
                                        ; implicit-def: $vgpr12
	s_branch .LBB48_2424
.LBB48_2410:
	s_mov_b64 s[18:19], -1
	s_mov_b64 s[16:17], 0
	s_mov_b64 s[6:7], 0
                                        ; implicit-def: $vgpr12
	s_branch .LBB48_2419
.LBB48_2411:
	s_trap 2
	s_or_b64 s[4:5], s[4:5], exec
                                        ; implicit-def: $vgpr14
	s_cbranch_execz .LBB48_2348
	s_branch .LBB48_2349
.LBB48_2412:
	s_mov_b64 s[18:19], -1
	s_mov_b64 s[16:17], 0
	s_mov_b64 s[6:7], 0
                                        ; implicit-def: $vgpr12
	s_branch .LBB48_2414
.LBB48_2413:
	s_mov_b64 s[6:7], -1
                                        ; implicit-def: $vgpr12
	s_mov_b64 s[16:17], 0
.LBB48_2414:
	s_and_b64 vcc, exec, s[18:19]
	s_cbranch_vccz .LBB48_2418
; %bb.2415:
	v_mov_b32_e32 v7, 44
	v_cmp_eq_u16_sdwa s[6:7], s25, v7 src0_sel:BYTE_0 src1_sel:DWORD
	s_and_b64 vcc, exec, s[6:7]
	s_cbranch_vccz .LBB48_2417
; %bb.2416:
	global_load_ubyte v7, v[10:11], off
	s_movk_i32 s16, 0xff
	v_mov_b32_e32 v12, 0x7e00
	s_mov_b64 s[6:7], 0
	s_waitcnt vmcnt(0)
	v_lshlrev_b32_e32 v9, 23, v7
	v_cvt_f16_f32_e32 v9, v9
	v_cmp_ne_u32_e32 vcc, s16, v7
	s_mov_b64 s[16:17], -1
	v_cndmask_b32_e32 v9, v12, v9, vcc
	v_cmp_ne_u32_e32 vcc, 0, v7
	v_cndmask_b32_e32 v12, 0, v9, vcc
	s_branch .LBB48_2418
.LBB48_2417:
	s_mov_b64 s[6:7], -1
                                        ; implicit-def: $vgpr12
.LBB48_2418:
	s_mov_b64 s[18:19], 0
.LBB48_2419:
	s_and_b64 vcc, exec, s[18:19]
	s_cbranch_vccz .LBB48_2423
; %bb.2420:
	v_mov_b32_e32 v7, 29
	v_cmp_eq_u16_sdwa s[6:7], s25, v7 src0_sel:BYTE_0 src1_sel:DWORD
	s_and_b64 vcc, exec, s[6:7]
	s_cbranch_vccz .LBB48_2422
; %bb.2421:
	global_load_dwordx2 v[12:13], v[10:11], off
	s_mov_b64 s[6:7], 0
	s_mov_b64 s[16:17], -1
	s_mov_b64 s[18:19], 0
	s_waitcnt vmcnt(0)
	v_ffbh_u32_e32 v7, v13
	v_min_u32_e32 v7, 32, v7
	v_lshlrev_b64 v[12:13], v7, v[12:13]
	v_min_u32_e32 v9, 1, v12
	v_or_b32_e32 v9, v13, v9
	v_cvt_f32_u32_e32 v9, v9
	v_sub_u32_e32 v7, 32, v7
	v_ldexp_f32 v7, v9, v7
	v_cvt_f16_f32_e32 v12, v7
	s_branch .LBB48_2424
.LBB48_2422:
	s_mov_b64 s[6:7], -1
                                        ; implicit-def: $vgpr12
.LBB48_2423:
	s_mov_b64 s[18:19], 0
.LBB48_2424:
	s_and_b64 vcc, exec, s[18:19]
	s_cbranch_vccz .LBB48_2442
; %bb.2425:
	v_mov_b32_e32 v7, 27
	v_cmp_lt_i16_sdwa s[16:17], s25, v7 src0_sel:BYTE_0 src1_sel:DWORD
	s_and_b64 vcc, exec, s[16:17]
	s_cbranch_vccnz .LBB48_2428
; %bb.2426:
	v_cmp_gt_i16_sdwa s[16:17], s25, v7 src0_sel:BYTE_0 src1_sel:DWORD
	s_and_b64 vcc, exec, s[16:17]
	s_cbranch_vccz .LBB48_2429
; %bb.2427:
	global_load_dword v7, v[10:11], off
	s_mov_b64 s[16:17], 0
	s_waitcnt vmcnt(0)
	v_cvt_f32_u32_e32 v7, v7
	v_cvt_f16_f32_e32 v12, v7
	s_branch .LBB48_2430
.LBB48_2428:
	s_mov_b64 s[16:17], -1
                                        ; implicit-def: $vgpr12
	s_branch .LBB48_2433
.LBB48_2429:
	s_mov_b64 s[16:17], -1
                                        ; implicit-def: $vgpr12
.LBB48_2430:
	s_andn2_b64 vcc, exec, s[16:17]
	s_cbranch_vccnz .LBB48_2432
; %bb.2431:
	global_load_ushort v7, v[10:11], off
	s_waitcnt vmcnt(0)
	v_cvt_f16_u16_e32 v12, v7
.LBB48_2432:
	s_mov_b64 s[16:17], 0
.LBB48_2433:
	s_andn2_b64 vcc, exec, s[16:17]
	s_cbranch_vccnz .LBB48_2441
; %bb.2434:
	global_load_ubyte v7, v[10:11], off
	s_movk_i32 s16, 0x7f
                                        ; implicit-def: $sgpr22
	s_waitcnt vmcnt(0)
	v_cmp_lt_i16_e32 vcc, s16, v7
	s_mov_b64 s[16:17], 0
	s_and_saveexec_b64 s[18:19], vcc
	s_xor_b64 s[18:19], exec, s[18:19]
	s_cbranch_execz .LBB48_2455
; %bb.2435:
	s_movk_i32 s16, 0x80
	v_cmp_eq_u16_e32 vcc, s16, v7
	s_mov_b64 s[16:17], -1
                                        ; implicit-def: $sgpr22
	s_and_saveexec_b64 s[20:21], vcc
; %bb.2436:
	s_movk_i32 s22, 0x7e00
	s_xor_b64 s[16:17], exec, -1
; %bb.2437:
	s_or_b64 exec, exec, s[20:21]
	s_and_b64 s[16:17], s[16:17], exec
	s_or_saveexec_b64 s[18:19], s[18:19]
	v_mov_b32_e32 v12, s22
	s_xor_b64 exec, exec, s[18:19]
	s_cbranch_execnz .LBB48_2456
.LBB48_2438:
	s_or_b64 exec, exec, s[18:19]
	s_and_saveexec_b64 s[18:19], s[16:17]
	s_cbranch_execz .LBB48_2440
.LBB48_2439:
	v_lshlrev_b32_e32 v9, 24, v7
	v_and_b32_e32 v7, 0xffff, v7
	v_and_b32_e32 v12, 7, v7
	v_ffbh_u32_e32 v15, v12
	v_min_u32_e32 v15, 32, v15
	v_subrev_u32_e32 v17, 28, v15
	v_bfe_u32 v13, v7, 3, 4
	v_lshlrev_b32_e32 v7, v17, v7
	v_sub_u32_e32 v15, 29, v15
	v_and_b32_e32 v7, 7, v7
	v_cmp_eq_u32_e32 vcc, 0, v13
	v_cndmask_b32_e32 v13, v13, v15, vcc
	v_cndmask_b32_e32 v7, v12, v7, vcc
	v_mov_b32_e32 v12, 0x3b800000
	v_lshlrev_b32_e32 v7, 20, v7
	v_and_b32_e32 v9, 0x80000000, v9
	v_lshl_add_u32 v12, v13, 23, v12
	v_or3_b32 v7, v9, v12, v7
	v_cvt_f16_f32_e32 v12, v7
.LBB48_2440:
	s_or_b64 exec, exec, s[18:19]
.LBB48_2441:
	s_mov_b64 s[16:17], -1
.LBB48_2442:
	s_mov_b64 s[18:19], 0
.LBB48_2443:
	s_and_b64 vcc, exec, s[18:19]
	s_cbranch_vccz .LBB48_2476
; %bb.2444:
	v_mov_b32_e32 v7, 22
	v_cmp_gt_i16_sdwa s[10:11], s25, v7 src0_sel:BYTE_0 src1_sel:DWORD
	s_and_b64 vcc, exec, s[10:11]
	s_cbranch_vccz .LBB48_2454
; %bb.2445:
	v_mov_b32_e32 v7, 24
	v_cmp_lt_i16_sdwa s[10:11], s25, v7 src0_sel:BYTE_0 src1_sel:DWORD
	s_and_b64 vcc, exec, s[10:11]
	s_cbranch_vccnz .LBB48_2457
; %bb.2446:
	v_cmp_gt_i16_sdwa s[10:11], s25, v7 src0_sel:BYTE_0 src1_sel:DWORD
	s_and_b64 vcc, exec, s[10:11]
	s_cbranch_vccz .LBB48_2458
; %bb.2447:
	global_load_ubyte v7, v[10:11], off
	s_movk_i32 s10, 0x7f
                                        ; implicit-def: $sgpr20
	s_waitcnt vmcnt(0)
	v_cmp_lt_i16_e32 vcc, s10, v7
	s_mov_b64 s[10:11], 0
	s_and_saveexec_b64 s[16:17], vcc
	s_xor_b64 s[16:17], exec, s[16:17]
	s_cbranch_execz .LBB48_2470
; %bb.2448:
	s_movk_i32 s10, 0x80
	v_cmp_eq_u16_e32 vcc, s10, v7
	s_mov_b64 s[10:11], -1
                                        ; implicit-def: $sgpr20
	s_and_saveexec_b64 s[18:19], vcc
; %bb.2449:
	s_movk_i32 s20, 0x7e00
	s_xor_b64 s[10:11], exec, -1
; %bb.2450:
	s_or_b64 exec, exec, s[18:19]
	s_and_b64 s[10:11], s[10:11], exec
	s_or_saveexec_b64 s[16:17], s[16:17]
	v_mov_b32_e32 v12, s20
	s_xor_b64 exec, exec, s[16:17]
	s_cbranch_execnz .LBB48_2471
.LBB48_2451:
	s_or_b64 exec, exec, s[16:17]
	s_and_saveexec_b64 s[16:17], s[10:11]
	s_cbranch_execz .LBB48_2453
.LBB48_2452:
	v_lshlrev_b32_e32 v9, 24, v7
	v_and_b32_e32 v7, 0xffff, v7
	v_and_b32_e32 v12, 3, v7
	v_ffbh_u32_e32 v15, v12
	v_min_u32_e32 v15, 32, v15
	v_subrev_u32_e32 v17, 29, v15
	v_bfe_u32 v13, v7, 2, 5
	v_lshlrev_b32_e32 v7, v17, v7
	v_sub_u32_e32 v15, 30, v15
	v_and_b32_e32 v7, 3, v7
	v_cmp_eq_u32_e32 vcc, 0, v13
	v_cndmask_b32_e32 v13, v13, v15, vcc
	v_cndmask_b32_e32 v7, v12, v7, vcc
	v_mov_b32_e32 v12, 0x37800000
	v_lshlrev_b32_e32 v7, 21, v7
	v_and_b32_e32 v9, 0x80000000, v9
	v_lshl_add_u32 v12, v13, 23, v12
	v_or3_b32 v7, v9, v12, v7
	v_cvt_f16_f32_e32 v12, v7
.LBB48_2453:
	s_or_b64 exec, exec, s[16:17]
	s_mov_b64 s[10:11], 0
	s_branch .LBB48_2459
.LBB48_2454:
	s_mov_b64 s[10:11], -1
                                        ; implicit-def: $vgpr12
	s_branch .LBB48_2465
.LBB48_2455:
	s_or_saveexec_b64 s[18:19], s[18:19]
	v_mov_b32_e32 v12, s22
	s_xor_b64 exec, exec, s[18:19]
	s_cbranch_execz .LBB48_2438
.LBB48_2456:
	v_cmp_ne_u16_e32 vcc, 0, v7
	s_andn2_b64 s[16:17], s[16:17], exec
	s_and_b64 s[20:21], vcc, exec
	s_or_b64 s[16:17], s[16:17], s[20:21]
	v_mov_b32_e32 v12, v7
	s_or_b64 exec, exec, s[18:19]
	s_and_saveexec_b64 s[18:19], s[16:17]
	s_cbranch_execnz .LBB48_2439
	s_branch .LBB48_2440
.LBB48_2457:
	s_mov_b64 s[10:11], -1
                                        ; implicit-def: $vgpr12
	s_branch .LBB48_2462
.LBB48_2458:
	s_mov_b64 s[10:11], -1
                                        ; implicit-def: $vgpr12
.LBB48_2459:
	s_and_b64 vcc, exec, s[10:11]
	s_cbranch_vccz .LBB48_2461
; %bb.2460:
	global_load_ubyte v7, v[10:11], off
	s_mov_b32 s10, 0x7f800000
	s_waitcnt vmcnt(0)
	v_lshlrev_b32_e32 v7, 24, v7
	v_and_b32_e32 v9, 0x7f000000, v7
	v_ffbh_u32_e32 v12, v9
	v_min_u32_e32 v12, 32, v12
	v_sub_u32_e64 v12, v12, 4 clamp
	v_lshlrev_b32_e32 v15, v12, v9
	v_lshlrev_b32_e32 v12, 23, v12
	v_lshrrev_b32_e32 v15, 4, v15
	v_add_u32_e32 v13, 0x1000000, v9
	v_sub_u32_e32 v12, v15, v12
	v_ashrrev_i32_e32 v13, 8, v13
	v_add_u32_e32 v12, 0x3c000000, v12
	v_and_or_b32 v12, v13, s10, v12
	v_cmp_ne_u32_e32 vcc, 0, v9
	v_cndmask_b32_e32 v9, 0, v12, vcc
	s_brev_b32 s10, 1
	v_and_or_b32 v7, v7, s10, v9
	v_cvt_f16_f32_e32 v12, v7
.LBB48_2461:
	s_mov_b64 s[10:11], 0
.LBB48_2462:
	s_andn2_b64 vcc, exec, s[10:11]
	s_cbranch_vccnz .LBB48_2464
; %bb.2463:
	global_load_ubyte v7, v[10:11], off
	s_movk_i32 s10, 0x7f00
	s_brev_b32 s11, 16
	s_waitcnt vmcnt(0)
	v_lshlrev_b16_e32 v9, 8, v7
	v_lshlrev_b32_e32 v7, 25, v7
	v_lshrrev_b32_e32 v12, 4, v7
	v_and_or_b32 v13, v9, s10, 0.5
	v_or_b32_e32 v12, 0x70000000, v12
	v_add_f32_e32 v13, -0.5, v13
	v_mul_f32_e32 v12, 0x7800000, v12
	v_cmp_gt_u32_e32 vcc, s11, v7
	v_bfe_i32 v9, v9, 0, 16
	v_cndmask_b32_e32 v7, v12, v13, vcc
	s_brev_b32 s10, 1
	v_and_or_b32 v7, v9, s10, v7
	v_cvt_f16_f32_e32 v12, v7
.LBB48_2464:
	s_mov_b64 s[10:11], 0
	s_mov_b64 s[16:17], -1
.LBB48_2465:
	s_andn2_b64 vcc, exec, s[10:11]
	s_mov_b64 s[10:11], 0
	s_cbranch_vccnz .LBB48_2476
; %bb.2466:
	v_mov_b32_e32 v7, 14
	v_cmp_gt_i16_sdwa s[10:11], s25, v7 src0_sel:BYTE_0 src1_sel:DWORD
	s_and_b64 vcc, exec, s[10:11]
	s_cbranch_vccz .LBB48_2469
; %bb.2467:
	v_mov_b32_e32 v7, 15
	v_cmp_eq_u16_sdwa s[6:7], s25, v7 src0_sel:BYTE_0 src1_sel:DWORD
	s_and_b64 vcc, exec, s[6:7]
	s_cbranch_vccz .LBB48_2472
; %bb.2468:
	global_load_ushort v7, v[10:11], off
	s_mov_b64 s[6:7], 0
	s_mov_b64 s[16:17], -1
	s_waitcnt vmcnt(0)
	v_lshlrev_b32_e32 v7, 16, v7
	v_cvt_f16_f32_e32 v12, v7
	s_branch .LBB48_2473
.LBB48_2469:
	s_mov_b64 s[18:19], -1
                                        ; implicit-def: $vgpr12
	s_branch .LBB48_2474
.LBB48_2470:
	s_or_saveexec_b64 s[16:17], s[16:17]
	v_mov_b32_e32 v12, s20
	s_xor_b64 exec, exec, s[16:17]
	s_cbranch_execz .LBB48_2451
.LBB48_2471:
	v_cmp_ne_u16_e32 vcc, 0, v7
	s_andn2_b64 s[10:11], s[10:11], exec
	s_and_b64 s[18:19], vcc, exec
	s_or_b64 s[10:11], s[10:11], s[18:19]
	v_mov_b32_e32 v12, v7
	s_or_b64 exec, exec, s[16:17]
	s_and_saveexec_b64 s[16:17], s[10:11]
	s_cbranch_execnz .LBB48_2452
	s_branch .LBB48_2453
.LBB48_2472:
	s_mov_b64 s[6:7], -1
                                        ; implicit-def: $vgpr12
.LBB48_2473:
	s_mov_b64 s[18:19], 0
.LBB48_2474:
	s_mov_b64 s[10:11], 0
	s_and_b64 vcc, exec, s[18:19]
	s_cbranch_vccz .LBB48_2476
; %bb.2475:
	v_mov_b32_e32 v7, 11
	v_cmp_ne_u16_sdwa s[6:7], s25, v7 src0_sel:BYTE_0 src1_sel:DWORD
	s_mov_b64 s[10:11], -1
                                        ; implicit-def: $vgpr12
.LBB48_2476:
	s_and_b64 vcc, exec, s[6:7]
	s_cbranch_vccnz .LBB48_2541
; %bb.2477:
	s_andn2_b64 vcc, exec, s[10:11]
	s_cbranch_vccnz .LBB48_2479
.LBB48_2478:
	global_load_ubyte v7, v[10:11], off
	v_mov_b32_e32 v9, 0x3c00
	s_mov_b64 s[16:17], -1
	s_waitcnt vmcnt(0)
	v_cmp_ne_u16_e32 vcc, 0, v7
	v_cndmask_b32_e32 v12, 0, v9, vcc
.LBB48_2479:
	s_mov_b64 s[6:7], 0
.LBB48_2480:
	s_and_b64 vcc, exec, s[6:7]
	s_cbranch_vccz .LBB48_2529
; %bb.2481:
	v_mov_b32_e32 v7, 5
	v_cmp_lt_i16_sdwa s[6:7], s25, v7 src0_sel:BYTE_0 src1_sel:DWORD
	s_and_b64 vcc, exec, s[6:7]
	s_cbranch_vccnz .LBB48_2486
; %bb.2482:
	v_mov_b32_e32 v7, 8
	v_cmp_lt_i16_sdwa s[6:7], s25, v7 src0_sel:BYTE_0 src1_sel:DWORD
	s_and_b64 vcc, exec, s[6:7]
	s_cbranch_vccnz .LBB48_2487
	;; [unrolled: 5-line block ×3, first 2 shown]
; %bb.2484:
	v_cmp_gt_i16_sdwa s[6:7], s25, v7 src0_sel:BYTE_0 src1_sel:DWORD
	s_and_b64 vcc, exec, s[6:7]
	s_cbranch_vccz .LBB48_2489
; %bb.2485:
	global_load_dwordx2 v[12:13], v[10:11], off
	s_mov_b64 s[6:7], 0
	s_waitcnt vmcnt(0)
	v_cvt_f32_f64_e32 v7, v[12:13]
	v_cvt_f16_f32_e32 v12, v7
	s_branch .LBB48_2490
.LBB48_2486:
	s_mov_b64 s[6:7], -1
                                        ; implicit-def: $vgpr12
	s_branch .LBB48_2508
.LBB48_2487:
	s_mov_b64 s[6:7], -1
                                        ; implicit-def: $vgpr12
	s_branch .LBB48_2496
.LBB48_2488:
	s_mov_b64 s[6:7], -1
                                        ; implicit-def: $vgpr12
	s_branch .LBB48_2493
.LBB48_2489:
	s_mov_b64 s[6:7], -1
                                        ; implicit-def: $vgpr12
.LBB48_2490:
	s_andn2_b64 vcc, exec, s[6:7]
	s_cbranch_vccnz .LBB48_2492
; %bb.2491:
	global_load_dword v7, v[10:11], off
	s_waitcnt vmcnt(0)
	v_cvt_f16_f32_e32 v12, v7
.LBB48_2492:
	s_mov_b64 s[6:7], 0
.LBB48_2493:
	s_andn2_b64 vcc, exec, s[6:7]
	s_cbranch_vccnz .LBB48_2495
; %bb.2494:
	global_load_dword v12, v[10:11], off
.LBB48_2495:
	s_mov_b64 s[6:7], 0
.LBB48_2496:
	s_andn2_b64 vcc, exec, s[6:7]
	s_cbranch_vccnz .LBB48_2507
; %bb.2497:
	v_mov_b32_e32 v7, 6
	v_cmp_lt_i16_sdwa s[6:7], s25, v7 src0_sel:BYTE_0 src1_sel:DWORD
	s_and_b64 vcc, exec, s[6:7]
	s_cbranch_vccnz .LBB48_2500
; %bb.2498:
	v_cmp_gt_i16_sdwa s[6:7], s25, v7 src0_sel:BYTE_0 src1_sel:DWORD
	s_and_b64 vcc, exec, s[6:7]
	s_cbranch_vccz .LBB48_2501
; %bb.2499:
	global_load_dwordx2 v[12:13], v[10:11], off
	s_mov_b64 s[6:7], 0
	s_waitcnt vmcnt(0)
	v_cvt_f32_f64_e32 v7, v[12:13]
	v_cvt_f16_f32_e32 v12, v7
	s_branch .LBB48_2502
.LBB48_2500:
	s_mov_b64 s[6:7], -1
                                        ; implicit-def: $vgpr12
	s_branch .LBB48_2505
.LBB48_2501:
	s_mov_b64 s[6:7], -1
                                        ; implicit-def: $vgpr12
.LBB48_2502:
	s_andn2_b64 vcc, exec, s[6:7]
	s_cbranch_vccnz .LBB48_2504
; %bb.2503:
	global_load_dword v7, v[10:11], off
	s_waitcnt vmcnt(0)
	v_cvt_f16_f32_e32 v12, v7
.LBB48_2504:
	s_mov_b64 s[6:7], 0
.LBB48_2505:
	s_andn2_b64 vcc, exec, s[6:7]
	s_cbranch_vccnz .LBB48_2507
; %bb.2506:
	global_load_ushort v12, v[10:11], off
.LBB48_2507:
	s_mov_b64 s[6:7], 0
.LBB48_2508:
	s_andn2_b64 vcc, exec, s[6:7]
	s_cbranch_vccnz .LBB48_2528
; %bb.2509:
	v_mov_b32_e32 v7, 2
	v_cmp_lt_i16_sdwa s[6:7], s25, v7 src0_sel:BYTE_0 src1_sel:DWORD
	s_and_b64 vcc, exec, s[6:7]
	s_cbranch_vccnz .LBB48_2513
; %bb.2510:
	v_mov_b32_e32 v7, 3
	v_cmp_lt_i16_sdwa s[6:7], s25, v7 src0_sel:BYTE_0 src1_sel:DWORD
	s_and_b64 vcc, exec, s[6:7]
	s_cbranch_vccnz .LBB48_2514
; %bb.2511:
	v_cmp_gt_i16_sdwa s[6:7], s25, v7 src0_sel:BYTE_0 src1_sel:DWORD
	s_and_b64 vcc, exec, s[6:7]
	s_cbranch_vccz .LBB48_2515
; %bb.2512:
	global_load_dwordx2 v[12:13], v[10:11], off
	s_mov_b64 s[6:7], 0
	s_waitcnt vmcnt(0)
	v_xor_b32_e32 v9, v12, v13
	v_ffbh_i32_e32 v7, v13
	v_ashrrev_i32_e32 v9, 31, v9
	v_add_u32_e32 v7, -1, v7
	v_add_u32_e32 v9, 32, v9
	v_min_u32_e32 v7, v7, v9
	v_lshlrev_b64 v[12:13], v7, v[12:13]
	v_min_u32_e32 v9, 1, v12
	v_or_b32_e32 v9, v13, v9
	v_cvt_f32_i32_e32 v9, v9
	v_sub_u32_e32 v7, 32, v7
	v_ldexp_f32 v7, v9, v7
	v_cvt_f16_f32_e32 v12, v7
	s_branch .LBB48_2516
.LBB48_2513:
	s_mov_b64 s[6:7], -1
                                        ; implicit-def: $vgpr12
	s_branch .LBB48_2522
.LBB48_2514:
	s_mov_b64 s[6:7], -1
                                        ; implicit-def: $vgpr12
	s_branch .LBB48_2519
.LBB48_2515:
	s_mov_b64 s[6:7], -1
                                        ; implicit-def: $vgpr12
.LBB48_2516:
	s_andn2_b64 vcc, exec, s[6:7]
	s_cbranch_vccnz .LBB48_2518
; %bb.2517:
	global_load_dword v7, v[10:11], off
	s_waitcnt vmcnt(0)
	v_cvt_f32_i32_e32 v7, v7
	v_cvt_f16_f32_e32 v12, v7
.LBB48_2518:
	s_mov_b64 s[6:7], 0
.LBB48_2519:
	s_andn2_b64 vcc, exec, s[6:7]
	s_cbranch_vccnz .LBB48_2521
; %bb.2520:
	global_load_ushort v7, v[10:11], off
	s_waitcnt vmcnt(0)
	v_cvt_f16_i16_e32 v12, v7
.LBB48_2521:
	s_mov_b64 s[6:7], 0
.LBB48_2522:
	s_andn2_b64 vcc, exec, s[6:7]
	s_cbranch_vccnz .LBB48_2528
; %bb.2523:
	v_mov_b32_e32 v7, 0
	v_cmp_gt_i16_sdwa s[6:7], s25, v7 src0_sel:BYTE_0 src1_sel:DWORD
	s_and_b64 vcc, exec, s[6:7]
	s_cbranch_vccz .LBB48_2525
; %bb.2524:
	global_load_sbyte v7, v[10:11], off
	s_mov_b64 s[6:7], 0
	s_waitcnt vmcnt(0)
	v_cvt_f16_i16_e32 v12, v7
	s_branch .LBB48_2526
.LBB48_2525:
	s_mov_b64 s[6:7], -1
                                        ; implicit-def: $vgpr12
.LBB48_2526:
	s_andn2_b64 vcc, exec, s[6:7]
	s_cbranch_vccnz .LBB48_2528
; %bb.2527:
	global_load_ubyte v7, v[10:11], off
	s_waitcnt vmcnt(0)
	v_cvt_f16_u16_e32 v12, v7
.LBB48_2528:
	s_mov_b64 s[16:17], -1
.LBB48_2529:
	s_andn2_b64 vcc, exec, s[16:17]
	s_cbranch_vccnz .LBB48_3113
; %bb.2530:
	v_mov_b32_e32 v7, s1
	v_add_co_u32_e32 v8, vcc, s0, v8
	v_addc_co_u32_e32 v9, vcc, 0, v7, vcc
	s_and_b64 vcc, exec, s[2:3]
	s_cbranch_vccnz .LBB48_2537
; %bb.2531:
	v_cmp_gt_i16_e64 s[0:1], s26, 25
	s_mov_b64 s[2:3], 0
	s_and_b64 vcc, exec, s[0:1]
	s_cbranch_vccz .LBB48_2538
; %bb.2532:
	v_cmp_gt_i16_e64 s[0:1], s26, 28
	s_and_b64 vcc, exec, s[0:1]
	s_cbranch_vccz .LBB48_2539
; %bb.2533:
	v_cmp_gt_i16_e64 s[0:1], s26, 43
	;; [unrolled: 4-line block ×3, first 2 shown]
	s_and_b64 vcc, exec, s[0:1]
	s_cbranch_vccz .LBB48_2542
; %bb.2535:
	v_cmp_eq_u16_e64 s[0:1], s26, 46
	s_mov_b64 s[10:11], 0
	s_and_b64 vcc, exec, s[0:1]
	s_cbranch_vccz .LBB48_2543
; %bb.2536:
	global_load_dword v7, v[8:9], off
	s_mov_b64 s[0:1], 0
	s_mov_b64 s[6:7], -1
	s_waitcnt vmcnt(0)
	v_lshlrev_b32_e32 v7, 16, v7
	v_cvt_f16_f32_e32 v10, v7
	s_branch .LBB48_2544
.LBB48_2537:
	s_mov_b64 s[0:1], -1
	s_mov_b64 s[6:7], 0
                                        ; implicit-def: $vgpr10
	s_branch .LBB48_2610
.LBB48_2538:
	s_mov_b64 s[10:11], -1
	s_mov_b64 s[6:7], 0
	s_mov_b64 s[0:1], 0
                                        ; implicit-def: $vgpr10
	s_branch .LBB48_2573
.LBB48_2539:
	s_mov_b64 s[10:11], -1
	s_mov_b64 s[6:7], 0
	s_mov_b64 s[0:1], 0
                                        ; implicit-def: $vgpr10
	s_branch .LBB48_2554
.LBB48_2540:
	s_mov_b64 s[10:11], -1
	s_mov_b64 s[6:7], 0
	s_mov_b64 s[0:1], 0
                                        ; implicit-def: $vgpr10
	s_branch .LBB48_2549
.LBB48_2541:
	s_trap 2
	s_or_b64 s[4:5], s[4:5], exec
                                        ; implicit-def: $vgpr12
	s_cbranch_execz .LBB48_2478
	s_branch .LBB48_2479
.LBB48_2542:
	s_mov_b64 s[10:11], -1
	s_mov_b64 s[6:7], 0
	s_mov_b64 s[0:1], 0
                                        ; implicit-def: $vgpr10
	s_branch .LBB48_2544
.LBB48_2543:
	s_mov_b64 s[0:1], -1
                                        ; implicit-def: $vgpr10
	s_mov_b64 s[6:7], 0
.LBB48_2544:
	s_and_b64 vcc, exec, s[10:11]
	s_cbranch_vccz .LBB48_2548
; %bb.2545:
	v_cmp_eq_u16_e64 s[0:1], s26, 44
	s_and_b64 vcc, exec, s[0:1]
	s_cbranch_vccz .LBB48_2547
; %bb.2546:
	global_load_ubyte v7, v[8:9], off
	s_movk_i32 s6, 0xff
	v_mov_b32_e32 v11, 0x7e00
	s_mov_b64 s[0:1], 0
	s_waitcnt vmcnt(0)
	v_lshlrev_b32_e32 v10, 23, v7
	v_cvt_f16_f32_e32 v10, v10
	v_cmp_ne_u32_e32 vcc, s6, v7
	s_mov_b64 s[6:7], -1
	v_cndmask_b32_e32 v10, v11, v10, vcc
	v_cmp_ne_u32_e32 vcc, 0, v7
	v_cndmask_b32_e32 v10, 0, v10, vcc
	s_branch .LBB48_2548
.LBB48_2547:
	s_mov_b64 s[0:1], -1
                                        ; implicit-def: $vgpr10
.LBB48_2548:
	s_mov_b64 s[10:11], 0
.LBB48_2549:
	s_and_b64 vcc, exec, s[10:11]
	s_cbranch_vccz .LBB48_2553
; %bb.2550:
	v_cmp_eq_u16_e64 s[0:1], s26, 29
	s_and_b64 vcc, exec, s[0:1]
	s_cbranch_vccz .LBB48_2552
; %bb.2551:
	global_load_dwordx2 v[10:11], v[8:9], off
	s_mov_b64 s[0:1], 0
	s_mov_b64 s[6:7], -1
	s_mov_b64 s[10:11], 0
	s_waitcnt vmcnt(0)
	v_ffbh_u32_e32 v7, v11
	v_min_u32_e32 v7, 32, v7
	v_lshlrev_b64 v[10:11], v7, v[10:11]
	v_min_u32_e32 v10, 1, v10
	v_or_b32_e32 v10, v11, v10
	v_cvt_f32_u32_e32 v10, v10
	v_sub_u32_e32 v7, 32, v7
	v_ldexp_f32 v7, v10, v7
	v_cvt_f16_f32_e32 v10, v7
	s_branch .LBB48_2554
.LBB48_2552:
	s_mov_b64 s[0:1], -1
                                        ; implicit-def: $vgpr10
.LBB48_2553:
	s_mov_b64 s[10:11], 0
.LBB48_2554:
	s_and_b64 vcc, exec, s[10:11]
	s_cbranch_vccz .LBB48_2572
; %bb.2555:
	v_cmp_lt_i16_e64 s[6:7], s26, 27
	s_and_b64 vcc, exec, s[6:7]
	s_cbranch_vccnz .LBB48_2558
; %bb.2556:
	v_cmp_gt_i16_e64 s[6:7], s26, 27
	s_and_b64 vcc, exec, s[6:7]
	s_cbranch_vccz .LBB48_2559
; %bb.2557:
	global_load_dword v7, v[8:9], off
	s_mov_b64 s[6:7], 0
	s_waitcnt vmcnt(0)
	v_cvt_f32_u32_e32 v7, v7
	v_cvt_f16_f32_e32 v10, v7
	s_branch .LBB48_2560
.LBB48_2558:
	s_mov_b64 s[6:7], -1
                                        ; implicit-def: $vgpr10
	s_branch .LBB48_2563
.LBB48_2559:
	s_mov_b64 s[6:7], -1
                                        ; implicit-def: $vgpr10
.LBB48_2560:
	s_andn2_b64 vcc, exec, s[6:7]
	s_cbranch_vccnz .LBB48_2562
; %bb.2561:
	global_load_ushort v7, v[8:9], off
	s_waitcnt vmcnt(0)
	v_cvt_f16_u16_e32 v10, v7
.LBB48_2562:
	s_mov_b64 s[6:7], 0
.LBB48_2563:
	s_andn2_b64 vcc, exec, s[6:7]
	s_cbranch_vccnz .LBB48_2571
; %bb.2564:
	global_load_ubyte v7, v[8:9], off
	s_movk_i32 s6, 0x7f
                                        ; implicit-def: $sgpr18
	s_waitcnt vmcnt(0)
	v_cmp_lt_i16_e32 vcc, s6, v7
	s_mov_b64 s[6:7], 0
	s_and_saveexec_b64 s[10:11], vcc
	s_xor_b64 s[10:11], exec, s[10:11]
	s_cbranch_execz .LBB48_2585
; %bb.2565:
	s_movk_i32 s6, 0x80
	v_cmp_eq_u16_e32 vcc, s6, v7
	s_mov_b64 s[6:7], -1
                                        ; implicit-def: $sgpr18
	s_and_saveexec_b64 s[16:17], vcc
; %bb.2566:
	s_movk_i32 s18, 0x7e00
	s_xor_b64 s[6:7], exec, -1
; %bb.2567:
	s_or_b64 exec, exec, s[16:17]
	s_and_b64 s[6:7], s[6:7], exec
	s_or_saveexec_b64 s[10:11], s[10:11]
	v_mov_b32_e32 v10, s18
	s_xor_b64 exec, exec, s[10:11]
	s_cbranch_execnz .LBB48_2586
.LBB48_2568:
	s_or_b64 exec, exec, s[10:11]
	s_and_saveexec_b64 s[10:11], s[6:7]
	s_cbranch_execz .LBB48_2570
.LBB48_2569:
	v_lshlrev_b32_e32 v10, 24, v7
	v_and_b32_e32 v7, 0xffff, v7
	v_and_b32_e32 v11, 7, v7
	v_ffbh_u32_e32 v15, v11
	v_min_u32_e32 v15, 32, v15
	v_subrev_u32_e32 v17, 28, v15
	v_bfe_u32 v13, v7, 3, 4
	v_lshlrev_b32_e32 v7, v17, v7
	v_sub_u32_e32 v15, 29, v15
	v_and_b32_e32 v7, 7, v7
	v_cmp_eq_u32_e32 vcc, 0, v13
	v_cndmask_b32_e32 v13, v13, v15, vcc
	v_cndmask_b32_e32 v7, v11, v7, vcc
	v_mov_b32_e32 v11, 0x3b800000
	v_lshlrev_b32_e32 v7, 20, v7
	v_and_b32_e32 v10, 0x80000000, v10
	v_lshl_add_u32 v11, v13, 23, v11
	v_or3_b32 v7, v10, v11, v7
	v_cvt_f16_f32_e32 v10, v7
.LBB48_2570:
	s_or_b64 exec, exec, s[10:11]
.LBB48_2571:
	s_mov_b64 s[6:7], -1
.LBB48_2572:
	s_mov_b64 s[10:11], 0
.LBB48_2573:
	s_and_b64 vcc, exec, s[10:11]
	s_cbranch_vccz .LBB48_2606
; %bb.2574:
	v_cmp_gt_i16_e64 s[2:3], s26, 22
	s_and_b64 vcc, exec, s[2:3]
	s_cbranch_vccz .LBB48_2584
; %bb.2575:
	v_cmp_lt_i16_e64 s[2:3], s26, 24
	s_and_b64 vcc, exec, s[2:3]
	s_cbranch_vccnz .LBB48_2587
; %bb.2576:
	v_cmp_gt_i16_e64 s[2:3], s26, 24
	s_and_b64 vcc, exec, s[2:3]
	s_cbranch_vccz .LBB48_2588
; %bb.2577:
	global_load_ubyte v7, v[8:9], off
	s_movk_i32 s2, 0x7f
                                        ; implicit-def: $sgpr16
	s_waitcnt vmcnt(0)
	v_cmp_lt_i16_e32 vcc, s2, v7
	s_mov_b64 s[2:3], 0
	s_and_saveexec_b64 s[6:7], vcc
	s_xor_b64 s[6:7], exec, s[6:7]
	s_cbranch_execz .LBB48_2600
; %bb.2578:
	s_movk_i32 s2, 0x80
	v_cmp_eq_u16_e32 vcc, s2, v7
	s_mov_b64 s[2:3], -1
                                        ; implicit-def: $sgpr16
	s_and_saveexec_b64 s[10:11], vcc
; %bb.2579:
	s_movk_i32 s16, 0x7e00
	s_xor_b64 s[2:3], exec, -1
; %bb.2580:
	s_or_b64 exec, exec, s[10:11]
	s_and_b64 s[2:3], s[2:3], exec
	s_or_saveexec_b64 s[6:7], s[6:7]
	v_mov_b32_e32 v10, s16
	s_xor_b64 exec, exec, s[6:7]
	s_cbranch_execnz .LBB48_2601
.LBB48_2581:
	s_or_b64 exec, exec, s[6:7]
	s_and_saveexec_b64 s[6:7], s[2:3]
	s_cbranch_execz .LBB48_2583
.LBB48_2582:
	v_lshlrev_b32_e32 v10, 24, v7
	v_and_b32_e32 v7, 0xffff, v7
	v_and_b32_e32 v11, 3, v7
	v_ffbh_u32_e32 v15, v11
	v_min_u32_e32 v15, 32, v15
	v_subrev_u32_e32 v17, 29, v15
	v_bfe_u32 v13, v7, 2, 5
	v_lshlrev_b32_e32 v7, v17, v7
	v_sub_u32_e32 v15, 30, v15
	v_and_b32_e32 v7, 3, v7
	v_cmp_eq_u32_e32 vcc, 0, v13
	v_cndmask_b32_e32 v13, v13, v15, vcc
	v_cndmask_b32_e32 v7, v11, v7, vcc
	v_mov_b32_e32 v11, 0x37800000
	v_lshlrev_b32_e32 v7, 21, v7
	v_and_b32_e32 v10, 0x80000000, v10
	v_lshl_add_u32 v11, v13, 23, v11
	v_or3_b32 v7, v10, v11, v7
	v_cvt_f16_f32_e32 v10, v7
.LBB48_2583:
	s_or_b64 exec, exec, s[6:7]
	s_mov_b64 s[2:3], 0
	s_branch .LBB48_2589
.LBB48_2584:
	s_mov_b64 s[2:3], -1
                                        ; implicit-def: $vgpr10
	s_branch .LBB48_2595
.LBB48_2585:
	s_or_saveexec_b64 s[10:11], s[10:11]
	v_mov_b32_e32 v10, s18
	s_xor_b64 exec, exec, s[10:11]
	s_cbranch_execz .LBB48_2568
.LBB48_2586:
	v_cmp_ne_u16_e32 vcc, 0, v7
	s_andn2_b64 s[6:7], s[6:7], exec
	s_and_b64 s[16:17], vcc, exec
	s_or_b64 s[6:7], s[6:7], s[16:17]
	v_mov_b32_e32 v10, v7
	s_or_b64 exec, exec, s[10:11]
	s_and_saveexec_b64 s[10:11], s[6:7]
	s_cbranch_execnz .LBB48_2569
	s_branch .LBB48_2570
.LBB48_2587:
	s_mov_b64 s[2:3], -1
                                        ; implicit-def: $vgpr10
	s_branch .LBB48_2592
.LBB48_2588:
	s_mov_b64 s[2:3], -1
                                        ; implicit-def: $vgpr10
.LBB48_2589:
	s_and_b64 vcc, exec, s[2:3]
	s_cbranch_vccz .LBB48_2591
; %bb.2590:
	global_load_ubyte v7, v[8:9], off
	s_mov_b32 s2, 0x7f800000
	s_waitcnt vmcnt(0)
	v_lshlrev_b32_e32 v7, 24, v7
	v_and_b32_e32 v10, 0x7f000000, v7
	v_ffbh_u32_e32 v11, v10
	v_min_u32_e32 v11, 32, v11
	v_sub_u32_e64 v11, v11, 4 clamp
	v_lshlrev_b32_e32 v15, v11, v10
	v_lshlrev_b32_e32 v11, 23, v11
	v_lshrrev_b32_e32 v15, 4, v15
	v_add_u32_e32 v13, 0x1000000, v10
	v_sub_u32_e32 v11, v15, v11
	v_ashrrev_i32_e32 v13, 8, v13
	v_add_u32_e32 v11, 0x3c000000, v11
	v_and_or_b32 v11, v13, s2, v11
	v_cmp_ne_u32_e32 vcc, 0, v10
	v_cndmask_b32_e32 v10, 0, v11, vcc
	s_brev_b32 s2, 1
	v_and_or_b32 v7, v7, s2, v10
	v_cvt_f16_f32_e32 v10, v7
.LBB48_2591:
	s_mov_b64 s[2:3], 0
.LBB48_2592:
	s_andn2_b64 vcc, exec, s[2:3]
	s_cbranch_vccnz .LBB48_2594
; %bb.2593:
	global_load_ubyte v7, v[8:9], off
	s_movk_i32 s2, 0x7f00
	s_brev_b32 s3, 16
	s_waitcnt vmcnt(0)
	v_lshlrev_b16_e32 v10, 8, v7
	v_lshlrev_b32_e32 v7, 25, v7
	v_lshrrev_b32_e32 v11, 4, v7
	v_and_or_b32 v13, v10, s2, 0.5
	v_or_b32_e32 v11, 0x70000000, v11
	v_add_f32_e32 v13, -0.5, v13
	v_mul_f32_e32 v11, 0x7800000, v11
	v_cmp_gt_u32_e32 vcc, s3, v7
	v_bfe_i32 v10, v10, 0, 16
	v_cndmask_b32_e32 v7, v11, v13, vcc
	s_brev_b32 s2, 1
	v_and_or_b32 v7, v10, s2, v7
	v_cvt_f16_f32_e32 v10, v7
.LBB48_2594:
	s_mov_b64 s[2:3], 0
	s_mov_b64 s[6:7], -1
.LBB48_2595:
	s_andn2_b64 vcc, exec, s[2:3]
	s_mov_b64 s[2:3], 0
	s_cbranch_vccnz .LBB48_2606
; %bb.2596:
	v_cmp_gt_i16_e64 s[2:3], s26, 14
	s_and_b64 vcc, exec, s[2:3]
	s_cbranch_vccz .LBB48_2599
; %bb.2597:
	v_cmp_eq_u16_e64 s[0:1], s26, 15
	s_and_b64 vcc, exec, s[0:1]
	s_cbranch_vccz .LBB48_2602
; %bb.2598:
	global_load_ushort v7, v[8:9], off
	s_mov_b64 s[0:1], 0
	s_mov_b64 s[6:7], -1
	s_waitcnt vmcnt(0)
	v_lshlrev_b32_e32 v7, 16, v7
	v_cvt_f16_f32_e32 v10, v7
	s_branch .LBB48_2603
.LBB48_2599:
	s_mov_b64 s[10:11], -1
                                        ; implicit-def: $vgpr10
	s_branch .LBB48_2604
.LBB48_2600:
	s_or_saveexec_b64 s[6:7], s[6:7]
	v_mov_b32_e32 v10, s16
	s_xor_b64 exec, exec, s[6:7]
	s_cbranch_execz .LBB48_2581
.LBB48_2601:
	v_cmp_ne_u16_e32 vcc, 0, v7
	s_andn2_b64 s[2:3], s[2:3], exec
	s_and_b64 s[10:11], vcc, exec
	s_or_b64 s[2:3], s[2:3], s[10:11]
	v_mov_b32_e32 v10, v7
	s_or_b64 exec, exec, s[6:7]
	s_and_saveexec_b64 s[6:7], s[2:3]
	s_cbranch_execnz .LBB48_2582
	s_branch .LBB48_2583
.LBB48_2602:
	s_mov_b64 s[0:1], -1
                                        ; implicit-def: $vgpr10
.LBB48_2603:
	s_mov_b64 s[10:11], 0
.LBB48_2604:
	s_mov_b64 s[2:3], 0
	s_and_b64 vcc, exec, s[10:11]
	s_cbranch_vccz .LBB48_2606
; %bb.2605:
	v_cmp_ne_u16_e64 s[0:1], s26, 11
	s_mov_b64 s[2:3], -1
                                        ; implicit-def: $vgpr10
.LBB48_2606:
	s_and_b64 vcc, exec, s[0:1]
	s_cbranch_vccnz .LBB48_2670
; %bb.2607:
	s_andn2_b64 vcc, exec, s[2:3]
	s_cbranch_vccnz .LBB48_2609
.LBB48_2608:
	global_load_ubyte v7, v[8:9], off
	v_mov_b32_e32 v10, 0x3c00
	s_mov_b64 s[6:7], -1
	s_waitcnt vmcnt(0)
	v_cmp_ne_u16_e32 vcc, 0, v7
	v_cndmask_b32_e32 v10, 0, v10, vcc
.LBB48_2609:
	s_mov_b64 s[0:1], 0
.LBB48_2610:
	s_and_b64 vcc, exec, s[0:1]
	s_cbranch_vccz .LBB48_2659
; %bb.2611:
	v_cmp_lt_i16_e64 s[0:1], s26, 5
	s_and_b64 vcc, exec, s[0:1]
	s_cbranch_vccnz .LBB48_2616
; %bb.2612:
	v_cmp_lt_i16_e64 s[0:1], s26, 8
	s_and_b64 vcc, exec, s[0:1]
	s_cbranch_vccnz .LBB48_2617
	;; [unrolled: 4-line block ×3, first 2 shown]
; %bb.2614:
	v_cmp_gt_i16_e64 s[0:1], s26, 9
	s_and_b64 vcc, exec, s[0:1]
	s_cbranch_vccz .LBB48_2619
; %bb.2615:
	global_load_dwordx2 v[10:11], v[8:9], off
	s_mov_b64 s[0:1], 0
	s_waitcnt vmcnt(0)
	v_cvt_f32_f64_e32 v7, v[10:11]
	v_cvt_f16_f32_e32 v10, v7
	s_branch .LBB48_2620
.LBB48_2616:
	s_mov_b64 s[0:1], -1
                                        ; implicit-def: $vgpr10
	s_branch .LBB48_2638
.LBB48_2617:
	s_mov_b64 s[0:1], -1
                                        ; implicit-def: $vgpr10
	s_branch .LBB48_2626
.LBB48_2618:
	s_mov_b64 s[0:1], -1
                                        ; implicit-def: $vgpr10
	s_branch .LBB48_2623
.LBB48_2619:
	s_mov_b64 s[0:1], -1
                                        ; implicit-def: $vgpr10
.LBB48_2620:
	s_andn2_b64 vcc, exec, s[0:1]
	s_cbranch_vccnz .LBB48_2622
; %bb.2621:
	global_load_dword v7, v[8:9], off
	s_waitcnt vmcnt(0)
	v_cvt_f16_f32_e32 v10, v7
.LBB48_2622:
	s_mov_b64 s[0:1], 0
.LBB48_2623:
	s_andn2_b64 vcc, exec, s[0:1]
	s_cbranch_vccnz .LBB48_2625
; %bb.2624:
	global_load_dword v10, v[8:9], off
.LBB48_2625:
	s_mov_b64 s[0:1], 0
.LBB48_2626:
	s_andn2_b64 vcc, exec, s[0:1]
	s_cbranch_vccnz .LBB48_2637
; %bb.2627:
	v_cmp_lt_i16_e64 s[0:1], s26, 6
	s_and_b64 vcc, exec, s[0:1]
	s_cbranch_vccnz .LBB48_2630
; %bb.2628:
	v_cmp_gt_i16_e64 s[0:1], s26, 6
	s_and_b64 vcc, exec, s[0:1]
	s_cbranch_vccz .LBB48_2631
; %bb.2629:
	global_load_dwordx2 v[10:11], v[8:9], off
	s_mov_b64 s[0:1], 0
	s_waitcnt vmcnt(0)
	v_cvt_f32_f64_e32 v7, v[10:11]
	v_cvt_f16_f32_e32 v10, v7
	s_branch .LBB48_2632
.LBB48_2630:
	s_mov_b64 s[0:1], -1
                                        ; implicit-def: $vgpr10
	s_branch .LBB48_2635
.LBB48_2631:
	s_mov_b64 s[0:1], -1
                                        ; implicit-def: $vgpr10
.LBB48_2632:
	s_andn2_b64 vcc, exec, s[0:1]
	s_cbranch_vccnz .LBB48_2634
; %bb.2633:
	global_load_dword v7, v[8:9], off
	s_waitcnt vmcnt(0)
	v_cvt_f16_f32_e32 v10, v7
.LBB48_2634:
	s_mov_b64 s[0:1], 0
.LBB48_2635:
	s_andn2_b64 vcc, exec, s[0:1]
	s_cbranch_vccnz .LBB48_2637
; %bb.2636:
	global_load_ushort v10, v[8:9], off
.LBB48_2637:
	s_mov_b64 s[0:1], 0
.LBB48_2638:
	s_andn2_b64 vcc, exec, s[0:1]
	s_cbranch_vccnz .LBB48_2658
; %bb.2639:
	v_cmp_lt_i16_e64 s[0:1], s26, 2
	s_and_b64 vcc, exec, s[0:1]
	s_cbranch_vccnz .LBB48_2643
; %bb.2640:
	v_cmp_lt_i16_e64 s[0:1], s26, 3
	s_and_b64 vcc, exec, s[0:1]
	s_cbranch_vccnz .LBB48_2644
; %bb.2641:
	v_cmp_gt_i16_e64 s[0:1], s26, 3
	s_and_b64 vcc, exec, s[0:1]
	s_cbranch_vccz .LBB48_2645
; %bb.2642:
	global_load_dwordx2 v[10:11], v[8:9], off
	s_mov_b64 s[0:1], 0
	s_waitcnt vmcnt(0)
	v_xor_b32_e32 v13, v10, v11
	v_ffbh_i32_e32 v7, v11
	v_ashrrev_i32_e32 v13, 31, v13
	v_add_u32_e32 v7, -1, v7
	v_add_u32_e32 v13, 32, v13
	v_min_u32_e32 v7, v7, v13
	v_lshlrev_b64 v[10:11], v7, v[10:11]
	v_min_u32_e32 v10, 1, v10
	v_or_b32_e32 v10, v11, v10
	v_cvt_f32_i32_e32 v10, v10
	v_sub_u32_e32 v7, 32, v7
	v_ldexp_f32 v7, v10, v7
	v_cvt_f16_f32_e32 v10, v7
	s_branch .LBB48_2646
.LBB48_2643:
	s_mov_b64 s[0:1], -1
                                        ; implicit-def: $vgpr10
	s_branch .LBB48_2652
.LBB48_2644:
	s_mov_b64 s[0:1], -1
                                        ; implicit-def: $vgpr10
	s_branch .LBB48_2649
.LBB48_2645:
	s_mov_b64 s[0:1], -1
                                        ; implicit-def: $vgpr10
.LBB48_2646:
	s_andn2_b64 vcc, exec, s[0:1]
	s_cbranch_vccnz .LBB48_2648
; %bb.2647:
	global_load_dword v7, v[8:9], off
	s_waitcnt vmcnt(0)
	v_cvt_f32_i32_e32 v7, v7
	v_cvt_f16_f32_e32 v10, v7
.LBB48_2648:
	s_mov_b64 s[0:1], 0
.LBB48_2649:
	s_andn2_b64 vcc, exec, s[0:1]
	s_cbranch_vccnz .LBB48_2651
; %bb.2650:
	global_load_ushort v7, v[8:9], off
	s_waitcnt vmcnt(0)
	v_cvt_f16_i16_e32 v10, v7
.LBB48_2651:
	s_mov_b64 s[0:1], 0
.LBB48_2652:
	s_andn2_b64 vcc, exec, s[0:1]
	s_cbranch_vccnz .LBB48_2658
; %bb.2653:
	v_cmp_gt_i16_e64 s[0:1], s26, 0
	s_and_b64 vcc, exec, s[0:1]
	s_cbranch_vccz .LBB48_2655
; %bb.2654:
	global_load_sbyte v7, v[8:9], off
	s_mov_b64 s[0:1], 0
	s_waitcnt vmcnt(0)
	v_cvt_f16_i16_e32 v10, v7
	s_branch .LBB48_2656
.LBB48_2655:
	s_mov_b64 s[0:1], -1
                                        ; implicit-def: $vgpr10
.LBB48_2656:
	s_andn2_b64 vcc, exec, s[0:1]
	s_cbranch_vccnz .LBB48_2658
; %bb.2657:
	global_load_ubyte v7, v[8:9], off
	s_waitcnt vmcnt(0)
	v_cvt_f16_u16_e32 v10, v7
.LBB48_2658:
	s_mov_b64 s[6:7], -1
.LBB48_2659:
	s_andn2_b64 vcc, exec, s[6:7]
	s_cbranch_vccnz .LBB48_3113
; %bb.2660:
	s_waitcnt vmcnt(0)
	v_cvt_f32_f16_e32 v7, v3
	v_cvt_f32_f16_e32 v8, v1
	s_movk_i32 s0, 0x400
	v_mov_b32_e32 v11, 0x400
	v_rcp_f32_e32 v9, v7
	s_movk_i32 s1, 0x3bfe
	s_lshr_b32 s18, s24, 8
	v_mul_f32_e32 v13, v8, v9
	v_mad_f32 v15, -v7, v13, v8
	v_mac_f32_e32 v13, v15, v9
	v_mad_f32 v7, -v7, v13, v8
	v_mul_f32_e32 v7, v7, v9
	v_and_b32_e32 v7, 0xff800000, v7
	v_add_f32_e32 v7, v7, v13
	v_cvt_f16_f32_e32 v7, v7
	v_mov_b32_e32 v8, 0x3bfe
	v_mov_b32_e32 v9, s9
	v_div_fixup_f16 v1, v7, v3, v1
	v_cmp_ngt_f16_e32 vcc, s0, v1
	v_cndmask_b32_e32 v1, v11, v1, vcc
	v_cmp_nlt_f16_e32 vcc, s1, v1
	v_cndmask_b32_e32 v1, v8, v1, vcc
	v_add_co_u32_e32 v6, vcc, s8, v6
	v_mov_b32_e32 v3, 11
	v_addc_co_u32_e32 v7, vcc, 0, v9, vcc
	v_cmp_lt_i16_sdwa s[0:1], s18, v3 src0_sel:BYTE_0 src1_sel:DWORD
	s_and_b64 vcc, exec, s[0:1]
	s_cbranch_vccnz .LBB48_2667
; %bb.2661:
	v_mov_b32_e32 v3, 25
	v_cmp_gt_i16_sdwa s[0:1], s18, v3 src0_sel:BYTE_0 src1_sel:DWORD
	s_mov_b64 s[10:11], -1
	s_mov_b64 s[2:3], 0
	s_and_b64 vcc, exec, s[0:1]
	s_mov_b64 s[6:7], 0
	s_mov_b64 s[0:1], 0
	s_cbranch_vccz .LBB48_2699
; %bb.2662:
	v_mov_b32_e32 v3, 28
	v_cmp_gt_i16_sdwa s[0:1], s18, v3 src0_sel:BYTE_0 src1_sel:DWORD
	s_and_b64 vcc, exec, s[0:1]
	s_cbranch_vccz .LBB48_2668
; %bb.2663:
	v_mov_b32_e32 v3, 43
	v_cmp_gt_i16_sdwa s[0:1], s18, v3 src0_sel:BYTE_0 src1_sel:DWORD
	s_and_b64 vcc, exec, s[0:1]
	;; [unrolled: 5-line block ×3, first 2 shown]
	s_cbranch_vccz .LBB48_2671
; %bb.2665:
	v_mov_b32_e32 v3, 46
	v_cmp_eq_u16_sdwa s[6:7], s18, v3 src0_sel:BYTE_0 src1_sel:DWORD
	s_mov_b64 s[0:1], -1
	s_mov_b64 s[10:11], 0
	s_and_b64 vcc, exec, s[6:7]
	s_mov_b64 s[6:7], 0
	s_cbranch_vccz .LBB48_2672
; %bb.2666:
	v_cvt_f32_f16_e32 v3, v1
	s_movk_i32 s0, 0x7fff
	v_mov_b32_e32 v8, 0x7fc0
	v_cmp_o_f16_e32 vcc, v1, v1
	v_bfe_u32 v9, v3, 16, 1
	v_add3_u32 v3, v3, v9, s0
	v_lshrrev_b32_e32 v3, 16, v3
	v_cndmask_b32_e32 v3, v8, v3, vcc
	global_store_dword v[6:7], v3, off
	s_mov_b64 s[0:1], 0
	s_mov_b64 s[6:7], -1
	s_branch .LBB48_2672
.LBB48_2667:
	s_mov_b64 s[0:1], -1
	s_mov_b64 s[6:7], 0
	s_branch .LBB48_2743
.LBB48_2668:
	s_mov_b64 s[0:1], 0
	s_branch .LBB48_2682
.LBB48_2669:
	s_mov_b64 s[0:1], 0
	s_branch .LBB48_2678
.LBB48_2670:
	s_trap 2
	s_or_b64 s[4:5], s[4:5], exec
                                        ; implicit-def: $vgpr10
	s_cbranch_execz .LBB48_2608
	s_branch .LBB48_2609
.LBB48_2671:
	s_mov_b64 s[0:1], 0
.LBB48_2672:
	s_and_b64 vcc, exec, s[10:11]
	s_cbranch_vccz .LBB48_2677
; %bb.2673:
	v_mov_b32_e32 v3, 44
	v_cmp_eq_u16_sdwa s[10:11], s18, v3 src0_sel:BYTE_0 src1_sel:DWORD
	s_mov_b64 s[0:1], -1
	s_and_b64 vcc, exec, s[10:11]
	s_cbranch_vccz .LBB48_2677
; %bb.2674:
	v_cvt_f32_f16_e32 v3, v1
	s_movk_i32 s0, 0xff
	v_mov_b32_e32 v9, 0xff
	v_bfe_u32 v8, v3, 23, 8
	v_cmp_ne_u32_e32 vcc, s0, v8
	s_and_saveexec_b64 s[6:7], vcc
; %bb.2675:
	s_mov_b32 s0, 0x3fffff
	v_lshrrev_b32_e32 v9, 23, v3
	v_and_b32_e32 v11, 0x400000, v3
	v_and_or_b32 v3, v3, s0, v8
	v_cmp_ne_u32_e32 vcc, 0, v11
	v_cmp_ne_u32_e64 s[0:1], 0, v3
	s_and_b64 s[0:1], vcc, s[0:1]
	v_cndmask_b32_e64 v3, 0, 1, s[0:1]
	v_add_u32_e32 v9, v9, v3
; %bb.2676:
	s_or_b64 exec, exec, s[6:7]
	s_mov_b64 s[0:1], 0
	s_mov_b64 s[6:7], -1
	global_store_byte v[6:7], v9, off
.LBB48_2677:
	s_mov_b64 s[10:11], 0
.LBB48_2678:
	s_and_b64 vcc, exec, s[10:11]
	s_cbranch_vccz .LBB48_2681
; %bb.2679:
	v_mov_b32_e32 v3, 29
	v_cmp_eq_u16_sdwa s[10:11], s18, v3 src0_sel:BYTE_0 src1_sel:DWORD
	s_mov_b64 s[0:1], -1
	s_and_b64 vcc, exec, s[10:11]
	s_cbranch_vccz .LBB48_2681
; %bb.2680:
	v_cvt_f32_f16_e32 v3, v1
	v_mov_b32_e32 v9, 0
	s_mov_b64 s[0:1], 0
	s_mov_b64 s[6:7], -1
	v_cvt_u32_f32_e32 v8, v3
	s_mov_b64 s[10:11], 0
	global_store_dwordx2 v[6:7], v[8:9], off
	s_branch .LBB48_2682
.LBB48_2681:
	s_mov_b64 s[10:11], 0
.LBB48_2682:
	s_and_b64 vcc, exec, s[10:11]
	s_cbranch_vccz .LBB48_2698
; %bb.2683:
	v_mov_b32_e32 v3, 27
	v_cmp_lt_i16_sdwa s[10:11], s18, v3 src0_sel:BYTE_0 src1_sel:DWORD
	s_mov_b64 s[6:7], -1
	s_and_b64 vcc, exec, s[10:11]
	s_cbranch_vccnz .LBB48_2689
; %bb.2684:
	v_cmp_gt_i16_sdwa s[10:11], s18, v3 src0_sel:BYTE_0 src1_sel:DWORD
	s_and_b64 vcc, exec, s[10:11]
	s_cbranch_vccz .LBB48_2686
; %bb.2685:
	v_cvt_f32_f16_e32 v3, v1
	s_mov_b64 s[6:7], 0
	v_cvt_u32_f32_e32 v3, v3
	global_store_dword v[6:7], v3, off
.LBB48_2686:
	s_andn2_b64 vcc, exec, s[6:7]
	s_cbranch_vccnz .LBB48_2688
; %bb.2687:
	v_cvt_u16_f16_e32 v3, v1
	global_store_short v[6:7], v3, off
.LBB48_2688:
	s_mov_b64 s[6:7], 0
.LBB48_2689:
	s_andn2_b64 vcc, exec, s[6:7]
	s_cbranch_vccnz .LBB48_2697
; %bb.2690:
	v_cvt_f32_f16_e32 v3, v1
	s_mov_b32 s6, 0x43800000
	v_mov_b32_e32 v9, 0x80
	v_and_b32_e32 v8, 0x7fffffff, v3
	v_cmp_gt_u32_e32 vcc, s6, v8
	s_and_saveexec_b64 s[6:7], vcc
	s_cbranch_execz .LBB48_2696
; %bb.2691:
	s_mov_b32 s10, 0x3bffffff
	v_cmp_lt_u32_e32 vcc, s10, v8
	s_mov_b64 s[10:11], 0
                                        ; implicit-def: $vgpr8
	s_and_saveexec_b64 s[16:17], vcc
	s_xor_b64 s[16:17], exec, s[16:17]
	s_cbranch_execz .LBB48_2792
; %bb.2692:
	v_bfe_u32 v8, v3, 20, 1
	s_mov_b32 s19, 0x487ffff
	v_add3_u32 v8, v3, v8, s19
	s_mov_b64 s[10:11], exec
	v_lshrrev_b32_e32 v8, 20, v8
	s_or_saveexec_b64 s[16:17], s[16:17]
                                        ; implicit-def: $sgpr19
	s_xor_b64 exec, exec, s[16:17]
	s_cbranch_execnz .LBB48_2793
.LBB48_2693:
	s_or_b64 exec, exec, s[16:17]
	v_mov_b32_e32 v9, s19
	s_and_saveexec_b64 s[16:17], s[10:11]
.LBB48_2694:
	v_lshrrev_b32_e32 v3, 24, v3
	s_movk_i32 s10, 0x80
	v_and_or_b32 v9, v3, s10, v8
.LBB48_2695:
	s_or_b64 exec, exec, s[16:17]
.LBB48_2696:
	s_or_b64 exec, exec, s[6:7]
	global_store_byte v[6:7], v9, off
.LBB48_2697:
	s_mov_b64 s[6:7], -1
.LBB48_2698:
	s_mov_b64 s[10:11], 0
.LBB48_2699:
	s_and_b64 vcc, exec, s[10:11]
	s_cbranch_vccz .LBB48_2739
; %bb.2700:
	v_mov_b32_e32 v3, 22
	v_cmp_gt_i16_sdwa s[10:11], s18, v3 src0_sel:BYTE_0 src1_sel:DWORD
	s_mov_b64 s[2:3], -1
	s_and_b64 vcc, exec, s[10:11]
	s_cbranch_vccz .LBB48_2732
; %bb.2701:
	v_mov_b32_e32 v3, 24
	v_cmp_lt_i16_sdwa s[6:7], s18, v3 src0_sel:BYTE_0 src1_sel:DWORD
	s_and_b64 vcc, exec, s[6:7]
	s_cbranch_vccnz .LBB48_2721
; %bb.2702:
	v_cmp_gt_i16_sdwa s[6:7], s18, v3 src0_sel:BYTE_0 src1_sel:DWORD
	s_and_b64 vcc, exec, s[6:7]
	s_cbranch_vccz .LBB48_2710
; %bb.2703:
	v_cvt_f32_f16_e32 v3, v1
	s_mov_b32 s2, 0x47800000
	v_mov_b32_e32 v9, 0x80
	v_and_b32_e32 v8, 0x7fffffff, v3
	v_cmp_gt_u32_e32 vcc, s2, v8
	s_and_saveexec_b64 s[2:3], vcc
	s_cbranch_execz .LBB48_2709
; %bb.2704:
	s_mov_b32 s6, 0x37ffffff
	v_cmp_lt_u32_e32 vcc, s6, v8
	s_mov_b64 s[6:7], 0
                                        ; implicit-def: $vgpr8
	s_and_saveexec_b64 s[10:11], vcc
	s_xor_b64 s[10:11], exec, s[10:11]
	s_cbranch_execz .LBB48_2796
; %bb.2705:
	v_bfe_u32 v8, v3, 21, 1
	s_mov_b32 s16, 0x88fffff
	v_add3_u32 v8, v3, v8, s16
	s_mov_b64 s[6:7], exec
	v_lshrrev_b32_e32 v8, 21, v8
	s_or_saveexec_b64 s[10:11], s[10:11]
                                        ; implicit-def: $sgpr16
	s_xor_b64 exec, exec, s[10:11]
	s_cbranch_execnz .LBB48_2797
.LBB48_2706:
	s_or_b64 exec, exec, s[10:11]
	v_mov_b32_e32 v9, s16
	s_and_saveexec_b64 s[10:11], s[6:7]
.LBB48_2707:
	v_lshrrev_b32_e32 v3, 24, v3
	s_movk_i32 s6, 0x80
	v_and_or_b32 v9, v3, s6, v8
.LBB48_2708:
	s_or_b64 exec, exec, s[10:11]
.LBB48_2709:
	s_or_b64 exec, exec, s[2:3]
	s_mov_b64 s[2:3], 0
	global_store_byte v[6:7], v9, off
.LBB48_2710:
	s_and_b64 vcc, exec, s[2:3]
	s_cbranch_vccz .LBB48_2720
; %bb.2711:
	v_cvt_f32_f16_e32 v3, v1
	s_mov_b32 s2, 0x43f00000
                                        ; implicit-def: $vgpr8
	v_and_b32_e32 v9, 0x7fffffff, v3
	v_cmp_gt_u32_e32 vcc, s2, v9
	s_and_saveexec_b64 s[2:3], vcc
	s_xor_b64 s[2:3], exec, s[2:3]
	s_cbranch_execz .LBB48_2717
; %bb.2712:
	s_mov_b32 s6, 0x3c7fffff
	v_cmp_lt_u32_e32 vcc, s6, v9
                                        ; implicit-def: $vgpr8
	s_and_saveexec_b64 s[6:7], vcc
	s_xor_b64 s[6:7], exec, s[6:7]
; %bb.2713:
	v_bfe_u32 v8, v3, 20, 1
	s_mov_b32 s10, 0x407ffff
	v_add3_u32 v8, v3, v8, s10
	v_lshrrev_b32_e32 v9, 20, v8
	v_and_b32_e32 v8, 0xff00000, v8
	s_mov_b32 s10, 0x7f00000
	v_mov_b32_e32 v11, 0x7e
	v_cmp_ne_u32_e32 vcc, s10, v8
	v_cndmask_b32_e32 v8, v11, v9, vcc
; %bb.2714:
	s_andn2_saveexec_b64 s[6:7], s[6:7]
; %bb.2715:
	s_mov_b32 s10, 0x46800000
	v_add_f32_e64 v8, |v3|, s10
; %bb.2716:
	s_or_b64 exec, exec, s[6:7]
                                        ; implicit-def: $vgpr9
.LBB48_2717:
	s_andn2_saveexec_b64 s[2:3], s[2:3]
; %bb.2718:
	s_mov_b32 s6, 0x7f800000
	v_mov_b32_e32 v8, 0x7e
	v_mov_b32_e32 v11, 0x7f
	v_cmp_lt_u32_e32 vcc, s6, v9
	v_cndmask_b32_e32 v8, v8, v11, vcc
; %bb.2719:
	s_or_b64 exec, exec, s[2:3]
	v_lshrrev_b32_e32 v3, 24, v3
	s_movk_i32 s2, 0x80
	v_and_or_b32 v3, v3, s2, v8
	global_store_byte v[6:7], v3, off
.LBB48_2720:
	s_mov_b64 s[2:3], 0
.LBB48_2721:
	s_andn2_b64 vcc, exec, s[2:3]
	s_cbranch_vccnz .LBB48_2731
; %bb.2722:
	v_cvt_f32_f16_e32 v3, v1
	s_mov_b32 s2, 0x47800000
                                        ; implicit-def: $vgpr8
	v_and_b32_e32 v9, 0x7fffffff, v3
	v_cmp_gt_u32_e32 vcc, s2, v9
	s_and_saveexec_b64 s[2:3], vcc
	s_xor_b64 s[2:3], exec, s[2:3]
	s_cbranch_execz .LBB48_2728
; %bb.2723:
	s_mov_b32 s6, 0x387fffff
	v_cmp_lt_u32_e32 vcc, s6, v9
                                        ; implicit-def: $vgpr8
	s_and_saveexec_b64 s[6:7], vcc
	s_xor_b64 s[6:7], exec, s[6:7]
; %bb.2724:
	v_bfe_u32 v8, v3, 21, 1
	s_mov_b32 s10, 0x80fffff
	v_add3_u32 v8, v3, v8, s10
	v_lshrrev_b32_e32 v8, 21, v8
; %bb.2725:
	s_andn2_saveexec_b64 s[6:7], s[6:7]
; %bb.2726:
	s_mov_b32 s10, 0x43000000
	v_add_f32_e64 v8, |v3|, s10
; %bb.2727:
	s_or_b64 exec, exec, s[6:7]
                                        ; implicit-def: $vgpr9
.LBB48_2728:
	s_andn2_saveexec_b64 s[2:3], s[2:3]
; %bb.2729:
	s_mov_b32 s6, 0x7f800000
	v_mov_b32_e32 v8, 0x7c
	v_mov_b32_e32 v11, 0x7f
	v_cmp_lt_u32_e32 vcc, s6, v9
	v_cndmask_b32_e32 v8, v8, v11, vcc
; %bb.2730:
	s_or_b64 exec, exec, s[2:3]
	v_lshrrev_b32_e32 v3, 24, v3
	s_movk_i32 s2, 0x80
	v_and_or_b32 v3, v3, s2, v8
	global_store_byte v[6:7], v3, off
.LBB48_2731:
	s_mov_b64 s[2:3], 0
	s_mov_b64 s[6:7], -1
.LBB48_2732:
	s_andn2_b64 vcc, exec, s[2:3]
	s_mov_b64 s[2:3], 0
	s_cbranch_vccnz .LBB48_2739
; %bb.2733:
	v_mov_b32_e32 v3, 14
	v_cmp_gt_i16_sdwa s[2:3], s18, v3 src0_sel:BYTE_0 src1_sel:DWORD
	s_mov_b64 s[10:11], -1
	s_and_b64 vcc, exec, s[2:3]
	s_cbranch_vccz .LBB48_2737
; %bb.2734:
	v_mov_b32_e32 v3, 15
	v_cmp_eq_u16_sdwa s[2:3], s18, v3 src0_sel:BYTE_0 src1_sel:DWORD
	s_mov_b64 s[0:1], -1
	s_and_b64 vcc, exec, s[2:3]
	s_cbranch_vccz .LBB48_2736
; %bb.2735:
	v_cvt_f32_f16_e32 v3, v1
	s_movk_i32 s0, 0x7fff
	v_mov_b32_e32 v8, 0x7fc0
	v_cmp_o_f16_e32 vcc, v1, v1
	v_bfe_u32 v9, v3, 16, 1
	v_add3_u32 v3, v3, v9, s0
	v_lshrrev_b32_e32 v3, 16, v3
	v_cndmask_b32_e32 v3, v8, v3, vcc
	global_store_short v[6:7], v3, off
	s_mov_b64 s[0:1], 0
	s_mov_b64 s[6:7], -1
.LBB48_2736:
	s_mov_b64 s[10:11], 0
.LBB48_2737:
	s_mov_b64 s[2:3], 0
	s_and_b64 vcc, exec, s[10:11]
	s_cbranch_vccz .LBB48_2739
; %bb.2738:
	v_mov_b32_e32 v3, 11
	v_cmp_ne_u16_sdwa s[0:1], s18, v3 src0_sel:BYTE_0 src1_sel:DWORD
	s_mov_b64 s[2:3], -1
.LBB48_2739:
	s_and_b64 vcc, exec, s[0:1]
	s_cbranch_vccnz .LBB48_2795
; %bb.2740:
	s_andn2_b64 vcc, exec, s[2:3]
	s_cbranch_vccnz .LBB48_2742
.LBB48_2741:
	v_and_b32_e32 v3, 0x7fff, v1
	v_cmp_ne_u16_e32 vcc, 0, v3
	v_cndmask_b32_e64 v3, 0, 1, vcc
	s_mov_b64 s[6:7], -1
	global_store_byte v[6:7], v3, off
.LBB48_2742:
	s_mov_b64 s[0:1], 0
.LBB48_2743:
	s_and_b64 vcc, exec, s[0:1]
	s_cbranch_vccz .LBB48_2782
; %bb.2744:
	v_mov_b32_e32 v3, 5
	v_cmp_lt_i16_sdwa s[2:3], s18, v3 src0_sel:BYTE_0 src1_sel:DWORD
	s_mov_b64 s[0:1], -1
	s_and_b64 vcc, exec, s[2:3]
	s_cbranch_vccnz .LBB48_2765
; %bb.2745:
	v_mov_b32_e32 v3, 8
	v_cmp_lt_i16_sdwa s[2:3], s18, v3 src0_sel:BYTE_0 src1_sel:DWORD
	s_and_b64 vcc, exec, s[2:3]
	s_cbranch_vccnz .LBB48_2755
; %bb.2746:
	v_mov_b32_e32 v3, 9
	v_cmp_lt_i16_sdwa s[2:3], s18, v3 src0_sel:BYTE_0 src1_sel:DWORD
	s_and_b64 vcc, exec, s[2:3]
	s_cbranch_vccnz .LBB48_2752
; %bb.2747:
	v_cmp_gt_i16_sdwa s[2:3], s18, v3 src0_sel:BYTE_0 src1_sel:DWORD
	s_and_b64 vcc, exec, s[2:3]
	s_cbranch_vccz .LBB48_2749
; %bb.2748:
	v_cvt_f32_f16_e32 v3, v1
	v_mov_b32_e32 v22, 0
	v_mov_b32_e32 v23, v22
	s_mov_b64 s[0:1], 0
	v_cvt_f64_f32_e32 v[20:21], v3
	global_store_dwordx4 v[6:7], v[20:23], off
.LBB48_2749:
	s_andn2_b64 vcc, exec, s[0:1]
	s_cbranch_vccnz .LBB48_2751
; %bb.2750:
	v_cvt_f32_f16_e32 v8, v1
	v_mov_b32_e32 v9, 0
	global_store_dwordx2 v[6:7], v[8:9], off
.LBB48_2751:
	s_mov_b64 s[0:1], 0
.LBB48_2752:
	s_andn2_b64 vcc, exec, s[0:1]
	s_cbranch_vccnz .LBB48_2754
; %bb.2753:
	v_and_b32_e32 v3, 0xffff, v1
	global_store_dword v[6:7], v3, off
.LBB48_2754:
	s_mov_b64 s[0:1], 0
.LBB48_2755:
	s_andn2_b64 vcc, exec, s[0:1]
	s_cbranch_vccnz .LBB48_2764
; %bb.2756:
	v_mov_b32_e32 v3, 6
	v_cmp_lt_i16_sdwa s[2:3], s18, v3 src0_sel:BYTE_0 src1_sel:DWORD
	s_mov_b64 s[0:1], -1
	s_and_b64 vcc, exec, s[2:3]
	s_cbranch_vccnz .LBB48_2762
; %bb.2757:
	v_cmp_gt_i16_sdwa s[2:3], s18, v3 src0_sel:BYTE_0 src1_sel:DWORD
	s_and_b64 vcc, exec, s[2:3]
	s_cbranch_vccz .LBB48_2759
; %bb.2758:
	v_cvt_f32_f16_e32 v3, v1
	s_mov_b64 s[0:1], 0
	v_cvt_f64_f32_e32 v[8:9], v3
	global_store_dwordx2 v[6:7], v[8:9], off
.LBB48_2759:
	s_andn2_b64 vcc, exec, s[0:1]
	s_cbranch_vccnz .LBB48_2761
; %bb.2760:
	v_cvt_f32_f16_e32 v3, v1
	global_store_dword v[6:7], v3, off
.LBB48_2761:
	s_mov_b64 s[0:1], 0
.LBB48_2762:
	s_andn2_b64 vcc, exec, s[0:1]
	s_cbranch_vccnz .LBB48_2764
; %bb.2763:
	global_store_short v[6:7], v1, off
.LBB48_2764:
	s_mov_b64 s[0:1], 0
.LBB48_2765:
	s_andn2_b64 vcc, exec, s[0:1]
	s_cbranch_vccnz .LBB48_2781
; %bb.2766:
	v_mov_b32_e32 v3, 2
	v_cmp_lt_i16_sdwa s[2:3], s18, v3 src0_sel:BYTE_0 src1_sel:DWORD
	s_mov_b64 s[0:1], -1
	s_and_b64 vcc, exec, s[2:3]
	s_cbranch_vccnz .LBB48_2776
; %bb.2767:
	v_mov_b32_e32 v3, 3
	v_cmp_lt_i16_sdwa s[2:3], s18, v3 src0_sel:BYTE_0 src1_sel:DWORD
	s_and_b64 vcc, exec, s[2:3]
	s_cbranch_vccnz .LBB48_2773
; %bb.2768:
	v_cmp_gt_i16_sdwa s[2:3], s18, v3 src0_sel:BYTE_0 src1_sel:DWORD
	s_and_b64 vcc, exec, s[2:3]
	s_cbranch_vccz .LBB48_2770
; %bb.2769:
	v_cvt_f32_f16_e32 v3, v1
	s_mov_b64 s[0:1], 0
	v_cvt_i32_f32_e32 v8, v3
	v_ashrrev_i32_e32 v9, 31, v8
	global_store_dwordx2 v[6:7], v[8:9], off
.LBB48_2770:
	s_andn2_b64 vcc, exec, s[0:1]
	s_cbranch_vccnz .LBB48_2772
; %bb.2771:
	v_cvt_f32_f16_e32 v3, v1
	v_cvt_i32_f32_e32 v3, v3
	global_store_dword v[6:7], v3, off
.LBB48_2772:
	s_mov_b64 s[0:1], 0
.LBB48_2773:
	s_andn2_b64 vcc, exec, s[0:1]
	s_cbranch_vccnz .LBB48_2775
; %bb.2774:
	v_cvt_i16_f16_e32 v3, v1
	global_store_short v[6:7], v3, off
.LBB48_2775:
	s_mov_b64 s[0:1], 0
.LBB48_2776:
	s_andn2_b64 vcc, exec, s[0:1]
	s_cbranch_vccnz .LBB48_2781
; %bb.2777:
	v_mov_b32_e32 v3, 0
	v_cmp_gt_i16_sdwa s[2:3], s18, v3 src0_sel:BYTE_0 src1_sel:DWORD
	s_mov_b64 s[0:1], -1
	s_and_b64 vcc, exec, s[2:3]
	s_cbranch_vccz .LBB48_2779
; %bb.2778:
	v_cvt_i16_f16_e32 v3, v1
	global_store_byte v[6:7], v3, off
	s_mov_b64 s[0:1], 0
.LBB48_2779:
	s_andn2_b64 vcc, exec, s[0:1]
	s_cbranch_vccnz .LBB48_2781
; %bb.2780:
	v_cvt_f32_f16_e32 v1, v1
	v_cvt_i32_f32_e32 v1, v1
	global_store_byte v[6:7], v1, off
.LBB48_2781:
	s_mov_b64 s[6:7], -1
.LBB48_2782:
	s_andn2_b64 vcc, exec, s[6:7]
	s_cbranch_vccnz .LBB48_3113
; %bb.2783:
	v_cvt_f32_f16_e32 v1, v18
	v_cvt_f32_f16_e32 v3, v5
	s_movk_i32 s0, 0x400
	v_mov_b32_e32 v7, 0x400
	v_rcp_f32_e32 v6, v1
	s_movk_i32 s1, 0x3bfe
	v_mul_f32_e32 v8, v3, v6
	v_mad_f32 v9, -v1, v8, v3
	v_mac_f32_e32 v8, v9, v6
	v_mad_f32 v1, -v1, v8, v3
	v_mul_f32_e32 v1, v1, v6
	v_and_b32_e32 v1, 0xff800000, v1
	v_add_f32_e32 v1, v1, v8
	v_cvt_f16_f32_e32 v1, v1
	v_mov_b32_e32 v3, 0x3bfe
	v_mov_b32_e32 v6, s9
	v_div_fixup_f16 v1, v1, v18, v5
	v_cmp_ngt_f16_e32 vcc, s0, v1
	v_cndmask_b32_e32 v1, v7, v1, vcc
	v_cmp_nlt_f16_e32 vcc, s1, v1
	v_cndmask_b32_e32 v1, v3, v1, vcc
	v_add_co_u32_e32 v4, vcc, s8, v4
	v_mov_b32_e32 v3, 11
	v_addc_co_u32_e32 v5, vcc, 0, v6, vcc
	v_cmp_lt_i16_sdwa s[0:1], s18, v3 src0_sel:BYTE_0 src1_sel:DWORD
	s_and_b64 vcc, exec, s[0:1]
	s_cbranch_vccnz .LBB48_2790
; %bb.2784:
	v_mov_b32_e32 v3, 25
	v_cmp_gt_i16_sdwa s[0:1], s18, v3 src0_sel:BYTE_0 src1_sel:DWORD
	s_mov_b64 s[10:11], -1
	s_mov_b64 s[2:3], 0
	s_and_b64 vcc, exec, s[0:1]
	s_mov_b64 s[6:7], 0
	s_mov_b64 s[0:1], 0
	s_cbranch_vccz .LBB48_2826
; %bb.2785:
	v_mov_b32_e32 v3, 28
	v_cmp_gt_i16_sdwa s[0:1], s18, v3 src0_sel:BYTE_0 src1_sel:DWORD
	s_and_b64 vcc, exec, s[0:1]
	s_cbranch_vccz .LBB48_2791
; %bb.2786:
	v_mov_b32_e32 v3, 43
	v_cmp_gt_i16_sdwa s[0:1], s18, v3 src0_sel:BYTE_0 src1_sel:DWORD
	s_and_b64 vcc, exec, s[0:1]
	;; [unrolled: 5-line block ×3, first 2 shown]
	s_cbranch_vccz .LBB48_2798
; %bb.2788:
	v_mov_b32_e32 v3, 46
	v_cmp_eq_u16_sdwa s[6:7], s18, v3 src0_sel:BYTE_0 src1_sel:DWORD
	s_mov_b64 s[0:1], -1
	s_mov_b64 s[10:11], 0
	s_and_b64 vcc, exec, s[6:7]
	s_mov_b64 s[6:7], 0
	s_cbranch_vccz .LBB48_2799
; %bb.2789:
	v_cvt_f32_f16_e32 v3, v1
	s_movk_i32 s0, 0x7fff
	v_mov_b32_e32 v6, 0x7fc0
	v_cmp_o_f16_e32 vcc, v1, v1
	v_bfe_u32 v7, v3, 16, 1
	v_add3_u32 v3, v3, v7, s0
	v_lshrrev_b32_e32 v3, 16, v3
	v_cndmask_b32_e32 v3, v6, v3, vcc
	global_store_dword v[4:5], v3, off
	s_mov_b64 s[0:1], 0
	s_mov_b64 s[6:7], -1
	s_branch .LBB48_2799
.LBB48_2790:
	s_mov_b64 s[0:1], -1
	s_mov_b64 s[6:7], 0
	s_branch .LBB48_2870
.LBB48_2791:
	s_mov_b64 s[0:1], 0
	s_branch .LBB48_2809
.LBB48_2792:
	s_or_saveexec_b64 s[16:17], s[16:17]
                                        ; implicit-def: $sgpr19
	s_xor_b64 exec, exec, s[16:17]
	s_cbranch_execz .LBB48_2693
.LBB48_2793:
	s_mov_b32 s19, 0x46000000
	v_add_f32_e64 v8, |v3|, s19
	v_and_b32_e32 v8, 0xff, v8
	v_cmp_ne_u32_e32 vcc, 0, v8
	s_andn2_b64 s[10:11], s[10:11], exec
	s_and_b64 s[20:21], vcc, exec
	s_mov_b32 s19, 0
	s_or_b64 s[10:11], s[10:11], s[20:21]
	s_or_b64 exec, exec, s[16:17]
	v_mov_b32_e32 v9, s19
	s_and_saveexec_b64 s[16:17], s[10:11]
	s_cbranch_execnz .LBB48_2694
	s_branch .LBB48_2695
.LBB48_2794:
	s_mov_b64 s[0:1], 0
	s_branch .LBB48_2805
.LBB48_2795:
	s_trap 2
	s_or_b64 s[4:5], s[4:5], exec
	s_cbranch_execz .LBB48_2741
	s_branch .LBB48_2742
.LBB48_2796:
	s_or_saveexec_b64 s[10:11], s[10:11]
                                        ; implicit-def: $sgpr16
	s_xor_b64 exec, exec, s[10:11]
	s_cbranch_execz .LBB48_2706
.LBB48_2797:
	s_mov_b32 s16, 0x42800000
	v_add_f32_e64 v8, |v3|, s16
	v_and_b32_e32 v8, 0xff, v8
	v_cmp_ne_u32_e32 vcc, 0, v8
	s_andn2_b64 s[6:7], s[6:7], exec
	s_and_b64 s[20:21], vcc, exec
	s_mov_b32 s16, 0
	s_or_b64 s[6:7], s[6:7], s[20:21]
	s_or_b64 exec, exec, s[10:11]
	v_mov_b32_e32 v9, s16
	s_and_saveexec_b64 s[10:11], s[6:7]
	s_cbranch_execnz .LBB48_2707
	s_branch .LBB48_2708
.LBB48_2798:
	s_mov_b64 s[0:1], 0
.LBB48_2799:
	s_and_b64 vcc, exec, s[10:11]
	s_cbranch_vccz .LBB48_2804
; %bb.2800:
	v_mov_b32_e32 v3, 44
	v_cmp_eq_u16_sdwa s[10:11], s18, v3 src0_sel:BYTE_0 src1_sel:DWORD
	s_mov_b64 s[0:1], -1
	s_and_b64 vcc, exec, s[10:11]
	s_cbranch_vccz .LBB48_2804
; %bb.2801:
	v_cvt_f32_f16_e32 v3, v1
	s_movk_i32 s0, 0xff
	v_mov_b32_e32 v7, 0xff
	v_bfe_u32 v6, v3, 23, 8
	v_cmp_ne_u32_e32 vcc, s0, v6
	s_and_saveexec_b64 s[6:7], vcc
; %bb.2802:
	s_mov_b32 s0, 0x3fffff
	v_lshrrev_b32_e32 v7, 23, v3
	v_and_b32_e32 v8, 0x400000, v3
	v_and_or_b32 v3, v3, s0, v6
	v_cmp_ne_u32_e32 vcc, 0, v8
	v_cmp_ne_u32_e64 s[0:1], 0, v3
	s_and_b64 s[0:1], vcc, s[0:1]
	v_cndmask_b32_e64 v3, 0, 1, s[0:1]
	v_add_u32_e32 v7, v7, v3
; %bb.2803:
	s_or_b64 exec, exec, s[6:7]
	s_mov_b64 s[0:1], 0
	s_mov_b64 s[6:7], -1
	global_store_byte v[4:5], v7, off
.LBB48_2804:
	s_mov_b64 s[10:11], 0
.LBB48_2805:
	s_and_b64 vcc, exec, s[10:11]
	s_cbranch_vccz .LBB48_2808
; %bb.2806:
	v_mov_b32_e32 v3, 29
	v_cmp_eq_u16_sdwa s[10:11], s18, v3 src0_sel:BYTE_0 src1_sel:DWORD
	s_mov_b64 s[0:1], -1
	s_and_b64 vcc, exec, s[10:11]
	s_cbranch_vccz .LBB48_2808
; %bb.2807:
	v_cvt_f32_f16_e32 v3, v1
	v_mov_b32_e32 v7, 0
	s_mov_b64 s[0:1], 0
	s_mov_b64 s[6:7], -1
	v_cvt_u32_f32_e32 v6, v3
	s_mov_b64 s[10:11], 0
	global_store_dwordx2 v[4:5], v[6:7], off
	s_branch .LBB48_2809
.LBB48_2808:
	s_mov_b64 s[10:11], 0
.LBB48_2809:
	s_and_b64 vcc, exec, s[10:11]
	s_cbranch_vccz .LBB48_2825
; %bb.2810:
	v_mov_b32_e32 v3, 27
	v_cmp_lt_i16_sdwa s[10:11], s18, v3 src0_sel:BYTE_0 src1_sel:DWORD
	s_mov_b64 s[6:7], -1
	s_and_b64 vcc, exec, s[10:11]
	s_cbranch_vccnz .LBB48_2816
; %bb.2811:
	v_cmp_gt_i16_sdwa s[10:11], s18, v3 src0_sel:BYTE_0 src1_sel:DWORD
	s_and_b64 vcc, exec, s[10:11]
	s_cbranch_vccz .LBB48_2813
; %bb.2812:
	v_cvt_f32_f16_e32 v3, v1
	s_mov_b64 s[6:7], 0
	v_cvt_u32_f32_e32 v3, v3
	global_store_dword v[4:5], v3, off
.LBB48_2813:
	s_andn2_b64 vcc, exec, s[6:7]
	s_cbranch_vccnz .LBB48_2815
; %bb.2814:
	v_cvt_u16_f16_e32 v3, v1
	global_store_short v[4:5], v3, off
.LBB48_2815:
	s_mov_b64 s[6:7], 0
.LBB48_2816:
	s_andn2_b64 vcc, exec, s[6:7]
	s_cbranch_vccnz .LBB48_2824
; %bb.2817:
	v_cvt_f32_f16_e32 v3, v1
	s_mov_b32 s6, 0x43800000
	v_mov_b32_e32 v7, 0x80
	v_and_b32_e32 v6, 0x7fffffff, v3
	v_cmp_gt_u32_e32 vcc, s6, v6
	s_and_saveexec_b64 s[6:7], vcc
	s_cbranch_execz .LBB48_2823
; %bb.2818:
	s_mov_b32 s10, 0x3bffffff
	v_cmp_lt_u32_e32 vcc, s10, v6
	s_mov_b64 s[10:11], 0
                                        ; implicit-def: $vgpr6
	s_and_saveexec_b64 s[16:17], vcc
	s_xor_b64 s[16:17], exec, s[16:17]
	s_cbranch_execz .LBB48_2919
; %bb.2819:
	v_bfe_u32 v6, v3, 20, 1
	s_mov_b32 s19, 0x487ffff
	v_add3_u32 v6, v3, v6, s19
	s_mov_b64 s[10:11], exec
	v_lshrrev_b32_e32 v6, 20, v6
	s_or_saveexec_b64 s[16:17], s[16:17]
                                        ; implicit-def: $sgpr19
	s_xor_b64 exec, exec, s[16:17]
	s_cbranch_execnz .LBB48_2920
.LBB48_2820:
	s_or_b64 exec, exec, s[16:17]
	v_mov_b32_e32 v7, s19
	s_and_saveexec_b64 s[16:17], s[10:11]
.LBB48_2821:
	v_lshrrev_b32_e32 v3, 24, v3
	s_movk_i32 s10, 0x80
	v_and_or_b32 v7, v3, s10, v6
.LBB48_2822:
	s_or_b64 exec, exec, s[16:17]
.LBB48_2823:
	s_or_b64 exec, exec, s[6:7]
	global_store_byte v[4:5], v7, off
.LBB48_2824:
	s_mov_b64 s[6:7], -1
.LBB48_2825:
	s_mov_b64 s[10:11], 0
.LBB48_2826:
	s_and_b64 vcc, exec, s[10:11]
	s_cbranch_vccz .LBB48_2866
; %bb.2827:
	v_mov_b32_e32 v3, 22
	v_cmp_gt_i16_sdwa s[10:11], s18, v3 src0_sel:BYTE_0 src1_sel:DWORD
	s_mov_b64 s[2:3], -1
	s_and_b64 vcc, exec, s[10:11]
	s_cbranch_vccz .LBB48_2859
; %bb.2828:
	v_mov_b32_e32 v3, 24
	v_cmp_lt_i16_sdwa s[6:7], s18, v3 src0_sel:BYTE_0 src1_sel:DWORD
	s_and_b64 vcc, exec, s[6:7]
	s_cbranch_vccnz .LBB48_2848
; %bb.2829:
	v_cmp_gt_i16_sdwa s[6:7], s18, v3 src0_sel:BYTE_0 src1_sel:DWORD
	s_and_b64 vcc, exec, s[6:7]
	s_cbranch_vccz .LBB48_2837
; %bb.2830:
	v_cvt_f32_f16_e32 v3, v1
	s_mov_b32 s2, 0x47800000
	v_mov_b32_e32 v7, 0x80
	v_and_b32_e32 v6, 0x7fffffff, v3
	v_cmp_gt_u32_e32 vcc, s2, v6
	s_and_saveexec_b64 s[2:3], vcc
	s_cbranch_execz .LBB48_2836
; %bb.2831:
	s_mov_b32 s6, 0x37ffffff
	v_cmp_lt_u32_e32 vcc, s6, v6
	s_mov_b64 s[6:7], 0
                                        ; implicit-def: $vgpr6
	s_and_saveexec_b64 s[10:11], vcc
	s_xor_b64 s[10:11], exec, s[10:11]
	s_cbranch_execz .LBB48_2923
; %bb.2832:
	v_bfe_u32 v6, v3, 21, 1
	s_mov_b32 s16, 0x88fffff
	v_add3_u32 v6, v3, v6, s16
	s_mov_b64 s[6:7], exec
	v_lshrrev_b32_e32 v6, 21, v6
	s_or_saveexec_b64 s[10:11], s[10:11]
                                        ; implicit-def: $sgpr16
	s_xor_b64 exec, exec, s[10:11]
	s_cbranch_execnz .LBB48_2924
.LBB48_2833:
	s_or_b64 exec, exec, s[10:11]
	v_mov_b32_e32 v7, s16
	s_and_saveexec_b64 s[10:11], s[6:7]
.LBB48_2834:
	v_lshrrev_b32_e32 v3, 24, v3
	s_movk_i32 s6, 0x80
	v_and_or_b32 v7, v3, s6, v6
.LBB48_2835:
	s_or_b64 exec, exec, s[10:11]
.LBB48_2836:
	s_or_b64 exec, exec, s[2:3]
	s_mov_b64 s[2:3], 0
	global_store_byte v[4:5], v7, off
.LBB48_2837:
	s_and_b64 vcc, exec, s[2:3]
	s_cbranch_vccz .LBB48_2847
; %bb.2838:
	v_cvt_f32_f16_e32 v3, v1
	s_mov_b32 s2, 0x43f00000
                                        ; implicit-def: $vgpr6
	v_and_b32_e32 v7, 0x7fffffff, v3
	v_cmp_gt_u32_e32 vcc, s2, v7
	s_and_saveexec_b64 s[2:3], vcc
	s_xor_b64 s[2:3], exec, s[2:3]
	s_cbranch_execz .LBB48_2844
; %bb.2839:
	s_mov_b32 s6, 0x3c7fffff
	v_cmp_lt_u32_e32 vcc, s6, v7
                                        ; implicit-def: $vgpr6
	s_and_saveexec_b64 s[6:7], vcc
	s_xor_b64 s[6:7], exec, s[6:7]
; %bb.2840:
	v_bfe_u32 v6, v3, 20, 1
	s_mov_b32 s10, 0x407ffff
	v_add3_u32 v6, v3, v6, s10
	v_lshrrev_b32_e32 v7, 20, v6
	v_and_b32_e32 v6, 0xff00000, v6
	s_mov_b32 s10, 0x7f00000
	v_mov_b32_e32 v8, 0x7e
	v_cmp_ne_u32_e32 vcc, s10, v6
	v_cndmask_b32_e32 v6, v8, v7, vcc
; %bb.2841:
	s_andn2_saveexec_b64 s[6:7], s[6:7]
; %bb.2842:
	s_mov_b32 s10, 0x46800000
	v_add_f32_e64 v6, |v3|, s10
; %bb.2843:
	s_or_b64 exec, exec, s[6:7]
                                        ; implicit-def: $vgpr7
.LBB48_2844:
	s_andn2_saveexec_b64 s[2:3], s[2:3]
; %bb.2845:
	s_mov_b32 s6, 0x7f800000
	v_mov_b32_e32 v6, 0x7e
	v_mov_b32_e32 v8, 0x7f
	v_cmp_lt_u32_e32 vcc, s6, v7
	v_cndmask_b32_e32 v6, v6, v8, vcc
; %bb.2846:
	s_or_b64 exec, exec, s[2:3]
	v_lshrrev_b32_e32 v3, 24, v3
	s_movk_i32 s2, 0x80
	v_and_or_b32 v3, v3, s2, v6
	global_store_byte v[4:5], v3, off
.LBB48_2847:
	s_mov_b64 s[2:3], 0
.LBB48_2848:
	s_andn2_b64 vcc, exec, s[2:3]
	s_cbranch_vccnz .LBB48_2858
; %bb.2849:
	v_cvt_f32_f16_e32 v3, v1
	s_mov_b32 s2, 0x47800000
                                        ; implicit-def: $vgpr6
	v_and_b32_e32 v7, 0x7fffffff, v3
	v_cmp_gt_u32_e32 vcc, s2, v7
	s_and_saveexec_b64 s[2:3], vcc
	s_xor_b64 s[2:3], exec, s[2:3]
	s_cbranch_execz .LBB48_2855
; %bb.2850:
	s_mov_b32 s6, 0x387fffff
	v_cmp_lt_u32_e32 vcc, s6, v7
                                        ; implicit-def: $vgpr6
	s_and_saveexec_b64 s[6:7], vcc
	s_xor_b64 s[6:7], exec, s[6:7]
; %bb.2851:
	v_bfe_u32 v6, v3, 21, 1
	s_mov_b32 s10, 0x80fffff
	v_add3_u32 v6, v3, v6, s10
	v_lshrrev_b32_e32 v6, 21, v6
; %bb.2852:
	s_andn2_saveexec_b64 s[6:7], s[6:7]
; %bb.2853:
	s_mov_b32 s10, 0x43000000
	v_add_f32_e64 v6, |v3|, s10
; %bb.2854:
	s_or_b64 exec, exec, s[6:7]
                                        ; implicit-def: $vgpr7
.LBB48_2855:
	s_andn2_saveexec_b64 s[2:3], s[2:3]
; %bb.2856:
	s_mov_b32 s6, 0x7f800000
	v_mov_b32_e32 v6, 0x7c
	v_mov_b32_e32 v8, 0x7f
	v_cmp_lt_u32_e32 vcc, s6, v7
	v_cndmask_b32_e32 v6, v6, v8, vcc
; %bb.2857:
	s_or_b64 exec, exec, s[2:3]
	v_lshrrev_b32_e32 v3, 24, v3
	s_movk_i32 s2, 0x80
	v_and_or_b32 v3, v3, s2, v6
	global_store_byte v[4:5], v3, off
.LBB48_2858:
	s_mov_b64 s[2:3], 0
	s_mov_b64 s[6:7], -1
.LBB48_2859:
	s_andn2_b64 vcc, exec, s[2:3]
	s_mov_b64 s[2:3], 0
	s_cbranch_vccnz .LBB48_2866
; %bb.2860:
	v_mov_b32_e32 v3, 14
	v_cmp_gt_i16_sdwa s[2:3], s18, v3 src0_sel:BYTE_0 src1_sel:DWORD
	s_mov_b64 s[10:11], -1
	s_and_b64 vcc, exec, s[2:3]
	s_cbranch_vccz .LBB48_2864
; %bb.2861:
	v_mov_b32_e32 v3, 15
	v_cmp_eq_u16_sdwa s[2:3], s18, v3 src0_sel:BYTE_0 src1_sel:DWORD
	s_mov_b64 s[0:1], -1
	s_and_b64 vcc, exec, s[2:3]
	s_cbranch_vccz .LBB48_2863
; %bb.2862:
	v_cvt_f32_f16_e32 v3, v1
	s_movk_i32 s0, 0x7fff
	v_mov_b32_e32 v6, 0x7fc0
	v_cmp_o_f16_e32 vcc, v1, v1
	v_bfe_u32 v7, v3, 16, 1
	v_add3_u32 v3, v3, v7, s0
	v_lshrrev_b32_e32 v3, 16, v3
	v_cndmask_b32_e32 v3, v6, v3, vcc
	global_store_short v[4:5], v3, off
	s_mov_b64 s[0:1], 0
	s_mov_b64 s[6:7], -1
.LBB48_2863:
	s_mov_b64 s[10:11], 0
.LBB48_2864:
	s_mov_b64 s[2:3], 0
	s_and_b64 vcc, exec, s[10:11]
	s_cbranch_vccz .LBB48_2866
; %bb.2865:
	v_mov_b32_e32 v3, 11
	v_cmp_ne_u16_sdwa s[0:1], s18, v3 src0_sel:BYTE_0 src1_sel:DWORD
	s_mov_b64 s[2:3], -1
.LBB48_2866:
	s_and_b64 vcc, exec, s[0:1]
	s_cbranch_vccnz .LBB48_2922
; %bb.2867:
	s_andn2_b64 vcc, exec, s[2:3]
	s_cbranch_vccnz .LBB48_2869
.LBB48_2868:
	v_and_b32_e32 v3, 0x7fff, v1
	v_cmp_ne_u16_e32 vcc, 0, v3
	v_cndmask_b32_e64 v3, 0, 1, vcc
	s_mov_b64 s[6:7], -1
	global_store_byte v[4:5], v3, off
.LBB48_2869:
	s_mov_b64 s[0:1], 0
.LBB48_2870:
	s_and_b64 vcc, exec, s[0:1]
	s_cbranch_vccz .LBB48_2909
; %bb.2871:
	v_mov_b32_e32 v3, 5
	v_cmp_lt_i16_sdwa s[2:3], s18, v3 src0_sel:BYTE_0 src1_sel:DWORD
	s_mov_b64 s[0:1], -1
	s_and_b64 vcc, exec, s[2:3]
	s_cbranch_vccnz .LBB48_2892
; %bb.2872:
	v_mov_b32_e32 v3, 8
	v_cmp_lt_i16_sdwa s[2:3], s18, v3 src0_sel:BYTE_0 src1_sel:DWORD
	s_and_b64 vcc, exec, s[2:3]
	s_cbranch_vccnz .LBB48_2882
; %bb.2873:
	v_mov_b32_e32 v3, 9
	v_cmp_lt_i16_sdwa s[2:3], s18, v3 src0_sel:BYTE_0 src1_sel:DWORD
	s_and_b64 vcc, exec, s[2:3]
	s_cbranch_vccnz .LBB48_2879
; %bb.2874:
	v_cmp_gt_i16_sdwa s[2:3], s18, v3 src0_sel:BYTE_0 src1_sel:DWORD
	s_and_b64 vcc, exec, s[2:3]
	s_cbranch_vccz .LBB48_2876
; %bb.2875:
	v_cvt_f32_f16_e32 v3, v1
	v_mov_b32_e32 v8, 0
	v_mov_b32_e32 v9, v8
	s_mov_b64 s[0:1], 0
	v_cvt_f64_f32_e32 v[6:7], v3
	global_store_dwordx4 v[4:5], v[6:9], off
.LBB48_2876:
	s_andn2_b64 vcc, exec, s[0:1]
	s_cbranch_vccnz .LBB48_2878
; %bb.2877:
	v_cvt_f32_f16_e32 v6, v1
	v_mov_b32_e32 v7, 0
	global_store_dwordx2 v[4:5], v[6:7], off
.LBB48_2878:
	s_mov_b64 s[0:1], 0
.LBB48_2879:
	s_andn2_b64 vcc, exec, s[0:1]
	s_cbranch_vccnz .LBB48_2881
; %bb.2880:
	v_and_b32_e32 v3, 0xffff, v1
	global_store_dword v[4:5], v3, off
.LBB48_2881:
	s_mov_b64 s[0:1], 0
.LBB48_2882:
	s_andn2_b64 vcc, exec, s[0:1]
	s_cbranch_vccnz .LBB48_2891
; %bb.2883:
	v_mov_b32_e32 v3, 6
	v_cmp_lt_i16_sdwa s[2:3], s18, v3 src0_sel:BYTE_0 src1_sel:DWORD
	s_mov_b64 s[0:1], -1
	s_and_b64 vcc, exec, s[2:3]
	s_cbranch_vccnz .LBB48_2889
; %bb.2884:
	v_cmp_gt_i16_sdwa s[2:3], s18, v3 src0_sel:BYTE_0 src1_sel:DWORD
	s_and_b64 vcc, exec, s[2:3]
	s_cbranch_vccz .LBB48_2886
; %bb.2885:
	v_cvt_f32_f16_e32 v3, v1
	s_mov_b64 s[0:1], 0
	v_cvt_f64_f32_e32 v[6:7], v3
	global_store_dwordx2 v[4:5], v[6:7], off
.LBB48_2886:
	s_andn2_b64 vcc, exec, s[0:1]
	s_cbranch_vccnz .LBB48_2888
; %bb.2887:
	v_cvt_f32_f16_e32 v3, v1
	global_store_dword v[4:5], v3, off
.LBB48_2888:
	s_mov_b64 s[0:1], 0
.LBB48_2889:
	s_andn2_b64 vcc, exec, s[0:1]
	s_cbranch_vccnz .LBB48_2891
; %bb.2890:
	global_store_short v[4:5], v1, off
.LBB48_2891:
	s_mov_b64 s[0:1], 0
.LBB48_2892:
	s_andn2_b64 vcc, exec, s[0:1]
	s_cbranch_vccnz .LBB48_2908
; %bb.2893:
	v_mov_b32_e32 v3, 2
	v_cmp_lt_i16_sdwa s[2:3], s18, v3 src0_sel:BYTE_0 src1_sel:DWORD
	s_mov_b64 s[0:1], -1
	s_and_b64 vcc, exec, s[2:3]
	s_cbranch_vccnz .LBB48_2903
; %bb.2894:
	v_mov_b32_e32 v3, 3
	v_cmp_lt_i16_sdwa s[2:3], s18, v3 src0_sel:BYTE_0 src1_sel:DWORD
	s_and_b64 vcc, exec, s[2:3]
	s_cbranch_vccnz .LBB48_2900
; %bb.2895:
	v_cmp_gt_i16_sdwa s[2:3], s18, v3 src0_sel:BYTE_0 src1_sel:DWORD
	s_and_b64 vcc, exec, s[2:3]
	s_cbranch_vccz .LBB48_2897
; %bb.2896:
	v_cvt_f32_f16_e32 v3, v1
	s_mov_b64 s[0:1], 0
	v_cvt_i32_f32_e32 v6, v3
	v_ashrrev_i32_e32 v7, 31, v6
	global_store_dwordx2 v[4:5], v[6:7], off
.LBB48_2897:
	s_andn2_b64 vcc, exec, s[0:1]
	s_cbranch_vccnz .LBB48_2899
; %bb.2898:
	v_cvt_f32_f16_e32 v3, v1
	v_cvt_i32_f32_e32 v3, v3
	global_store_dword v[4:5], v3, off
.LBB48_2899:
	s_mov_b64 s[0:1], 0
.LBB48_2900:
	s_andn2_b64 vcc, exec, s[0:1]
	s_cbranch_vccnz .LBB48_2902
; %bb.2901:
	v_cvt_i16_f16_e32 v3, v1
	global_store_short v[4:5], v3, off
.LBB48_2902:
	s_mov_b64 s[0:1], 0
.LBB48_2903:
	s_andn2_b64 vcc, exec, s[0:1]
	s_cbranch_vccnz .LBB48_2908
; %bb.2904:
	v_mov_b32_e32 v3, 0
	v_cmp_gt_i16_sdwa s[2:3], s18, v3 src0_sel:BYTE_0 src1_sel:DWORD
	s_mov_b64 s[0:1], -1
	s_and_b64 vcc, exec, s[2:3]
	s_cbranch_vccz .LBB48_2906
; %bb.2905:
	v_cvt_i16_f16_e32 v3, v1
	global_store_byte v[4:5], v3, off
	s_mov_b64 s[0:1], 0
.LBB48_2906:
	s_andn2_b64 vcc, exec, s[0:1]
	s_cbranch_vccnz .LBB48_2908
; %bb.2907:
	v_cvt_f32_f16_e32 v1, v1
	v_cvt_i32_f32_e32 v1, v1
	global_store_byte v[4:5], v1, off
.LBB48_2908:
	s_mov_b64 s[6:7], -1
.LBB48_2909:
	s_andn2_b64 vcc, exec, s[6:7]
	s_cbranch_vccnz .LBB48_3113
; %bb.2910:
	v_cvt_f32_f16_e32 v1, v14
	v_cvt_f32_f16_e32 v3, v16
	s_movk_i32 s0, 0x400
	v_mov_b32_e32 v5, 0x400
	v_rcp_f32_e32 v4, v1
	s_movk_i32 s1, 0x3bfe
	v_mul_f32_e32 v6, v3, v4
	v_mad_f32 v7, -v1, v6, v3
	v_mac_f32_e32 v6, v7, v4
	v_mad_f32 v1, -v1, v6, v3
	v_mul_f32_e32 v1, v1, v4
	v_and_b32_e32 v1, 0xff800000, v1
	v_add_f32_e32 v1, v1, v6
	v_cvt_f16_f32_e32 v1, v1
	v_mov_b32_e32 v3, 0x3bfe
	v_mov_b32_e32 v4, s9
	v_div_fixup_f16 v1, v1, v14, v16
	v_cmp_ngt_f16_e32 vcc, s0, v1
	v_cndmask_b32_e32 v1, v5, v1, vcc
	v_cmp_nlt_f16_e32 vcc, s1, v1
	v_cndmask_b32_e32 v1, v3, v1, vcc
	v_add_co_u32_e32 v2, vcc, s8, v2
	v_addc_co_u32_e32 v3, vcc, 0, v4, vcc
	v_mov_b32_e32 v4, 11
	v_cmp_lt_i16_sdwa s[0:1], s18, v4 src0_sel:BYTE_0 src1_sel:DWORD
	s_and_b64 vcc, exec, s[0:1]
	s_cbranch_vccnz .LBB48_2917
; %bb.2911:
	v_mov_b32_e32 v4, 25
	v_cmp_gt_i16_sdwa s[0:1], s18, v4 src0_sel:BYTE_0 src1_sel:DWORD
	s_mov_b64 s[10:11], -1
	s_mov_b64 s[2:3], 0
	s_and_b64 vcc, exec, s[0:1]
	s_mov_b64 s[6:7], 0
	s_mov_b64 s[0:1], 0
	s_cbranch_vccz .LBB48_2953
; %bb.2912:
	v_mov_b32_e32 v4, 28
	v_cmp_gt_i16_sdwa s[0:1], s18, v4 src0_sel:BYTE_0 src1_sel:DWORD
	s_and_b64 vcc, exec, s[0:1]
	s_cbranch_vccz .LBB48_2918
; %bb.2913:
	v_mov_b32_e32 v4, 43
	v_cmp_gt_i16_sdwa s[0:1], s18, v4 src0_sel:BYTE_0 src1_sel:DWORD
	s_and_b64 vcc, exec, s[0:1]
	;; [unrolled: 5-line block ×3, first 2 shown]
	s_cbranch_vccz .LBB48_2925
; %bb.2915:
	v_mov_b32_e32 v4, 46
	v_cmp_eq_u16_sdwa s[6:7], s18, v4 src0_sel:BYTE_0 src1_sel:DWORD
	s_mov_b64 s[0:1], -1
	s_mov_b64 s[10:11], 0
	s_and_b64 vcc, exec, s[6:7]
	s_mov_b64 s[6:7], 0
	s_cbranch_vccz .LBB48_2926
; %bb.2916:
	v_cvt_f32_f16_e32 v4, v1
	s_movk_i32 s0, 0x7fff
	v_mov_b32_e32 v5, 0x7fc0
	v_cmp_o_f16_e32 vcc, v1, v1
	v_bfe_u32 v6, v4, 16, 1
	v_add3_u32 v4, v4, v6, s0
	v_lshrrev_b32_e32 v4, 16, v4
	v_cndmask_b32_e32 v4, v5, v4, vcc
	global_store_dword v[2:3], v4, off
	s_mov_b64 s[0:1], 0
	s_mov_b64 s[6:7], -1
	s_branch .LBB48_2926
.LBB48_2917:
	s_mov_b64 s[0:1], -1
	s_mov_b64 s[6:7], 0
	s_branch .LBB48_2997
.LBB48_2918:
	s_mov_b64 s[0:1], 0
	s_branch .LBB48_2936
.LBB48_2919:
	s_or_saveexec_b64 s[16:17], s[16:17]
                                        ; implicit-def: $sgpr19
	s_xor_b64 exec, exec, s[16:17]
	s_cbranch_execz .LBB48_2820
.LBB48_2920:
	s_mov_b32 s19, 0x46000000
	v_add_f32_e64 v6, |v3|, s19
	v_and_b32_e32 v6, 0xff, v6
	v_cmp_ne_u32_e32 vcc, 0, v6
	s_andn2_b64 s[10:11], s[10:11], exec
	s_and_b64 s[20:21], vcc, exec
	s_mov_b32 s19, 0
	s_or_b64 s[10:11], s[10:11], s[20:21]
	s_or_b64 exec, exec, s[16:17]
	v_mov_b32_e32 v7, s19
	s_and_saveexec_b64 s[16:17], s[10:11]
	s_cbranch_execnz .LBB48_2821
	s_branch .LBB48_2822
.LBB48_2921:
	s_mov_b64 s[0:1], 0
	s_branch .LBB48_2932
.LBB48_2922:
	s_trap 2
	s_or_b64 s[4:5], s[4:5], exec
	s_cbranch_execz .LBB48_2868
	s_branch .LBB48_2869
.LBB48_2923:
	s_or_saveexec_b64 s[10:11], s[10:11]
                                        ; implicit-def: $sgpr16
	s_xor_b64 exec, exec, s[10:11]
	s_cbranch_execz .LBB48_2833
.LBB48_2924:
	s_mov_b32 s16, 0x42800000
	v_add_f32_e64 v6, |v3|, s16
	v_and_b32_e32 v6, 0xff, v6
	v_cmp_ne_u32_e32 vcc, 0, v6
	s_andn2_b64 s[6:7], s[6:7], exec
	s_and_b64 s[20:21], vcc, exec
	s_mov_b32 s16, 0
	s_or_b64 s[6:7], s[6:7], s[20:21]
	s_or_b64 exec, exec, s[10:11]
	v_mov_b32_e32 v7, s16
	s_and_saveexec_b64 s[10:11], s[6:7]
	s_cbranch_execnz .LBB48_2834
	s_branch .LBB48_2835
.LBB48_2925:
	s_mov_b64 s[0:1], 0
.LBB48_2926:
	s_and_b64 vcc, exec, s[10:11]
	s_cbranch_vccz .LBB48_2931
; %bb.2927:
	v_mov_b32_e32 v4, 44
	v_cmp_eq_u16_sdwa s[10:11], s18, v4 src0_sel:BYTE_0 src1_sel:DWORD
	s_mov_b64 s[0:1], -1
	s_and_b64 vcc, exec, s[10:11]
	s_cbranch_vccz .LBB48_2931
; %bb.2928:
	v_cvt_f32_f16_e32 v4, v1
	s_movk_i32 s0, 0xff
	v_mov_b32_e32 v6, 0xff
	v_bfe_u32 v5, v4, 23, 8
	v_cmp_ne_u32_e32 vcc, s0, v5
	s_and_saveexec_b64 s[6:7], vcc
; %bb.2929:
	s_mov_b32 s0, 0x3fffff
	v_lshrrev_b32_e32 v6, 23, v4
	v_and_b32_e32 v7, 0x400000, v4
	v_and_or_b32 v4, v4, s0, v5
	v_cmp_ne_u32_e32 vcc, 0, v7
	v_cmp_ne_u32_e64 s[0:1], 0, v4
	s_and_b64 s[0:1], vcc, s[0:1]
	v_cndmask_b32_e64 v4, 0, 1, s[0:1]
	v_add_u32_e32 v6, v6, v4
; %bb.2930:
	s_or_b64 exec, exec, s[6:7]
	s_mov_b64 s[0:1], 0
	s_mov_b64 s[6:7], -1
	global_store_byte v[2:3], v6, off
.LBB48_2931:
	s_mov_b64 s[10:11], 0
.LBB48_2932:
	s_and_b64 vcc, exec, s[10:11]
	s_cbranch_vccz .LBB48_2935
; %bb.2933:
	v_mov_b32_e32 v4, 29
	v_cmp_eq_u16_sdwa s[10:11], s18, v4 src0_sel:BYTE_0 src1_sel:DWORD
	s_mov_b64 s[0:1], -1
	s_and_b64 vcc, exec, s[10:11]
	s_cbranch_vccz .LBB48_2935
; %bb.2934:
	v_cvt_f32_f16_e32 v4, v1
	v_mov_b32_e32 v5, 0
	s_mov_b64 s[0:1], 0
	s_mov_b64 s[6:7], -1
	v_cvt_u32_f32_e32 v4, v4
	s_mov_b64 s[10:11], 0
	global_store_dwordx2 v[2:3], v[4:5], off
	s_branch .LBB48_2936
.LBB48_2935:
	s_mov_b64 s[10:11], 0
.LBB48_2936:
	s_and_b64 vcc, exec, s[10:11]
	s_cbranch_vccz .LBB48_2952
; %bb.2937:
	v_mov_b32_e32 v4, 27
	v_cmp_lt_i16_sdwa s[10:11], s18, v4 src0_sel:BYTE_0 src1_sel:DWORD
	s_mov_b64 s[6:7], -1
	s_and_b64 vcc, exec, s[10:11]
	s_cbranch_vccnz .LBB48_2943
; %bb.2938:
	v_cmp_gt_i16_sdwa s[10:11], s18, v4 src0_sel:BYTE_0 src1_sel:DWORD
	s_and_b64 vcc, exec, s[10:11]
	s_cbranch_vccz .LBB48_2940
; %bb.2939:
	v_cvt_f32_f16_e32 v4, v1
	s_mov_b64 s[6:7], 0
	v_cvt_u32_f32_e32 v4, v4
	global_store_dword v[2:3], v4, off
.LBB48_2940:
	s_andn2_b64 vcc, exec, s[6:7]
	s_cbranch_vccnz .LBB48_2942
; %bb.2941:
	v_cvt_u16_f16_e32 v4, v1
	global_store_short v[2:3], v4, off
.LBB48_2942:
	s_mov_b64 s[6:7], 0
.LBB48_2943:
	s_andn2_b64 vcc, exec, s[6:7]
	s_cbranch_vccnz .LBB48_2951
; %bb.2944:
	v_cvt_f32_f16_e32 v4, v1
	s_mov_b32 s6, 0x43800000
	v_mov_b32_e32 v6, 0x80
	v_and_b32_e32 v5, 0x7fffffff, v4
	v_cmp_gt_u32_e32 vcc, s6, v5
	s_and_saveexec_b64 s[6:7], vcc
	s_cbranch_execz .LBB48_2950
; %bb.2945:
	s_mov_b32 s10, 0x3bffffff
	v_cmp_lt_u32_e32 vcc, s10, v5
	s_mov_b64 s[10:11], 0
                                        ; implicit-def: $vgpr5
	s_and_saveexec_b64 s[16:17], vcc
	s_xor_b64 s[16:17], exec, s[16:17]
	s_cbranch_execz .LBB48_3159
; %bb.2946:
	v_bfe_u32 v5, v4, 20, 1
	s_mov_b32 s19, 0x487ffff
	v_add3_u32 v5, v4, v5, s19
	s_mov_b64 s[10:11], exec
	v_lshrrev_b32_e32 v5, 20, v5
	s_or_saveexec_b64 s[16:17], s[16:17]
                                        ; implicit-def: $sgpr19
	s_xor_b64 exec, exec, s[16:17]
	s_cbranch_execnz .LBB48_3160
.LBB48_2947:
	s_or_b64 exec, exec, s[16:17]
	v_mov_b32_e32 v6, s19
	s_and_saveexec_b64 s[16:17], s[10:11]
.LBB48_2948:
	v_lshrrev_b32_e32 v4, 24, v4
	s_movk_i32 s10, 0x80
	v_and_or_b32 v6, v4, s10, v5
.LBB48_2949:
	s_or_b64 exec, exec, s[16:17]
.LBB48_2950:
	s_or_b64 exec, exec, s[6:7]
	global_store_byte v[2:3], v6, off
.LBB48_2951:
	s_mov_b64 s[6:7], -1
.LBB48_2952:
	s_mov_b64 s[10:11], 0
.LBB48_2953:
	s_and_b64 vcc, exec, s[10:11]
	s_cbranch_vccz .LBB48_2993
; %bb.2954:
	v_mov_b32_e32 v4, 22
	v_cmp_gt_i16_sdwa s[10:11], s18, v4 src0_sel:BYTE_0 src1_sel:DWORD
	s_mov_b64 s[2:3], -1
	s_and_b64 vcc, exec, s[10:11]
	s_cbranch_vccz .LBB48_2986
; %bb.2955:
	v_mov_b32_e32 v4, 24
	v_cmp_lt_i16_sdwa s[6:7], s18, v4 src0_sel:BYTE_0 src1_sel:DWORD
	s_and_b64 vcc, exec, s[6:7]
	s_cbranch_vccnz .LBB48_2975
; %bb.2956:
	v_cmp_gt_i16_sdwa s[6:7], s18, v4 src0_sel:BYTE_0 src1_sel:DWORD
	s_and_b64 vcc, exec, s[6:7]
	s_cbranch_vccz .LBB48_2964
; %bb.2957:
	v_cvt_f32_f16_e32 v4, v1
	s_mov_b32 s2, 0x47800000
	v_mov_b32_e32 v6, 0x80
	v_and_b32_e32 v5, 0x7fffffff, v4
	v_cmp_gt_u32_e32 vcc, s2, v5
	s_and_saveexec_b64 s[2:3], vcc
	s_cbranch_execz .LBB48_2963
; %bb.2958:
	s_mov_b32 s6, 0x37ffffff
	v_cmp_lt_u32_e32 vcc, s6, v5
	s_mov_b64 s[6:7], 0
                                        ; implicit-def: $vgpr5
	s_and_saveexec_b64 s[10:11], vcc
	s_xor_b64 s[10:11], exec, s[10:11]
	s_cbranch_execz .LBB48_3162
; %bb.2959:
	v_bfe_u32 v5, v4, 21, 1
	s_mov_b32 s16, 0x88fffff
	v_add3_u32 v5, v4, v5, s16
	s_mov_b64 s[6:7], exec
	v_lshrrev_b32_e32 v5, 21, v5
	s_or_saveexec_b64 s[10:11], s[10:11]
                                        ; implicit-def: $sgpr16
	s_xor_b64 exec, exec, s[10:11]
	s_cbranch_execnz .LBB48_3163
.LBB48_2960:
	s_or_b64 exec, exec, s[10:11]
	v_mov_b32_e32 v6, s16
	s_and_saveexec_b64 s[10:11], s[6:7]
.LBB48_2961:
	v_lshrrev_b32_e32 v4, 24, v4
	s_movk_i32 s6, 0x80
	v_and_or_b32 v6, v4, s6, v5
.LBB48_2962:
	s_or_b64 exec, exec, s[10:11]
.LBB48_2963:
	s_or_b64 exec, exec, s[2:3]
	s_mov_b64 s[2:3], 0
	global_store_byte v[2:3], v6, off
.LBB48_2964:
	s_and_b64 vcc, exec, s[2:3]
	s_cbranch_vccz .LBB48_2974
; %bb.2965:
	v_cvt_f32_f16_e32 v4, v1
	s_mov_b32 s2, 0x43f00000
                                        ; implicit-def: $vgpr5
	v_and_b32_e32 v6, 0x7fffffff, v4
	v_cmp_gt_u32_e32 vcc, s2, v6
	s_and_saveexec_b64 s[2:3], vcc
	s_xor_b64 s[2:3], exec, s[2:3]
	s_cbranch_execz .LBB48_2971
; %bb.2966:
	s_mov_b32 s6, 0x3c7fffff
	v_cmp_lt_u32_e32 vcc, s6, v6
                                        ; implicit-def: $vgpr5
	s_and_saveexec_b64 s[6:7], vcc
	s_xor_b64 s[6:7], exec, s[6:7]
; %bb.2967:
	v_bfe_u32 v5, v4, 20, 1
	s_mov_b32 s10, 0x407ffff
	v_add3_u32 v5, v4, v5, s10
	v_lshrrev_b32_e32 v6, 20, v5
	v_and_b32_e32 v5, 0xff00000, v5
	s_mov_b32 s10, 0x7f00000
	v_mov_b32_e32 v7, 0x7e
	v_cmp_ne_u32_e32 vcc, s10, v5
	v_cndmask_b32_e32 v5, v7, v6, vcc
; %bb.2968:
	s_andn2_saveexec_b64 s[6:7], s[6:7]
; %bb.2969:
	s_mov_b32 s10, 0x46800000
	v_add_f32_e64 v5, |v4|, s10
; %bb.2970:
	s_or_b64 exec, exec, s[6:7]
                                        ; implicit-def: $vgpr6
.LBB48_2971:
	s_andn2_saveexec_b64 s[2:3], s[2:3]
; %bb.2972:
	s_mov_b32 s6, 0x7f800000
	v_mov_b32_e32 v5, 0x7e
	v_mov_b32_e32 v7, 0x7f
	v_cmp_lt_u32_e32 vcc, s6, v6
	v_cndmask_b32_e32 v5, v5, v7, vcc
; %bb.2973:
	s_or_b64 exec, exec, s[2:3]
	v_lshrrev_b32_e32 v4, 24, v4
	s_movk_i32 s2, 0x80
	v_and_or_b32 v4, v4, s2, v5
	global_store_byte v[2:3], v4, off
.LBB48_2974:
	s_mov_b64 s[2:3], 0
.LBB48_2975:
	s_andn2_b64 vcc, exec, s[2:3]
	s_cbranch_vccnz .LBB48_2985
; %bb.2976:
	v_cvt_f32_f16_e32 v4, v1
	s_mov_b32 s2, 0x47800000
                                        ; implicit-def: $vgpr5
	v_and_b32_e32 v6, 0x7fffffff, v4
	v_cmp_gt_u32_e32 vcc, s2, v6
	s_and_saveexec_b64 s[2:3], vcc
	s_xor_b64 s[2:3], exec, s[2:3]
	s_cbranch_execz .LBB48_2982
; %bb.2977:
	s_mov_b32 s6, 0x387fffff
	v_cmp_lt_u32_e32 vcc, s6, v6
                                        ; implicit-def: $vgpr5
	s_and_saveexec_b64 s[6:7], vcc
	s_xor_b64 s[6:7], exec, s[6:7]
; %bb.2978:
	v_bfe_u32 v5, v4, 21, 1
	s_mov_b32 s10, 0x80fffff
	v_add3_u32 v5, v4, v5, s10
	v_lshrrev_b32_e32 v5, 21, v5
; %bb.2979:
	s_andn2_saveexec_b64 s[6:7], s[6:7]
; %bb.2980:
	s_mov_b32 s10, 0x43000000
	v_add_f32_e64 v5, |v4|, s10
; %bb.2981:
	s_or_b64 exec, exec, s[6:7]
                                        ; implicit-def: $vgpr6
.LBB48_2982:
	s_andn2_saveexec_b64 s[2:3], s[2:3]
; %bb.2983:
	s_mov_b32 s6, 0x7f800000
	v_mov_b32_e32 v5, 0x7c
	v_mov_b32_e32 v7, 0x7f
	v_cmp_lt_u32_e32 vcc, s6, v6
	v_cndmask_b32_e32 v5, v5, v7, vcc
; %bb.2984:
	s_or_b64 exec, exec, s[2:3]
	v_lshrrev_b32_e32 v4, 24, v4
	s_movk_i32 s2, 0x80
	v_and_or_b32 v4, v4, s2, v5
	global_store_byte v[2:3], v4, off
.LBB48_2985:
	s_mov_b64 s[2:3], 0
	s_mov_b64 s[6:7], -1
.LBB48_2986:
	s_andn2_b64 vcc, exec, s[2:3]
	s_mov_b64 s[2:3], 0
	s_cbranch_vccnz .LBB48_2993
; %bb.2987:
	v_mov_b32_e32 v4, 14
	v_cmp_gt_i16_sdwa s[2:3], s18, v4 src0_sel:BYTE_0 src1_sel:DWORD
	s_mov_b64 s[10:11], -1
	s_and_b64 vcc, exec, s[2:3]
	s_cbranch_vccz .LBB48_2991
; %bb.2988:
	v_mov_b32_e32 v4, 15
	v_cmp_eq_u16_sdwa s[2:3], s18, v4 src0_sel:BYTE_0 src1_sel:DWORD
	s_mov_b64 s[0:1], -1
	s_and_b64 vcc, exec, s[2:3]
	s_cbranch_vccz .LBB48_2990
; %bb.2989:
	v_cvt_f32_f16_e32 v4, v1
	s_movk_i32 s0, 0x7fff
	v_mov_b32_e32 v5, 0x7fc0
	v_cmp_o_f16_e32 vcc, v1, v1
	v_bfe_u32 v6, v4, 16, 1
	v_add3_u32 v4, v4, v6, s0
	v_lshrrev_b32_e32 v4, 16, v4
	v_cndmask_b32_e32 v4, v5, v4, vcc
	global_store_short v[2:3], v4, off
	s_mov_b64 s[0:1], 0
	s_mov_b64 s[6:7], -1
.LBB48_2990:
	s_mov_b64 s[10:11], 0
.LBB48_2991:
	s_mov_b64 s[2:3], 0
	s_and_b64 vcc, exec, s[10:11]
	s_cbranch_vccz .LBB48_2993
; %bb.2992:
	v_mov_b32_e32 v4, 11
	v_cmp_ne_u16_sdwa s[0:1], s18, v4 src0_sel:BYTE_0 src1_sel:DWORD
	s_mov_b64 s[2:3], -1
.LBB48_2993:
	s_and_b64 vcc, exec, s[0:1]
	s_cbranch_vccnz .LBB48_3161
; %bb.2994:
	s_andn2_b64 vcc, exec, s[2:3]
	s_cbranch_vccnz .LBB48_2996
.LBB48_2995:
	v_and_b32_e32 v4, 0x7fff, v1
	v_cmp_ne_u16_e32 vcc, 0, v4
	v_cndmask_b32_e64 v4, 0, 1, vcc
	s_mov_b64 s[6:7], -1
	global_store_byte v[2:3], v4, off
.LBB48_2996:
	s_mov_b64 s[0:1], 0
.LBB48_2997:
	s_and_b64 vcc, exec, s[0:1]
	s_cbranch_vccz .LBB48_3036
; %bb.2998:
	v_mov_b32_e32 v4, 5
	v_cmp_lt_i16_sdwa s[2:3], s18, v4 src0_sel:BYTE_0 src1_sel:DWORD
	s_mov_b64 s[0:1], -1
	s_and_b64 vcc, exec, s[2:3]
	s_cbranch_vccnz .LBB48_3019
; %bb.2999:
	v_mov_b32_e32 v4, 8
	v_cmp_lt_i16_sdwa s[2:3], s18, v4 src0_sel:BYTE_0 src1_sel:DWORD
	s_and_b64 vcc, exec, s[2:3]
	s_cbranch_vccnz .LBB48_3009
; %bb.3000:
	v_mov_b32_e32 v4, 9
	v_cmp_lt_i16_sdwa s[2:3], s18, v4 src0_sel:BYTE_0 src1_sel:DWORD
	s_and_b64 vcc, exec, s[2:3]
	s_cbranch_vccnz .LBB48_3006
; %bb.3001:
	v_cmp_gt_i16_sdwa s[2:3], s18, v4 src0_sel:BYTE_0 src1_sel:DWORD
	s_and_b64 vcc, exec, s[2:3]
	s_cbranch_vccz .LBB48_3003
; %bb.3002:
	v_cvt_f32_f16_e32 v4, v1
	v_mov_b32_e32 v6, 0
	v_mov_b32_e32 v7, v6
	s_mov_b64 s[0:1], 0
	v_cvt_f64_f32_e32 v[4:5], v4
	global_store_dwordx4 v[2:3], v[4:7], off
.LBB48_3003:
	s_andn2_b64 vcc, exec, s[0:1]
	s_cbranch_vccnz .LBB48_3005
; %bb.3004:
	v_cvt_f32_f16_e32 v4, v1
	v_mov_b32_e32 v5, 0
	global_store_dwordx2 v[2:3], v[4:5], off
.LBB48_3005:
	s_mov_b64 s[0:1], 0
.LBB48_3006:
	s_andn2_b64 vcc, exec, s[0:1]
	s_cbranch_vccnz .LBB48_3008
; %bb.3007:
	v_and_b32_e32 v4, 0xffff, v1
	global_store_dword v[2:3], v4, off
.LBB48_3008:
	s_mov_b64 s[0:1], 0
.LBB48_3009:
	s_andn2_b64 vcc, exec, s[0:1]
	s_cbranch_vccnz .LBB48_3018
; %bb.3010:
	v_mov_b32_e32 v4, 6
	v_cmp_lt_i16_sdwa s[2:3], s18, v4 src0_sel:BYTE_0 src1_sel:DWORD
	s_mov_b64 s[0:1], -1
	s_and_b64 vcc, exec, s[2:3]
	s_cbranch_vccnz .LBB48_3016
; %bb.3011:
	v_cmp_gt_i16_sdwa s[2:3], s18, v4 src0_sel:BYTE_0 src1_sel:DWORD
	s_and_b64 vcc, exec, s[2:3]
	s_cbranch_vccz .LBB48_3013
; %bb.3012:
	v_cvt_f32_f16_e32 v4, v1
	s_mov_b64 s[0:1], 0
	v_cvt_f64_f32_e32 v[4:5], v4
	global_store_dwordx2 v[2:3], v[4:5], off
.LBB48_3013:
	s_andn2_b64 vcc, exec, s[0:1]
	s_cbranch_vccnz .LBB48_3015
; %bb.3014:
	v_cvt_f32_f16_e32 v4, v1
	global_store_dword v[2:3], v4, off
.LBB48_3015:
	s_mov_b64 s[0:1], 0
.LBB48_3016:
	s_andn2_b64 vcc, exec, s[0:1]
	s_cbranch_vccnz .LBB48_3018
; %bb.3017:
	global_store_short v[2:3], v1, off
.LBB48_3018:
	s_mov_b64 s[0:1], 0
.LBB48_3019:
	s_andn2_b64 vcc, exec, s[0:1]
	s_cbranch_vccnz .LBB48_3035
; %bb.3020:
	v_mov_b32_e32 v4, 2
	v_cmp_lt_i16_sdwa s[2:3], s18, v4 src0_sel:BYTE_0 src1_sel:DWORD
	s_mov_b64 s[0:1], -1
	s_and_b64 vcc, exec, s[2:3]
	s_cbranch_vccnz .LBB48_3030
; %bb.3021:
	v_mov_b32_e32 v4, 3
	v_cmp_lt_i16_sdwa s[2:3], s18, v4 src0_sel:BYTE_0 src1_sel:DWORD
	s_and_b64 vcc, exec, s[2:3]
	s_cbranch_vccnz .LBB48_3027
; %bb.3022:
	v_cmp_gt_i16_sdwa s[2:3], s18, v4 src0_sel:BYTE_0 src1_sel:DWORD
	s_and_b64 vcc, exec, s[2:3]
	s_cbranch_vccz .LBB48_3024
; %bb.3023:
	v_cvt_f32_f16_e32 v4, v1
	s_mov_b64 s[0:1], 0
	v_cvt_i32_f32_e32 v4, v4
	v_ashrrev_i32_e32 v5, 31, v4
	global_store_dwordx2 v[2:3], v[4:5], off
.LBB48_3024:
	s_andn2_b64 vcc, exec, s[0:1]
	s_cbranch_vccnz .LBB48_3026
; %bb.3025:
	v_cvt_f32_f16_e32 v4, v1
	v_cvt_i32_f32_e32 v4, v4
	global_store_dword v[2:3], v4, off
.LBB48_3026:
	s_mov_b64 s[0:1], 0
.LBB48_3027:
	s_andn2_b64 vcc, exec, s[0:1]
	s_cbranch_vccnz .LBB48_3029
; %bb.3028:
	v_cvt_i16_f16_e32 v4, v1
	global_store_short v[2:3], v4, off
.LBB48_3029:
	s_mov_b64 s[0:1], 0
.LBB48_3030:
	s_andn2_b64 vcc, exec, s[0:1]
	s_cbranch_vccnz .LBB48_3035
; %bb.3031:
	v_mov_b32_e32 v4, 0
	v_cmp_gt_i16_sdwa s[2:3], s18, v4 src0_sel:BYTE_0 src1_sel:DWORD
	s_mov_b64 s[0:1], -1
	s_and_b64 vcc, exec, s[2:3]
	s_cbranch_vccz .LBB48_3033
; %bb.3032:
	v_cvt_i16_f16_e32 v4, v1
	global_store_byte v[2:3], v4, off
	s_mov_b64 s[0:1], 0
.LBB48_3033:
	s_andn2_b64 vcc, exec, s[0:1]
	s_cbranch_vccnz .LBB48_3035
; %bb.3034:
	v_cvt_f32_f16_e32 v1, v1
	v_cvt_i32_f32_e32 v1, v1
	global_store_byte v[2:3], v1, off
.LBB48_3035:
	s_mov_b64 s[6:7], -1
.LBB48_3036:
	s_andn2_b64 vcc, exec, s[6:7]
	s_cbranch_vccnz .LBB48_3113
; %bb.3037:
	v_cvt_f32_f16_e32 v1, v10
	v_cvt_f32_f16_e32 v2, v12
	s_movk_i32 s0, 0x400
	v_mov_b32_e32 v4, 0x400
	v_rcp_f32_e32 v3, v1
	s_movk_i32 s1, 0x3bfe
	v_mul_f32_e32 v5, v2, v3
	v_mad_f32 v6, -v1, v5, v2
	v_mac_f32_e32 v5, v6, v3
	v_mad_f32 v1, -v1, v5, v2
	v_mul_f32_e32 v1, v1, v3
	v_and_b32_e32 v1, 0xff800000, v1
	v_add_f32_e32 v1, v1, v5
	v_cvt_f16_f32_e32 v1, v1
	v_mov_b32_e32 v2, 0x3bfe
	v_mov_b32_e32 v3, 0xff
	v_and_b32_e32 v3, s18, v3
	v_div_fixup_f16 v1, v1, v10, v12
	v_cmp_ngt_f16_e32 vcc, s0, v1
	v_cndmask_b32_e32 v1, v4, v1, vcc
	v_cmp_nlt_f16_e32 vcc, s1, v1
	v_cndmask_b32_e32 v2, v2, v1, vcc
	v_mov_b32_e32 v1, s9
	v_add_co_u32_e32 v0, vcc, s8, v0
	v_addc_co_u32_e32 v1, vcc, 0, v1, vcc
	v_cmp_gt_i16_e32 vcc, 11, v3
	s_cbranch_vccnz .LBB48_3158
; %bb.3038:
	v_cmp_lt_i16_e32 vcc, 25, v3
	s_mov_b64 s[6:7], -1
	s_mov_b64 s[2:3], 0
	s_mov_b64 s[0:1], 0
	s_cbranch_vccz .LBB48_3071
; %bb.3039:
	v_cmp_lt_i16_e32 vcc, 28, v3
	s_cbranch_vccz .LBB48_3055
; %bb.3040:
	v_cmp_lt_i16_e32 vcc, 43, v3
	;; [unrolled: 3-line block ×3, first 2 shown]
	s_cbranch_vccz .LBB48_3045
; %bb.3042:
	v_cmp_eq_u16_e32 vcc, 46, v3
	s_mov_b64 s[0:1], -1
	s_cbranch_vccz .LBB48_3044
; %bb.3043:
	v_cvt_f32_f16_e32 v4, v2
	s_movk_i32 s0, 0x7fff
	v_mov_b32_e32 v5, 0x7fc0
	v_cmp_o_f16_e32 vcc, v2, v2
	v_bfe_u32 v6, v4, 16, 1
	v_add3_u32 v4, v4, v6, s0
	v_lshrrev_b32_e32 v4, 16, v4
	v_cndmask_b32_e32 v4, v5, v4, vcc
	global_store_dword v[0:1], v4, off
	s_mov_b64 s[0:1], 0
.LBB48_3044:
	s_mov_b64 s[6:7], 0
.LBB48_3045:
	s_and_b64 vcc, exec, s[6:7]
	s_cbranch_vccz .LBB48_3050
; %bb.3046:
	v_cmp_eq_u16_e32 vcc, 44, v3
	s_mov_b64 s[0:1], -1
	s_cbranch_vccz .LBB48_3050
; %bb.3047:
	v_cvt_f32_f16_e32 v4, v2
	s_movk_i32 s0, 0xff
	v_mov_b32_e32 v6, 0xff
	v_bfe_u32 v5, v4, 23, 8
	v_cmp_ne_u32_e32 vcc, s0, v5
	s_and_saveexec_b64 s[6:7], vcc
; %bb.3048:
	s_mov_b32 s0, 0x3fffff
	v_lshrrev_b32_e32 v6, 23, v4
	v_and_b32_e32 v7, 0x400000, v4
	v_and_or_b32 v4, v4, s0, v5
	v_cmp_ne_u32_e32 vcc, 0, v7
	v_cmp_ne_u32_e64 s[0:1], 0, v4
	s_and_b64 s[0:1], vcc, s[0:1]
	v_cndmask_b32_e64 v4, 0, 1, s[0:1]
	v_add_u32_e32 v6, v6, v4
; %bb.3049:
	s_or_b64 exec, exec, s[6:7]
	s_mov_b64 s[0:1], 0
	global_store_byte v[0:1], v6, off
.LBB48_3050:
	s_mov_b64 s[6:7], 0
.LBB48_3051:
	s_and_b64 vcc, exec, s[6:7]
	s_cbranch_vccz .LBB48_3054
; %bb.3052:
	v_cmp_eq_u16_e32 vcc, 29, v3
	s_mov_b64 s[0:1], -1
	s_cbranch_vccz .LBB48_3054
; %bb.3053:
	v_cvt_f32_f16_e32 v4, v2
	v_mov_b32_e32 v5, 0
	s_mov_b64 s[0:1], 0
	v_cvt_u32_f32_e32 v4, v4
	global_store_dwordx2 v[0:1], v[4:5], off
.LBB48_3054:
	s_mov_b64 s[6:7], 0
.LBB48_3055:
	s_and_b64 vcc, exec, s[6:7]
	s_cbranch_vccz .LBB48_3070
; %bb.3056:
	v_cmp_gt_i16_e32 vcc, 27, v3
	s_mov_b64 s[6:7], -1
	s_cbranch_vccnz .LBB48_3062
; %bb.3057:
	v_cmp_lt_i16_e32 vcc, 27, v3
	s_cbranch_vccz .LBB48_3059
; %bb.3058:
	v_cvt_f32_f16_e32 v4, v2
	s_mov_b64 s[6:7], 0
	v_cvt_u32_f32_e32 v4, v4
	global_store_dword v[0:1], v4, off
.LBB48_3059:
	s_andn2_b64 vcc, exec, s[6:7]
	s_cbranch_vccnz .LBB48_3061
; %bb.3060:
	v_cvt_u16_f16_e32 v4, v2
	global_store_short v[0:1], v4, off
.LBB48_3061:
	s_mov_b64 s[6:7], 0
.LBB48_3062:
	s_andn2_b64 vcc, exec, s[6:7]
	s_cbranch_vccnz .LBB48_3070
; %bb.3063:
	v_cvt_f32_f16_e32 v4, v2
	s_mov_b32 s6, 0x43800000
	v_mov_b32_e32 v6, 0x80
	v_and_b32_e32 v5, 0x7fffffff, v4
	v_cmp_gt_u32_e32 vcc, s6, v5
	s_and_saveexec_b64 s[6:7], vcc
	s_cbranch_execz .LBB48_3069
; %bb.3064:
	s_mov_b32 s8, 0x3bffffff
	v_cmp_lt_u32_e32 vcc, s8, v5
	s_mov_b64 s[8:9], 0
                                        ; implicit-def: $vgpr5
	s_and_saveexec_b64 s[10:11], vcc
	s_xor_b64 s[10:11], exec, s[10:11]
	s_cbranch_execz .LBB48_3164
; %bb.3065:
	v_bfe_u32 v5, v4, 20, 1
	s_mov_b32 s16, 0x487ffff
	v_add3_u32 v5, v4, v5, s16
	s_mov_b64 s[8:9], exec
	v_lshrrev_b32_e32 v5, 20, v5
	s_or_saveexec_b64 s[10:11], s[10:11]
                                        ; implicit-def: $sgpr16
	s_xor_b64 exec, exec, s[10:11]
	s_cbranch_execnz .LBB48_3165
.LBB48_3066:
	s_or_b64 exec, exec, s[10:11]
	v_mov_b32_e32 v6, s16
	s_and_saveexec_b64 s[10:11], s[8:9]
.LBB48_3067:
	v_lshrrev_b32_e32 v4, 24, v4
	s_movk_i32 s8, 0x80
	v_and_or_b32 v6, v4, s8, v5
.LBB48_3068:
	s_or_b64 exec, exec, s[10:11]
.LBB48_3069:
	s_or_b64 exec, exec, s[6:7]
	global_store_byte v[0:1], v6, off
.LBB48_3070:
	s_mov_b64 s[6:7], 0
.LBB48_3071:
	s_and_b64 vcc, exec, s[6:7]
	s_cbranch_vccz .LBB48_3111
; %bb.3072:
	v_cmp_lt_i16_e32 vcc, 22, v3
	s_mov_b64 s[2:3], -1
	s_cbranch_vccz .LBB48_3104
; %bb.3073:
	v_cmp_gt_i16_e32 vcc, 24, v3
	s_cbranch_vccnz .LBB48_3093
; %bb.3074:
	v_cmp_lt_i16_e32 vcc, 24, v3
	s_cbranch_vccz .LBB48_3082
; %bb.3075:
	v_cvt_f32_f16_e32 v4, v2
	s_mov_b32 s2, 0x47800000
	v_mov_b32_e32 v6, 0x80
	v_and_b32_e32 v5, 0x7fffffff, v4
	v_cmp_gt_u32_e32 vcc, s2, v5
	s_and_saveexec_b64 s[2:3], vcc
	s_cbranch_execz .LBB48_3081
; %bb.3076:
	s_mov_b32 s6, 0x37ffffff
	v_cmp_lt_u32_e32 vcc, s6, v5
	s_mov_b64 s[6:7], 0
                                        ; implicit-def: $vgpr5
	s_and_saveexec_b64 s[8:9], vcc
	s_xor_b64 s[8:9], exec, s[8:9]
	s_cbranch_execz .LBB48_3167
; %bb.3077:
	v_bfe_u32 v5, v4, 21, 1
	s_mov_b32 s10, 0x88fffff
	v_add3_u32 v5, v4, v5, s10
	s_mov_b64 s[6:7], exec
	v_lshrrev_b32_e32 v5, 21, v5
	s_or_saveexec_b64 s[8:9], s[8:9]
                                        ; implicit-def: $sgpr10
	s_xor_b64 exec, exec, s[8:9]
	s_cbranch_execnz .LBB48_3168
.LBB48_3078:
	s_or_b64 exec, exec, s[8:9]
	v_mov_b32_e32 v6, s10
	s_and_saveexec_b64 s[8:9], s[6:7]
.LBB48_3079:
	v_lshrrev_b32_e32 v4, 24, v4
	s_movk_i32 s6, 0x80
	v_and_or_b32 v6, v4, s6, v5
.LBB48_3080:
	s_or_b64 exec, exec, s[8:9]
.LBB48_3081:
	s_or_b64 exec, exec, s[2:3]
	s_mov_b64 s[2:3], 0
	global_store_byte v[0:1], v6, off
.LBB48_3082:
	s_and_b64 vcc, exec, s[2:3]
	s_cbranch_vccz .LBB48_3092
; %bb.3083:
	v_cvt_f32_f16_e32 v4, v2
	s_mov_b32 s2, 0x43f00000
                                        ; implicit-def: $vgpr5
	v_and_b32_e32 v6, 0x7fffffff, v4
	v_cmp_gt_u32_e32 vcc, s2, v6
	s_and_saveexec_b64 s[2:3], vcc
	s_xor_b64 s[2:3], exec, s[2:3]
	s_cbranch_execz .LBB48_3089
; %bb.3084:
	s_mov_b32 s6, 0x3c7fffff
	v_cmp_lt_u32_e32 vcc, s6, v6
                                        ; implicit-def: $vgpr5
	s_and_saveexec_b64 s[6:7], vcc
	s_xor_b64 s[6:7], exec, s[6:7]
; %bb.3085:
	v_bfe_u32 v5, v4, 20, 1
	s_mov_b32 s8, 0x407ffff
	v_add3_u32 v5, v4, v5, s8
	v_lshrrev_b32_e32 v6, 20, v5
	v_and_b32_e32 v5, 0xff00000, v5
	s_mov_b32 s8, 0x7f00000
	v_mov_b32_e32 v7, 0x7e
	v_cmp_ne_u32_e32 vcc, s8, v5
	v_cndmask_b32_e32 v5, v7, v6, vcc
; %bb.3086:
	s_andn2_saveexec_b64 s[6:7], s[6:7]
; %bb.3087:
	s_mov_b32 s8, 0x46800000
	v_add_f32_e64 v5, |v4|, s8
; %bb.3088:
	s_or_b64 exec, exec, s[6:7]
                                        ; implicit-def: $vgpr6
.LBB48_3089:
	s_andn2_saveexec_b64 s[2:3], s[2:3]
; %bb.3090:
	s_mov_b32 s6, 0x7f800000
	v_mov_b32_e32 v5, 0x7e
	v_mov_b32_e32 v7, 0x7f
	v_cmp_lt_u32_e32 vcc, s6, v6
	v_cndmask_b32_e32 v5, v5, v7, vcc
; %bb.3091:
	s_or_b64 exec, exec, s[2:3]
	v_lshrrev_b32_e32 v4, 24, v4
	s_movk_i32 s2, 0x80
	v_and_or_b32 v4, v4, s2, v5
	global_store_byte v[0:1], v4, off
.LBB48_3092:
	s_mov_b64 s[2:3], 0
.LBB48_3093:
	s_andn2_b64 vcc, exec, s[2:3]
	s_cbranch_vccnz .LBB48_3103
; %bb.3094:
	v_cvt_f32_f16_e32 v4, v2
	s_mov_b32 s2, 0x47800000
                                        ; implicit-def: $vgpr5
	v_and_b32_e32 v6, 0x7fffffff, v4
	v_cmp_gt_u32_e32 vcc, s2, v6
	s_and_saveexec_b64 s[2:3], vcc
	s_xor_b64 s[2:3], exec, s[2:3]
	s_cbranch_execz .LBB48_3100
; %bb.3095:
	s_mov_b32 s6, 0x387fffff
	v_cmp_lt_u32_e32 vcc, s6, v6
                                        ; implicit-def: $vgpr5
	s_and_saveexec_b64 s[6:7], vcc
	s_xor_b64 s[6:7], exec, s[6:7]
; %bb.3096:
	v_bfe_u32 v5, v4, 21, 1
	s_mov_b32 s8, 0x80fffff
	v_add3_u32 v5, v4, v5, s8
	v_lshrrev_b32_e32 v5, 21, v5
; %bb.3097:
	s_andn2_saveexec_b64 s[6:7], s[6:7]
; %bb.3098:
	s_mov_b32 s8, 0x43000000
	v_add_f32_e64 v5, |v4|, s8
; %bb.3099:
	s_or_b64 exec, exec, s[6:7]
                                        ; implicit-def: $vgpr6
.LBB48_3100:
	s_andn2_saveexec_b64 s[2:3], s[2:3]
; %bb.3101:
	s_mov_b32 s6, 0x7f800000
	v_mov_b32_e32 v5, 0x7c
	v_mov_b32_e32 v7, 0x7f
	v_cmp_lt_u32_e32 vcc, s6, v6
	v_cndmask_b32_e32 v5, v5, v7, vcc
; %bb.3102:
	s_or_b64 exec, exec, s[2:3]
	v_lshrrev_b32_e32 v4, 24, v4
	s_movk_i32 s2, 0x80
	v_and_or_b32 v4, v4, s2, v5
	global_store_byte v[0:1], v4, off
.LBB48_3103:
	s_mov_b64 s[2:3], 0
.LBB48_3104:
	s_andn2_b64 vcc, exec, s[2:3]
	s_mov_b64 s[2:3], 0
	s_cbranch_vccnz .LBB48_3111
; %bb.3105:
	v_cmp_lt_i16_e32 vcc, 14, v3
	s_mov_b64 s[6:7], -1
	s_cbranch_vccz .LBB48_3109
; %bb.3106:
	v_cmp_eq_u16_e32 vcc, 15, v3
	s_mov_b64 s[0:1], -1
	s_cbranch_vccz .LBB48_3108
; %bb.3107:
	v_cvt_f32_f16_e32 v4, v2
	s_movk_i32 s0, 0x7fff
	v_mov_b32_e32 v5, 0x7fc0
	v_cmp_o_f16_e32 vcc, v2, v2
	v_bfe_u32 v6, v4, 16, 1
	v_add3_u32 v4, v4, v6, s0
	v_lshrrev_b32_e32 v4, 16, v4
	v_cndmask_b32_e32 v4, v5, v4, vcc
	global_store_short v[0:1], v4, off
	s_mov_b64 s[0:1], 0
.LBB48_3108:
	s_mov_b64 s[6:7], 0
.LBB48_3109:
	s_and_b64 vcc, exec, s[6:7]
	s_cbranch_vccz .LBB48_3111
; %bb.3110:
	v_cmp_ne_u16_e64 s[0:1], 11, v3
	s_mov_b64 s[2:3], -1
.LBB48_3111:
	s_and_b64 vcc, exec, s[0:1]
	s_cbranch_vccnz .LBB48_3166
.LBB48_3112:
	s_mov_b64 s[0:1], 0
	s_branch .LBB48_3114
.LBB48_3113:
	s_mov_b64 s[0:1], 0
	s_mov_b64 s[2:3], 0
                                        ; implicit-def: $vgpr0_vgpr1
                                        ; implicit-def: $vgpr3
                                        ; implicit-def: $vgpr2
.LBB48_3114:
	s_and_b64 s[6:7], s[2:3], exec
	s_andn2_b64 s[2:3], s[12:13], exec
	s_and_b64 s[4:5], s[4:5], exec
	s_and_b64 s[0:1], s[0:1], exec
	s_or_b64 s[12:13], s[2:3], s[4:5]
.LBB48_3115:
	s_or_b64 exec, exec, s[14:15]
	s_and_saveexec_b64 s[2:3], s[12:13]
	s_cbranch_execz .LBB48_3118
; %bb.3116:
	; divergent unreachable
	s_or_b64 exec, exec, s[2:3]
	s_and_saveexec_b64 s[2:3], s[6:7]
	s_xor_b64 s[2:3], exec, s[2:3]
	s_cbranch_execnz .LBB48_3119
.LBB48_3117:
	s_or_b64 exec, exec, s[2:3]
	s_and_saveexec_b64 s[2:3], s[0:1]
	s_cbranch_execnz .LBB48_3120
	s_branch .LBB48_3157
.LBB48_3118:
	s_or_b64 exec, exec, s[2:3]
	s_and_saveexec_b64 s[2:3], s[6:7]
	s_xor_b64 s[2:3], exec, s[2:3]
	s_cbranch_execz .LBB48_3117
.LBB48_3119:
	s_waitcnt vmcnt(0)
	v_and_b32_e32 v4, 0x7fff, v2
	v_cmp_ne_u16_e32 vcc, 0, v4
	v_cndmask_b32_e64 v4, 0, 1, vcc
	global_store_byte v[0:1], v4, off
	s_or_b64 exec, exec, s[2:3]
	s_and_saveexec_b64 s[2:3], s[0:1]
	s_cbranch_execz .LBB48_3157
.LBB48_3120:
	s_waitcnt vmcnt(0)
	v_cmp_gt_i16_e32 vcc, 5, v3
	s_mov_b64 s[0:1], -1
	s_cbranch_vccnz .LBB48_3141
; %bb.3121:
	v_cmp_gt_i16_e32 vcc, 8, v3
	s_cbranch_vccnz .LBB48_3131
; %bb.3122:
	v_cmp_gt_i16_e32 vcc, 9, v3
	s_cbranch_vccnz .LBB48_3128
; %bb.3123:
	v_cmp_lt_i16_e32 vcc, 9, v3
	s_cbranch_vccz .LBB48_3125
; %bb.3124:
	v_cvt_f32_f16_e32 v4, v2
	v_mov_b32_e32 v6, 0
	v_mov_b32_e32 v7, v6
	s_mov_b64 s[0:1], 0
	v_cvt_f64_f32_e32 v[4:5], v4
	global_store_dwordx4 v[0:1], v[4:7], off
.LBB48_3125:
	s_andn2_b64 vcc, exec, s[0:1]
	s_cbranch_vccnz .LBB48_3127
; %bb.3126:
	v_cvt_f32_f16_e32 v4, v2
	v_mov_b32_e32 v5, 0
	global_store_dwordx2 v[0:1], v[4:5], off
.LBB48_3127:
	s_mov_b64 s[0:1], 0
.LBB48_3128:
	s_andn2_b64 vcc, exec, s[0:1]
	s_cbranch_vccnz .LBB48_3130
; %bb.3129:
	v_and_b32_e32 v4, 0xffff, v2
	global_store_dword v[0:1], v4, off
.LBB48_3130:
	s_mov_b64 s[0:1], 0
.LBB48_3131:
	s_andn2_b64 vcc, exec, s[0:1]
	s_cbranch_vccnz .LBB48_3140
; %bb.3132:
	v_cmp_gt_i16_e32 vcc, 6, v3
	s_mov_b64 s[0:1], -1
	s_cbranch_vccnz .LBB48_3138
; %bb.3133:
	v_cmp_lt_i16_e32 vcc, 6, v3
	s_cbranch_vccz .LBB48_3135
; %bb.3134:
	v_cvt_f32_f16_e32 v4, v2
	s_mov_b64 s[0:1], 0
	v_cvt_f64_f32_e32 v[4:5], v4
	global_store_dwordx2 v[0:1], v[4:5], off
.LBB48_3135:
	s_andn2_b64 vcc, exec, s[0:1]
	s_cbranch_vccnz .LBB48_3137
; %bb.3136:
	v_cvt_f32_f16_e32 v4, v2
	global_store_dword v[0:1], v4, off
.LBB48_3137:
	s_mov_b64 s[0:1], 0
.LBB48_3138:
	s_andn2_b64 vcc, exec, s[0:1]
	s_cbranch_vccnz .LBB48_3140
; %bb.3139:
	global_store_short v[0:1], v2, off
.LBB48_3140:
	s_mov_b64 s[0:1], 0
.LBB48_3141:
	s_andn2_b64 vcc, exec, s[0:1]
	s_cbranch_vccnz .LBB48_3157
; %bb.3142:
	v_cmp_gt_i16_e32 vcc, 2, v3
	s_mov_b64 s[0:1], -1
	s_cbranch_vccnz .LBB48_3152
; %bb.3143:
	v_cmp_gt_i16_e32 vcc, 3, v3
	s_cbranch_vccnz .LBB48_3149
; %bb.3144:
	v_cmp_lt_i16_e32 vcc, 3, v3
	s_cbranch_vccz .LBB48_3146
; %bb.3145:
	v_cvt_f32_f16_e32 v4, v2
	s_mov_b64 s[0:1], 0
	v_cvt_i32_f32_e32 v4, v4
	v_ashrrev_i32_e32 v5, 31, v4
	global_store_dwordx2 v[0:1], v[4:5], off
.LBB48_3146:
	s_andn2_b64 vcc, exec, s[0:1]
	s_cbranch_vccnz .LBB48_3148
; %bb.3147:
	v_cvt_f32_f16_e32 v4, v2
	v_cvt_i32_f32_e32 v4, v4
	global_store_dword v[0:1], v4, off
.LBB48_3148:
	s_mov_b64 s[0:1], 0
.LBB48_3149:
	s_andn2_b64 vcc, exec, s[0:1]
	s_cbranch_vccnz .LBB48_3151
; %bb.3150:
	v_cvt_i16_f16_e32 v4, v2
	global_store_short v[0:1], v4, off
.LBB48_3151:
	s_mov_b64 s[0:1], 0
.LBB48_3152:
	s_andn2_b64 vcc, exec, s[0:1]
	s_cbranch_vccnz .LBB48_3157
; %bb.3153:
	v_cmp_lt_i16_e32 vcc, 0, v3
	s_mov_b64 s[0:1], -1
	s_cbranch_vccz .LBB48_3155
; %bb.3154:
	v_cvt_i16_f16_e32 v3, v2
	global_store_byte v[0:1], v3, off
	s_mov_b64 s[0:1], 0
.LBB48_3155:
	s_andn2_b64 vcc, exec, s[0:1]
	s_cbranch_vccnz .LBB48_3157
; %bb.3156:
	v_cvt_f32_f16_e32 v2, v2
	v_cvt_i32_f32_e32 v2, v2
	global_store_byte v[0:1], v2, off
	s_endpgm
.LBB48_3157:
	s_endpgm
.LBB48_3158:
	s_mov_b64 s[2:3], 0
	s_mov_b64 s[0:1], -1
	s_branch .LBB48_3114
.LBB48_3159:
	s_or_saveexec_b64 s[16:17], s[16:17]
                                        ; implicit-def: $sgpr19
	s_xor_b64 exec, exec, s[16:17]
	s_cbranch_execz .LBB48_2947
.LBB48_3160:
	s_mov_b32 s19, 0x46000000
	v_add_f32_e64 v5, |v4|, s19
	v_and_b32_e32 v5, 0xff, v5
	v_cmp_ne_u32_e32 vcc, 0, v5
	s_andn2_b64 s[10:11], s[10:11], exec
	s_and_b64 s[20:21], vcc, exec
	s_mov_b32 s19, 0
	s_or_b64 s[10:11], s[10:11], s[20:21]
	s_or_b64 exec, exec, s[16:17]
	v_mov_b32_e32 v6, s19
	s_and_saveexec_b64 s[16:17], s[10:11]
	s_cbranch_execnz .LBB48_2948
	s_branch .LBB48_2949
.LBB48_3161:
	s_trap 2
	s_or_b64 s[4:5], s[4:5], exec
	s_cbranch_execz .LBB48_2995
	s_branch .LBB48_2996
.LBB48_3162:
	s_or_saveexec_b64 s[10:11], s[10:11]
                                        ; implicit-def: $sgpr16
	s_xor_b64 exec, exec, s[10:11]
	s_cbranch_execz .LBB48_2960
.LBB48_3163:
	s_mov_b32 s16, 0x42800000
	v_add_f32_e64 v5, |v4|, s16
	v_and_b32_e32 v5, 0xff, v5
	v_cmp_ne_u32_e32 vcc, 0, v5
	s_andn2_b64 s[6:7], s[6:7], exec
	s_and_b64 s[20:21], vcc, exec
	s_mov_b32 s16, 0
	s_or_b64 s[6:7], s[6:7], s[20:21]
	s_or_b64 exec, exec, s[10:11]
	v_mov_b32_e32 v6, s16
	s_and_saveexec_b64 s[10:11], s[6:7]
	s_cbranch_execnz .LBB48_2961
	s_branch .LBB48_2962
.LBB48_3164:
	s_or_saveexec_b64 s[10:11], s[10:11]
                                        ; implicit-def: $sgpr16
	s_xor_b64 exec, exec, s[10:11]
	s_cbranch_execz .LBB48_3066
.LBB48_3165:
	s_mov_b32 s16, 0x46000000
	v_add_f32_e64 v5, |v4|, s16
	v_and_b32_e32 v5, 0xff, v5
	v_cmp_ne_u32_e32 vcc, 0, v5
	s_andn2_b64 s[8:9], s[8:9], exec
	s_and_b64 s[18:19], vcc, exec
	s_mov_b32 s16, 0
	s_or_b64 s[8:9], s[8:9], s[18:19]
	s_or_b64 exec, exec, s[10:11]
	v_mov_b32_e32 v6, s16
	s_and_saveexec_b64 s[10:11], s[8:9]
	s_cbranch_execnz .LBB48_3067
	s_branch .LBB48_3068
.LBB48_3166:
	s_mov_b64 s[2:3], 0
	s_or_b64 s[4:5], s[4:5], exec
	s_trap 2
	s_branch .LBB48_3112
.LBB48_3167:
	s_or_saveexec_b64 s[8:9], s[8:9]
                                        ; implicit-def: $sgpr10
	s_xor_b64 exec, exec, s[8:9]
	s_cbranch_execz .LBB48_3078
.LBB48_3168:
	s_mov_b32 s10, 0x42800000
	v_add_f32_e64 v5, |v4|, s10
	v_and_b32_e32 v5, 0xff, v5
	v_cmp_ne_u32_e32 vcc, 0, v5
	s_andn2_b64 s[6:7], s[6:7], exec
	s_and_b64 s[16:17], vcc, exec
	s_mov_b32 s10, 0
	s_or_b64 s[6:7], s[6:7], s[16:17]
	s_or_b64 exec, exec, s[8:9]
	v_mov_b32_e32 v6, s10
	s_and_saveexec_b64 s[8:9], s[6:7]
	s_cbranch_execnz .LBB48_3079
	s_branch .LBB48_3080
	.section	.rodata,"a",@progbits
	.p2align	6, 0x0
	.amdhsa_kernel _ZN2at6native32elementwise_kernel_manual_unrollILi128ELi4EZNS0_15gpu_kernel_implIZZZNS0_23launch_dirichlet_kernelERNS_18TensorIteratorBaseEENKUlvE_clEvENKUlvE1_clEvEUlN3c104HalfES8_E_EEvS4_RKT_EUlibE0_EEviT1_
		.amdhsa_group_segment_fixed_size 0
		.amdhsa_private_segment_fixed_size 0
		.amdhsa_kernarg_size 432
		.amdhsa_user_sgpr_count 6
		.amdhsa_user_sgpr_private_segment_buffer 1
		.amdhsa_user_sgpr_dispatch_ptr 0
		.amdhsa_user_sgpr_queue_ptr 0
		.amdhsa_user_sgpr_kernarg_segment_ptr 1
		.amdhsa_user_sgpr_dispatch_id 0
		.amdhsa_user_sgpr_flat_scratch_init 0
		.amdhsa_user_sgpr_kernarg_preload_length 0
		.amdhsa_user_sgpr_kernarg_preload_offset 0
		.amdhsa_user_sgpr_private_segment_size 0
		.amdhsa_uses_dynamic_stack 0
		.amdhsa_system_sgpr_private_segment_wavefront_offset 0
		.amdhsa_system_sgpr_workgroup_id_x 1
		.amdhsa_system_sgpr_workgroup_id_y 0
		.amdhsa_system_sgpr_workgroup_id_z 0
		.amdhsa_system_sgpr_workgroup_info 0
		.amdhsa_system_vgpr_workitem_id 0
		.amdhsa_next_free_vgpr 26
		.amdhsa_next_free_sgpr 78
		.amdhsa_accum_offset 28
		.amdhsa_reserve_vcc 1
		.amdhsa_reserve_flat_scratch 0
		.amdhsa_float_round_mode_32 0
		.amdhsa_float_round_mode_16_64 0
		.amdhsa_float_denorm_mode_32 3
		.amdhsa_float_denorm_mode_16_64 3
		.amdhsa_dx10_clamp 1
		.amdhsa_ieee_mode 1
		.amdhsa_fp16_overflow 0
		.amdhsa_tg_split 0
		.amdhsa_exception_fp_ieee_invalid_op 0
		.amdhsa_exception_fp_denorm_src 0
		.amdhsa_exception_fp_ieee_div_zero 0
		.amdhsa_exception_fp_ieee_overflow 0
		.amdhsa_exception_fp_ieee_underflow 0
		.amdhsa_exception_fp_ieee_inexact 0
		.amdhsa_exception_int_div_zero 0
	.end_amdhsa_kernel
	.section	.text._ZN2at6native32elementwise_kernel_manual_unrollILi128ELi4EZNS0_15gpu_kernel_implIZZZNS0_23launch_dirichlet_kernelERNS_18TensorIteratorBaseEENKUlvE_clEvENKUlvE1_clEvEUlN3c104HalfES8_E_EEvS4_RKT_EUlibE0_EEviT1_,"axG",@progbits,_ZN2at6native32elementwise_kernel_manual_unrollILi128ELi4EZNS0_15gpu_kernel_implIZZZNS0_23launch_dirichlet_kernelERNS_18TensorIteratorBaseEENKUlvE_clEvENKUlvE1_clEvEUlN3c104HalfES8_E_EEvS4_RKT_EUlibE0_EEviT1_,comdat
.Lfunc_end48:
	.size	_ZN2at6native32elementwise_kernel_manual_unrollILi128ELi4EZNS0_15gpu_kernel_implIZZZNS0_23launch_dirichlet_kernelERNS_18TensorIteratorBaseEENKUlvE_clEvENKUlvE1_clEvEUlN3c104HalfES8_E_EEvS4_RKT_EUlibE0_EEviT1_, .Lfunc_end48-_ZN2at6native32elementwise_kernel_manual_unrollILi128ELi4EZNS0_15gpu_kernel_implIZZZNS0_23launch_dirichlet_kernelERNS_18TensorIteratorBaseEENKUlvE_clEvENKUlvE1_clEvEUlN3c104HalfES8_E_EEvS4_RKT_EUlibE0_EEviT1_
                                        ; -- End function
	.section	.AMDGPU.csdata,"",@progbits
; Kernel info:
; codeLenInByte = 58484
; NumSgprs: 82
; NumVgprs: 26
; NumAgprs: 0
; TotalNumVgprs: 26
; ScratchSize: 0
; MemoryBound: 0
; FloatMode: 240
; IeeeMode: 1
; LDSByteSize: 0 bytes/workgroup (compile time only)
; SGPRBlocks: 10
; VGPRBlocks: 3
; NumSGPRsForWavesPerEU: 82
; NumVGPRsForWavesPerEU: 26
; AccumOffset: 28
; Occupancy: 8
; WaveLimiterHint : 1
; COMPUTE_PGM_RSRC2:SCRATCH_EN: 0
; COMPUTE_PGM_RSRC2:USER_SGPR: 6
; COMPUTE_PGM_RSRC2:TRAP_HANDLER: 0
; COMPUTE_PGM_RSRC2:TGID_X_EN: 1
; COMPUTE_PGM_RSRC2:TGID_Y_EN: 0
; COMPUTE_PGM_RSRC2:TGID_Z_EN: 0
; COMPUTE_PGM_RSRC2:TIDIG_COMP_CNT: 0
; COMPUTE_PGM_RSRC3_GFX90A:ACCUM_OFFSET: 6
; COMPUTE_PGM_RSRC3_GFX90A:TG_SPLIT: 0
	.section	.text._ZN2at6native29vectorized_elementwise_kernelILi16EZZZNS0_23launch_dirichlet_kernelERNS_18TensorIteratorBaseEENKUlvE_clEvENKUlvE2_clEvEUlN3c108BFloat16ES7_E_St5arrayIPcLm3EEEEviT0_T1_,"axG",@progbits,_ZN2at6native29vectorized_elementwise_kernelILi16EZZZNS0_23launch_dirichlet_kernelERNS_18TensorIteratorBaseEENKUlvE_clEvENKUlvE2_clEvEUlN3c108BFloat16ES7_E_St5arrayIPcLm3EEEEviT0_T1_,comdat
	.globl	_ZN2at6native29vectorized_elementwise_kernelILi16EZZZNS0_23launch_dirichlet_kernelERNS_18TensorIteratorBaseEENKUlvE_clEvENKUlvE2_clEvEUlN3c108BFloat16ES7_E_St5arrayIPcLm3EEEEviT0_T1_ ; -- Begin function _ZN2at6native29vectorized_elementwise_kernelILi16EZZZNS0_23launch_dirichlet_kernelERNS_18TensorIteratorBaseEENKUlvE_clEvENKUlvE2_clEvEUlN3c108BFloat16ES7_E_St5arrayIPcLm3EEEEviT0_T1_
	.p2align	8
	.type	_ZN2at6native29vectorized_elementwise_kernelILi16EZZZNS0_23launch_dirichlet_kernelERNS_18TensorIteratorBaseEENKUlvE_clEvENKUlvE2_clEvEUlN3c108BFloat16ES7_E_St5arrayIPcLm3EEEEviT0_T1_,@function
_ZN2at6native29vectorized_elementwise_kernelILi16EZZZNS0_23launch_dirichlet_kernelERNS_18TensorIteratorBaseEENKUlvE_clEvENKUlvE2_clEvEUlN3c108BFloat16ES7_E_St5arrayIPcLm3EEEEviT0_T1_: ; @_ZN2at6native29vectorized_elementwise_kernelILi16EZZZNS0_23launch_dirichlet_kernelERNS_18TensorIteratorBaseEENKUlvE_clEvENKUlvE2_clEvEUlN3c108BFloat16ES7_E_St5arrayIPcLm3EEEEviT0_T1_
; %bb.0:
	s_load_dword s0, s[4:5], 0x0
	s_load_dwordx4 s[8:11], s[4:5], 0x8
	s_load_dwordx2 s[12:13], s[4:5], 0x18
	s_lshl_b32 s6, s6, 11
	s_waitcnt lgkmcnt(0)
	s_sub_i32 s16, s0, s6
	s_cmpk_gt_i32 s16, 0x7ff
	s_mov_b64 s[0:1], -1
	s_cbranch_scc0 .LBB49_2
; %bb.1:
	s_ashr_i32 s7, s6, 31
	s_lshl_b64 s[14:15], s[6:7], 1
	s_add_u32 s0, s10, s14
	s_addc_u32 s1, s11, s15
	v_lshlrev_b32_e32 v1, 4, v0
	global_load_dwordx4 v[2:5], v1, s[0:1]
	s_add_u32 s0, s12, s14
	s_addc_u32 s1, s13, s15
	global_load_dwordx4 v[6:9], v1, s[0:1]
	s_movk_i32 s7, 0x7fff
	v_mov_b32_e32 v10, 0x7fc0
	s_mov_b32 s17, 0x800000
	v_mov_b32_e32 v11, 0x80
	s_mov_b32 s18, 0x3f7e0000
	v_mov_b32_e32 v12, 0x3f7e
	s_waitcnt vmcnt(1)
	v_lshlrev_b32_e32 v13, 16, v2
	v_and_b32_e32 v2, 0xffff0000, v2
	v_lshlrev_b32_e32 v14, 16, v3
	s_waitcnt vmcnt(0)
	v_lshlrev_b32_e32 v15, 16, v6
	v_div_scale_f32 v17, s[0:1], v15, v15, v13
	v_and_b32_e32 v6, 0xffff0000, v6
	v_rcp_f32_e32 v25, v17
	v_lshlrev_b32_e32 v16, 16, v7
	v_div_scale_f32 v19, s[0:1], v6, v6, v2
	v_div_scale_f32 v21, s[2:3], v16, v16, v14
	v_rcp_f32_e32 v26, v19
	v_rcp_f32_e32 v27, v21
	v_fma_f32 v29, -v17, v25, 1.0
	v_div_scale_f32 v18, vcc, v13, v15, v13
	v_fmac_f32_e32 v25, v29, v25
	v_fma_f32 v30, -v19, v26, 1.0
	v_mul_f32_e32 v29, v18, v25
	v_div_scale_f32 v20, s[0:1], v2, v6, v2
	v_fma_f32 v31, -v21, v27, 1.0
	v_fmac_f32_e32 v26, v30, v26
	v_fma_f32 v33, -v17, v29, v18
	v_div_scale_f32 v22, s[2:3], v14, v16, v14
	v_fmac_f32_e32 v27, v31, v27
	v_mul_f32_e32 v30, v20, v26
	v_fmac_f32_e32 v29, v33, v25
	v_mul_f32_e32 v31, v22, v27
	v_fma_f32 v34, -v19, v30, v20
	v_fma_f32 v17, -v17, v29, v18
	;; [unrolled: 1-line block ×3, first 2 shown]
	v_fmac_f32_e32 v30, v34, v26
	v_div_fmas_f32 v17, v17, v25, v29
	v_fmac_f32_e32 v31, v35, v27
	v_fma_f32 v18, -v19, v30, v20
	v_div_fixup_f32 v13, v17, v15, v13
	s_mov_b64 vcc, s[0:1]
	v_fma_f32 v19, -v21, v31, v22
	v_div_fmas_f32 v15, v18, v26, v30
	v_bfe_u32 v17, v13, 16, 1
	s_mov_b64 vcc, s[2:3]
	v_div_fixup_f32 v2, v15, v6, v2
	v_div_fmas_f32 v6, v19, v27, v31
	v_add3_u32 v15, v13, v17, s7
	v_and_b32_e32 v3, 0xffff0000, v3
	v_and_b32_e32 v7, 0xffff0000, v7
	v_bfe_u32 v17, v2, 16, 1
	v_div_fixup_f32 v6, v6, v16, v14
	v_lshrrev_b32_e32 v14, 16, v15
	v_cmp_o_f32_e32 vcc, v13, v13
	v_div_scale_f32 v23, s[4:5], v7, v7, v3
	v_add3_u32 v15, v2, v17, s7
	v_bfe_u32 v16, v6, 16, 1
	v_cndmask_b32_e32 v13, v10, v14, vcc
	v_rcp_f32_e32 v28, v23
	v_lshrrev_b32_e32 v14, 16, v15
	v_add3_u32 v15, v6, v16, s7
	v_lshlrev_b32_e32 v16, 16, v13
	v_cmp_o_f32_e32 vcc, v2, v2
	v_cndmask_b32_e32 v2, v10, v14, vcc
	v_cmp_ngt_f32_e32 vcc, s17, v16
	v_lshrrev_b32_e32 v14, 16, v15
	v_cndmask_b32_e32 v13, v11, v13, vcc
	v_lshlrev_b32_e32 v15, 16, v2
	v_cmp_o_f32_e32 vcc, v6, v6
	v_cndmask_b32_e32 v6, v10, v14, vcc
	v_lshlrev_b32_e32 v14, 16, v13
	v_cmp_ngt_f32_e32 vcc, s17, v15
	v_fma_f32 v32, -v23, v28, 1.0
	v_cndmask_b32_e32 v2, v11, v2, vcc
	v_lshlrev_b32_e32 v15, 16, v6
	v_cmp_nlt_f32_e32 vcc, s18, v14
	v_div_scale_f32 v24, s[4:5], v3, v7, v3
	v_fmac_f32_e32 v28, v32, v28
	v_cndmask_b32_e32 v13, v12, v13, vcc
	v_cmp_ngt_f32_e32 vcc, s17, v15
	v_mul_f32_e32 v32, v24, v28
	v_lshlrev_b32_e32 v14, 16, v2
	v_cndmask_b32_e32 v6, v11, v6, vcc
	v_fma_f32 v36, -v23, v32, v24
	v_cmp_nlt_f32_e32 vcc, s18, v14
	v_lshlrev_b32_e32 v14, 16, v6
	v_fmac_f32_e32 v32, v36, v28
	v_cndmask_b32_e32 v2, v12, v2, vcc
	v_cmp_nlt_f32_e32 vcc, s18, v14
	v_fma_f32 v20, -v23, v32, v24
	v_cndmask_b32_e32 v6, v12, v6, vcc
	s_mov_b64 vcc, s[4:5]
	s_mov_b32 s2, 0x5040100
	v_div_fmas_f32 v14, v20, v28, v32
	v_div_fixup_f32 v3, v14, v7, v3
	v_bfe_u32 v7, v3, 16, 1
	v_add3_u32 v7, v3, v7, s7
	v_lshrrev_b32_e32 v7, 16, v7
	v_cmp_o_f32_e32 vcc, v3, v3
	v_cndmask_b32_e32 v3, v10, v7, vcc
	v_lshlrev_b32_e32 v7, 16, v3
	v_cmp_ngt_f32_e32 vcc, s17, v7
	v_lshlrev_b32_e32 v7, 16, v4
	v_lshlrev_b32_e32 v14, 16, v8
	v_div_scale_f32 v15, s[0:1], v14, v14, v7
	v_rcp_f32_e32 v16, v15
	v_cndmask_b32_e32 v3, v11, v3, vcc
	v_lshlrev_b32_e32 v17, 16, v3
	v_cmp_nlt_f32_e32 vcc, s18, v17
	v_fma_f32 v17, -v15, v16, 1.0
	v_cndmask_b32_e32 v3, v12, v3, vcc
	v_fmac_f32_e32 v16, v17, v16
	v_div_scale_f32 v17, vcc, v7, v14, v7
	v_mul_f32_e32 v18, v17, v16
	v_fma_f32 v19, -v15, v18, v17
	v_fmac_f32_e32 v18, v19, v16
	v_fma_f32 v15, -v15, v18, v17
	v_div_fmas_f32 v15, v15, v16, v18
	v_div_fixup_f32 v7, v15, v14, v7
	v_bfe_u32 v14, v7, 16, 1
	v_add3_u32 v14, v7, v14, s7
	v_lshrrev_b32_e32 v14, 16, v14
	v_cmp_o_f32_e32 vcc, v7, v7
	v_cndmask_b32_e32 v7, v10, v14, vcc
	v_lshlrev_b32_e32 v14, 16, v7
	v_and_b32_e32 v4, 0xffff0000, v4
	v_and_b32_e32 v8, 0xffff0000, v8
	v_cmp_ngt_f32_e32 vcc, s17, v14
	v_div_scale_f32 v14, s[0:1], v8, v8, v4
	v_rcp_f32_e32 v15, v14
	v_cndmask_b32_e32 v7, v11, v7, vcc
	v_lshlrev_b32_e32 v16, 16, v7
	v_cmp_nlt_f32_e32 vcc, s18, v16
	v_fma_f32 v16, -v14, v15, 1.0
	v_cndmask_b32_e32 v7, v12, v7, vcc
	v_fmac_f32_e32 v15, v16, v15
	v_div_scale_f32 v16, vcc, v4, v8, v4
	v_mul_f32_e32 v17, v16, v15
	v_fma_f32 v18, -v14, v17, v16
	v_fmac_f32_e32 v17, v18, v15
	v_fma_f32 v14, -v14, v17, v16
	v_div_fmas_f32 v14, v14, v15, v17
	v_div_fixup_f32 v4, v14, v8, v4
	v_bfe_u32 v8, v4, 16, 1
	v_add3_u32 v8, v4, v8, s7
	v_lshrrev_b32_e32 v8, 16, v8
	v_cmp_o_f32_e32 vcc, v4, v4
	v_cndmask_b32_e32 v4, v10, v8, vcc
	v_lshlrev_b32_e32 v8, 16, v4
	v_cmp_ngt_f32_e32 vcc, s17, v8
	v_lshlrev_b32_e32 v8, 16, v5
	v_lshlrev_b32_e32 v14, 16, v9
	v_div_scale_f32 v15, s[0:1], v14, v14, v8
	v_rcp_f32_e32 v16, v15
	v_cndmask_b32_e32 v4, v11, v4, vcc
	v_lshlrev_b32_e32 v17, 16, v4
	v_cmp_nlt_f32_e32 vcc, s18, v17
	v_fma_f32 v17, -v15, v16, 1.0
	v_cndmask_b32_e32 v4, v12, v4, vcc
	v_fmac_f32_e32 v16, v17, v16
	v_div_scale_f32 v17, vcc, v8, v14, v8
	v_mul_f32_e32 v18, v17, v16
	v_fma_f32 v19, -v15, v18, v17
	v_fmac_f32_e32 v18, v19, v16
	v_fma_f32 v15, -v15, v18, v17
	v_div_fmas_f32 v15, v15, v16, v18
	v_div_fixup_f32 v8, v15, v14, v8
	v_bfe_u32 v14, v8, 16, 1
	v_add3_u32 v14, v8, v14, s7
	v_lshrrev_b32_e32 v14, 16, v14
	v_cmp_o_f32_e32 vcc, v8, v8
	v_cndmask_b32_e32 v8, v10, v14, vcc
	v_lshlrev_b32_e32 v14, 16, v8
	v_and_b32_e32 v5, 0xffff0000, v5
	v_and_b32_e32 v9, 0xffff0000, v9
	v_cmp_ngt_f32_e32 vcc, s17, v14
	v_div_scale_f32 v14, s[0:1], v9, v9, v5
	v_rcp_f32_e32 v15, v14
	v_cndmask_b32_e32 v8, v11, v8, vcc
	v_lshlrev_b32_e32 v16, 16, v8
	v_cmp_nlt_f32_e32 vcc, s18, v16
	v_fma_f32 v16, -v14, v15, 1.0
	v_cndmask_b32_e32 v8, v12, v8, vcc
	v_fmac_f32_e32 v15, v16, v15
	v_div_scale_f32 v16, vcc, v5, v9, v5
	v_mul_f32_e32 v17, v16, v15
	v_fma_f32 v18, -v14, v17, v16
	v_fmac_f32_e32 v17, v18, v15
	v_fma_f32 v14, -v14, v17, v16
	v_div_fmas_f32 v14, v14, v15, v17
	v_div_fixup_f32 v5, v14, v9, v5
	v_bfe_u32 v9, v5, 16, 1
	v_add3_u32 v9, v5, v9, s7
	v_lshrrev_b32_e32 v9, 16, v9
	v_cmp_o_f32_e32 vcc, v5, v5
	v_cndmask_b32_e32 v5, v10, v9, vcc
	v_lshlrev_b32_e32 v9, 16, v5
	v_cmp_ngt_f32_e32 vcc, s17, v9
	v_cndmask_b32_e32 v5, v11, v5, vcc
	v_lshlrev_b32_e32 v9, 16, v5
	v_cmp_nlt_f32_e32 vcc, s18, v9
	v_cndmask_b32_e32 v5, v12, v5, vcc
	s_add_u32 s0, s8, s14
	s_addc_u32 s1, s9, s15
	v_perm_b32 v5, v5, v8, s2
	v_perm_b32 v4, v4, v7, s2
	;; [unrolled: 1-line block ×4, first 2 shown]
	global_store_dwordx4 v1, v[2:5], s[0:1]
	s_mov_b64 s[0:1], 0
.LBB49_2:
	s_andn2_b64 vcc, exec, s[0:1]
	s_cbranch_vccnz .LBB49_41
; %bb.3:
	v_cmp_gt_i32_e64 s[0:1], s16, v0
	v_mov_b32_e32 v7, 0
	v_or_b32_e32 v2, s6, v0
	v_mov_b32_e32 v4, v0
	v_mov_b32_e32 v6, 0
	s_and_saveexec_b64 s[2:3], s[0:1]
	s_cbranch_execz .LBB49_5
; %bb.4:
	v_mov_b32_e32 v3, 0
	v_lshlrev_b64 v[4:5], 1, v[2:3]
	v_mov_b32_e32 v1, s13
	v_add_co_u32_e32 v8, vcc, s12, v4
	v_addc_co_u32_e32 v9, vcc, v1, v5, vcc
	v_mov_b32_e32 v1, s11
	v_add_co_u32_e32 v4, vcc, s10, v4
	v_addc_co_u32_e32 v5, vcc, v1, v5, vcc
	global_load_ushort v1, v[4:5], off
	global_load_ushort v3, v[8:9], off
	s_mov_b32 s4, 0x5040100
	v_or_b32_e32 v4, 0x100, v0
	s_waitcnt vmcnt(0)
	v_perm_b32 v6, v3, v1, s4
.LBB49_5:
	s_or_b64 exec, exec, s[2:3]
	v_cmp_gt_i32_e32 vcc, s16, v4
	s_and_saveexec_b64 s[2:3], vcc
	s_cbranch_execz .LBB49_7
; %bb.6:
	v_add_u32_e32 v8, s6, v4
	v_mov_b32_e32 v9, 0
	v_lshlrev_b64 v[8:9], 1, v[8:9]
	v_mov_b32_e32 v1, s13
	v_add_co_u32_e32 v10, vcc, s12, v8
	v_addc_co_u32_e32 v11, vcc, v1, v9, vcc
	v_mov_b32_e32 v1, s11
	v_add_co_u32_e32 v8, vcc, s10, v8
	v_addc_co_u32_e32 v9, vcc, v1, v9, vcc
	global_load_ushort v1, v[8:9], off
	global_load_ushort v3, v[10:11], off
	s_mov_b32 s4, 0x5040100
	v_add_u32_e32 v4, 0x100, v4
	s_waitcnt vmcnt(0)
	v_perm_b32 v7, v3, v1, s4
.LBB49_7:
	s_or_b64 exec, exec, s[2:3]
	v_cmp_gt_i32_e32 vcc, s16, v4
	v_mov_b32_e32 v5, 0
	v_mov_b32_e32 v11, 0
	s_and_saveexec_b64 s[2:3], vcc
	s_cbranch_execz .LBB49_9
; %bb.8:
	v_add_u32_e32 v8, s6, v4
	v_mov_b32_e32 v9, 0
	v_lshlrev_b64 v[8:9], 1, v[8:9]
	v_mov_b32_e32 v1, s13
	v_add_co_u32_e32 v10, vcc, s12, v8
	v_addc_co_u32_e32 v11, vcc, v1, v9, vcc
	v_mov_b32_e32 v1, s11
	v_add_co_u32_e32 v8, vcc, s10, v8
	v_addc_co_u32_e32 v9, vcc, v1, v9, vcc
	global_load_ushort v1, v[8:9], off
	global_load_ushort v3, v[10:11], off
	s_mov_b32 s4, 0x5040100
	v_add_u32_e32 v4, 0x100, v4
	s_waitcnt vmcnt(0)
	v_perm_b32 v11, v3, v1, s4
.LBB49_9:
	s_or_b64 exec, exec, s[2:3]
	v_cmp_gt_i32_e32 vcc, s16, v4
	s_and_saveexec_b64 s[2:3], vcc
	s_cbranch_execz .LBB49_11
; %bb.10:
	v_add_u32_e32 v8, s6, v4
	v_mov_b32_e32 v9, 0
	v_lshlrev_b64 v[8:9], 1, v[8:9]
	v_mov_b32_e32 v1, s13
	v_add_co_u32_e32 v12, vcc, s12, v8
	v_addc_co_u32_e32 v13, vcc, v1, v9, vcc
	v_mov_b32_e32 v1, s11
	v_add_co_u32_e32 v8, vcc, s10, v8
	v_addc_co_u32_e32 v9, vcc, v1, v9, vcc
	global_load_ushort v1, v[8:9], off
	global_load_ushort v3, v[12:13], off
	s_mov_b32 s4, 0x5040100
	v_add_u32_e32 v4, 0x100, v4
	s_waitcnt vmcnt(0)
	v_perm_b32 v5, v3, v1, s4
.LBB49_11:
	s_or_b64 exec, exec, s[2:3]
	v_cmp_gt_i32_e32 vcc, s16, v4
	v_mov_b32_e32 v3, 0
	v_mov_b32_e32 v10, 0
	s_and_saveexec_b64 s[2:3], vcc
	s_cbranch_execz .LBB49_13
; %bb.12:
	v_add_u32_e32 v8, s6, v4
	v_mov_b32_e32 v9, 0
	v_lshlrev_b64 v[8:9], 1, v[8:9]
	v_mov_b32_e32 v1, s13
	v_add_co_u32_e32 v12, vcc, s12, v8
	v_addc_co_u32_e32 v13, vcc, v1, v9, vcc
	v_mov_b32_e32 v1, s11
	v_add_co_u32_e32 v8, vcc, s10, v8
	v_addc_co_u32_e32 v9, vcc, v1, v9, vcc
	global_load_ushort v1, v[8:9], off
	global_load_ushort v10, v[12:13], off
	s_mov_b32 s4, 0x5040100
	v_add_u32_e32 v4, 0x100, v4
	s_waitcnt vmcnt(0)
	v_perm_b32 v10, v10, v1, s4
.LBB49_13:
	s_or_b64 exec, exec, s[2:3]
	v_cmp_gt_i32_e32 vcc, s16, v4
	s_and_saveexec_b64 s[2:3], vcc
	s_cbranch_execz .LBB49_15
; %bb.14:
	v_add_u32_e32 v8, s6, v4
	v_mov_b32_e32 v9, 0
	v_lshlrev_b64 v[8:9], 1, v[8:9]
	v_mov_b32_e32 v1, s13
	v_add_co_u32_e32 v12, vcc, s12, v8
	v_addc_co_u32_e32 v13, vcc, v1, v9, vcc
	v_mov_b32_e32 v1, s11
	v_add_co_u32_e32 v8, vcc, s10, v8
	v_addc_co_u32_e32 v9, vcc, v1, v9, vcc
	global_load_ushort v1, v[8:9], off
	global_load_ushort v3, v[12:13], off
	s_mov_b32 s4, 0x5040100
	v_add_u32_e32 v4, 0x100, v4
	s_waitcnt vmcnt(0)
	v_perm_b32 v3, v3, v1, s4
.LBB49_15:
	s_or_b64 exec, exec, s[2:3]
	v_cmp_gt_i32_e32 vcc, s16, v4
	v_mov_b32_e32 v1, 0
	v_mov_b32_e32 v8, 0
	s_and_saveexec_b64 s[2:3], vcc
	s_cbranch_execnz .LBB49_42
; %bb.16:
	s_or_b64 exec, exec, s[2:3]
	v_cmp_gt_i32_e32 vcc, s16, v4
	s_and_saveexec_b64 s[2:3], vcc
	s_cbranch_execnz .LBB49_43
.LBB49_17:
	s_or_b64 exec, exec, s[2:3]
                                        ; implicit-def: $vgpr4
	s_and_saveexec_b64 s[2:3], s[0:1]
	s_cbranch_execz .LBB49_19
.LBB49_18:
	v_and_b32_e32 v4, 0xffff0000, v6
	v_lshlrev_b32_e32 v6, 16, v6
	v_div_scale_f32 v9, s[4:5], v4, v4, v6
	v_rcp_f32_e32 v12, v9
	s_movk_i32 s4, 0x7fff
	v_fma_f32 v13, -v9, v12, 1.0
	v_fmac_f32_e32 v12, v13, v12
	v_div_scale_f32 v13, vcc, v6, v4, v6
	v_mul_f32_e32 v14, v13, v12
	v_fma_f32 v15, -v9, v14, v13
	v_fmac_f32_e32 v14, v15, v12
	v_fma_f32 v9, -v9, v14, v13
	v_div_fmas_f32 v9, v9, v12, v14
	v_div_fixup_f32 v4, v9, v4, v6
	v_bfe_u32 v6, v4, 16, 1
	v_add3_u32 v6, v4, v6, s4
	v_lshrrev_b32_e32 v6, 16, v6
	v_mov_b32_e32 v9, 0x7fc0
	v_cmp_o_f32_e32 vcc, v4, v4
	v_cndmask_b32_e32 v4, v9, v6, vcc
	v_lshlrev_b32_e32 v6, 16, v4
	s_mov_b32 s4, 0x800000
	v_mov_b32_e32 v9, 0x80
	v_cmp_ngt_f32_e32 vcc, s4, v6
	v_cndmask_b32_e32 v4, v9, v4, vcc
	v_lshlrev_b32_e32 v6, 16, v4
	s_mov_b32 s4, 0x3f7e0000
	v_mov_b32_e32 v9, 0x3f7e
	v_cmp_nlt_f32_e32 vcc, s4, v6
	v_cndmask_b32_e32 v4, v9, v4, vcc
.LBB49_19:
	s_or_b64 exec, exec, s[2:3]
	v_or_b32_e32 v6, 0x100, v0
	v_cmp_gt_i32_e32 vcc, s16, v6
                                        ; implicit-def: $vgpr9
	s_and_saveexec_b64 s[2:3], vcc
	s_cbranch_execz .LBB49_21
; %bb.20:
	v_and_b32_e32 v9, 0xffff0000, v7
	v_lshlrev_b32_e32 v7, 16, v7
	v_div_scale_f32 v12, s[4:5], v9, v9, v7
	v_rcp_f32_e32 v13, v12
	s_movk_i32 s4, 0x7fff
	v_fma_f32 v14, -v12, v13, 1.0
	v_fmac_f32_e32 v13, v14, v13
	v_div_scale_f32 v14, vcc, v7, v9, v7
	v_mul_f32_e32 v15, v14, v13
	v_fma_f32 v16, -v12, v15, v14
	v_fmac_f32_e32 v15, v16, v13
	v_fma_f32 v12, -v12, v15, v14
	v_div_fmas_f32 v12, v12, v13, v15
	v_div_fixup_f32 v7, v12, v9, v7
	v_bfe_u32 v9, v7, 16, 1
	v_add3_u32 v9, v7, v9, s4
	v_lshrrev_b32_e32 v9, 16, v9
	v_mov_b32_e32 v12, 0x7fc0
	v_cmp_o_f32_e32 vcc, v7, v7
	v_cndmask_b32_e32 v7, v12, v9, vcc
	v_lshlrev_b32_e32 v9, 16, v7
	s_mov_b32 s4, 0x800000
	v_mov_b32_e32 v12, 0x80
	v_cmp_ngt_f32_e32 vcc, s4, v9
	v_cndmask_b32_e32 v7, v12, v7, vcc
	v_lshlrev_b32_e32 v9, 16, v7
	s_mov_b32 s4, 0x3f7e0000
	v_mov_b32_e32 v12, 0x3f7e
	v_cmp_nlt_f32_e32 vcc, s4, v9
	v_cndmask_b32_e32 v9, v12, v7, vcc
.LBB49_21:
	s_or_b64 exec, exec, s[2:3]
	v_or_b32_e32 v7, 0x200, v0
	v_cmp_gt_i32_e32 vcc, s16, v7
                                        ; implicit-def: $vgpr7
	s_and_saveexec_b64 s[2:3], vcc
	s_cbranch_execz .LBB49_23
; %bb.22:
	v_and_b32_e32 v7, 0xffff0000, v11
	v_lshlrev_b32_e32 v11, 16, v11
	v_div_scale_f32 v12, s[4:5], v7, v7, v11
	v_rcp_f32_e32 v13, v12
	s_movk_i32 s4, 0x7fff
	v_fma_f32 v14, -v12, v13, 1.0
	v_fmac_f32_e32 v13, v14, v13
	v_div_scale_f32 v14, vcc, v11, v7, v11
	v_mul_f32_e32 v15, v14, v13
	v_fma_f32 v16, -v12, v15, v14
	v_fmac_f32_e32 v15, v16, v13
	v_fma_f32 v12, -v12, v15, v14
	v_div_fmas_f32 v12, v12, v13, v15
	v_div_fixup_f32 v7, v12, v7, v11
	v_bfe_u32 v11, v7, 16, 1
	v_add3_u32 v11, v7, v11, s4
	v_lshrrev_b32_e32 v11, 16, v11
	v_mov_b32_e32 v12, 0x7fc0
	v_cmp_o_f32_e32 vcc, v7, v7
	v_cndmask_b32_e32 v7, v12, v11, vcc
	v_lshlrev_b32_e32 v11, 16, v7
	s_mov_b32 s4, 0x800000
	v_mov_b32_e32 v12, 0x80
	v_cmp_ngt_f32_e32 vcc, s4, v11
	v_cndmask_b32_e32 v7, v12, v7, vcc
	v_lshlrev_b32_e32 v11, 16, v7
	s_mov_b32 s4, 0x3f7e0000
	v_mov_b32_e32 v12, 0x3f7e
	v_cmp_nlt_f32_e32 vcc, s4, v11
	v_cndmask_b32_e32 v7, v12, v7, vcc
.LBB49_23:
	s_or_b64 exec, exec, s[2:3]
	v_or_b32_e32 v11, 0x300, v0
	v_cmp_gt_i32_e32 vcc, s16, v11
                                        ; implicit-def: $vgpr11
	s_and_saveexec_b64 s[2:3], vcc
	s_cbranch_execz .LBB49_25
; %bb.24:
	v_and_b32_e32 v11, 0xffff0000, v5
	v_lshlrev_b32_e32 v5, 16, v5
	v_div_scale_f32 v12, s[4:5], v11, v11, v5
	v_rcp_f32_e32 v13, v12
	s_movk_i32 s4, 0x7fff
	v_fma_f32 v14, -v12, v13, 1.0
	v_fmac_f32_e32 v13, v14, v13
	v_div_scale_f32 v14, vcc, v5, v11, v5
	v_mul_f32_e32 v15, v14, v13
	v_fma_f32 v16, -v12, v15, v14
	v_fmac_f32_e32 v15, v16, v13
	v_fma_f32 v12, -v12, v15, v14
	v_div_fmas_f32 v12, v12, v13, v15
	v_div_fixup_f32 v5, v12, v11, v5
	v_bfe_u32 v11, v5, 16, 1
	v_add3_u32 v11, v5, v11, s4
	v_lshrrev_b32_e32 v11, 16, v11
	v_mov_b32_e32 v12, 0x7fc0
	v_cmp_o_f32_e32 vcc, v5, v5
	v_cndmask_b32_e32 v5, v12, v11, vcc
	v_lshlrev_b32_e32 v11, 16, v5
	s_mov_b32 s4, 0x800000
	v_mov_b32_e32 v12, 0x80
	v_cmp_ngt_f32_e32 vcc, s4, v11
	v_cndmask_b32_e32 v5, v12, v5, vcc
	v_lshlrev_b32_e32 v11, 16, v5
	s_mov_b32 s4, 0x3f7e0000
	v_mov_b32_e32 v12, 0x3f7e
	v_cmp_nlt_f32_e32 vcc, s4, v11
	v_cndmask_b32_e32 v11, v12, v5, vcc
.LBB49_25:
	s_or_b64 exec, exec, s[2:3]
	v_or_b32_e32 v5, 0x400, v0
	v_cmp_gt_i32_e32 vcc, s16, v5
                                        ; implicit-def: $vgpr5
	s_and_saveexec_b64 s[2:3], vcc
	s_cbranch_execz .LBB49_27
; %bb.26:
	v_and_b32_e32 v5, 0xffff0000, v10
	v_lshlrev_b32_e32 v10, 16, v10
	v_div_scale_f32 v12, s[4:5], v5, v5, v10
	v_rcp_f32_e32 v13, v12
	s_movk_i32 s4, 0x7fff
	v_fma_f32 v14, -v12, v13, 1.0
	v_fmac_f32_e32 v13, v14, v13
	v_div_scale_f32 v14, vcc, v10, v5, v10
	v_mul_f32_e32 v15, v14, v13
	v_fma_f32 v16, -v12, v15, v14
	v_fmac_f32_e32 v15, v16, v13
	v_fma_f32 v12, -v12, v15, v14
	v_div_fmas_f32 v12, v12, v13, v15
	v_div_fixup_f32 v5, v12, v5, v10
	v_bfe_u32 v10, v5, 16, 1
	v_add3_u32 v10, v5, v10, s4
	v_lshrrev_b32_e32 v10, 16, v10
	v_mov_b32_e32 v12, 0x7fc0
	v_cmp_o_f32_e32 vcc, v5, v5
	v_cndmask_b32_e32 v5, v12, v10, vcc
	v_lshlrev_b32_e32 v10, 16, v5
	s_mov_b32 s4, 0x800000
	v_mov_b32_e32 v12, 0x80
	v_cmp_ngt_f32_e32 vcc, s4, v10
	v_cndmask_b32_e32 v5, v12, v5, vcc
	v_lshlrev_b32_e32 v10, 16, v5
	s_mov_b32 s4, 0x3f7e0000
	v_mov_b32_e32 v12, 0x3f7e
	v_cmp_nlt_f32_e32 vcc, s4, v10
	v_cndmask_b32_e32 v5, v12, v5, vcc
.LBB49_27:
	s_or_b64 exec, exec, s[2:3]
	v_or_b32_e32 v10, 0x500, v0
	v_cmp_gt_i32_e32 vcc, s16, v10
                                        ; implicit-def: $vgpr10
	s_and_saveexec_b64 s[2:3], vcc
	s_cbranch_execz .LBB49_29
; %bb.28:
	v_and_b32_e32 v10, 0xffff0000, v3
	v_lshlrev_b32_e32 v3, 16, v3
	v_div_scale_f32 v12, s[4:5], v10, v10, v3
	v_rcp_f32_e32 v13, v12
	s_movk_i32 s4, 0x7fff
	v_fma_f32 v14, -v12, v13, 1.0
	v_fmac_f32_e32 v13, v14, v13
	v_div_scale_f32 v14, vcc, v3, v10, v3
	v_mul_f32_e32 v15, v14, v13
	v_fma_f32 v16, -v12, v15, v14
	v_fmac_f32_e32 v15, v16, v13
	v_fma_f32 v12, -v12, v15, v14
	v_div_fmas_f32 v12, v12, v13, v15
	v_div_fixup_f32 v3, v12, v10, v3
	v_bfe_u32 v10, v3, 16, 1
	v_add3_u32 v10, v3, v10, s4
	v_lshrrev_b32_e32 v10, 16, v10
	v_mov_b32_e32 v12, 0x7fc0
	v_cmp_o_f32_e32 vcc, v3, v3
	v_cndmask_b32_e32 v3, v12, v10, vcc
	v_lshlrev_b32_e32 v10, 16, v3
	s_mov_b32 s4, 0x800000
	v_mov_b32_e32 v12, 0x80
	v_cmp_ngt_f32_e32 vcc, s4, v10
	v_cndmask_b32_e32 v3, v12, v3, vcc
	v_lshlrev_b32_e32 v10, 16, v3
	s_mov_b32 s4, 0x3f7e0000
	v_mov_b32_e32 v12, 0x3f7e
	v_cmp_nlt_f32_e32 vcc, s4, v10
	v_cndmask_b32_e32 v10, v12, v3, vcc
.LBB49_29:
	s_or_b64 exec, exec, s[2:3]
	v_or_b32_e32 v3, 0x600, v0
	v_cmp_gt_i32_e32 vcc, s16, v3
                                        ; implicit-def: $vgpr12
	s_and_saveexec_b64 s[2:3], vcc
	s_cbranch_execz .LBB49_31
; %bb.30:
	v_and_b32_e32 v3, 0xffff0000, v8
	v_lshlrev_b32_e32 v8, 16, v8
	v_div_scale_f32 v12, s[4:5], v3, v3, v8
	v_rcp_f32_e32 v13, v12
	s_movk_i32 s4, 0x7fff
	v_fma_f32 v14, -v12, v13, 1.0
	v_fmac_f32_e32 v13, v14, v13
	v_div_scale_f32 v14, vcc, v8, v3, v8
	v_mul_f32_e32 v15, v14, v13
	v_fma_f32 v16, -v12, v15, v14
	v_fmac_f32_e32 v15, v16, v13
	v_fma_f32 v12, -v12, v15, v14
	v_div_fmas_f32 v12, v12, v13, v15
	v_div_fixup_f32 v3, v12, v3, v8
	v_bfe_u32 v8, v3, 16, 1
	v_add3_u32 v8, v3, v8, s4
	v_lshrrev_b32_e32 v8, 16, v8
	v_mov_b32_e32 v12, 0x7fc0
	v_cmp_o_f32_e32 vcc, v3, v3
	v_cndmask_b32_e32 v3, v12, v8, vcc
	v_lshlrev_b32_e32 v8, 16, v3
	s_mov_b32 s4, 0x800000
	v_mov_b32_e32 v12, 0x80
	v_cmp_ngt_f32_e32 vcc, s4, v8
	v_cndmask_b32_e32 v3, v12, v3, vcc
	v_lshlrev_b32_e32 v8, 16, v3
	s_mov_b32 s4, 0x3f7e0000
	v_mov_b32_e32 v12, 0x3f7e
	v_cmp_nlt_f32_e32 vcc, s4, v8
	v_cndmask_b32_e32 v12, v12, v3, vcc
.LBB49_31:
	s_or_b64 exec, exec, s[2:3]
	v_or_b32_e32 v3, 0x700, v0
	v_cmp_gt_i32_e32 vcc, s16, v3
                                        ; implicit-def: $vgpr8
	s_and_saveexec_b64 s[2:3], vcc
	s_cbranch_execnz .LBB49_44
; %bb.32:
	s_or_b64 exec, exec, s[2:3]
	s_and_saveexec_b64 s[2:3], s[0:1]
	s_xor_b64 s[0:1], exec, s[2:3]
	s_cbranch_execnz .LBB49_45
.LBB49_33:
	s_or_b64 exec, exec, s[0:1]
	v_cmp_gt_i32_e32 vcc, s16, v0
	s_and_saveexec_b64 s[0:1], vcc
	s_cbranch_execnz .LBB49_46
.LBB49_34:
	s_or_b64 exec, exec, s[0:1]
	v_cmp_gt_i32_e32 vcc, s16, v0
	s_and_saveexec_b64 s[0:1], vcc
	s_cbranch_execnz .LBB49_47
.LBB49_35:
	s_or_b64 exec, exec, s[0:1]
	v_cmp_gt_i32_e32 vcc, s16, v0
	s_and_saveexec_b64 s[0:1], vcc
	s_cbranch_execnz .LBB49_48
.LBB49_36:
	s_or_b64 exec, exec, s[0:1]
	v_cmp_gt_i32_e32 vcc, s16, v0
	s_and_saveexec_b64 s[0:1], vcc
	s_cbranch_execnz .LBB49_49
.LBB49_37:
	s_or_b64 exec, exec, s[0:1]
	v_cmp_gt_i32_e32 vcc, s16, v0
	s_and_saveexec_b64 s[0:1], vcc
	s_cbranch_execnz .LBB49_50
.LBB49_38:
	s_or_b64 exec, exec, s[0:1]
	v_cmp_gt_i32_e32 vcc, s16, v0
	s_and_saveexec_b64 s[0:1], vcc
	s_cbranch_execnz .LBB49_51
.LBB49_39:
	s_or_b64 exec, exec, s[0:1]
	v_cmp_gt_i32_e32 vcc, s16, v0
	s_and_saveexec_b64 s[0:1], vcc
	s_cbranch_execz .LBB49_41
.LBB49_40:
	v_add_u32_e32 v0, s6, v0
	v_mov_b32_e32 v1, 0
	v_lshlrev_b64 v[0:1], 1, v[0:1]
	v_mov_b32_e32 v2, s9
	v_add_co_u32_e32 v0, vcc, s8, v0
	v_addc_co_u32_e32 v1, vcc, v2, v1, vcc
	global_store_short v[0:1], v8, off
.LBB49_41:
	s_endpgm
.LBB49_42:
	v_add_u32_e32 v8, s6, v4
	v_mov_b32_e32 v9, 0
	v_lshlrev_b64 v[8:9], 1, v[8:9]
	v_mov_b32_e32 v13, s13
	v_add_co_u32_e32 v12, vcc, s12, v8
	v_addc_co_u32_e32 v13, vcc, v13, v9, vcc
	v_mov_b32_e32 v14, s11
	v_add_co_u32_e32 v8, vcc, s10, v8
	v_addc_co_u32_e32 v9, vcc, v14, v9, vcc
	global_load_ushort v14, v[8:9], off
	global_load_ushort v15, v[12:13], off
	s_mov_b32 s4, 0x5040100
	v_add_u32_e32 v4, 0x100, v4
	s_waitcnt vmcnt(0)
	v_perm_b32 v8, v15, v14, s4
	s_or_b64 exec, exec, s[2:3]
	v_cmp_gt_i32_e32 vcc, s16, v4
	s_and_saveexec_b64 s[2:3], vcc
	s_cbranch_execz .LBB49_17
.LBB49_43:
	v_add_u32_e32 v12, s6, v4
	v_mov_b32_e32 v13, 0
	v_lshlrev_b64 v[12:13], 1, v[12:13]
	v_mov_b32_e32 v1, s13
	v_add_co_u32_e32 v14, vcc, s12, v12
	v_addc_co_u32_e32 v15, vcc, v1, v13, vcc
	v_mov_b32_e32 v1, s11
	v_add_co_u32_e32 v12, vcc, s10, v12
	v_addc_co_u32_e32 v13, vcc, v1, v13, vcc
	global_load_ushort v1, v[12:13], off
	global_load_ushort v4, v[14:15], off
	s_mov_b32 s4, 0x5040100
	s_waitcnt vmcnt(0)
	v_perm_b32 v1, v4, v1, s4
	s_or_b64 exec, exec, s[2:3]
                                        ; implicit-def: $vgpr4
	s_and_saveexec_b64 s[2:3], s[0:1]
	s_cbranch_execnz .LBB49_18
	s_branch .LBB49_19
.LBB49_44:
	v_and_b32_e32 v3, 0xffff0000, v1
	v_lshlrev_b32_e32 v1, 16, v1
	v_div_scale_f32 v8, s[4:5], v3, v3, v1
	v_rcp_f32_e32 v13, v8
	s_movk_i32 s4, 0x7fff
	v_fma_f32 v14, -v8, v13, 1.0
	v_fmac_f32_e32 v13, v14, v13
	v_div_scale_f32 v14, vcc, v1, v3, v1
	v_mul_f32_e32 v15, v14, v13
	v_fma_f32 v16, -v8, v15, v14
	v_fmac_f32_e32 v15, v16, v13
	v_fma_f32 v8, -v8, v15, v14
	v_div_fmas_f32 v8, v8, v13, v15
	v_div_fixup_f32 v1, v8, v3, v1
	v_bfe_u32 v3, v1, 16, 1
	v_add3_u32 v3, v1, v3, s4
	v_lshrrev_b32_e32 v3, 16, v3
	v_mov_b32_e32 v8, 0x7fc0
	v_cmp_o_f32_e32 vcc, v1, v1
	v_cndmask_b32_e32 v1, v8, v3, vcc
	v_lshlrev_b32_e32 v3, 16, v1
	s_mov_b32 s4, 0x800000
	v_mov_b32_e32 v8, 0x80
	v_cmp_ngt_f32_e32 vcc, s4, v3
	v_cndmask_b32_e32 v1, v8, v1, vcc
	v_lshlrev_b32_e32 v3, 16, v1
	s_mov_b32 s4, 0x3f7e0000
	v_mov_b32_e32 v8, 0x3f7e
	v_cmp_nlt_f32_e32 vcc, s4, v3
	v_cndmask_b32_e32 v8, v8, v1, vcc
	s_or_b64 exec, exec, s[2:3]
	s_and_saveexec_b64 s[2:3], s[0:1]
	s_xor_b64 s[0:1], exec, s[2:3]
	s_cbranch_execz .LBB49_33
.LBB49_45:
	v_mov_b32_e32 v3, 0
	v_lshlrev_b64 v[0:1], 1, v[2:3]
	v_mov_b32_e32 v2, s9
	v_add_co_u32_e32 v0, vcc, s8, v0
	v_addc_co_u32_e32 v1, vcc, v2, v1, vcc
	global_store_short v[0:1], v4, off
	v_mov_b32_e32 v0, v6
	s_or_b64 exec, exec, s[0:1]
	v_cmp_gt_i32_e32 vcc, s16, v0
	s_and_saveexec_b64 s[0:1], vcc
	s_cbranch_execz .LBB49_34
.LBB49_46:
	v_add_u32_e32 v2, s6, v0
	v_mov_b32_e32 v3, 0
	v_lshlrev_b64 v[2:3], 1, v[2:3]
	v_mov_b32_e32 v1, s9
	v_add_co_u32_e32 v2, vcc, s8, v2
	v_addc_co_u32_e32 v3, vcc, v1, v3, vcc
	v_add_u32_e32 v0, 0x100, v0
	global_store_short v[2:3], v9, off
	s_or_b64 exec, exec, s[0:1]
	v_cmp_gt_i32_e32 vcc, s16, v0
	s_and_saveexec_b64 s[0:1], vcc
	s_cbranch_execz .LBB49_35
.LBB49_47:
	v_add_u32_e32 v2, s6, v0
	v_mov_b32_e32 v3, 0
	v_lshlrev_b64 v[2:3], 1, v[2:3]
	v_mov_b32_e32 v1, s9
	v_add_co_u32_e32 v2, vcc, s8, v2
	v_addc_co_u32_e32 v3, vcc, v1, v3, vcc
	v_add_u32_e32 v0, 0x100, v0
	global_store_short v[2:3], v7, off
	s_or_b64 exec, exec, s[0:1]
	v_cmp_gt_i32_e32 vcc, s16, v0
	s_and_saveexec_b64 s[0:1], vcc
	s_cbranch_execz .LBB49_36
.LBB49_48:
	v_add_u32_e32 v2, s6, v0
	v_mov_b32_e32 v3, 0
	v_lshlrev_b64 v[2:3], 1, v[2:3]
	v_mov_b32_e32 v1, s9
	v_add_co_u32_e32 v2, vcc, s8, v2
	v_addc_co_u32_e32 v3, vcc, v1, v3, vcc
	v_add_u32_e32 v0, 0x100, v0
	global_store_short v[2:3], v11, off
	s_or_b64 exec, exec, s[0:1]
	v_cmp_gt_i32_e32 vcc, s16, v0
	s_and_saveexec_b64 s[0:1], vcc
	s_cbranch_execz .LBB49_37
.LBB49_49:
	v_add_u32_e32 v2, s6, v0
	v_mov_b32_e32 v3, 0
	v_lshlrev_b64 v[2:3], 1, v[2:3]
	v_mov_b32_e32 v1, s9
	v_add_co_u32_e32 v2, vcc, s8, v2
	v_addc_co_u32_e32 v3, vcc, v1, v3, vcc
	v_add_u32_e32 v0, 0x100, v0
	global_store_short v[2:3], v5, off
	s_or_b64 exec, exec, s[0:1]
	v_cmp_gt_i32_e32 vcc, s16, v0
	s_and_saveexec_b64 s[0:1], vcc
	s_cbranch_execz .LBB49_38
.LBB49_50:
	v_add_u32_e32 v2, s6, v0
	v_mov_b32_e32 v3, 0
	v_lshlrev_b64 v[2:3], 1, v[2:3]
	v_mov_b32_e32 v1, s9
	v_add_co_u32_e32 v2, vcc, s8, v2
	v_addc_co_u32_e32 v3, vcc, v1, v3, vcc
	v_add_u32_e32 v0, 0x100, v0
	global_store_short v[2:3], v10, off
	s_or_b64 exec, exec, s[0:1]
	v_cmp_gt_i32_e32 vcc, s16, v0
	s_and_saveexec_b64 s[0:1], vcc
	s_cbranch_execz .LBB49_39
.LBB49_51:
	v_add_u32_e32 v2, s6, v0
	v_mov_b32_e32 v3, 0
	v_lshlrev_b64 v[2:3], 1, v[2:3]
	v_mov_b32_e32 v1, s9
	v_add_co_u32_e32 v2, vcc, s8, v2
	v_addc_co_u32_e32 v3, vcc, v1, v3, vcc
	v_add_u32_e32 v0, 0x100, v0
	global_store_short v[2:3], v12, off
	s_or_b64 exec, exec, s[0:1]
	v_cmp_gt_i32_e32 vcc, s16, v0
	s_and_saveexec_b64 s[0:1], vcc
	s_cbranch_execnz .LBB49_40
	s_branch .LBB49_41
	.section	.rodata,"a",@progbits
	.p2align	6, 0x0
	.amdhsa_kernel _ZN2at6native29vectorized_elementwise_kernelILi16EZZZNS0_23launch_dirichlet_kernelERNS_18TensorIteratorBaseEENKUlvE_clEvENKUlvE2_clEvEUlN3c108BFloat16ES7_E_St5arrayIPcLm3EEEEviT0_T1_
		.amdhsa_group_segment_fixed_size 0
		.amdhsa_private_segment_fixed_size 0
		.amdhsa_kernarg_size 32
		.amdhsa_user_sgpr_count 6
		.amdhsa_user_sgpr_private_segment_buffer 1
		.amdhsa_user_sgpr_dispatch_ptr 0
		.amdhsa_user_sgpr_queue_ptr 0
		.amdhsa_user_sgpr_kernarg_segment_ptr 1
		.amdhsa_user_sgpr_dispatch_id 0
		.amdhsa_user_sgpr_flat_scratch_init 0
		.amdhsa_user_sgpr_kernarg_preload_length 0
		.amdhsa_user_sgpr_kernarg_preload_offset 0
		.amdhsa_user_sgpr_private_segment_size 0
		.amdhsa_uses_dynamic_stack 0
		.amdhsa_system_sgpr_private_segment_wavefront_offset 0
		.amdhsa_system_sgpr_workgroup_id_x 1
		.amdhsa_system_sgpr_workgroup_id_y 0
		.amdhsa_system_sgpr_workgroup_id_z 0
		.amdhsa_system_sgpr_workgroup_info 0
		.amdhsa_system_vgpr_workitem_id 0
		.amdhsa_next_free_vgpr 37
		.amdhsa_next_free_sgpr 19
		.amdhsa_accum_offset 40
		.amdhsa_reserve_vcc 1
		.amdhsa_reserve_flat_scratch 0
		.amdhsa_float_round_mode_32 0
		.amdhsa_float_round_mode_16_64 0
		.amdhsa_float_denorm_mode_32 3
		.amdhsa_float_denorm_mode_16_64 3
		.amdhsa_dx10_clamp 1
		.amdhsa_ieee_mode 1
		.amdhsa_fp16_overflow 0
		.amdhsa_tg_split 0
		.amdhsa_exception_fp_ieee_invalid_op 0
		.amdhsa_exception_fp_denorm_src 0
		.amdhsa_exception_fp_ieee_div_zero 0
		.amdhsa_exception_fp_ieee_overflow 0
		.amdhsa_exception_fp_ieee_underflow 0
		.amdhsa_exception_fp_ieee_inexact 0
		.amdhsa_exception_int_div_zero 0
	.end_amdhsa_kernel
	.section	.text._ZN2at6native29vectorized_elementwise_kernelILi16EZZZNS0_23launch_dirichlet_kernelERNS_18TensorIteratorBaseEENKUlvE_clEvENKUlvE2_clEvEUlN3c108BFloat16ES7_E_St5arrayIPcLm3EEEEviT0_T1_,"axG",@progbits,_ZN2at6native29vectorized_elementwise_kernelILi16EZZZNS0_23launch_dirichlet_kernelERNS_18TensorIteratorBaseEENKUlvE_clEvENKUlvE2_clEvEUlN3c108BFloat16ES7_E_St5arrayIPcLm3EEEEviT0_T1_,comdat
.Lfunc_end49:
	.size	_ZN2at6native29vectorized_elementwise_kernelILi16EZZZNS0_23launch_dirichlet_kernelERNS_18TensorIteratorBaseEENKUlvE_clEvENKUlvE2_clEvEUlN3c108BFloat16ES7_E_St5arrayIPcLm3EEEEviT0_T1_, .Lfunc_end49-_ZN2at6native29vectorized_elementwise_kernelILi16EZZZNS0_23launch_dirichlet_kernelERNS_18TensorIteratorBaseEENKUlvE_clEvENKUlvE2_clEvEUlN3c108BFloat16ES7_E_St5arrayIPcLm3EEEEviT0_T1_
                                        ; -- End function
	.section	.AMDGPU.csdata,"",@progbits
; Kernel info:
; codeLenInByte = 4392
; NumSgprs: 23
; NumVgprs: 37
; NumAgprs: 0
; TotalNumVgprs: 37
; ScratchSize: 0
; MemoryBound: 0
; FloatMode: 240
; IeeeMode: 1
; LDSByteSize: 0 bytes/workgroup (compile time only)
; SGPRBlocks: 2
; VGPRBlocks: 4
; NumSGPRsForWavesPerEU: 23
; NumVGPRsForWavesPerEU: 37
; AccumOffset: 40
; Occupancy: 8
; WaveLimiterHint : 0
; COMPUTE_PGM_RSRC2:SCRATCH_EN: 0
; COMPUTE_PGM_RSRC2:USER_SGPR: 6
; COMPUTE_PGM_RSRC2:TRAP_HANDLER: 0
; COMPUTE_PGM_RSRC2:TGID_X_EN: 1
; COMPUTE_PGM_RSRC2:TGID_Y_EN: 0
; COMPUTE_PGM_RSRC2:TGID_Z_EN: 0
; COMPUTE_PGM_RSRC2:TIDIG_COMP_CNT: 0
; COMPUTE_PGM_RSRC3_GFX90A:ACCUM_OFFSET: 9
; COMPUTE_PGM_RSRC3_GFX90A:TG_SPLIT: 0
	.section	.text._ZN2at6native29vectorized_elementwise_kernelILi8EZZZNS0_23launch_dirichlet_kernelERNS_18TensorIteratorBaseEENKUlvE_clEvENKUlvE2_clEvEUlN3c108BFloat16ES7_E_St5arrayIPcLm3EEEEviT0_T1_,"axG",@progbits,_ZN2at6native29vectorized_elementwise_kernelILi8EZZZNS0_23launch_dirichlet_kernelERNS_18TensorIteratorBaseEENKUlvE_clEvENKUlvE2_clEvEUlN3c108BFloat16ES7_E_St5arrayIPcLm3EEEEviT0_T1_,comdat
	.globl	_ZN2at6native29vectorized_elementwise_kernelILi8EZZZNS0_23launch_dirichlet_kernelERNS_18TensorIteratorBaseEENKUlvE_clEvENKUlvE2_clEvEUlN3c108BFloat16ES7_E_St5arrayIPcLm3EEEEviT0_T1_ ; -- Begin function _ZN2at6native29vectorized_elementwise_kernelILi8EZZZNS0_23launch_dirichlet_kernelERNS_18TensorIteratorBaseEENKUlvE_clEvENKUlvE2_clEvEUlN3c108BFloat16ES7_E_St5arrayIPcLm3EEEEviT0_T1_
	.p2align	8
	.type	_ZN2at6native29vectorized_elementwise_kernelILi8EZZZNS0_23launch_dirichlet_kernelERNS_18TensorIteratorBaseEENKUlvE_clEvENKUlvE2_clEvEUlN3c108BFloat16ES7_E_St5arrayIPcLm3EEEEviT0_T1_,@function
_ZN2at6native29vectorized_elementwise_kernelILi8EZZZNS0_23launch_dirichlet_kernelERNS_18TensorIteratorBaseEENKUlvE_clEvENKUlvE2_clEvEUlN3c108BFloat16ES7_E_St5arrayIPcLm3EEEEviT0_T1_: ; @_ZN2at6native29vectorized_elementwise_kernelILi8EZZZNS0_23launch_dirichlet_kernelERNS_18TensorIteratorBaseEENKUlvE_clEvENKUlvE2_clEvEUlN3c108BFloat16ES7_E_St5arrayIPcLm3EEEEviT0_T1_
; %bb.0:
	s_load_dword s0, s[4:5], 0x0
	s_load_dwordx4 s[8:11], s[4:5], 0x8
	s_load_dwordx2 s[12:13], s[4:5], 0x18
	s_lshl_b32 s6, s6, 11
	s_waitcnt lgkmcnt(0)
	s_sub_i32 s16, s0, s6
	s_cmpk_gt_i32 s16, 0x7ff
	s_mov_b64 s[0:1], -1
	s_cbranch_scc0 .LBB50_2
; %bb.1:
	s_ashr_i32 s7, s6, 31
	s_lshl_b64 s[14:15], s[6:7], 1
	s_add_u32 s0, s10, s14
	s_addc_u32 s1, s11, s15
	v_lshlrev_b32_e32 v1, 4, v0
	global_load_dwordx4 v[2:5], v1, s[0:1]
	s_add_u32 s0, s12, s14
	s_addc_u32 s1, s13, s15
	global_load_dwordx4 v[6:9], v1, s[0:1]
	s_movk_i32 s7, 0x7fff
	v_mov_b32_e32 v10, 0x7fc0
	s_mov_b32 s17, 0x800000
	v_mov_b32_e32 v11, 0x80
	s_mov_b32 s18, 0x3f7e0000
	v_mov_b32_e32 v12, 0x3f7e
	s_waitcnt vmcnt(1)
	v_lshlrev_b32_e32 v13, 16, v2
	v_and_b32_e32 v2, 0xffff0000, v2
	v_lshlrev_b32_e32 v14, 16, v3
	s_waitcnt vmcnt(0)
	v_lshlrev_b32_e32 v15, 16, v6
	v_div_scale_f32 v17, s[0:1], v15, v15, v13
	v_and_b32_e32 v6, 0xffff0000, v6
	v_rcp_f32_e32 v25, v17
	v_lshlrev_b32_e32 v16, 16, v7
	v_div_scale_f32 v19, s[0:1], v6, v6, v2
	v_div_scale_f32 v21, s[2:3], v16, v16, v14
	v_rcp_f32_e32 v26, v19
	v_rcp_f32_e32 v27, v21
	v_fma_f32 v29, -v17, v25, 1.0
	v_div_scale_f32 v18, vcc, v13, v15, v13
	v_fmac_f32_e32 v25, v29, v25
	v_fma_f32 v30, -v19, v26, 1.0
	v_mul_f32_e32 v29, v18, v25
	v_div_scale_f32 v20, s[0:1], v2, v6, v2
	v_fma_f32 v31, -v21, v27, 1.0
	v_fmac_f32_e32 v26, v30, v26
	v_fma_f32 v33, -v17, v29, v18
	v_div_scale_f32 v22, s[2:3], v14, v16, v14
	v_fmac_f32_e32 v27, v31, v27
	v_mul_f32_e32 v30, v20, v26
	v_fmac_f32_e32 v29, v33, v25
	v_mul_f32_e32 v31, v22, v27
	v_fma_f32 v34, -v19, v30, v20
	v_fma_f32 v17, -v17, v29, v18
	v_fma_f32 v35, -v21, v31, v22
	v_fmac_f32_e32 v30, v34, v26
	v_div_fmas_f32 v17, v17, v25, v29
	v_fmac_f32_e32 v31, v35, v27
	v_fma_f32 v18, -v19, v30, v20
	v_div_fixup_f32 v13, v17, v15, v13
	s_mov_b64 vcc, s[0:1]
	v_fma_f32 v19, -v21, v31, v22
	v_div_fmas_f32 v15, v18, v26, v30
	v_bfe_u32 v17, v13, 16, 1
	s_mov_b64 vcc, s[2:3]
	v_div_fixup_f32 v2, v15, v6, v2
	v_div_fmas_f32 v6, v19, v27, v31
	v_add3_u32 v15, v13, v17, s7
	v_and_b32_e32 v3, 0xffff0000, v3
	v_and_b32_e32 v7, 0xffff0000, v7
	v_bfe_u32 v17, v2, 16, 1
	v_div_fixup_f32 v6, v6, v16, v14
	v_lshrrev_b32_e32 v14, 16, v15
	v_cmp_o_f32_e32 vcc, v13, v13
	v_div_scale_f32 v23, s[4:5], v7, v7, v3
	v_add3_u32 v15, v2, v17, s7
	v_bfe_u32 v16, v6, 16, 1
	v_cndmask_b32_e32 v13, v10, v14, vcc
	v_rcp_f32_e32 v28, v23
	v_lshrrev_b32_e32 v14, 16, v15
	v_add3_u32 v15, v6, v16, s7
	v_lshlrev_b32_e32 v16, 16, v13
	v_cmp_o_f32_e32 vcc, v2, v2
	v_cndmask_b32_e32 v2, v10, v14, vcc
	v_cmp_ngt_f32_e32 vcc, s17, v16
	v_lshrrev_b32_e32 v14, 16, v15
	v_cndmask_b32_e32 v13, v11, v13, vcc
	v_lshlrev_b32_e32 v15, 16, v2
	v_cmp_o_f32_e32 vcc, v6, v6
	v_cndmask_b32_e32 v6, v10, v14, vcc
	v_lshlrev_b32_e32 v14, 16, v13
	v_cmp_ngt_f32_e32 vcc, s17, v15
	v_fma_f32 v32, -v23, v28, 1.0
	v_cndmask_b32_e32 v2, v11, v2, vcc
	v_lshlrev_b32_e32 v15, 16, v6
	v_cmp_nlt_f32_e32 vcc, s18, v14
	v_div_scale_f32 v24, s[4:5], v3, v7, v3
	v_fmac_f32_e32 v28, v32, v28
	v_cndmask_b32_e32 v13, v12, v13, vcc
	v_cmp_ngt_f32_e32 vcc, s17, v15
	v_mul_f32_e32 v32, v24, v28
	v_lshlrev_b32_e32 v14, 16, v2
	v_cndmask_b32_e32 v6, v11, v6, vcc
	v_fma_f32 v36, -v23, v32, v24
	v_cmp_nlt_f32_e32 vcc, s18, v14
	v_lshlrev_b32_e32 v14, 16, v6
	v_fmac_f32_e32 v32, v36, v28
	v_cndmask_b32_e32 v2, v12, v2, vcc
	v_cmp_nlt_f32_e32 vcc, s18, v14
	v_fma_f32 v20, -v23, v32, v24
	v_cndmask_b32_e32 v6, v12, v6, vcc
	s_mov_b64 vcc, s[4:5]
	s_mov_b32 s2, 0x5040100
	v_div_fmas_f32 v14, v20, v28, v32
	v_div_fixup_f32 v3, v14, v7, v3
	v_bfe_u32 v7, v3, 16, 1
	v_add3_u32 v7, v3, v7, s7
	v_lshrrev_b32_e32 v7, 16, v7
	v_cmp_o_f32_e32 vcc, v3, v3
	v_cndmask_b32_e32 v3, v10, v7, vcc
	v_lshlrev_b32_e32 v7, 16, v3
	v_cmp_ngt_f32_e32 vcc, s17, v7
	v_lshlrev_b32_e32 v7, 16, v4
	v_lshlrev_b32_e32 v14, 16, v8
	v_div_scale_f32 v15, s[0:1], v14, v14, v7
	v_rcp_f32_e32 v16, v15
	v_cndmask_b32_e32 v3, v11, v3, vcc
	v_lshlrev_b32_e32 v17, 16, v3
	v_cmp_nlt_f32_e32 vcc, s18, v17
	v_fma_f32 v17, -v15, v16, 1.0
	v_cndmask_b32_e32 v3, v12, v3, vcc
	v_fmac_f32_e32 v16, v17, v16
	v_div_scale_f32 v17, vcc, v7, v14, v7
	v_mul_f32_e32 v18, v17, v16
	v_fma_f32 v19, -v15, v18, v17
	v_fmac_f32_e32 v18, v19, v16
	v_fma_f32 v15, -v15, v18, v17
	v_div_fmas_f32 v15, v15, v16, v18
	v_div_fixup_f32 v7, v15, v14, v7
	v_bfe_u32 v14, v7, 16, 1
	v_add3_u32 v14, v7, v14, s7
	v_lshrrev_b32_e32 v14, 16, v14
	v_cmp_o_f32_e32 vcc, v7, v7
	v_cndmask_b32_e32 v7, v10, v14, vcc
	v_lshlrev_b32_e32 v14, 16, v7
	v_and_b32_e32 v4, 0xffff0000, v4
	v_and_b32_e32 v8, 0xffff0000, v8
	v_cmp_ngt_f32_e32 vcc, s17, v14
	v_div_scale_f32 v14, s[0:1], v8, v8, v4
	v_rcp_f32_e32 v15, v14
	v_cndmask_b32_e32 v7, v11, v7, vcc
	v_lshlrev_b32_e32 v16, 16, v7
	v_cmp_nlt_f32_e32 vcc, s18, v16
	v_fma_f32 v16, -v14, v15, 1.0
	v_cndmask_b32_e32 v7, v12, v7, vcc
	v_fmac_f32_e32 v15, v16, v15
	v_div_scale_f32 v16, vcc, v4, v8, v4
	v_mul_f32_e32 v17, v16, v15
	v_fma_f32 v18, -v14, v17, v16
	v_fmac_f32_e32 v17, v18, v15
	v_fma_f32 v14, -v14, v17, v16
	v_div_fmas_f32 v14, v14, v15, v17
	v_div_fixup_f32 v4, v14, v8, v4
	v_bfe_u32 v8, v4, 16, 1
	v_add3_u32 v8, v4, v8, s7
	v_lshrrev_b32_e32 v8, 16, v8
	v_cmp_o_f32_e32 vcc, v4, v4
	v_cndmask_b32_e32 v4, v10, v8, vcc
	v_lshlrev_b32_e32 v8, 16, v4
	v_cmp_ngt_f32_e32 vcc, s17, v8
	v_lshlrev_b32_e32 v8, 16, v5
	v_lshlrev_b32_e32 v14, 16, v9
	v_div_scale_f32 v15, s[0:1], v14, v14, v8
	v_rcp_f32_e32 v16, v15
	v_cndmask_b32_e32 v4, v11, v4, vcc
	v_lshlrev_b32_e32 v17, 16, v4
	v_cmp_nlt_f32_e32 vcc, s18, v17
	v_fma_f32 v17, -v15, v16, 1.0
	v_cndmask_b32_e32 v4, v12, v4, vcc
	v_fmac_f32_e32 v16, v17, v16
	v_div_scale_f32 v17, vcc, v8, v14, v8
	v_mul_f32_e32 v18, v17, v16
	v_fma_f32 v19, -v15, v18, v17
	v_fmac_f32_e32 v18, v19, v16
	v_fma_f32 v15, -v15, v18, v17
	v_div_fmas_f32 v15, v15, v16, v18
	v_div_fixup_f32 v8, v15, v14, v8
	v_bfe_u32 v14, v8, 16, 1
	v_add3_u32 v14, v8, v14, s7
	v_lshrrev_b32_e32 v14, 16, v14
	v_cmp_o_f32_e32 vcc, v8, v8
	v_cndmask_b32_e32 v8, v10, v14, vcc
	v_lshlrev_b32_e32 v14, 16, v8
	v_and_b32_e32 v5, 0xffff0000, v5
	v_and_b32_e32 v9, 0xffff0000, v9
	v_cmp_ngt_f32_e32 vcc, s17, v14
	v_div_scale_f32 v14, s[0:1], v9, v9, v5
	v_rcp_f32_e32 v15, v14
	v_cndmask_b32_e32 v8, v11, v8, vcc
	v_lshlrev_b32_e32 v16, 16, v8
	v_cmp_nlt_f32_e32 vcc, s18, v16
	v_fma_f32 v16, -v14, v15, 1.0
	v_cndmask_b32_e32 v8, v12, v8, vcc
	v_fmac_f32_e32 v15, v16, v15
	v_div_scale_f32 v16, vcc, v5, v9, v5
	v_mul_f32_e32 v17, v16, v15
	v_fma_f32 v18, -v14, v17, v16
	v_fmac_f32_e32 v17, v18, v15
	v_fma_f32 v14, -v14, v17, v16
	v_div_fmas_f32 v14, v14, v15, v17
	v_div_fixup_f32 v5, v14, v9, v5
	v_bfe_u32 v9, v5, 16, 1
	v_add3_u32 v9, v5, v9, s7
	v_lshrrev_b32_e32 v9, 16, v9
	v_cmp_o_f32_e32 vcc, v5, v5
	v_cndmask_b32_e32 v5, v10, v9, vcc
	v_lshlrev_b32_e32 v9, 16, v5
	v_cmp_ngt_f32_e32 vcc, s17, v9
	v_cndmask_b32_e32 v5, v11, v5, vcc
	v_lshlrev_b32_e32 v9, 16, v5
	v_cmp_nlt_f32_e32 vcc, s18, v9
	v_cndmask_b32_e32 v5, v12, v5, vcc
	s_add_u32 s0, s8, s14
	s_addc_u32 s1, s9, s15
	v_perm_b32 v5, v5, v8, s2
	v_perm_b32 v4, v4, v7, s2
	;; [unrolled: 1-line block ×4, first 2 shown]
	global_store_dwordx4 v1, v[2:5], s[0:1]
	s_mov_b64 s[0:1], 0
.LBB50_2:
	s_andn2_b64 vcc, exec, s[0:1]
	s_cbranch_vccnz .LBB50_41
; %bb.3:
	v_cmp_gt_i32_e64 s[0:1], s16, v0
	v_mov_b32_e32 v7, 0
	v_or_b32_e32 v2, s6, v0
	v_mov_b32_e32 v4, v0
	v_mov_b32_e32 v6, 0
	s_and_saveexec_b64 s[2:3], s[0:1]
	s_cbranch_execz .LBB50_5
; %bb.4:
	v_mov_b32_e32 v3, 0
	v_lshlrev_b64 v[4:5], 1, v[2:3]
	v_mov_b32_e32 v1, s13
	v_add_co_u32_e32 v8, vcc, s12, v4
	v_addc_co_u32_e32 v9, vcc, v1, v5, vcc
	v_mov_b32_e32 v1, s11
	v_add_co_u32_e32 v4, vcc, s10, v4
	v_addc_co_u32_e32 v5, vcc, v1, v5, vcc
	global_load_ushort v1, v[4:5], off
	global_load_ushort v3, v[8:9], off
	s_mov_b32 s4, 0x5040100
	v_or_b32_e32 v4, 0x100, v0
	s_waitcnt vmcnt(0)
	v_perm_b32 v6, v3, v1, s4
.LBB50_5:
	s_or_b64 exec, exec, s[2:3]
	v_cmp_gt_i32_e32 vcc, s16, v4
	s_and_saveexec_b64 s[2:3], vcc
	s_cbranch_execz .LBB50_7
; %bb.6:
	v_add_u32_e32 v8, s6, v4
	v_mov_b32_e32 v9, 0
	v_lshlrev_b64 v[8:9], 1, v[8:9]
	v_mov_b32_e32 v1, s13
	v_add_co_u32_e32 v10, vcc, s12, v8
	v_addc_co_u32_e32 v11, vcc, v1, v9, vcc
	v_mov_b32_e32 v1, s11
	v_add_co_u32_e32 v8, vcc, s10, v8
	v_addc_co_u32_e32 v9, vcc, v1, v9, vcc
	global_load_ushort v1, v[8:9], off
	global_load_ushort v3, v[10:11], off
	s_mov_b32 s4, 0x5040100
	v_add_u32_e32 v4, 0x100, v4
	s_waitcnt vmcnt(0)
	v_perm_b32 v7, v3, v1, s4
.LBB50_7:
	s_or_b64 exec, exec, s[2:3]
	v_cmp_gt_i32_e32 vcc, s16, v4
	v_mov_b32_e32 v5, 0
	v_mov_b32_e32 v11, 0
	s_and_saveexec_b64 s[2:3], vcc
	s_cbranch_execz .LBB50_9
; %bb.8:
	v_add_u32_e32 v8, s6, v4
	v_mov_b32_e32 v9, 0
	v_lshlrev_b64 v[8:9], 1, v[8:9]
	v_mov_b32_e32 v1, s13
	v_add_co_u32_e32 v10, vcc, s12, v8
	v_addc_co_u32_e32 v11, vcc, v1, v9, vcc
	v_mov_b32_e32 v1, s11
	v_add_co_u32_e32 v8, vcc, s10, v8
	v_addc_co_u32_e32 v9, vcc, v1, v9, vcc
	global_load_ushort v1, v[8:9], off
	global_load_ushort v3, v[10:11], off
	s_mov_b32 s4, 0x5040100
	v_add_u32_e32 v4, 0x100, v4
	s_waitcnt vmcnt(0)
	v_perm_b32 v11, v3, v1, s4
.LBB50_9:
	s_or_b64 exec, exec, s[2:3]
	v_cmp_gt_i32_e32 vcc, s16, v4
	s_and_saveexec_b64 s[2:3], vcc
	s_cbranch_execz .LBB50_11
; %bb.10:
	v_add_u32_e32 v8, s6, v4
	v_mov_b32_e32 v9, 0
	v_lshlrev_b64 v[8:9], 1, v[8:9]
	v_mov_b32_e32 v1, s13
	v_add_co_u32_e32 v12, vcc, s12, v8
	v_addc_co_u32_e32 v13, vcc, v1, v9, vcc
	v_mov_b32_e32 v1, s11
	v_add_co_u32_e32 v8, vcc, s10, v8
	v_addc_co_u32_e32 v9, vcc, v1, v9, vcc
	global_load_ushort v1, v[8:9], off
	global_load_ushort v3, v[12:13], off
	s_mov_b32 s4, 0x5040100
	v_add_u32_e32 v4, 0x100, v4
	s_waitcnt vmcnt(0)
	v_perm_b32 v5, v3, v1, s4
.LBB50_11:
	s_or_b64 exec, exec, s[2:3]
	v_cmp_gt_i32_e32 vcc, s16, v4
	v_mov_b32_e32 v3, 0
	v_mov_b32_e32 v10, 0
	s_and_saveexec_b64 s[2:3], vcc
	s_cbranch_execz .LBB50_13
; %bb.12:
	v_add_u32_e32 v8, s6, v4
	v_mov_b32_e32 v9, 0
	v_lshlrev_b64 v[8:9], 1, v[8:9]
	v_mov_b32_e32 v1, s13
	v_add_co_u32_e32 v12, vcc, s12, v8
	v_addc_co_u32_e32 v13, vcc, v1, v9, vcc
	v_mov_b32_e32 v1, s11
	v_add_co_u32_e32 v8, vcc, s10, v8
	v_addc_co_u32_e32 v9, vcc, v1, v9, vcc
	global_load_ushort v1, v[8:9], off
	global_load_ushort v10, v[12:13], off
	s_mov_b32 s4, 0x5040100
	v_add_u32_e32 v4, 0x100, v4
	s_waitcnt vmcnt(0)
	v_perm_b32 v10, v10, v1, s4
.LBB50_13:
	s_or_b64 exec, exec, s[2:3]
	v_cmp_gt_i32_e32 vcc, s16, v4
	s_and_saveexec_b64 s[2:3], vcc
	s_cbranch_execz .LBB50_15
; %bb.14:
	v_add_u32_e32 v8, s6, v4
	v_mov_b32_e32 v9, 0
	v_lshlrev_b64 v[8:9], 1, v[8:9]
	v_mov_b32_e32 v1, s13
	v_add_co_u32_e32 v12, vcc, s12, v8
	v_addc_co_u32_e32 v13, vcc, v1, v9, vcc
	v_mov_b32_e32 v1, s11
	v_add_co_u32_e32 v8, vcc, s10, v8
	v_addc_co_u32_e32 v9, vcc, v1, v9, vcc
	global_load_ushort v1, v[8:9], off
	global_load_ushort v3, v[12:13], off
	s_mov_b32 s4, 0x5040100
	v_add_u32_e32 v4, 0x100, v4
	s_waitcnt vmcnt(0)
	v_perm_b32 v3, v3, v1, s4
.LBB50_15:
	s_or_b64 exec, exec, s[2:3]
	v_cmp_gt_i32_e32 vcc, s16, v4
	v_mov_b32_e32 v1, 0
	v_mov_b32_e32 v8, 0
	s_and_saveexec_b64 s[2:3], vcc
	s_cbranch_execnz .LBB50_42
; %bb.16:
	s_or_b64 exec, exec, s[2:3]
	v_cmp_gt_i32_e32 vcc, s16, v4
	s_and_saveexec_b64 s[2:3], vcc
	s_cbranch_execnz .LBB50_43
.LBB50_17:
	s_or_b64 exec, exec, s[2:3]
                                        ; implicit-def: $vgpr4
	s_and_saveexec_b64 s[2:3], s[0:1]
	s_cbranch_execz .LBB50_19
.LBB50_18:
	v_and_b32_e32 v4, 0xffff0000, v6
	v_lshlrev_b32_e32 v6, 16, v6
	v_div_scale_f32 v9, s[4:5], v4, v4, v6
	v_rcp_f32_e32 v12, v9
	s_movk_i32 s4, 0x7fff
	v_fma_f32 v13, -v9, v12, 1.0
	v_fmac_f32_e32 v12, v13, v12
	v_div_scale_f32 v13, vcc, v6, v4, v6
	v_mul_f32_e32 v14, v13, v12
	v_fma_f32 v15, -v9, v14, v13
	v_fmac_f32_e32 v14, v15, v12
	v_fma_f32 v9, -v9, v14, v13
	v_div_fmas_f32 v9, v9, v12, v14
	v_div_fixup_f32 v4, v9, v4, v6
	v_bfe_u32 v6, v4, 16, 1
	v_add3_u32 v6, v4, v6, s4
	v_lshrrev_b32_e32 v6, 16, v6
	v_mov_b32_e32 v9, 0x7fc0
	v_cmp_o_f32_e32 vcc, v4, v4
	v_cndmask_b32_e32 v4, v9, v6, vcc
	v_lshlrev_b32_e32 v6, 16, v4
	s_mov_b32 s4, 0x800000
	v_mov_b32_e32 v9, 0x80
	v_cmp_ngt_f32_e32 vcc, s4, v6
	v_cndmask_b32_e32 v4, v9, v4, vcc
	v_lshlrev_b32_e32 v6, 16, v4
	s_mov_b32 s4, 0x3f7e0000
	v_mov_b32_e32 v9, 0x3f7e
	v_cmp_nlt_f32_e32 vcc, s4, v6
	v_cndmask_b32_e32 v4, v9, v4, vcc
.LBB50_19:
	s_or_b64 exec, exec, s[2:3]
	v_or_b32_e32 v6, 0x100, v0
	v_cmp_gt_i32_e32 vcc, s16, v6
                                        ; implicit-def: $vgpr9
	s_and_saveexec_b64 s[2:3], vcc
	s_cbranch_execz .LBB50_21
; %bb.20:
	v_and_b32_e32 v9, 0xffff0000, v7
	v_lshlrev_b32_e32 v7, 16, v7
	v_div_scale_f32 v12, s[4:5], v9, v9, v7
	v_rcp_f32_e32 v13, v12
	s_movk_i32 s4, 0x7fff
	v_fma_f32 v14, -v12, v13, 1.0
	v_fmac_f32_e32 v13, v14, v13
	v_div_scale_f32 v14, vcc, v7, v9, v7
	v_mul_f32_e32 v15, v14, v13
	v_fma_f32 v16, -v12, v15, v14
	v_fmac_f32_e32 v15, v16, v13
	v_fma_f32 v12, -v12, v15, v14
	v_div_fmas_f32 v12, v12, v13, v15
	v_div_fixup_f32 v7, v12, v9, v7
	v_bfe_u32 v9, v7, 16, 1
	v_add3_u32 v9, v7, v9, s4
	v_lshrrev_b32_e32 v9, 16, v9
	v_mov_b32_e32 v12, 0x7fc0
	v_cmp_o_f32_e32 vcc, v7, v7
	v_cndmask_b32_e32 v7, v12, v9, vcc
	v_lshlrev_b32_e32 v9, 16, v7
	s_mov_b32 s4, 0x800000
	v_mov_b32_e32 v12, 0x80
	v_cmp_ngt_f32_e32 vcc, s4, v9
	v_cndmask_b32_e32 v7, v12, v7, vcc
	v_lshlrev_b32_e32 v9, 16, v7
	s_mov_b32 s4, 0x3f7e0000
	v_mov_b32_e32 v12, 0x3f7e
	v_cmp_nlt_f32_e32 vcc, s4, v9
	v_cndmask_b32_e32 v9, v12, v7, vcc
.LBB50_21:
	s_or_b64 exec, exec, s[2:3]
	v_or_b32_e32 v7, 0x200, v0
	v_cmp_gt_i32_e32 vcc, s16, v7
                                        ; implicit-def: $vgpr7
	s_and_saveexec_b64 s[2:3], vcc
	s_cbranch_execz .LBB50_23
; %bb.22:
	v_and_b32_e32 v7, 0xffff0000, v11
	v_lshlrev_b32_e32 v11, 16, v11
	v_div_scale_f32 v12, s[4:5], v7, v7, v11
	v_rcp_f32_e32 v13, v12
	s_movk_i32 s4, 0x7fff
	v_fma_f32 v14, -v12, v13, 1.0
	v_fmac_f32_e32 v13, v14, v13
	v_div_scale_f32 v14, vcc, v11, v7, v11
	v_mul_f32_e32 v15, v14, v13
	v_fma_f32 v16, -v12, v15, v14
	v_fmac_f32_e32 v15, v16, v13
	v_fma_f32 v12, -v12, v15, v14
	v_div_fmas_f32 v12, v12, v13, v15
	v_div_fixup_f32 v7, v12, v7, v11
	v_bfe_u32 v11, v7, 16, 1
	v_add3_u32 v11, v7, v11, s4
	v_lshrrev_b32_e32 v11, 16, v11
	v_mov_b32_e32 v12, 0x7fc0
	v_cmp_o_f32_e32 vcc, v7, v7
	v_cndmask_b32_e32 v7, v12, v11, vcc
	v_lshlrev_b32_e32 v11, 16, v7
	s_mov_b32 s4, 0x800000
	v_mov_b32_e32 v12, 0x80
	v_cmp_ngt_f32_e32 vcc, s4, v11
	v_cndmask_b32_e32 v7, v12, v7, vcc
	v_lshlrev_b32_e32 v11, 16, v7
	s_mov_b32 s4, 0x3f7e0000
	v_mov_b32_e32 v12, 0x3f7e
	v_cmp_nlt_f32_e32 vcc, s4, v11
	v_cndmask_b32_e32 v7, v12, v7, vcc
.LBB50_23:
	s_or_b64 exec, exec, s[2:3]
	v_or_b32_e32 v11, 0x300, v0
	v_cmp_gt_i32_e32 vcc, s16, v11
                                        ; implicit-def: $vgpr11
	s_and_saveexec_b64 s[2:3], vcc
	s_cbranch_execz .LBB50_25
; %bb.24:
	v_and_b32_e32 v11, 0xffff0000, v5
	v_lshlrev_b32_e32 v5, 16, v5
	v_div_scale_f32 v12, s[4:5], v11, v11, v5
	v_rcp_f32_e32 v13, v12
	s_movk_i32 s4, 0x7fff
	v_fma_f32 v14, -v12, v13, 1.0
	v_fmac_f32_e32 v13, v14, v13
	v_div_scale_f32 v14, vcc, v5, v11, v5
	v_mul_f32_e32 v15, v14, v13
	v_fma_f32 v16, -v12, v15, v14
	v_fmac_f32_e32 v15, v16, v13
	v_fma_f32 v12, -v12, v15, v14
	v_div_fmas_f32 v12, v12, v13, v15
	v_div_fixup_f32 v5, v12, v11, v5
	v_bfe_u32 v11, v5, 16, 1
	v_add3_u32 v11, v5, v11, s4
	v_lshrrev_b32_e32 v11, 16, v11
	v_mov_b32_e32 v12, 0x7fc0
	v_cmp_o_f32_e32 vcc, v5, v5
	v_cndmask_b32_e32 v5, v12, v11, vcc
	v_lshlrev_b32_e32 v11, 16, v5
	s_mov_b32 s4, 0x800000
	v_mov_b32_e32 v12, 0x80
	v_cmp_ngt_f32_e32 vcc, s4, v11
	v_cndmask_b32_e32 v5, v12, v5, vcc
	v_lshlrev_b32_e32 v11, 16, v5
	s_mov_b32 s4, 0x3f7e0000
	v_mov_b32_e32 v12, 0x3f7e
	v_cmp_nlt_f32_e32 vcc, s4, v11
	v_cndmask_b32_e32 v11, v12, v5, vcc
.LBB50_25:
	s_or_b64 exec, exec, s[2:3]
	v_or_b32_e32 v5, 0x400, v0
	v_cmp_gt_i32_e32 vcc, s16, v5
                                        ; implicit-def: $vgpr5
	s_and_saveexec_b64 s[2:3], vcc
	s_cbranch_execz .LBB50_27
; %bb.26:
	v_and_b32_e32 v5, 0xffff0000, v10
	v_lshlrev_b32_e32 v10, 16, v10
	v_div_scale_f32 v12, s[4:5], v5, v5, v10
	v_rcp_f32_e32 v13, v12
	s_movk_i32 s4, 0x7fff
	v_fma_f32 v14, -v12, v13, 1.0
	v_fmac_f32_e32 v13, v14, v13
	v_div_scale_f32 v14, vcc, v10, v5, v10
	v_mul_f32_e32 v15, v14, v13
	v_fma_f32 v16, -v12, v15, v14
	v_fmac_f32_e32 v15, v16, v13
	v_fma_f32 v12, -v12, v15, v14
	v_div_fmas_f32 v12, v12, v13, v15
	v_div_fixup_f32 v5, v12, v5, v10
	v_bfe_u32 v10, v5, 16, 1
	v_add3_u32 v10, v5, v10, s4
	v_lshrrev_b32_e32 v10, 16, v10
	v_mov_b32_e32 v12, 0x7fc0
	v_cmp_o_f32_e32 vcc, v5, v5
	v_cndmask_b32_e32 v5, v12, v10, vcc
	v_lshlrev_b32_e32 v10, 16, v5
	s_mov_b32 s4, 0x800000
	v_mov_b32_e32 v12, 0x80
	v_cmp_ngt_f32_e32 vcc, s4, v10
	v_cndmask_b32_e32 v5, v12, v5, vcc
	v_lshlrev_b32_e32 v10, 16, v5
	s_mov_b32 s4, 0x3f7e0000
	v_mov_b32_e32 v12, 0x3f7e
	v_cmp_nlt_f32_e32 vcc, s4, v10
	v_cndmask_b32_e32 v5, v12, v5, vcc
.LBB50_27:
	s_or_b64 exec, exec, s[2:3]
	v_or_b32_e32 v10, 0x500, v0
	v_cmp_gt_i32_e32 vcc, s16, v10
                                        ; implicit-def: $vgpr10
	s_and_saveexec_b64 s[2:3], vcc
	s_cbranch_execz .LBB50_29
; %bb.28:
	v_and_b32_e32 v10, 0xffff0000, v3
	v_lshlrev_b32_e32 v3, 16, v3
	v_div_scale_f32 v12, s[4:5], v10, v10, v3
	v_rcp_f32_e32 v13, v12
	s_movk_i32 s4, 0x7fff
	v_fma_f32 v14, -v12, v13, 1.0
	v_fmac_f32_e32 v13, v14, v13
	v_div_scale_f32 v14, vcc, v3, v10, v3
	v_mul_f32_e32 v15, v14, v13
	v_fma_f32 v16, -v12, v15, v14
	v_fmac_f32_e32 v15, v16, v13
	v_fma_f32 v12, -v12, v15, v14
	v_div_fmas_f32 v12, v12, v13, v15
	v_div_fixup_f32 v3, v12, v10, v3
	v_bfe_u32 v10, v3, 16, 1
	v_add3_u32 v10, v3, v10, s4
	v_lshrrev_b32_e32 v10, 16, v10
	v_mov_b32_e32 v12, 0x7fc0
	v_cmp_o_f32_e32 vcc, v3, v3
	v_cndmask_b32_e32 v3, v12, v10, vcc
	v_lshlrev_b32_e32 v10, 16, v3
	s_mov_b32 s4, 0x800000
	v_mov_b32_e32 v12, 0x80
	v_cmp_ngt_f32_e32 vcc, s4, v10
	v_cndmask_b32_e32 v3, v12, v3, vcc
	v_lshlrev_b32_e32 v10, 16, v3
	s_mov_b32 s4, 0x3f7e0000
	v_mov_b32_e32 v12, 0x3f7e
	v_cmp_nlt_f32_e32 vcc, s4, v10
	v_cndmask_b32_e32 v10, v12, v3, vcc
.LBB50_29:
	s_or_b64 exec, exec, s[2:3]
	v_or_b32_e32 v3, 0x600, v0
	v_cmp_gt_i32_e32 vcc, s16, v3
                                        ; implicit-def: $vgpr12
	s_and_saveexec_b64 s[2:3], vcc
	s_cbranch_execz .LBB50_31
; %bb.30:
	v_and_b32_e32 v3, 0xffff0000, v8
	v_lshlrev_b32_e32 v8, 16, v8
	v_div_scale_f32 v12, s[4:5], v3, v3, v8
	v_rcp_f32_e32 v13, v12
	s_movk_i32 s4, 0x7fff
	v_fma_f32 v14, -v12, v13, 1.0
	v_fmac_f32_e32 v13, v14, v13
	v_div_scale_f32 v14, vcc, v8, v3, v8
	v_mul_f32_e32 v15, v14, v13
	v_fma_f32 v16, -v12, v15, v14
	v_fmac_f32_e32 v15, v16, v13
	v_fma_f32 v12, -v12, v15, v14
	v_div_fmas_f32 v12, v12, v13, v15
	v_div_fixup_f32 v3, v12, v3, v8
	v_bfe_u32 v8, v3, 16, 1
	v_add3_u32 v8, v3, v8, s4
	v_lshrrev_b32_e32 v8, 16, v8
	v_mov_b32_e32 v12, 0x7fc0
	v_cmp_o_f32_e32 vcc, v3, v3
	v_cndmask_b32_e32 v3, v12, v8, vcc
	v_lshlrev_b32_e32 v8, 16, v3
	s_mov_b32 s4, 0x800000
	v_mov_b32_e32 v12, 0x80
	v_cmp_ngt_f32_e32 vcc, s4, v8
	v_cndmask_b32_e32 v3, v12, v3, vcc
	v_lshlrev_b32_e32 v8, 16, v3
	s_mov_b32 s4, 0x3f7e0000
	v_mov_b32_e32 v12, 0x3f7e
	v_cmp_nlt_f32_e32 vcc, s4, v8
	v_cndmask_b32_e32 v12, v12, v3, vcc
.LBB50_31:
	s_or_b64 exec, exec, s[2:3]
	v_or_b32_e32 v3, 0x700, v0
	v_cmp_gt_i32_e32 vcc, s16, v3
                                        ; implicit-def: $vgpr8
	s_and_saveexec_b64 s[2:3], vcc
	s_cbranch_execnz .LBB50_44
; %bb.32:
	s_or_b64 exec, exec, s[2:3]
	s_and_saveexec_b64 s[2:3], s[0:1]
	s_xor_b64 s[0:1], exec, s[2:3]
	s_cbranch_execnz .LBB50_45
.LBB50_33:
	s_or_b64 exec, exec, s[0:1]
	v_cmp_gt_i32_e32 vcc, s16, v0
	s_and_saveexec_b64 s[0:1], vcc
	s_cbranch_execnz .LBB50_46
.LBB50_34:
	s_or_b64 exec, exec, s[0:1]
	v_cmp_gt_i32_e32 vcc, s16, v0
	s_and_saveexec_b64 s[0:1], vcc
	s_cbranch_execnz .LBB50_47
.LBB50_35:
	s_or_b64 exec, exec, s[0:1]
	v_cmp_gt_i32_e32 vcc, s16, v0
	s_and_saveexec_b64 s[0:1], vcc
	s_cbranch_execnz .LBB50_48
.LBB50_36:
	s_or_b64 exec, exec, s[0:1]
	v_cmp_gt_i32_e32 vcc, s16, v0
	s_and_saveexec_b64 s[0:1], vcc
	s_cbranch_execnz .LBB50_49
.LBB50_37:
	s_or_b64 exec, exec, s[0:1]
	v_cmp_gt_i32_e32 vcc, s16, v0
	s_and_saveexec_b64 s[0:1], vcc
	s_cbranch_execnz .LBB50_50
.LBB50_38:
	s_or_b64 exec, exec, s[0:1]
	v_cmp_gt_i32_e32 vcc, s16, v0
	s_and_saveexec_b64 s[0:1], vcc
	s_cbranch_execnz .LBB50_51
.LBB50_39:
	s_or_b64 exec, exec, s[0:1]
	v_cmp_gt_i32_e32 vcc, s16, v0
	s_and_saveexec_b64 s[0:1], vcc
	s_cbranch_execz .LBB50_41
.LBB50_40:
	v_add_u32_e32 v0, s6, v0
	v_mov_b32_e32 v1, 0
	v_lshlrev_b64 v[0:1], 1, v[0:1]
	v_mov_b32_e32 v2, s9
	v_add_co_u32_e32 v0, vcc, s8, v0
	v_addc_co_u32_e32 v1, vcc, v2, v1, vcc
	global_store_short v[0:1], v8, off
.LBB50_41:
	s_endpgm
.LBB50_42:
	v_add_u32_e32 v8, s6, v4
	v_mov_b32_e32 v9, 0
	v_lshlrev_b64 v[8:9], 1, v[8:9]
	v_mov_b32_e32 v13, s13
	v_add_co_u32_e32 v12, vcc, s12, v8
	v_addc_co_u32_e32 v13, vcc, v13, v9, vcc
	v_mov_b32_e32 v14, s11
	v_add_co_u32_e32 v8, vcc, s10, v8
	v_addc_co_u32_e32 v9, vcc, v14, v9, vcc
	global_load_ushort v14, v[8:9], off
	global_load_ushort v15, v[12:13], off
	s_mov_b32 s4, 0x5040100
	v_add_u32_e32 v4, 0x100, v4
	s_waitcnt vmcnt(0)
	v_perm_b32 v8, v15, v14, s4
	s_or_b64 exec, exec, s[2:3]
	v_cmp_gt_i32_e32 vcc, s16, v4
	s_and_saveexec_b64 s[2:3], vcc
	s_cbranch_execz .LBB50_17
.LBB50_43:
	v_add_u32_e32 v12, s6, v4
	v_mov_b32_e32 v13, 0
	v_lshlrev_b64 v[12:13], 1, v[12:13]
	v_mov_b32_e32 v1, s13
	v_add_co_u32_e32 v14, vcc, s12, v12
	v_addc_co_u32_e32 v15, vcc, v1, v13, vcc
	v_mov_b32_e32 v1, s11
	v_add_co_u32_e32 v12, vcc, s10, v12
	v_addc_co_u32_e32 v13, vcc, v1, v13, vcc
	global_load_ushort v1, v[12:13], off
	global_load_ushort v4, v[14:15], off
	s_mov_b32 s4, 0x5040100
	s_waitcnt vmcnt(0)
	v_perm_b32 v1, v4, v1, s4
	s_or_b64 exec, exec, s[2:3]
                                        ; implicit-def: $vgpr4
	s_and_saveexec_b64 s[2:3], s[0:1]
	s_cbranch_execnz .LBB50_18
	s_branch .LBB50_19
.LBB50_44:
	v_and_b32_e32 v3, 0xffff0000, v1
	v_lshlrev_b32_e32 v1, 16, v1
	v_div_scale_f32 v8, s[4:5], v3, v3, v1
	v_rcp_f32_e32 v13, v8
	s_movk_i32 s4, 0x7fff
	v_fma_f32 v14, -v8, v13, 1.0
	v_fmac_f32_e32 v13, v14, v13
	v_div_scale_f32 v14, vcc, v1, v3, v1
	v_mul_f32_e32 v15, v14, v13
	v_fma_f32 v16, -v8, v15, v14
	v_fmac_f32_e32 v15, v16, v13
	v_fma_f32 v8, -v8, v15, v14
	v_div_fmas_f32 v8, v8, v13, v15
	v_div_fixup_f32 v1, v8, v3, v1
	v_bfe_u32 v3, v1, 16, 1
	v_add3_u32 v3, v1, v3, s4
	v_lshrrev_b32_e32 v3, 16, v3
	v_mov_b32_e32 v8, 0x7fc0
	v_cmp_o_f32_e32 vcc, v1, v1
	v_cndmask_b32_e32 v1, v8, v3, vcc
	v_lshlrev_b32_e32 v3, 16, v1
	s_mov_b32 s4, 0x800000
	v_mov_b32_e32 v8, 0x80
	v_cmp_ngt_f32_e32 vcc, s4, v3
	v_cndmask_b32_e32 v1, v8, v1, vcc
	v_lshlrev_b32_e32 v3, 16, v1
	s_mov_b32 s4, 0x3f7e0000
	v_mov_b32_e32 v8, 0x3f7e
	v_cmp_nlt_f32_e32 vcc, s4, v3
	v_cndmask_b32_e32 v8, v8, v1, vcc
	s_or_b64 exec, exec, s[2:3]
	s_and_saveexec_b64 s[2:3], s[0:1]
	s_xor_b64 s[0:1], exec, s[2:3]
	s_cbranch_execz .LBB50_33
.LBB50_45:
	v_mov_b32_e32 v3, 0
	v_lshlrev_b64 v[0:1], 1, v[2:3]
	v_mov_b32_e32 v2, s9
	v_add_co_u32_e32 v0, vcc, s8, v0
	v_addc_co_u32_e32 v1, vcc, v2, v1, vcc
	global_store_short v[0:1], v4, off
	v_mov_b32_e32 v0, v6
	s_or_b64 exec, exec, s[0:1]
	v_cmp_gt_i32_e32 vcc, s16, v0
	s_and_saveexec_b64 s[0:1], vcc
	s_cbranch_execz .LBB50_34
.LBB50_46:
	v_add_u32_e32 v2, s6, v0
	v_mov_b32_e32 v3, 0
	v_lshlrev_b64 v[2:3], 1, v[2:3]
	v_mov_b32_e32 v1, s9
	v_add_co_u32_e32 v2, vcc, s8, v2
	v_addc_co_u32_e32 v3, vcc, v1, v3, vcc
	v_add_u32_e32 v0, 0x100, v0
	global_store_short v[2:3], v9, off
	s_or_b64 exec, exec, s[0:1]
	v_cmp_gt_i32_e32 vcc, s16, v0
	s_and_saveexec_b64 s[0:1], vcc
	s_cbranch_execz .LBB50_35
.LBB50_47:
	v_add_u32_e32 v2, s6, v0
	v_mov_b32_e32 v3, 0
	v_lshlrev_b64 v[2:3], 1, v[2:3]
	v_mov_b32_e32 v1, s9
	v_add_co_u32_e32 v2, vcc, s8, v2
	v_addc_co_u32_e32 v3, vcc, v1, v3, vcc
	v_add_u32_e32 v0, 0x100, v0
	global_store_short v[2:3], v7, off
	s_or_b64 exec, exec, s[0:1]
	v_cmp_gt_i32_e32 vcc, s16, v0
	s_and_saveexec_b64 s[0:1], vcc
	s_cbranch_execz .LBB50_36
.LBB50_48:
	v_add_u32_e32 v2, s6, v0
	v_mov_b32_e32 v3, 0
	v_lshlrev_b64 v[2:3], 1, v[2:3]
	v_mov_b32_e32 v1, s9
	v_add_co_u32_e32 v2, vcc, s8, v2
	v_addc_co_u32_e32 v3, vcc, v1, v3, vcc
	v_add_u32_e32 v0, 0x100, v0
	global_store_short v[2:3], v11, off
	s_or_b64 exec, exec, s[0:1]
	v_cmp_gt_i32_e32 vcc, s16, v0
	s_and_saveexec_b64 s[0:1], vcc
	s_cbranch_execz .LBB50_37
.LBB50_49:
	v_add_u32_e32 v2, s6, v0
	v_mov_b32_e32 v3, 0
	v_lshlrev_b64 v[2:3], 1, v[2:3]
	v_mov_b32_e32 v1, s9
	v_add_co_u32_e32 v2, vcc, s8, v2
	v_addc_co_u32_e32 v3, vcc, v1, v3, vcc
	v_add_u32_e32 v0, 0x100, v0
	global_store_short v[2:3], v5, off
	s_or_b64 exec, exec, s[0:1]
	v_cmp_gt_i32_e32 vcc, s16, v0
	s_and_saveexec_b64 s[0:1], vcc
	s_cbranch_execz .LBB50_38
.LBB50_50:
	v_add_u32_e32 v2, s6, v0
	v_mov_b32_e32 v3, 0
	v_lshlrev_b64 v[2:3], 1, v[2:3]
	v_mov_b32_e32 v1, s9
	v_add_co_u32_e32 v2, vcc, s8, v2
	v_addc_co_u32_e32 v3, vcc, v1, v3, vcc
	v_add_u32_e32 v0, 0x100, v0
	global_store_short v[2:3], v10, off
	s_or_b64 exec, exec, s[0:1]
	v_cmp_gt_i32_e32 vcc, s16, v0
	s_and_saveexec_b64 s[0:1], vcc
	s_cbranch_execz .LBB50_39
.LBB50_51:
	v_add_u32_e32 v2, s6, v0
	v_mov_b32_e32 v3, 0
	v_lshlrev_b64 v[2:3], 1, v[2:3]
	v_mov_b32_e32 v1, s9
	v_add_co_u32_e32 v2, vcc, s8, v2
	v_addc_co_u32_e32 v3, vcc, v1, v3, vcc
	v_add_u32_e32 v0, 0x100, v0
	global_store_short v[2:3], v12, off
	s_or_b64 exec, exec, s[0:1]
	v_cmp_gt_i32_e32 vcc, s16, v0
	s_and_saveexec_b64 s[0:1], vcc
	s_cbranch_execnz .LBB50_40
	s_branch .LBB50_41
	.section	.rodata,"a",@progbits
	.p2align	6, 0x0
	.amdhsa_kernel _ZN2at6native29vectorized_elementwise_kernelILi8EZZZNS0_23launch_dirichlet_kernelERNS_18TensorIteratorBaseEENKUlvE_clEvENKUlvE2_clEvEUlN3c108BFloat16ES7_E_St5arrayIPcLm3EEEEviT0_T1_
		.amdhsa_group_segment_fixed_size 0
		.amdhsa_private_segment_fixed_size 0
		.amdhsa_kernarg_size 32
		.amdhsa_user_sgpr_count 6
		.amdhsa_user_sgpr_private_segment_buffer 1
		.amdhsa_user_sgpr_dispatch_ptr 0
		.amdhsa_user_sgpr_queue_ptr 0
		.amdhsa_user_sgpr_kernarg_segment_ptr 1
		.amdhsa_user_sgpr_dispatch_id 0
		.amdhsa_user_sgpr_flat_scratch_init 0
		.amdhsa_user_sgpr_kernarg_preload_length 0
		.amdhsa_user_sgpr_kernarg_preload_offset 0
		.amdhsa_user_sgpr_private_segment_size 0
		.amdhsa_uses_dynamic_stack 0
		.amdhsa_system_sgpr_private_segment_wavefront_offset 0
		.amdhsa_system_sgpr_workgroup_id_x 1
		.amdhsa_system_sgpr_workgroup_id_y 0
		.amdhsa_system_sgpr_workgroup_id_z 0
		.amdhsa_system_sgpr_workgroup_info 0
		.amdhsa_system_vgpr_workitem_id 0
		.amdhsa_next_free_vgpr 37
		.amdhsa_next_free_sgpr 19
		.amdhsa_accum_offset 40
		.amdhsa_reserve_vcc 1
		.amdhsa_reserve_flat_scratch 0
		.amdhsa_float_round_mode_32 0
		.amdhsa_float_round_mode_16_64 0
		.amdhsa_float_denorm_mode_32 3
		.amdhsa_float_denorm_mode_16_64 3
		.amdhsa_dx10_clamp 1
		.amdhsa_ieee_mode 1
		.amdhsa_fp16_overflow 0
		.amdhsa_tg_split 0
		.amdhsa_exception_fp_ieee_invalid_op 0
		.amdhsa_exception_fp_denorm_src 0
		.amdhsa_exception_fp_ieee_div_zero 0
		.amdhsa_exception_fp_ieee_overflow 0
		.amdhsa_exception_fp_ieee_underflow 0
		.amdhsa_exception_fp_ieee_inexact 0
		.amdhsa_exception_int_div_zero 0
	.end_amdhsa_kernel
	.section	.text._ZN2at6native29vectorized_elementwise_kernelILi8EZZZNS0_23launch_dirichlet_kernelERNS_18TensorIteratorBaseEENKUlvE_clEvENKUlvE2_clEvEUlN3c108BFloat16ES7_E_St5arrayIPcLm3EEEEviT0_T1_,"axG",@progbits,_ZN2at6native29vectorized_elementwise_kernelILi8EZZZNS0_23launch_dirichlet_kernelERNS_18TensorIteratorBaseEENKUlvE_clEvENKUlvE2_clEvEUlN3c108BFloat16ES7_E_St5arrayIPcLm3EEEEviT0_T1_,comdat
.Lfunc_end50:
	.size	_ZN2at6native29vectorized_elementwise_kernelILi8EZZZNS0_23launch_dirichlet_kernelERNS_18TensorIteratorBaseEENKUlvE_clEvENKUlvE2_clEvEUlN3c108BFloat16ES7_E_St5arrayIPcLm3EEEEviT0_T1_, .Lfunc_end50-_ZN2at6native29vectorized_elementwise_kernelILi8EZZZNS0_23launch_dirichlet_kernelERNS_18TensorIteratorBaseEENKUlvE_clEvENKUlvE2_clEvEUlN3c108BFloat16ES7_E_St5arrayIPcLm3EEEEviT0_T1_
                                        ; -- End function
	.section	.AMDGPU.csdata,"",@progbits
; Kernel info:
; codeLenInByte = 4392
; NumSgprs: 23
; NumVgprs: 37
; NumAgprs: 0
; TotalNumVgprs: 37
; ScratchSize: 0
; MemoryBound: 0
; FloatMode: 240
; IeeeMode: 1
; LDSByteSize: 0 bytes/workgroup (compile time only)
; SGPRBlocks: 2
; VGPRBlocks: 4
; NumSGPRsForWavesPerEU: 23
; NumVGPRsForWavesPerEU: 37
; AccumOffset: 40
; Occupancy: 8
; WaveLimiterHint : 0
; COMPUTE_PGM_RSRC2:SCRATCH_EN: 0
; COMPUTE_PGM_RSRC2:USER_SGPR: 6
; COMPUTE_PGM_RSRC2:TRAP_HANDLER: 0
; COMPUTE_PGM_RSRC2:TGID_X_EN: 1
; COMPUTE_PGM_RSRC2:TGID_Y_EN: 0
; COMPUTE_PGM_RSRC2:TGID_Z_EN: 0
; COMPUTE_PGM_RSRC2:TIDIG_COMP_CNT: 0
; COMPUTE_PGM_RSRC3_GFX90A:ACCUM_OFFSET: 9
; COMPUTE_PGM_RSRC3_GFX90A:TG_SPLIT: 0
	.section	.text._ZN2at6native29vectorized_elementwise_kernelILi4EZZZNS0_23launch_dirichlet_kernelERNS_18TensorIteratorBaseEENKUlvE_clEvENKUlvE2_clEvEUlN3c108BFloat16ES7_E_St5arrayIPcLm3EEEEviT0_T1_,"axG",@progbits,_ZN2at6native29vectorized_elementwise_kernelILi4EZZZNS0_23launch_dirichlet_kernelERNS_18TensorIteratorBaseEENKUlvE_clEvENKUlvE2_clEvEUlN3c108BFloat16ES7_E_St5arrayIPcLm3EEEEviT0_T1_,comdat
	.globl	_ZN2at6native29vectorized_elementwise_kernelILi4EZZZNS0_23launch_dirichlet_kernelERNS_18TensorIteratorBaseEENKUlvE_clEvENKUlvE2_clEvEUlN3c108BFloat16ES7_E_St5arrayIPcLm3EEEEviT0_T1_ ; -- Begin function _ZN2at6native29vectorized_elementwise_kernelILi4EZZZNS0_23launch_dirichlet_kernelERNS_18TensorIteratorBaseEENKUlvE_clEvENKUlvE2_clEvEUlN3c108BFloat16ES7_E_St5arrayIPcLm3EEEEviT0_T1_
	.p2align	8
	.type	_ZN2at6native29vectorized_elementwise_kernelILi4EZZZNS0_23launch_dirichlet_kernelERNS_18TensorIteratorBaseEENKUlvE_clEvENKUlvE2_clEvEUlN3c108BFloat16ES7_E_St5arrayIPcLm3EEEEviT0_T1_,@function
_ZN2at6native29vectorized_elementwise_kernelILi4EZZZNS0_23launch_dirichlet_kernelERNS_18TensorIteratorBaseEENKUlvE_clEvENKUlvE2_clEvEUlN3c108BFloat16ES7_E_St5arrayIPcLm3EEEEviT0_T1_: ; @_ZN2at6native29vectorized_elementwise_kernelILi4EZZZNS0_23launch_dirichlet_kernelERNS_18TensorIteratorBaseEENKUlvE_clEvENKUlvE2_clEvEUlN3c108BFloat16ES7_E_St5arrayIPcLm3EEEEviT0_T1_
; %bb.0:
	s_load_dword s0, s[4:5], 0x0
	s_load_dwordx4 s[8:11], s[4:5], 0x8
	s_load_dwordx2 s[12:13], s[4:5], 0x18
	s_lshl_b32 s6, s6, 11
	s_waitcnt lgkmcnt(0)
	s_sub_i32 s16, s0, s6
	s_cmpk_gt_i32 s16, 0x7ff
	s_mov_b64 s[0:1], -1
	s_cbranch_scc0 .LBB51_2
; %bb.1:
	s_ashr_i32 s7, s6, 31
	s_lshl_b64 s[14:15], s[6:7], 1
	s_add_u32 s0, s10, s14
	s_addc_u32 s1, s11, s15
	v_lshlrev_b32_e32 v1, 3, v0
	s_add_u32 s2, s12, s14
	global_load_dwordx2 v[4:5], v1, s[0:1]
	s_addc_u32 s3, s13, s15
	global_load_dwordx2 v[6:7], v1, s[2:3]
	global_load_dwordx2 v[2:3], v1, s[0:1] offset:2048
	global_load_dwordx2 v[8:9], v1, s[2:3] offset:2048
	s_movk_i32 s7, 0x7fff
	v_mov_b32_e32 v10, 0x7fc0
	s_mov_b32 s17, 0x800000
	v_mov_b32_e32 v11, 0x80
	s_waitcnt vmcnt(3)
	v_lshlrev_b32_e32 v12, 16, v4
	s_waitcnt vmcnt(2)
	v_lshlrev_b32_e32 v14, 16, v6
	v_div_scale_f32 v16, s[0:1], v14, v14, v12
	v_and_b32_e32 v4, 0xffff0000, v4
	v_and_b32_e32 v6, 0xffff0000, v6
	v_rcp_f32_e32 v24, v16
	v_lshlrev_b32_e32 v13, 16, v5
	v_lshlrev_b32_e32 v15, 16, v7
	v_div_scale_f32 v18, s[0:1], v6, v6, v4
	v_and_b32_e32 v5, 0xffff0000, v5
	v_and_b32_e32 v7, 0xffff0000, v7
	v_div_scale_f32 v20, s[2:3], v15, v15, v13
	v_rcp_f32_e32 v25, v18
	v_div_scale_f32 v22, s[4:5], v7, v7, v5
	v_rcp_f32_e32 v26, v20
	v_rcp_f32_e32 v27, v22
	v_fma_f32 v28, -v16, v24, 1.0
	v_div_scale_f32 v17, vcc, v12, v14, v12
	v_fmac_f32_e32 v24, v28, v24
	v_fma_f32 v29, -v18, v25, 1.0
	v_mul_f32_e32 v28, v17, v24
	v_div_scale_f32 v19, s[0:1], v4, v6, v4
	v_fma_f32 v30, -v20, v26, 1.0
	v_fmac_f32_e32 v25, v29, v25
	v_fma_f32 v32, -v16, v28, v17
	v_div_scale_f32 v21, s[2:3], v13, v15, v13
	v_fma_f32 v31, -v22, v27, 1.0
	v_fmac_f32_e32 v26, v30, v26
	v_mul_f32_e32 v29, v19, v25
	v_fmac_f32_e32 v28, v32, v24
	v_div_scale_f32 v23, s[4:5], v5, v7, v5
	v_fmac_f32_e32 v27, v31, v27
	v_mul_f32_e32 v30, v21, v26
	v_fma_f32 v33, -v18, v29, v19
	v_fma_f32 v16, -v16, v28, v17
	v_mul_f32_e32 v31, v23, v27
	v_fma_f32 v34, -v20, v30, v21
	v_fmac_f32_e32 v29, v33, v25
	v_div_fmas_f32 v16, v16, v24, v28
	v_fma_f32 v35, -v22, v31, v23
	v_fmac_f32_e32 v30, v34, v26
	v_fma_f32 v17, -v18, v29, v19
	v_div_fixup_f32 v12, v16, v14, v12
	s_mov_b64 vcc, s[0:1]
	v_fmac_f32_e32 v31, v35, v27
	v_fma_f32 v18, -v20, v30, v21
	v_div_fmas_f32 v14, v17, v25, v29
	v_bfe_u32 v16, v12, 16, 1
	s_mov_b64 vcc, s[2:3]
	v_fma_f32 v19, -v22, v31, v23
	v_div_fixup_f32 v4, v14, v6, v4
	v_div_fmas_f32 v6, v18, v26, v30
	v_add3_u32 v14, v12, v16, s7
	s_mov_b64 vcc, s[4:5]
	v_bfe_u32 v16, v4, 16, 1
	v_div_fixup_f32 v6, v6, v15, v13
	v_div_fmas_f32 v13, v19, v27, v31
	v_lshrrev_b32_e32 v14, 16, v14
	v_cmp_o_f32_e32 vcc, v12, v12
	v_add3_u32 v15, v4, v16, s7
	v_div_fixup_f32 v5, v13, v7, v5
	v_cndmask_b32_e32 v7, v10, v14, vcc
	v_bfe_u32 v16, v6, 16, 1
	v_lshrrev_b32_e32 v12, 16, v15
	v_lshlrev_b32_e32 v15, 16, v7
	v_cmp_o_f32_e32 vcc, v4, v4
	v_add3_u32 v13, v6, v16, s7
	v_cndmask_b32_e32 v4, v10, v12, vcc
	v_cmp_ngt_f32_e32 vcc, s17, v15
	v_bfe_u32 v14, v5, 16, 1
	v_lshrrev_b32_e32 v12, 16, v13
	v_cndmask_b32_e32 v7, v11, v7, vcc
	v_cmp_o_f32_e32 vcc, v6, v6
	v_add3_u32 v13, v5, v14, s7
	v_lshlrev_b32_e32 v14, 16, v4
	v_cndmask_b32_e32 v6, v10, v12, vcc
	s_waitcnt vmcnt(1)
	v_lshlrev_b32_e32 v15, 16, v2
	s_waitcnt vmcnt(0)
	v_lshlrev_b32_e32 v16, 16, v8
	v_cmp_ngt_f32_e32 vcc, s17, v14
	v_lshlrev_b32_e32 v14, 16, v6
	v_div_scale_f32 v17, s[0:1], v16, v16, v15
	v_cndmask_b32_e32 v4, v11, v4, vcc
	v_cmp_ngt_f32_e32 vcc, s17, v14
	v_rcp_f32_e32 v18, v17
	v_cndmask_b32_e32 v6, v11, v6, vcc
	v_lshrrev_b32_e32 v13, 16, v13
	v_cmp_o_f32_e32 vcc, v5, v5
	v_cndmask_b32_e32 v5, v10, v13, vcc
	v_lshlrev_b32_e32 v13, 16, v5
	v_cmp_ngt_f32_e32 vcc, s17, v13
	v_fma_f32 v13, -v17, v18, 1.0
	v_cndmask_b32_e32 v5, v11, v5, vcc
	v_fmac_f32_e32 v18, v13, v18
	v_div_scale_f32 v13, vcc, v15, v16, v15
	v_mul_f32_e32 v19, v13, v18
	v_fma_f32 v20, -v17, v19, v13
	v_fmac_f32_e32 v19, v20, v18
	v_fma_f32 v13, -v17, v19, v13
	v_div_fmas_f32 v13, v13, v18, v19
	v_div_fixup_f32 v13, v13, v16, v15
	v_and_b32_e32 v2, 0xffff0000, v2
	v_and_b32_e32 v8, 0xffff0000, v8
	v_bfe_u32 v15, v13, 16, 1
	v_div_scale_f32 v16, s[0:1], v8, v8, v2
	v_add3_u32 v15, v13, v15, s7
	v_rcp_f32_e32 v17, v16
	v_lshrrev_b32_e32 v15, 16, v15
	v_cmp_o_f32_e32 vcc, v13, v13
	v_cndmask_b32_e32 v13, v10, v15, vcc
	v_lshlrev_b32_e32 v15, 16, v13
	v_cmp_ngt_f32_e32 vcc, s17, v15
	v_fma_f32 v18, -v16, v17, 1.0
	v_cndmask_b32_e32 v13, v11, v13, vcc
	v_fmac_f32_e32 v17, v18, v17
	v_div_scale_f32 v18, vcc, v2, v8, v2
	v_mul_f32_e32 v19, v18, v17
	v_fma_f32 v20, -v16, v19, v18
	v_fmac_f32_e32 v19, v20, v17
	v_fma_f32 v16, -v16, v19, v18
	v_div_fmas_f32 v16, v16, v17, v19
	v_div_fixup_f32 v2, v16, v8, v2
	v_bfe_u32 v8, v2, 16, 1
	v_add3_u32 v8, v2, v8, s7
	v_lshlrev_b32_e32 v16, 16, v3
	v_lshlrev_b32_e32 v17, 16, v9
	v_lshrrev_b32_e32 v8, 16, v8
	v_cmp_o_f32_e32 vcc, v2, v2
	v_div_scale_f32 v18, s[0:1], v17, v17, v16
	v_cndmask_b32_e32 v2, v10, v8, vcc
	v_rcp_f32_e32 v19, v18
	v_lshlrev_b32_e32 v8, 16, v2
	v_cmp_ngt_f32_e32 vcc, s17, v8
	v_cndmask_b32_e32 v2, v11, v2, vcc
	v_lshlrev_b32_e32 v8, 16, v2
	v_fma_f32 v2, -v18, v19, 1.0
	v_fmac_f32_e32 v19, v2, v19
	v_div_scale_f32 v2, vcc, v16, v17, v16
	v_mul_f32_e32 v20, v2, v19
	v_fma_f32 v21, -v18, v20, v2
	v_fmac_f32_e32 v20, v21, v19
	v_fma_f32 v2, -v18, v20, v2
	v_div_fmas_f32 v2, v2, v19, v20
	v_div_fixup_f32 v2, v2, v17, v16
	v_bfe_u32 v16, v2, 16, 1
	v_and_b32_e32 v3, 0xffff0000, v3
	v_and_b32_e32 v9, 0xffff0000, v9
	v_add3_u32 v16, v2, v16, s7
	v_div_scale_f32 v17, s[0:1], v9, v9, v3
	v_lshrrev_b32_e32 v16, 16, v16
	v_cmp_o_f32_e32 vcc, v2, v2
	v_rcp_f32_e32 v18, v17
	v_cndmask_b32_e32 v2, v10, v16, vcc
	v_lshlrev_b32_e32 v16, 16, v2
	v_cmp_ngt_f32_e32 vcc, s17, v16
	v_cndmask_b32_e32 v16, v11, v2, vcc
	v_fma_f32 v2, -v17, v18, 1.0
	v_fmac_f32_e32 v18, v2, v18
	v_div_scale_f32 v2, vcc, v3, v9, v3
	v_mul_f32_e32 v20, v2, v18
	v_fma_f32 v21, -v17, v20, v2
	v_fmac_f32_e32 v20, v21, v18
	v_fma_f32 v2, -v17, v20, v2
	v_div_fmas_f32 v2, v2, v18, v20
	v_div_fixup_f32 v2, v2, v9, v3
	v_bfe_u32 v3, v2, 16, 1
	v_add3_u32 v3, v2, v3, s7
	v_lshrrev_b32_e32 v3, 16, v3
	v_cmp_o_f32_e32 vcc, v2, v2
	v_cndmask_b32_e32 v2, v10, v3, vcc
	v_lshlrev_b32_e32 v3, 16, v2
	v_lshlrev_b32_e32 v5, 16, v5
	v_cmp_ngt_f32_e32 vcc, s17, v3
	s_mov_b32 s2, 0x3f7e0000
	v_lshlrev_b32_e32 v14, 16, v6
	v_cndmask_b32_e32 v2, v11, v2, vcc
	v_mov_b32_e32 v10, 0x3f7e0000
	v_cmp_nlt_f32_e32 vcc, s2, v5
	v_lshlrev_b32_e32 v4, 16, v4
	v_lshlrev_b32_e32 v9, 16, v2
	v_cndmask_b32_e32 v2, v10, v5, vcc
	v_and_b32_e32 v3, 0xffff, v6
	v_mov_b32_e32 v5, 0x3f7e
	v_cmp_nlt_f32_e32 vcc, s2, v14
	v_lshlrev_b32_e32 v12, 16, v7
	v_cndmask_b32_e32 v3, v5, v3, vcc
	v_cmp_nlt_f32_e32 vcc, s2, v4
	v_and_b32_e32 v7, 0xffff, v7
	v_cndmask_b32_e32 v4, v10, v4, vcc
	v_cmp_nlt_f32_e32 vcc, s2, v12
	v_cndmask_b32_e32 v6, v5, v7, vcc
	s_add_u32 s0, s8, s14
	v_or_b32_e32 v4, v4, v6
	v_lshlrev_b32_e32 v19, 16, v16
	s_addc_u32 s1, s9, s15
	v_or3_b32 v3, 0, v3, v2
	v_or3_b32 v2, v4, 0, 0
	v_cmp_nlt_f32_e32 vcc, s2, v9
	global_store_dwordx2 v1, v[2:3], s[0:1]
	v_cndmask_b32_e32 v2, v10, v9, vcc
	v_and_b32_e32 v3, 0xffff, v16
	v_cmp_nlt_f32_e32 vcc, s2, v19
	v_lshlrev_b32_e32 v15, 16, v13
	v_cndmask_b32_e32 v3, v5, v3, vcc
	v_cmp_nlt_f32_e32 vcc, s2, v8
	v_and_b32_e32 v13, 0xffff, v13
	v_cndmask_b32_e32 v4, v10, v8, vcc
	v_cmp_nlt_f32_e32 vcc, s2, v15
	v_cndmask_b32_e32 v5, v5, v13, vcc
	v_or_b32_e32 v4, v4, v5
	v_or3_b32 v3, 0, v3, v2
	v_or3_b32 v2, v4, 0, 0
	global_store_dwordx2 v1, v[2:3], s[0:1] offset:2048
	s_mov_b64 s[0:1], 0
.LBB51_2:
	s_andn2_b64 vcc, exec, s[0:1]
	s_cbranch_vccnz .LBB51_41
; %bb.3:
	v_cmp_gt_i32_e64 s[0:1], s16, v0
	v_mov_b32_e32 v7, 0
	v_or_b32_e32 v2, s6, v0
	v_mov_b32_e32 v4, v0
	v_mov_b32_e32 v6, 0
	s_and_saveexec_b64 s[2:3], s[0:1]
	s_cbranch_execz .LBB51_5
; %bb.4:
	v_mov_b32_e32 v3, 0
	v_lshlrev_b64 v[4:5], 1, v[2:3]
	v_mov_b32_e32 v1, s13
	v_add_co_u32_e32 v8, vcc, s12, v4
	v_addc_co_u32_e32 v9, vcc, v1, v5, vcc
	v_mov_b32_e32 v1, s11
	v_add_co_u32_e32 v4, vcc, s10, v4
	v_addc_co_u32_e32 v5, vcc, v1, v5, vcc
	global_load_ushort v1, v[4:5], off
	global_load_ushort v3, v[8:9], off
	s_mov_b32 s4, 0x5040100
	v_or_b32_e32 v4, 0x100, v0
	s_waitcnt vmcnt(0)
	v_perm_b32 v6, v3, v1, s4
.LBB51_5:
	s_or_b64 exec, exec, s[2:3]
	v_cmp_gt_i32_e32 vcc, s16, v4
	s_and_saveexec_b64 s[2:3], vcc
	s_cbranch_execz .LBB51_7
; %bb.6:
	v_add_u32_e32 v8, s6, v4
	v_mov_b32_e32 v9, 0
	v_lshlrev_b64 v[8:9], 1, v[8:9]
	v_mov_b32_e32 v1, s13
	v_add_co_u32_e32 v10, vcc, s12, v8
	v_addc_co_u32_e32 v11, vcc, v1, v9, vcc
	v_mov_b32_e32 v1, s11
	v_add_co_u32_e32 v8, vcc, s10, v8
	v_addc_co_u32_e32 v9, vcc, v1, v9, vcc
	global_load_ushort v1, v[8:9], off
	global_load_ushort v3, v[10:11], off
	s_mov_b32 s4, 0x5040100
	v_add_u32_e32 v4, 0x100, v4
	s_waitcnt vmcnt(0)
	v_perm_b32 v7, v3, v1, s4
.LBB51_7:
	s_or_b64 exec, exec, s[2:3]
	v_cmp_gt_i32_e32 vcc, s16, v4
	v_mov_b32_e32 v5, 0
	v_mov_b32_e32 v11, 0
	s_and_saveexec_b64 s[2:3], vcc
	s_cbranch_execz .LBB51_9
; %bb.8:
	v_add_u32_e32 v8, s6, v4
	v_mov_b32_e32 v9, 0
	v_lshlrev_b64 v[8:9], 1, v[8:9]
	v_mov_b32_e32 v1, s13
	v_add_co_u32_e32 v10, vcc, s12, v8
	v_addc_co_u32_e32 v11, vcc, v1, v9, vcc
	v_mov_b32_e32 v1, s11
	v_add_co_u32_e32 v8, vcc, s10, v8
	v_addc_co_u32_e32 v9, vcc, v1, v9, vcc
	global_load_ushort v1, v[8:9], off
	global_load_ushort v3, v[10:11], off
	s_mov_b32 s4, 0x5040100
	v_add_u32_e32 v4, 0x100, v4
	s_waitcnt vmcnt(0)
	v_perm_b32 v11, v3, v1, s4
.LBB51_9:
	s_or_b64 exec, exec, s[2:3]
	v_cmp_gt_i32_e32 vcc, s16, v4
	s_and_saveexec_b64 s[2:3], vcc
	s_cbranch_execz .LBB51_11
; %bb.10:
	v_add_u32_e32 v8, s6, v4
	v_mov_b32_e32 v9, 0
	v_lshlrev_b64 v[8:9], 1, v[8:9]
	v_mov_b32_e32 v1, s13
	v_add_co_u32_e32 v12, vcc, s12, v8
	v_addc_co_u32_e32 v13, vcc, v1, v9, vcc
	v_mov_b32_e32 v1, s11
	v_add_co_u32_e32 v8, vcc, s10, v8
	v_addc_co_u32_e32 v9, vcc, v1, v9, vcc
	global_load_ushort v1, v[8:9], off
	global_load_ushort v3, v[12:13], off
	s_mov_b32 s4, 0x5040100
	v_add_u32_e32 v4, 0x100, v4
	s_waitcnt vmcnt(0)
	v_perm_b32 v5, v3, v1, s4
.LBB51_11:
	s_or_b64 exec, exec, s[2:3]
	v_cmp_gt_i32_e32 vcc, s16, v4
	v_mov_b32_e32 v3, 0
	v_mov_b32_e32 v10, 0
	s_and_saveexec_b64 s[2:3], vcc
	s_cbranch_execz .LBB51_13
; %bb.12:
	v_add_u32_e32 v8, s6, v4
	v_mov_b32_e32 v9, 0
	v_lshlrev_b64 v[8:9], 1, v[8:9]
	v_mov_b32_e32 v1, s13
	v_add_co_u32_e32 v12, vcc, s12, v8
	v_addc_co_u32_e32 v13, vcc, v1, v9, vcc
	v_mov_b32_e32 v1, s11
	v_add_co_u32_e32 v8, vcc, s10, v8
	v_addc_co_u32_e32 v9, vcc, v1, v9, vcc
	global_load_ushort v1, v[8:9], off
	global_load_ushort v10, v[12:13], off
	s_mov_b32 s4, 0x5040100
	v_add_u32_e32 v4, 0x100, v4
	s_waitcnt vmcnt(0)
	v_perm_b32 v10, v10, v1, s4
.LBB51_13:
	s_or_b64 exec, exec, s[2:3]
	v_cmp_gt_i32_e32 vcc, s16, v4
	s_and_saveexec_b64 s[2:3], vcc
	s_cbranch_execz .LBB51_15
; %bb.14:
	v_add_u32_e32 v8, s6, v4
	v_mov_b32_e32 v9, 0
	v_lshlrev_b64 v[8:9], 1, v[8:9]
	v_mov_b32_e32 v1, s13
	v_add_co_u32_e32 v12, vcc, s12, v8
	v_addc_co_u32_e32 v13, vcc, v1, v9, vcc
	v_mov_b32_e32 v1, s11
	v_add_co_u32_e32 v8, vcc, s10, v8
	v_addc_co_u32_e32 v9, vcc, v1, v9, vcc
	global_load_ushort v1, v[8:9], off
	global_load_ushort v3, v[12:13], off
	s_mov_b32 s4, 0x5040100
	v_add_u32_e32 v4, 0x100, v4
	s_waitcnt vmcnt(0)
	v_perm_b32 v3, v3, v1, s4
.LBB51_15:
	s_or_b64 exec, exec, s[2:3]
	v_cmp_gt_i32_e32 vcc, s16, v4
	v_mov_b32_e32 v1, 0
	v_mov_b32_e32 v8, 0
	s_and_saveexec_b64 s[2:3], vcc
	s_cbranch_execnz .LBB51_42
; %bb.16:
	s_or_b64 exec, exec, s[2:3]
	v_cmp_gt_i32_e32 vcc, s16, v4
	s_and_saveexec_b64 s[2:3], vcc
	s_cbranch_execnz .LBB51_43
.LBB51_17:
	s_or_b64 exec, exec, s[2:3]
                                        ; implicit-def: $vgpr4
	s_and_saveexec_b64 s[2:3], s[0:1]
	s_cbranch_execz .LBB51_19
.LBB51_18:
	v_and_b32_e32 v4, 0xffff0000, v6
	v_lshlrev_b32_e32 v6, 16, v6
	v_div_scale_f32 v9, s[4:5], v4, v4, v6
	v_rcp_f32_e32 v12, v9
	s_movk_i32 s4, 0x7fff
	v_fma_f32 v13, -v9, v12, 1.0
	v_fmac_f32_e32 v12, v13, v12
	v_div_scale_f32 v13, vcc, v6, v4, v6
	v_mul_f32_e32 v14, v13, v12
	v_fma_f32 v15, -v9, v14, v13
	v_fmac_f32_e32 v14, v15, v12
	v_fma_f32 v9, -v9, v14, v13
	v_div_fmas_f32 v9, v9, v12, v14
	v_div_fixup_f32 v4, v9, v4, v6
	v_bfe_u32 v6, v4, 16, 1
	v_add3_u32 v6, v4, v6, s4
	v_lshrrev_b32_e32 v6, 16, v6
	v_mov_b32_e32 v9, 0x7fc0
	v_cmp_o_f32_e32 vcc, v4, v4
	v_cndmask_b32_e32 v4, v9, v6, vcc
	v_lshlrev_b32_e32 v6, 16, v4
	s_mov_b32 s4, 0x800000
	v_mov_b32_e32 v9, 0x80
	v_cmp_ngt_f32_e32 vcc, s4, v6
	v_cndmask_b32_e32 v4, v9, v4, vcc
	v_lshlrev_b32_e32 v6, 16, v4
	s_mov_b32 s4, 0x3f7e0000
	v_mov_b32_e32 v9, 0x3f7e
	v_cmp_nlt_f32_e32 vcc, s4, v6
	v_cndmask_b32_e32 v4, v9, v4, vcc
.LBB51_19:
	s_or_b64 exec, exec, s[2:3]
	v_or_b32_e32 v6, 0x100, v0
	v_cmp_gt_i32_e32 vcc, s16, v6
                                        ; implicit-def: $vgpr9
	s_and_saveexec_b64 s[2:3], vcc
	s_cbranch_execz .LBB51_21
; %bb.20:
	v_and_b32_e32 v9, 0xffff0000, v7
	v_lshlrev_b32_e32 v7, 16, v7
	v_div_scale_f32 v12, s[4:5], v9, v9, v7
	v_rcp_f32_e32 v13, v12
	s_movk_i32 s4, 0x7fff
	v_fma_f32 v14, -v12, v13, 1.0
	v_fmac_f32_e32 v13, v14, v13
	v_div_scale_f32 v14, vcc, v7, v9, v7
	v_mul_f32_e32 v15, v14, v13
	v_fma_f32 v16, -v12, v15, v14
	v_fmac_f32_e32 v15, v16, v13
	v_fma_f32 v12, -v12, v15, v14
	v_div_fmas_f32 v12, v12, v13, v15
	v_div_fixup_f32 v7, v12, v9, v7
	v_bfe_u32 v9, v7, 16, 1
	v_add3_u32 v9, v7, v9, s4
	v_lshrrev_b32_e32 v9, 16, v9
	v_mov_b32_e32 v12, 0x7fc0
	v_cmp_o_f32_e32 vcc, v7, v7
	v_cndmask_b32_e32 v7, v12, v9, vcc
	v_lshlrev_b32_e32 v9, 16, v7
	s_mov_b32 s4, 0x800000
	v_mov_b32_e32 v12, 0x80
	v_cmp_ngt_f32_e32 vcc, s4, v9
	v_cndmask_b32_e32 v7, v12, v7, vcc
	v_lshlrev_b32_e32 v9, 16, v7
	s_mov_b32 s4, 0x3f7e0000
	v_mov_b32_e32 v12, 0x3f7e
	v_cmp_nlt_f32_e32 vcc, s4, v9
	v_cndmask_b32_e32 v9, v12, v7, vcc
.LBB51_21:
	s_or_b64 exec, exec, s[2:3]
	v_or_b32_e32 v7, 0x200, v0
	v_cmp_gt_i32_e32 vcc, s16, v7
                                        ; implicit-def: $vgpr7
	s_and_saveexec_b64 s[2:3], vcc
	s_cbranch_execz .LBB51_23
; %bb.22:
	v_and_b32_e32 v7, 0xffff0000, v11
	v_lshlrev_b32_e32 v11, 16, v11
	v_div_scale_f32 v12, s[4:5], v7, v7, v11
	v_rcp_f32_e32 v13, v12
	s_movk_i32 s4, 0x7fff
	v_fma_f32 v14, -v12, v13, 1.0
	v_fmac_f32_e32 v13, v14, v13
	v_div_scale_f32 v14, vcc, v11, v7, v11
	v_mul_f32_e32 v15, v14, v13
	v_fma_f32 v16, -v12, v15, v14
	v_fmac_f32_e32 v15, v16, v13
	v_fma_f32 v12, -v12, v15, v14
	v_div_fmas_f32 v12, v12, v13, v15
	v_div_fixup_f32 v7, v12, v7, v11
	v_bfe_u32 v11, v7, 16, 1
	v_add3_u32 v11, v7, v11, s4
	v_lshrrev_b32_e32 v11, 16, v11
	v_mov_b32_e32 v12, 0x7fc0
	v_cmp_o_f32_e32 vcc, v7, v7
	v_cndmask_b32_e32 v7, v12, v11, vcc
	v_lshlrev_b32_e32 v11, 16, v7
	s_mov_b32 s4, 0x800000
	v_mov_b32_e32 v12, 0x80
	v_cmp_ngt_f32_e32 vcc, s4, v11
	v_cndmask_b32_e32 v7, v12, v7, vcc
	v_lshlrev_b32_e32 v11, 16, v7
	s_mov_b32 s4, 0x3f7e0000
	v_mov_b32_e32 v12, 0x3f7e
	v_cmp_nlt_f32_e32 vcc, s4, v11
	v_cndmask_b32_e32 v7, v12, v7, vcc
.LBB51_23:
	s_or_b64 exec, exec, s[2:3]
	v_or_b32_e32 v11, 0x300, v0
	v_cmp_gt_i32_e32 vcc, s16, v11
                                        ; implicit-def: $vgpr11
	s_and_saveexec_b64 s[2:3], vcc
	s_cbranch_execz .LBB51_25
; %bb.24:
	v_and_b32_e32 v11, 0xffff0000, v5
	v_lshlrev_b32_e32 v5, 16, v5
	v_div_scale_f32 v12, s[4:5], v11, v11, v5
	v_rcp_f32_e32 v13, v12
	s_movk_i32 s4, 0x7fff
	v_fma_f32 v14, -v12, v13, 1.0
	v_fmac_f32_e32 v13, v14, v13
	v_div_scale_f32 v14, vcc, v5, v11, v5
	v_mul_f32_e32 v15, v14, v13
	v_fma_f32 v16, -v12, v15, v14
	v_fmac_f32_e32 v15, v16, v13
	v_fma_f32 v12, -v12, v15, v14
	v_div_fmas_f32 v12, v12, v13, v15
	v_div_fixup_f32 v5, v12, v11, v5
	v_bfe_u32 v11, v5, 16, 1
	v_add3_u32 v11, v5, v11, s4
	v_lshrrev_b32_e32 v11, 16, v11
	v_mov_b32_e32 v12, 0x7fc0
	v_cmp_o_f32_e32 vcc, v5, v5
	v_cndmask_b32_e32 v5, v12, v11, vcc
	v_lshlrev_b32_e32 v11, 16, v5
	s_mov_b32 s4, 0x800000
	v_mov_b32_e32 v12, 0x80
	v_cmp_ngt_f32_e32 vcc, s4, v11
	v_cndmask_b32_e32 v5, v12, v5, vcc
	v_lshlrev_b32_e32 v11, 16, v5
	s_mov_b32 s4, 0x3f7e0000
	v_mov_b32_e32 v12, 0x3f7e
	v_cmp_nlt_f32_e32 vcc, s4, v11
	v_cndmask_b32_e32 v11, v12, v5, vcc
.LBB51_25:
	s_or_b64 exec, exec, s[2:3]
	v_or_b32_e32 v5, 0x400, v0
	v_cmp_gt_i32_e32 vcc, s16, v5
                                        ; implicit-def: $vgpr5
	s_and_saveexec_b64 s[2:3], vcc
	s_cbranch_execz .LBB51_27
; %bb.26:
	v_and_b32_e32 v5, 0xffff0000, v10
	v_lshlrev_b32_e32 v10, 16, v10
	v_div_scale_f32 v12, s[4:5], v5, v5, v10
	v_rcp_f32_e32 v13, v12
	s_movk_i32 s4, 0x7fff
	v_fma_f32 v14, -v12, v13, 1.0
	v_fmac_f32_e32 v13, v14, v13
	v_div_scale_f32 v14, vcc, v10, v5, v10
	v_mul_f32_e32 v15, v14, v13
	v_fma_f32 v16, -v12, v15, v14
	v_fmac_f32_e32 v15, v16, v13
	v_fma_f32 v12, -v12, v15, v14
	v_div_fmas_f32 v12, v12, v13, v15
	v_div_fixup_f32 v5, v12, v5, v10
	v_bfe_u32 v10, v5, 16, 1
	v_add3_u32 v10, v5, v10, s4
	v_lshrrev_b32_e32 v10, 16, v10
	v_mov_b32_e32 v12, 0x7fc0
	v_cmp_o_f32_e32 vcc, v5, v5
	v_cndmask_b32_e32 v5, v12, v10, vcc
	v_lshlrev_b32_e32 v10, 16, v5
	s_mov_b32 s4, 0x800000
	v_mov_b32_e32 v12, 0x80
	v_cmp_ngt_f32_e32 vcc, s4, v10
	v_cndmask_b32_e32 v5, v12, v5, vcc
	v_lshlrev_b32_e32 v10, 16, v5
	s_mov_b32 s4, 0x3f7e0000
	v_mov_b32_e32 v12, 0x3f7e
	v_cmp_nlt_f32_e32 vcc, s4, v10
	v_cndmask_b32_e32 v5, v12, v5, vcc
.LBB51_27:
	s_or_b64 exec, exec, s[2:3]
	v_or_b32_e32 v10, 0x500, v0
	v_cmp_gt_i32_e32 vcc, s16, v10
                                        ; implicit-def: $vgpr10
	s_and_saveexec_b64 s[2:3], vcc
	s_cbranch_execz .LBB51_29
; %bb.28:
	v_and_b32_e32 v10, 0xffff0000, v3
	v_lshlrev_b32_e32 v3, 16, v3
	v_div_scale_f32 v12, s[4:5], v10, v10, v3
	v_rcp_f32_e32 v13, v12
	s_movk_i32 s4, 0x7fff
	v_fma_f32 v14, -v12, v13, 1.0
	v_fmac_f32_e32 v13, v14, v13
	v_div_scale_f32 v14, vcc, v3, v10, v3
	v_mul_f32_e32 v15, v14, v13
	v_fma_f32 v16, -v12, v15, v14
	v_fmac_f32_e32 v15, v16, v13
	v_fma_f32 v12, -v12, v15, v14
	v_div_fmas_f32 v12, v12, v13, v15
	v_div_fixup_f32 v3, v12, v10, v3
	v_bfe_u32 v10, v3, 16, 1
	v_add3_u32 v10, v3, v10, s4
	v_lshrrev_b32_e32 v10, 16, v10
	v_mov_b32_e32 v12, 0x7fc0
	v_cmp_o_f32_e32 vcc, v3, v3
	v_cndmask_b32_e32 v3, v12, v10, vcc
	v_lshlrev_b32_e32 v10, 16, v3
	s_mov_b32 s4, 0x800000
	v_mov_b32_e32 v12, 0x80
	v_cmp_ngt_f32_e32 vcc, s4, v10
	v_cndmask_b32_e32 v3, v12, v3, vcc
	v_lshlrev_b32_e32 v10, 16, v3
	s_mov_b32 s4, 0x3f7e0000
	v_mov_b32_e32 v12, 0x3f7e
	v_cmp_nlt_f32_e32 vcc, s4, v10
	v_cndmask_b32_e32 v10, v12, v3, vcc
.LBB51_29:
	s_or_b64 exec, exec, s[2:3]
	v_or_b32_e32 v3, 0x600, v0
	v_cmp_gt_i32_e32 vcc, s16, v3
                                        ; implicit-def: $vgpr12
	s_and_saveexec_b64 s[2:3], vcc
	s_cbranch_execz .LBB51_31
; %bb.30:
	v_and_b32_e32 v3, 0xffff0000, v8
	v_lshlrev_b32_e32 v8, 16, v8
	v_div_scale_f32 v12, s[4:5], v3, v3, v8
	v_rcp_f32_e32 v13, v12
	s_movk_i32 s4, 0x7fff
	v_fma_f32 v14, -v12, v13, 1.0
	v_fmac_f32_e32 v13, v14, v13
	v_div_scale_f32 v14, vcc, v8, v3, v8
	v_mul_f32_e32 v15, v14, v13
	v_fma_f32 v16, -v12, v15, v14
	v_fmac_f32_e32 v15, v16, v13
	v_fma_f32 v12, -v12, v15, v14
	v_div_fmas_f32 v12, v12, v13, v15
	v_div_fixup_f32 v3, v12, v3, v8
	v_bfe_u32 v8, v3, 16, 1
	v_add3_u32 v8, v3, v8, s4
	v_lshrrev_b32_e32 v8, 16, v8
	v_mov_b32_e32 v12, 0x7fc0
	v_cmp_o_f32_e32 vcc, v3, v3
	v_cndmask_b32_e32 v3, v12, v8, vcc
	v_lshlrev_b32_e32 v8, 16, v3
	s_mov_b32 s4, 0x800000
	v_mov_b32_e32 v12, 0x80
	v_cmp_ngt_f32_e32 vcc, s4, v8
	v_cndmask_b32_e32 v3, v12, v3, vcc
	v_lshlrev_b32_e32 v8, 16, v3
	s_mov_b32 s4, 0x3f7e0000
	v_mov_b32_e32 v12, 0x3f7e
	v_cmp_nlt_f32_e32 vcc, s4, v8
	v_cndmask_b32_e32 v12, v12, v3, vcc
.LBB51_31:
	s_or_b64 exec, exec, s[2:3]
	v_or_b32_e32 v3, 0x700, v0
	v_cmp_gt_i32_e32 vcc, s16, v3
                                        ; implicit-def: $vgpr8
	s_and_saveexec_b64 s[2:3], vcc
	s_cbranch_execnz .LBB51_44
; %bb.32:
	s_or_b64 exec, exec, s[2:3]
	s_and_saveexec_b64 s[2:3], s[0:1]
	s_xor_b64 s[0:1], exec, s[2:3]
	s_cbranch_execnz .LBB51_45
.LBB51_33:
	s_or_b64 exec, exec, s[0:1]
	v_cmp_gt_i32_e32 vcc, s16, v0
	s_and_saveexec_b64 s[0:1], vcc
	s_cbranch_execnz .LBB51_46
.LBB51_34:
	s_or_b64 exec, exec, s[0:1]
	v_cmp_gt_i32_e32 vcc, s16, v0
	s_and_saveexec_b64 s[0:1], vcc
	s_cbranch_execnz .LBB51_47
.LBB51_35:
	s_or_b64 exec, exec, s[0:1]
	v_cmp_gt_i32_e32 vcc, s16, v0
	s_and_saveexec_b64 s[0:1], vcc
	s_cbranch_execnz .LBB51_48
.LBB51_36:
	s_or_b64 exec, exec, s[0:1]
	v_cmp_gt_i32_e32 vcc, s16, v0
	s_and_saveexec_b64 s[0:1], vcc
	s_cbranch_execnz .LBB51_49
.LBB51_37:
	s_or_b64 exec, exec, s[0:1]
	v_cmp_gt_i32_e32 vcc, s16, v0
	s_and_saveexec_b64 s[0:1], vcc
	s_cbranch_execnz .LBB51_50
.LBB51_38:
	s_or_b64 exec, exec, s[0:1]
	v_cmp_gt_i32_e32 vcc, s16, v0
	s_and_saveexec_b64 s[0:1], vcc
	s_cbranch_execnz .LBB51_51
.LBB51_39:
	s_or_b64 exec, exec, s[0:1]
	v_cmp_gt_i32_e32 vcc, s16, v0
	s_and_saveexec_b64 s[0:1], vcc
	s_cbranch_execz .LBB51_41
.LBB51_40:
	v_add_u32_e32 v0, s6, v0
	v_mov_b32_e32 v1, 0
	v_lshlrev_b64 v[0:1], 1, v[0:1]
	v_mov_b32_e32 v2, s9
	v_add_co_u32_e32 v0, vcc, s8, v0
	v_addc_co_u32_e32 v1, vcc, v2, v1, vcc
	global_store_short v[0:1], v8, off
.LBB51_41:
	s_endpgm
.LBB51_42:
	v_add_u32_e32 v8, s6, v4
	v_mov_b32_e32 v9, 0
	v_lshlrev_b64 v[8:9], 1, v[8:9]
	v_mov_b32_e32 v13, s13
	v_add_co_u32_e32 v12, vcc, s12, v8
	v_addc_co_u32_e32 v13, vcc, v13, v9, vcc
	v_mov_b32_e32 v14, s11
	v_add_co_u32_e32 v8, vcc, s10, v8
	v_addc_co_u32_e32 v9, vcc, v14, v9, vcc
	global_load_ushort v14, v[8:9], off
	global_load_ushort v15, v[12:13], off
	s_mov_b32 s4, 0x5040100
	v_add_u32_e32 v4, 0x100, v4
	s_waitcnt vmcnt(0)
	v_perm_b32 v8, v15, v14, s4
	s_or_b64 exec, exec, s[2:3]
	v_cmp_gt_i32_e32 vcc, s16, v4
	s_and_saveexec_b64 s[2:3], vcc
	s_cbranch_execz .LBB51_17
.LBB51_43:
	v_add_u32_e32 v12, s6, v4
	v_mov_b32_e32 v13, 0
	v_lshlrev_b64 v[12:13], 1, v[12:13]
	v_mov_b32_e32 v1, s13
	v_add_co_u32_e32 v14, vcc, s12, v12
	v_addc_co_u32_e32 v15, vcc, v1, v13, vcc
	v_mov_b32_e32 v1, s11
	v_add_co_u32_e32 v12, vcc, s10, v12
	v_addc_co_u32_e32 v13, vcc, v1, v13, vcc
	global_load_ushort v1, v[12:13], off
	global_load_ushort v4, v[14:15], off
	s_mov_b32 s4, 0x5040100
	s_waitcnt vmcnt(0)
	v_perm_b32 v1, v4, v1, s4
	s_or_b64 exec, exec, s[2:3]
                                        ; implicit-def: $vgpr4
	s_and_saveexec_b64 s[2:3], s[0:1]
	s_cbranch_execnz .LBB51_18
	s_branch .LBB51_19
.LBB51_44:
	v_and_b32_e32 v3, 0xffff0000, v1
	v_lshlrev_b32_e32 v1, 16, v1
	v_div_scale_f32 v8, s[4:5], v3, v3, v1
	v_rcp_f32_e32 v13, v8
	s_movk_i32 s4, 0x7fff
	v_fma_f32 v14, -v8, v13, 1.0
	v_fmac_f32_e32 v13, v14, v13
	v_div_scale_f32 v14, vcc, v1, v3, v1
	v_mul_f32_e32 v15, v14, v13
	v_fma_f32 v16, -v8, v15, v14
	v_fmac_f32_e32 v15, v16, v13
	v_fma_f32 v8, -v8, v15, v14
	v_div_fmas_f32 v8, v8, v13, v15
	v_div_fixup_f32 v1, v8, v3, v1
	v_bfe_u32 v3, v1, 16, 1
	v_add3_u32 v3, v1, v3, s4
	v_lshrrev_b32_e32 v3, 16, v3
	v_mov_b32_e32 v8, 0x7fc0
	v_cmp_o_f32_e32 vcc, v1, v1
	v_cndmask_b32_e32 v1, v8, v3, vcc
	v_lshlrev_b32_e32 v3, 16, v1
	s_mov_b32 s4, 0x800000
	v_mov_b32_e32 v8, 0x80
	v_cmp_ngt_f32_e32 vcc, s4, v3
	v_cndmask_b32_e32 v1, v8, v1, vcc
	v_lshlrev_b32_e32 v3, 16, v1
	s_mov_b32 s4, 0x3f7e0000
	v_mov_b32_e32 v8, 0x3f7e
	v_cmp_nlt_f32_e32 vcc, s4, v3
	v_cndmask_b32_e32 v8, v8, v1, vcc
	s_or_b64 exec, exec, s[2:3]
	s_and_saveexec_b64 s[2:3], s[0:1]
	s_xor_b64 s[0:1], exec, s[2:3]
	s_cbranch_execz .LBB51_33
.LBB51_45:
	v_mov_b32_e32 v3, 0
	v_lshlrev_b64 v[0:1], 1, v[2:3]
	v_mov_b32_e32 v2, s9
	v_add_co_u32_e32 v0, vcc, s8, v0
	v_addc_co_u32_e32 v1, vcc, v2, v1, vcc
	global_store_short v[0:1], v4, off
	v_mov_b32_e32 v0, v6
	s_or_b64 exec, exec, s[0:1]
	v_cmp_gt_i32_e32 vcc, s16, v0
	s_and_saveexec_b64 s[0:1], vcc
	s_cbranch_execz .LBB51_34
.LBB51_46:
	v_add_u32_e32 v2, s6, v0
	v_mov_b32_e32 v3, 0
	v_lshlrev_b64 v[2:3], 1, v[2:3]
	v_mov_b32_e32 v1, s9
	v_add_co_u32_e32 v2, vcc, s8, v2
	v_addc_co_u32_e32 v3, vcc, v1, v3, vcc
	v_add_u32_e32 v0, 0x100, v0
	global_store_short v[2:3], v9, off
	s_or_b64 exec, exec, s[0:1]
	v_cmp_gt_i32_e32 vcc, s16, v0
	s_and_saveexec_b64 s[0:1], vcc
	s_cbranch_execz .LBB51_35
.LBB51_47:
	v_add_u32_e32 v2, s6, v0
	v_mov_b32_e32 v3, 0
	v_lshlrev_b64 v[2:3], 1, v[2:3]
	v_mov_b32_e32 v1, s9
	v_add_co_u32_e32 v2, vcc, s8, v2
	v_addc_co_u32_e32 v3, vcc, v1, v3, vcc
	v_add_u32_e32 v0, 0x100, v0
	global_store_short v[2:3], v7, off
	s_or_b64 exec, exec, s[0:1]
	v_cmp_gt_i32_e32 vcc, s16, v0
	s_and_saveexec_b64 s[0:1], vcc
	s_cbranch_execz .LBB51_36
.LBB51_48:
	v_add_u32_e32 v2, s6, v0
	v_mov_b32_e32 v3, 0
	v_lshlrev_b64 v[2:3], 1, v[2:3]
	v_mov_b32_e32 v1, s9
	v_add_co_u32_e32 v2, vcc, s8, v2
	v_addc_co_u32_e32 v3, vcc, v1, v3, vcc
	v_add_u32_e32 v0, 0x100, v0
	global_store_short v[2:3], v11, off
	s_or_b64 exec, exec, s[0:1]
	v_cmp_gt_i32_e32 vcc, s16, v0
	s_and_saveexec_b64 s[0:1], vcc
	s_cbranch_execz .LBB51_37
.LBB51_49:
	v_add_u32_e32 v2, s6, v0
	v_mov_b32_e32 v3, 0
	v_lshlrev_b64 v[2:3], 1, v[2:3]
	v_mov_b32_e32 v1, s9
	v_add_co_u32_e32 v2, vcc, s8, v2
	v_addc_co_u32_e32 v3, vcc, v1, v3, vcc
	v_add_u32_e32 v0, 0x100, v0
	global_store_short v[2:3], v5, off
	s_or_b64 exec, exec, s[0:1]
	v_cmp_gt_i32_e32 vcc, s16, v0
	s_and_saveexec_b64 s[0:1], vcc
	s_cbranch_execz .LBB51_38
.LBB51_50:
	v_add_u32_e32 v2, s6, v0
	v_mov_b32_e32 v3, 0
	v_lshlrev_b64 v[2:3], 1, v[2:3]
	v_mov_b32_e32 v1, s9
	v_add_co_u32_e32 v2, vcc, s8, v2
	v_addc_co_u32_e32 v3, vcc, v1, v3, vcc
	v_add_u32_e32 v0, 0x100, v0
	global_store_short v[2:3], v10, off
	s_or_b64 exec, exec, s[0:1]
	v_cmp_gt_i32_e32 vcc, s16, v0
	s_and_saveexec_b64 s[0:1], vcc
	s_cbranch_execz .LBB51_39
.LBB51_51:
	v_add_u32_e32 v2, s6, v0
	v_mov_b32_e32 v3, 0
	v_lshlrev_b64 v[2:3], 1, v[2:3]
	v_mov_b32_e32 v1, s9
	v_add_co_u32_e32 v2, vcc, s8, v2
	v_addc_co_u32_e32 v3, vcc, v1, v3, vcc
	v_add_u32_e32 v0, 0x100, v0
	global_store_short v[2:3], v12, off
	s_or_b64 exec, exec, s[0:1]
	v_cmp_gt_i32_e32 vcc, s16, v0
	s_and_saveexec_b64 s[0:1], vcc
	s_cbranch_execnz .LBB51_40
	s_branch .LBB51_41
	.section	.rodata,"a",@progbits
	.p2align	6, 0x0
	.amdhsa_kernel _ZN2at6native29vectorized_elementwise_kernelILi4EZZZNS0_23launch_dirichlet_kernelERNS_18TensorIteratorBaseEENKUlvE_clEvENKUlvE2_clEvEUlN3c108BFloat16ES7_E_St5arrayIPcLm3EEEEviT0_T1_
		.amdhsa_group_segment_fixed_size 0
		.amdhsa_private_segment_fixed_size 0
		.amdhsa_kernarg_size 32
		.amdhsa_user_sgpr_count 6
		.amdhsa_user_sgpr_private_segment_buffer 1
		.amdhsa_user_sgpr_dispatch_ptr 0
		.amdhsa_user_sgpr_queue_ptr 0
		.amdhsa_user_sgpr_kernarg_segment_ptr 1
		.amdhsa_user_sgpr_dispatch_id 0
		.amdhsa_user_sgpr_flat_scratch_init 0
		.amdhsa_user_sgpr_kernarg_preload_length 0
		.amdhsa_user_sgpr_kernarg_preload_offset 0
		.amdhsa_user_sgpr_private_segment_size 0
		.amdhsa_uses_dynamic_stack 0
		.amdhsa_system_sgpr_private_segment_wavefront_offset 0
		.amdhsa_system_sgpr_workgroup_id_x 1
		.amdhsa_system_sgpr_workgroup_id_y 0
		.amdhsa_system_sgpr_workgroup_id_z 0
		.amdhsa_system_sgpr_workgroup_info 0
		.amdhsa_system_vgpr_workitem_id 0
		.amdhsa_next_free_vgpr 36
		.amdhsa_next_free_sgpr 18
		.amdhsa_accum_offset 36
		.amdhsa_reserve_vcc 1
		.amdhsa_reserve_flat_scratch 0
		.amdhsa_float_round_mode_32 0
		.amdhsa_float_round_mode_16_64 0
		.amdhsa_float_denorm_mode_32 3
		.amdhsa_float_denorm_mode_16_64 3
		.amdhsa_dx10_clamp 1
		.amdhsa_ieee_mode 1
		.amdhsa_fp16_overflow 0
		.amdhsa_tg_split 0
		.amdhsa_exception_fp_ieee_invalid_op 0
		.amdhsa_exception_fp_denorm_src 0
		.amdhsa_exception_fp_ieee_div_zero 0
		.amdhsa_exception_fp_ieee_overflow 0
		.amdhsa_exception_fp_ieee_underflow 0
		.amdhsa_exception_fp_ieee_inexact 0
		.amdhsa_exception_int_div_zero 0
	.end_amdhsa_kernel
	.section	.text._ZN2at6native29vectorized_elementwise_kernelILi4EZZZNS0_23launch_dirichlet_kernelERNS_18TensorIteratorBaseEENKUlvE_clEvENKUlvE2_clEvEUlN3c108BFloat16ES7_E_St5arrayIPcLm3EEEEviT0_T1_,"axG",@progbits,_ZN2at6native29vectorized_elementwise_kernelILi4EZZZNS0_23launch_dirichlet_kernelERNS_18TensorIteratorBaseEENKUlvE_clEvENKUlvE2_clEvEUlN3c108BFloat16ES7_E_St5arrayIPcLm3EEEEviT0_T1_,comdat
.Lfunc_end51:
	.size	_ZN2at6native29vectorized_elementwise_kernelILi4EZZZNS0_23launch_dirichlet_kernelERNS_18TensorIteratorBaseEENKUlvE_clEvENKUlvE2_clEvEUlN3c108BFloat16ES7_E_St5arrayIPcLm3EEEEviT0_T1_, .Lfunc_end51-_ZN2at6native29vectorized_elementwise_kernelILi4EZZZNS0_23launch_dirichlet_kernelERNS_18TensorIteratorBaseEENKUlvE_clEvENKUlvE2_clEvEUlN3c108BFloat16ES7_E_St5arrayIPcLm3EEEEviT0_T1_
                                        ; -- End function
	.section	.AMDGPU.csdata,"",@progbits
; Kernel info:
; codeLenInByte = 4464
; NumSgprs: 22
; NumVgprs: 36
; NumAgprs: 0
; TotalNumVgprs: 36
; ScratchSize: 0
; MemoryBound: 0
; FloatMode: 240
; IeeeMode: 1
; LDSByteSize: 0 bytes/workgroup (compile time only)
; SGPRBlocks: 2
; VGPRBlocks: 4
; NumSGPRsForWavesPerEU: 22
; NumVGPRsForWavesPerEU: 36
; AccumOffset: 36
; Occupancy: 8
; WaveLimiterHint : 1
; COMPUTE_PGM_RSRC2:SCRATCH_EN: 0
; COMPUTE_PGM_RSRC2:USER_SGPR: 6
; COMPUTE_PGM_RSRC2:TRAP_HANDLER: 0
; COMPUTE_PGM_RSRC2:TGID_X_EN: 1
; COMPUTE_PGM_RSRC2:TGID_Y_EN: 0
; COMPUTE_PGM_RSRC2:TGID_Z_EN: 0
; COMPUTE_PGM_RSRC2:TIDIG_COMP_CNT: 0
; COMPUTE_PGM_RSRC3_GFX90A:ACCUM_OFFSET: 8
; COMPUTE_PGM_RSRC3_GFX90A:TG_SPLIT: 0
	.section	.text._ZN2at6native29vectorized_elementwise_kernelILi2EZZZNS0_23launch_dirichlet_kernelERNS_18TensorIteratorBaseEENKUlvE_clEvENKUlvE2_clEvEUlN3c108BFloat16ES7_E_St5arrayIPcLm3EEEEviT0_T1_,"axG",@progbits,_ZN2at6native29vectorized_elementwise_kernelILi2EZZZNS0_23launch_dirichlet_kernelERNS_18TensorIteratorBaseEENKUlvE_clEvENKUlvE2_clEvEUlN3c108BFloat16ES7_E_St5arrayIPcLm3EEEEviT0_T1_,comdat
	.globl	_ZN2at6native29vectorized_elementwise_kernelILi2EZZZNS0_23launch_dirichlet_kernelERNS_18TensorIteratorBaseEENKUlvE_clEvENKUlvE2_clEvEUlN3c108BFloat16ES7_E_St5arrayIPcLm3EEEEviT0_T1_ ; -- Begin function _ZN2at6native29vectorized_elementwise_kernelILi2EZZZNS0_23launch_dirichlet_kernelERNS_18TensorIteratorBaseEENKUlvE_clEvENKUlvE2_clEvEUlN3c108BFloat16ES7_E_St5arrayIPcLm3EEEEviT0_T1_
	.p2align	8
	.type	_ZN2at6native29vectorized_elementwise_kernelILi2EZZZNS0_23launch_dirichlet_kernelERNS_18TensorIteratorBaseEENKUlvE_clEvENKUlvE2_clEvEUlN3c108BFloat16ES7_E_St5arrayIPcLm3EEEEviT0_T1_,@function
_ZN2at6native29vectorized_elementwise_kernelILi2EZZZNS0_23launch_dirichlet_kernelERNS_18TensorIteratorBaseEENKUlvE_clEvENKUlvE2_clEvEUlN3c108BFloat16ES7_E_St5arrayIPcLm3EEEEviT0_T1_: ; @_ZN2at6native29vectorized_elementwise_kernelILi2EZZZNS0_23launch_dirichlet_kernelERNS_18TensorIteratorBaseEENKUlvE_clEvENKUlvE2_clEvEUlN3c108BFloat16ES7_E_St5arrayIPcLm3EEEEviT0_T1_
; %bb.0:
	s_load_dword s0, s[4:5], 0x0
	s_load_dwordx4 s[8:11], s[4:5], 0x8
	s_load_dwordx2 s[12:13], s[4:5], 0x18
	s_lshl_b32 s6, s6, 11
	s_waitcnt lgkmcnt(0)
	s_sub_i32 s16, s0, s6
	s_cmpk_gt_i32 s16, 0x7ff
	s_mov_b64 s[0:1], -1
	s_cbranch_scc0 .LBB52_2
; %bb.1:
	s_ashr_i32 s7, s6, 31
	s_lshl_b64 s[14:15], s[6:7], 1
	s_add_u32 s0, s10, s14
	s_addc_u32 s1, s11, s15
	v_lshlrev_b32_e32 v1, 2, v0
	global_load_dword v2, v1, s[0:1]
	global_load_dword v3, v1, s[0:1] offset:1024
	s_add_u32 s2, s12, s14
	s_addc_u32 s3, s13, s15
	global_load_dword v4, v1, s[2:3]
	global_load_dword v5, v1, s[2:3] offset:1024
	global_load_dword v6, v1, s[0:1] offset:2048
	;; [unrolled: 1-line block ×5, first 2 shown]
	s_movk_i32 s7, 0x7fff
	v_mov_b32_e32 v8, 0x7fc0
	s_mov_b32 s17, 0x800000
	v_mov_b32_e32 v10, 0x7fc00000
	v_mov_b32_e32 v9, 0x80
	;; [unrolled: 1-line block ×3, first 2 shown]
	s_waitcnt vmcnt(7)
	v_lshlrev_b32_e32 v14, 16, v2
	s_waitcnt vmcnt(5)
	v_lshlrev_b32_e32 v16, 16, v4
	v_div_scale_f32 v18, s[0:1], v16, v16, v14
	v_and_b32_e32 v2, 0xffff0000, v2
	v_and_b32_e32 v4, 0xffff0000, v4
	v_rcp_f32_e32 v26, v18
	v_lshlrev_b32_e32 v15, 16, v3
	s_waitcnt vmcnt(4)
	v_lshlrev_b32_e32 v17, 16, v5
	v_div_scale_f32 v20, s[0:1], v4, v4, v2
	v_and_b32_e32 v3, 0xffff0000, v3
	v_and_b32_e32 v5, 0xffff0000, v5
	v_div_scale_f32 v22, s[2:3], v17, v17, v15
	v_rcp_f32_e32 v27, v20
	v_div_scale_f32 v24, s[4:5], v5, v5, v3
	v_rcp_f32_e32 v28, v22
	v_rcp_f32_e32 v29, v24
	v_fma_f32 v30, -v18, v26, 1.0
	v_div_scale_f32 v19, vcc, v14, v16, v14
	v_fmac_f32_e32 v26, v30, v26
	v_fma_f32 v31, -v20, v27, 1.0
	v_mul_f32_e32 v30, v19, v26
	v_div_scale_f32 v21, s[0:1], v2, v4, v2
	v_fma_f32 v32, -v22, v28, 1.0
	v_fmac_f32_e32 v27, v31, v27
	v_fma_f32 v34, -v18, v30, v19
	v_div_scale_f32 v23, s[2:3], v15, v17, v15
	v_fma_f32 v33, -v24, v29, 1.0
	v_fmac_f32_e32 v28, v32, v28
	v_mul_f32_e32 v31, v21, v27
	v_fmac_f32_e32 v30, v34, v26
	v_div_scale_f32 v25, s[4:5], v3, v5, v3
	v_fmac_f32_e32 v29, v33, v29
	v_mul_f32_e32 v32, v23, v28
	v_fma_f32 v35, -v20, v31, v21
	v_fma_f32 v18, -v18, v30, v19
	v_mul_f32_e32 v33, v25, v29
	v_fma_f32 v36, -v22, v32, v23
	v_fmac_f32_e32 v31, v35, v27
	v_div_fmas_f32 v18, v18, v26, v30
	v_fma_f32 v37, -v24, v33, v25
	v_fmac_f32_e32 v32, v36, v28
	v_fma_f32 v19, -v20, v31, v21
	v_div_fixup_f32 v14, v18, v16, v14
	s_mov_b64 vcc, s[0:1]
	v_fmac_f32_e32 v33, v37, v29
	v_fma_f32 v20, -v22, v32, v23
	v_div_fmas_f32 v16, v19, v27, v31
	v_bfe_u32 v18, v14, 16, 1
	s_mov_b64 vcc, s[2:3]
	v_fma_f32 v21, -v24, v33, v25
	v_div_fixup_f32 v2, v16, v4, v2
	v_div_fmas_f32 v4, v20, v28, v32
	v_add3_u32 v16, v14, v18, s7
	s_mov_b64 vcc, s[4:5]
	v_bfe_u32 v18, v2, 16, 1
	v_div_fixup_f32 v4, v4, v17, v15
	v_div_fmas_f32 v15, v21, v29, v33
	v_lshrrev_b32_e32 v16, 16, v16
	v_cmp_o_f32_e32 vcc, v14, v14
	v_add3_u32 v17, v2, v18, s7
	v_bfe_u32 v18, v4, 16, 1
	v_cndmask_b32_e32 v14, v8, v16, vcc
	v_and_b32_e32 v16, 0xffff0000, v17
	v_add3_u32 v17, v4, v18, s7
	v_lshlrev_b32_e32 v18, 16, v14
	v_cmp_o_f32_e32 vcc, v2, v2
	v_cndmask_b32_e32 v2, v10, v16, vcc
	v_cmp_ngt_f32_e32 vcc, s17, v18
	v_cndmask_b32_e32 v14, v9, v14, vcc
	v_cmp_ngt_f32_e32 vcc, s17, v2
	v_lshrrev_b32_e32 v16, 16, v17
	v_cndmask_b32_e32 v2, v11, v2, vcc
	v_cmp_o_f32_e32 vcc, v4, v4
	v_div_fixup_f32 v3, v15, v5, v3
	s_waitcnt vmcnt(3)
	v_lshlrev_b32_e32 v15, 16, v6
	s_waitcnt vmcnt(1)
	v_lshlrev_b32_e32 v18, 16, v12
	v_cndmask_b32_e32 v4, v8, v16, vcc
	v_div_scale_f32 v19, s[0:1], v18, v18, v15
	v_lshlrev_b32_e32 v17, 16, v4
	v_bfe_u32 v5, v3, 16, 1
	v_rcp_f32_e32 v20, v19
	v_cmp_ngt_f32_e32 vcc, s17, v17
	v_add3_u32 v5, v3, v5, s7
	v_cndmask_b32_e32 v4, v9, v4, vcc
	v_and_b32_e32 v5, 0xffff0000, v5
	v_cmp_o_f32_e32 vcc, v3, v3
	v_cndmask_b32_e32 v3, v10, v5, vcc
	v_cmp_ngt_f32_e32 vcc, s17, v3
	v_fma_f32 v5, -v19, v20, 1.0
	v_cndmask_b32_e32 v3, v11, v3, vcc
	v_fmac_f32_e32 v20, v5, v20
	v_div_scale_f32 v5, vcc, v15, v18, v15
	v_mul_f32_e32 v21, v5, v20
	v_fma_f32 v22, -v19, v21, v5
	v_fmac_f32_e32 v21, v22, v20
	v_fma_f32 v5, -v19, v21, v5
	v_div_fmas_f32 v5, v5, v20, v21
	v_div_fixup_f32 v5, v5, v18, v15
	v_and_b32_e32 v6, 0xffff0000, v6
	v_and_b32_e32 v12, 0xffff0000, v12
	v_bfe_u32 v15, v5, 16, 1
	v_div_scale_f32 v18, s[0:1], v12, v12, v6
	v_add3_u32 v15, v5, v15, s7
	v_rcp_f32_e32 v19, v18
	v_lshrrev_b32_e32 v15, 16, v15
	v_cmp_o_f32_e32 vcc, v5, v5
	v_cndmask_b32_e32 v5, v8, v15, vcc
	v_lshlrev_b32_e32 v15, 16, v5
	v_cmp_ngt_f32_e32 vcc, s17, v15
	v_fma_f32 v20, -v18, v19, 1.0
	v_cndmask_b32_e32 v5, v9, v5, vcc
	v_fmac_f32_e32 v19, v20, v19
	v_div_scale_f32 v20, vcc, v6, v12, v6
	v_mul_f32_e32 v21, v20, v19
	v_fma_f32 v22, -v18, v21, v20
	v_fmac_f32_e32 v21, v22, v19
	v_fma_f32 v18, -v18, v21, v20
	v_div_fmas_f32 v18, v18, v19, v21
	v_div_fixup_f32 v6, v18, v12, v6
	v_lshlrev_b32_e32 v18, 16, v7
	s_waitcnt vmcnt(0)
	v_lshlrev_b32_e32 v19, 16, v13
	v_div_scale_f32 v20, s[0:1], v19, v19, v18
	v_bfe_u32 v12, v6, 16, 1
	v_rcp_f32_e32 v21, v20
	v_add3_u32 v12, v6, v12, s7
	v_and_b32_e32 v12, 0xffff0000, v12
	v_cmp_o_f32_e32 vcc, v6, v6
	v_cndmask_b32_e32 v6, v10, v12, vcc
	v_cmp_ngt_f32_e32 vcc, s17, v6
	v_fma_f32 v12, -v20, v21, 1.0
	v_cndmask_b32_e32 v6, v11, v6, vcc
	v_fmac_f32_e32 v21, v12, v21
	v_div_scale_f32 v12, vcc, v18, v19, v18
	v_mul_f32_e32 v22, v12, v21
	v_fma_f32 v23, -v20, v22, v12
	v_fmac_f32_e32 v22, v23, v21
	v_fma_f32 v12, -v20, v22, v12
	v_div_fmas_f32 v12, v12, v21, v22
	v_div_fixup_f32 v12, v12, v19, v18
	v_bfe_u32 v18, v12, 16, 1
	v_add3_u32 v18, v12, v18, s7
	v_lshrrev_b32_e32 v18, 16, v18
	v_cmp_o_f32_e32 vcc, v12, v12
	v_and_b32_e32 v7, 0xffff0000, v7
	v_and_b32_e32 v13, 0xffff0000, v13
	v_cndmask_b32_e32 v8, v8, v18, vcc
	v_div_scale_f32 v18, s[0:1], v13, v13, v7
	v_rcp_f32_e32 v19, v18
	v_lshlrev_b32_e32 v12, 16, v8
	v_cmp_ngt_f32_e32 vcc, s17, v12
	v_cndmask_b32_e32 v8, v9, v8, vcc
	v_fma_f32 v12, -v18, v19, 1.0
	v_fmac_f32_e32 v19, v12, v19
	v_div_scale_f32 v12, vcc, v7, v13, v7
	v_mul_f32_e32 v20, v12, v19
	v_fma_f32 v21, -v18, v20, v12
	v_fmac_f32_e32 v20, v21, v19
	v_fma_f32 v12, -v18, v20, v12
	v_div_fmas_f32 v12, v12, v19, v20
	v_div_fixup_f32 v7, v12, v13, v7
	v_bfe_u32 v12, v7, 16, 1
	v_add3_u32 v12, v7, v12, s7
	v_and_b32_e32 v12, 0xffff0000, v12
	v_cmp_o_f32_e32 vcc, v7, v7
	v_cndmask_b32_e32 v7, v10, v12, vcc
	v_cmp_ngt_f32_e32 vcc, s17, v7
	s_mov_b32 s2, 0x3f7e0000
	v_lshlrev_b32_e32 v16, 16, v14
	v_cndmask_b32_e32 v7, v11, v7, vcc
	v_mov_b32_e32 v10, 0x3f7e0000
	v_cmp_nlt_f32_e32 vcc, s2, v2
	v_cndmask_b32_e32 v2, v10, v2, vcc
	v_mov_b32_e32 v11, 0x3f7e
	v_cmp_nlt_f32_e32 vcc, s2, v16
	s_add_u32 s0, s8, s14
	v_cndmask_b32_e32 v12, v11, v14, vcc
	v_lshlrev_b32_e32 v17, 16, v4
	s_addc_u32 s1, s9, s15
	v_or_b32_e32 v2, v12, v2
	v_cmp_nlt_f32_e32 vcc, s2, v3
	global_store_dword v1, v2, s[0:1]
	v_cndmask_b32_e32 v2, v10, v3, vcc
	v_cmp_nlt_f32_e32 vcc, s2, v17
	v_cndmask_b32_e32 v3, v11, v4, vcc
	v_lshlrev_b32_e32 v15, 16, v5
	v_or_b32_e32 v2, v3, v2
	v_cmp_nlt_f32_e32 vcc, s2, v6
	global_store_dword v1, v2, s[0:1] offset:1024
	v_cndmask_b32_e32 v2, v10, v6, vcc
	v_cmp_nlt_f32_e32 vcc, s2, v15
	v_cndmask_b32_e32 v3, v11, v5, vcc
	v_lshlrev_b32_e32 v9, 16, v8
	v_or_b32_e32 v2, v3, v2
	v_cmp_nlt_f32_e32 vcc, s2, v7
	global_store_dword v1, v2, s[0:1] offset:2048
	v_cndmask_b32_e32 v2, v10, v7, vcc
	v_cmp_nlt_f32_e32 vcc, s2, v9
	v_cndmask_b32_e32 v3, v11, v8, vcc
	v_or_b32_e32 v2, v3, v2
	global_store_dword v1, v2, s[0:1] offset:3072
	s_mov_b64 s[0:1], 0
.LBB52_2:
	s_andn2_b64 vcc, exec, s[0:1]
	s_cbranch_vccnz .LBB52_41
; %bb.3:
	v_cmp_gt_i32_e64 s[0:1], s16, v0
	v_mov_b32_e32 v7, 0
	v_or_b32_e32 v2, s6, v0
	v_mov_b32_e32 v4, v0
	v_mov_b32_e32 v6, 0
	s_and_saveexec_b64 s[2:3], s[0:1]
	s_cbranch_execz .LBB52_5
; %bb.4:
	v_mov_b32_e32 v3, 0
	v_lshlrev_b64 v[4:5], 1, v[2:3]
	v_mov_b32_e32 v1, s13
	v_add_co_u32_e32 v8, vcc, s12, v4
	v_addc_co_u32_e32 v9, vcc, v1, v5, vcc
	v_mov_b32_e32 v1, s11
	v_add_co_u32_e32 v4, vcc, s10, v4
	v_addc_co_u32_e32 v5, vcc, v1, v5, vcc
	global_load_ushort v1, v[4:5], off
	global_load_ushort v3, v[8:9], off
	s_mov_b32 s4, 0x5040100
	v_or_b32_e32 v4, 0x100, v0
	s_waitcnt vmcnt(0)
	v_perm_b32 v6, v3, v1, s4
.LBB52_5:
	s_or_b64 exec, exec, s[2:3]
	v_cmp_gt_i32_e32 vcc, s16, v4
	s_and_saveexec_b64 s[2:3], vcc
	s_cbranch_execz .LBB52_7
; %bb.6:
	v_add_u32_e32 v8, s6, v4
	v_mov_b32_e32 v9, 0
	v_lshlrev_b64 v[8:9], 1, v[8:9]
	v_mov_b32_e32 v1, s13
	v_add_co_u32_e32 v10, vcc, s12, v8
	v_addc_co_u32_e32 v11, vcc, v1, v9, vcc
	v_mov_b32_e32 v1, s11
	v_add_co_u32_e32 v8, vcc, s10, v8
	v_addc_co_u32_e32 v9, vcc, v1, v9, vcc
	global_load_ushort v1, v[8:9], off
	global_load_ushort v3, v[10:11], off
	s_mov_b32 s4, 0x5040100
	v_add_u32_e32 v4, 0x100, v4
	s_waitcnt vmcnt(0)
	v_perm_b32 v7, v3, v1, s4
.LBB52_7:
	s_or_b64 exec, exec, s[2:3]
	v_cmp_gt_i32_e32 vcc, s16, v4
	v_mov_b32_e32 v5, 0
	v_mov_b32_e32 v11, 0
	s_and_saveexec_b64 s[2:3], vcc
	s_cbranch_execz .LBB52_9
; %bb.8:
	v_add_u32_e32 v8, s6, v4
	v_mov_b32_e32 v9, 0
	v_lshlrev_b64 v[8:9], 1, v[8:9]
	v_mov_b32_e32 v1, s13
	v_add_co_u32_e32 v10, vcc, s12, v8
	v_addc_co_u32_e32 v11, vcc, v1, v9, vcc
	v_mov_b32_e32 v1, s11
	v_add_co_u32_e32 v8, vcc, s10, v8
	v_addc_co_u32_e32 v9, vcc, v1, v9, vcc
	global_load_ushort v1, v[8:9], off
	global_load_ushort v3, v[10:11], off
	s_mov_b32 s4, 0x5040100
	v_add_u32_e32 v4, 0x100, v4
	s_waitcnt vmcnt(0)
	v_perm_b32 v11, v3, v1, s4
.LBB52_9:
	s_or_b64 exec, exec, s[2:3]
	v_cmp_gt_i32_e32 vcc, s16, v4
	s_and_saveexec_b64 s[2:3], vcc
	s_cbranch_execz .LBB52_11
; %bb.10:
	v_add_u32_e32 v8, s6, v4
	v_mov_b32_e32 v9, 0
	v_lshlrev_b64 v[8:9], 1, v[8:9]
	v_mov_b32_e32 v1, s13
	v_add_co_u32_e32 v12, vcc, s12, v8
	v_addc_co_u32_e32 v13, vcc, v1, v9, vcc
	v_mov_b32_e32 v1, s11
	v_add_co_u32_e32 v8, vcc, s10, v8
	v_addc_co_u32_e32 v9, vcc, v1, v9, vcc
	global_load_ushort v1, v[8:9], off
	global_load_ushort v3, v[12:13], off
	s_mov_b32 s4, 0x5040100
	v_add_u32_e32 v4, 0x100, v4
	s_waitcnt vmcnt(0)
	v_perm_b32 v5, v3, v1, s4
.LBB52_11:
	s_or_b64 exec, exec, s[2:3]
	v_cmp_gt_i32_e32 vcc, s16, v4
	v_mov_b32_e32 v3, 0
	v_mov_b32_e32 v10, 0
	s_and_saveexec_b64 s[2:3], vcc
	s_cbranch_execz .LBB52_13
; %bb.12:
	v_add_u32_e32 v8, s6, v4
	v_mov_b32_e32 v9, 0
	v_lshlrev_b64 v[8:9], 1, v[8:9]
	v_mov_b32_e32 v1, s13
	v_add_co_u32_e32 v12, vcc, s12, v8
	v_addc_co_u32_e32 v13, vcc, v1, v9, vcc
	v_mov_b32_e32 v1, s11
	v_add_co_u32_e32 v8, vcc, s10, v8
	v_addc_co_u32_e32 v9, vcc, v1, v9, vcc
	global_load_ushort v1, v[8:9], off
	global_load_ushort v10, v[12:13], off
	s_mov_b32 s4, 0x5040100
	v_add_u32_e32 v4, 0x100, v4
	s_waitcnt vmcnt(0)
	v_perm_b32 v10, v10, v1, s4
.LBB52_13:
	s_or_b64 exec, exec, s[2:3]
	v_cmp_gt_i32_e32 vcc, s16, v4
	s_and_saveexec_b64 s[2:3], vcc
	s_cbranch_execz .LBB52_15
; %bb.14:
	v_add_u32_e32 v8, s6, v4
	v_mov_b32_e32 v9, 0
	v_lshlrev_b64 v[8:9], 1, v[8:9]
	v_mov_b32_e32 v1, s13
	v_add_co_u32_e32 v12, vcc, s12, v8
	v_addc_co_u32_e32 v13, vcc, v1, v9, vcc
	v_mov_b32_e32 v1, s11
	v_add_co_u32_e32 v8, vcc, s10, v8
	v_addc_co_u32_e32 v9, vcc, v1, v9, vcc
	global_load_ushort v1, v[8:9], off
	global_load_ushort v3, v[12:13], off
	s_mov_b32 s4, 0x5040100
	v_add_u32_e32 v4, 0x100, v4
	s_waitcnt vmcnt(0)
	v_perm_b32 v3, v3, v1, s4
.LBB52_15:
	s_or_b64 exec, exec, s[2:3]
	v_cmp_gt_i32_e32 vcc, s16, v4
	v_mov_b32_e32 v1, 0
	v_mov_b32_e32 v8, 0
	s_and_saveexec_b64 s[2:3], vcc
	s_cbranch_execnz .LBB52_42
; %bb.16:
	s_or_b64 exec, exec, s[2:3]
	v_cmp_gt_i32_e32 vcc, s16, v4
	s_and_saveexec_b64 s[2:3], vcc
	s_cbranch_execnz .LBB52_43
.LBB52_17:
	s_or_b64 exec, exec, s[2:3]
                                        ; implicit-def: $vgpr4
	s_and_saveexec_b64 s[2:3], s[0:1]
	s_cbranch_execz .LBB52_19
.LBB52_18:
	v_and_b32_e32 v4, 0xffff0000, v6
	v_lshlrev_b32_e32 v6, 16, v6
	v_div_scale_f32 v9, s[4:5], v4, v4, v6
	v_rcp_f32_e32 v12, v9
	s_movk_i32 s4, 0x7fff
	v_fma_f32 v13, -v9, v12, 1.0
	v_fmac_f32_e32 v12, v13, v12
	v_div_scale_f32 v13, vcc, v6, v4, v6
	v_mul_f32_e32 v14, v13, v12
	v_fma_f32 v15, -v9, v14, v13
	v_fmac_f32_e32 v14, v15, v12
	v_fma_f32 v9, -v9, v14, v13
	v_div_fmas_f32 v9, v9, v12, v14
	v_div_fixup_f32 v4, v9, v4, v6
	v_bfe_u32 v6, v4, 16, 1
	v_add3_u32 v6, v4, v6, s4
	v_lshrrev_b32_e32 v6, 16, v6
	v_mov_b32_e32 v9, 0x7fc0
	v_cmp_o_f32_e32 vcc, v4, v4
	v_cndmask_b32_e32 v4, v9, v6, vcc
	v_lshlrev_b32_e32 v6, 16, v4
	s_mov_b32 s4, 0x800000
	v_mov_b32_e32 v9, 0x80
	v_cmp_ngt_f32_e32 vcc, s4, v6
	v_cndmask_b32_e32 v4, v9, v4, vcc
	v_lshlrev_b32_e32 v6, 16, v4
	s_mov_b32 s4, 0x3f7e0000
	v_mov_b32_e32 v9, 0x3f7e
	v_cmp_nlt_f32_e32 vcc, s4, v6
	v_cndmask_b32_e32 v4, v9, v4, vcc
.LBB52_19:
	s_or_b64 exec, exec, s[2:3]
	v_or_b32_e32 v6, 0x100, v0
	v_cmp_gt_i32_e32 vcc, s16, v6
                                        ; implicit-def: $vgpr9
	s_and_saveexec_b64 s[2:3], vcc
	s_cbranch_execz .LBB52_21
; %bb.20:
	v_and_b32_e32 v9, 0xffff0000, v7
	v_lshlrev_b32_e32 v7, 16, v7
	v_div_scale_f32 v12, s[4:5], v9, v9, v7
	v_rcp_f32_e32 v13, v12
	s_movk_i32 s4, 0x7fff
	v_fma_f32 v14, -v12, v13, 1.0
	v_fmac_f32_e32 v13, v14, v13
	v_div_scale_f32 v14, vcc, v7, v9, v7
	v_mul_f32_e32 v15, v14, v13
	v_fma_f32 v16, -v12, v15, v14
	v_fmac_f32_e32 v15, v16, v13
	v_fma_f32 v12, -v12, v15, v14
	v_div_fmas_f32 v12, v12, v13, v15
	v_div_fixup_f32 v7, v12, v9, v7
	v_bfe_u32 v9, v7, 16, 1
	v_add3_u32 v9, v7, v9, s4
	v_lshrrev_b32_e32 v9, 16, v9
	v_mov_b32_e32 v12, 0x7fc0
	v_cmp_o_f32_e32 vcc, v7, v7
	v_cndmask_b32_e32 v7, v12, v9, vcc
	v_lshlrev_b32_e32 v9, 16, v7
	s_mov_b32 s4, 0x800000
	v_mov_b32_e32 v12, 0x80
	v_cmp_ngt_f32_e32 vcc, s4, v9
	v_cndmask_b32_e32 v7, v12, v7, vcc
	v_lshlrev_b32_e32 v9, 16, v7
	s_mov_b32 s4, 0x3f7e0000
	v_mov_b32_e32 v12, 0x3f7e
	v_cmp_nlt_f32_e32 vcc, s4, v9
	v_cndmask_b32_e32 v9, v12, v7, vcc
.LBB52_21:
	s_or_b64 exec, exec, s[2:3]
	v_or_b32_e32 v7, 0x200, v0
	v_cmp_gt_i32_e32 vcc, s16, v7
                                        ; implicit-def: $vgpr7
	s_and_saveexec_b64 s[2:3], vcc
	s_cbranch_execz .LBB52_23
; %bb.22:
	v_and_b32_e32 v7, 0xffff0000, v11
	v_lshlrev_b32_e32 v11, 16, v11
	v_div_scale_f32 v12, s[4:5], v7, v7, v11
	v_rcp_f32_e32 v13, v12
	s_movk_i32 s4, 0x7fff
	v_fma_f32 v14, -v12, v13, 1.0
	v_fmac_f32_e32 v13, v14, v13
	v_div_scale_f32 v14, vcc, v11, v7, v11
	v_mul_f32_e32 v15, v14, v13
	v_fma_f32 v16, -v12, v15, v14
	v_fmac_f32_e32 v15, v16, v13
	v_fma_f32 v12, -v12, v15, v14
	v_div_fmas_f32 v12, v12, v13, v15
	v_div_fixup_f32 v7, v12, v7, v11
	v_bfe_u32 v11, v7, 16, 1
	v_add3_u32 v11, v7, v11, s4
	v_lshrrev_b32_e32 v11, 16, v11
	v_mov_b32_e32 v12, 0x7fc0
	v_cmp_o_f32_e32 vcc, v7, v7
	v_cndmask_b32_e32 v7, v12, v11, vcc
	v_lshlrev_b32_e32 v11, 16, v7
	s_mov_b32 s4, 0x800000
	v_mov_b32_e32 v12, 0x80
	v_cmp_ngt_f32_e32 vcc, s4, v11
	v_cndmask_b32_e32 v7, v12, v7, vcc
	v_lshlrev_b32_e32 v11, 16, v7
	s_mov_b32 s4, 0x3f7e0000
	v_mov_b32_e32 v12, 0x3f7e
	v_cmp_nlt_f32_e32 vcc, s4, v11
	v_cndmask_b32_e32 v7, v12, v7, vcc
.LBB52_23:
	s_or_b64 exec, exec, s[2:3]
	v_or_b32_e32 v11, 0x300, v0
	v_cmp_gt_i32_e32 vcc, s16, v11
                                        ; implicit-def: $vgpr11
	s_and_saveexec_b64 s[2:3], vcc
	s_cbranch_execz .LBB52_25
; %bb.24:
	v_and_b32_e32 v11, 0xffff0000, v5
	v_lshlrev_b32_e32 v5, 16, v5
	v_div_scale_f32 v12, s[4:5], v11, v11, v5
	v_rcp_f32_e32 v13, v12
	s_movk_i32 s4, 0x7fff
	v_fma_f32 v14, -v12, v13, 1.0
	v_fmac_f32_e32 v13, v14, v13
	v_div_scale_f32 v14, vcc, v5, v11, v5
	v_mul_f32_e32 v15, v14, v13
	v_fma_f32 v16, -v12, v15, v14
	v_fmac_f32_e32 v15, v16, v13
	v_fma_f32 v12, -v12, v15, v14
	v_div_fmas_f32 v12, v12, v13, v15
	v_div_fixup_f32 v5, v12, v11, v5
	v_bfe_u32 v11, v5, 16, 1
	v_add3_u32 v11, v5, v11, s4
	v_lshrrev_b32_e32 v11, 16, v11
	v_mov_b32_e32 v12, 0x7fc0
	v_cmp_o_f32_e32 vcc, v5, v5
	v_cndmask_b32_e32 v5, v12, v11, vcc
	v_lshlrev_b32_e32 v11, 16, v5
	s_mov_b32 s4, 0x800000
	v_mov_b32_e32 v12, 0x80
	v_cmp_ngt_f32_e32 vcc, s4, v11
	v_cndmask_b32_e32 v5, v12, v5, vcc
	v_lshlrev_b32_e32 v11, 16, v5
	s_mov_b32 s4, 0x3f7e0000
	v_mov_b32_e32 v12, 0x3f7e
	v_cmp_nlt_f32_e32 vcc, s4, v11
	v_cndmask_b32_e32 v11, v12, v5, vcc
.LBB52_25:
	s_or_b64 exec, exec, s[2:3]
	v_or_b32_e32 v5, 0x400, v0
	v_cmp_gt_i32_e32 vcc, s16, v5
                                        ; implicit-def: $vgpr5
	s_and_saveexec_b64 s[2:3], vcc
	s_cbranch_execz .LBB52_27
; %bb.26:
	v_and_b32_e32 v5, 0xffff0000, v10
	v_lshlrev_b32_e32 v10, 16, v10
	v_div_scale_f32 v12, s[4:5], v5, v5, v10
	v_rcp_f32_e32 v13, v12
	s_movk_i32 s4, 0x7fff
	v_fma_f32 v14, -v12, v13, 1.0
	v_fmac_f32_e32 v13, v14, v13
	v_div_scale_f32 v14, vcc, v10, v5, v10
	v_mul_f32_e32 v15, v14, v13
	v_fma_f32 v16, -v12, v15, v14
	v_fmac_f32_e32 v15, v16, v13
	v_fma_f32 v12, -v12, v15, v14
	v_div_fmas_f32 v12, v12, v13, v15
	v_div_fixup_f32 v5, v12, v5, v10
	v_bfe_u32 v10, v5, 16, 1
	v_add3_u32 v10, v5, v10, s4
	v_lshrrev_b32_e32 v10, 16, v10
	v_mov_b32_e32 v12, 0x7fc0
	v_cmp_o_f32_e32 vcc, v5, v5
	v_cndmask_b32_e32 v5, v12, v10, vcc
	v_lshlrev_b32_e32 v10, 16, v5
	s_mov_b32 s4, 0x800000
	v_mov_b32_e32 v12, 0x80
	v_cmp_ngt_f32_e32 vcc, s4, v10
	v_cndmask_b32_e32 v5, v12, v5, vcc
	v_lshlrev_b32_e32 v10, 16, v5
	s_mov_b32 s4, 0x3f7e0000
	v_mov_b32_e32 v12, 0x3f7e
	v_cmp_nlt_f32_e32 vcc, s4, v10
	v_cndmask_b32_e32 v5, v12, v5, vcc
.LBB52_27:
	s_or_b64 exec, exec, s[2:3]
	v_or_b32_e32 v10, 0x500, v0
	v_cmp_gt_i32_e32 vcc, s16, v10
                                        ; implicit-def: $vgpr10
	s_and_saveexec_b64 s[2:3], vcc
	s_cbranch_execz .LBB52_29
; %bb.28:
	v_and_b32_e32 v10, 0xffff0000, v3
	v_lshlrev_b32_e32 v3, 16, v3
	v_div_scale_f32 v12, s[4:5], v10, v10, v3
	v_rcp_f32_e32 v13, v12
	s_movk_i32 s4, 0x7fff
	v_fma_f32 v14, -v12, v13, 1.0
	v_fmac_f32_e32 v13, v14, v13
	v_div_scale_f32 v14, vcc, v3, v10, v3
	v_mul_f32_e32 v15, v14, v13
	v_fma_f32 v16, -v12, v15, v14
	v_fmac_f32_e32 v15, v16, v13
	v_fma_f32 v12, -v12, v15, v14
	v_div_fmas_f32 v12, v12, v13, v15
	v_div_fixup_f32 v3, v12, v10, v3
	v_bfe_u32 v10, v3, 16, 1
	v_add3_u32 v10, v3, v10, s4
	v_lshrrev_b32_e32 v10, 16, v10
	v_mov_b32_e32 v12, 0x7fc0
	v_cmp_o_f32_e32 vcc, v3, v3
	v_cndmask_b32_e32 v3, v12, v10, vcc
	v_lshlrev_b32_e32 v10, 16, v3
	s_mov_b32 s4, 0x800000
	v_mov_b32_e32 v12, 0x80
	v_cmp_ngt_f32_e32 vcc, s4, v10
	v_cndmask_b32_e32 v3, v12, v3, vcc
	v_lshlrev_b32_e32 v10, 16, v3
	s_mov_b32 s4, 0x3f7e0000
	v_mov_b32_e32 v12, 0x3f7e
	v_cmp_nlt_f32_e32 vcc, s4, v10
	v_cndmask_b32_e32 v10, v12, v3, vcc
.LBB52_29:
	s_or_b64 exec, exec, s[2:3]
	v_or_b32_e32 v3, 0x600, v0
	v_cmp_gt_i32_e32 vcc, s16, v3
                                        ; implicit-def: $vgpr12
	s_and_saveexec_b64 s[2:3], vcc
	s_cbranch_execz .LBB52_31
; %bb.30:
	v_and_b32_e32 v3, 0xffff0000, v8
	v_lshlrev_b32_e32 v8, 16, v8
	v_div_scale_f32 v12, s[4:5], v3, v3, v8
	v_rcp_f32_e32 v13, v12
	s_movk_i32 s4, 0x7fff
	v_fma_f32 v14, -v12, v13, 1.0
	v_fmac_f32_e32 v13, v14, v13
	v_div_scale_f32 v14, vcc, v8, v3, v8
	v_mul_f32_e32 v15, v14, v13
	v_fma_f32 v16, -v12, v15, v14
	v_fmac_f32_e32 v15, v16, v13
	v_fma_f32 v12, -v12, v15, v14
	v_div_fmas_f32 v12, v12, v13, v15
	v_div_fixup_f32 v3, v12, v3, v8
	v_bfe_u32 v8, v3, 16, 1
	v_add3_u32 v8, v3, v8, s4
	v_lshrrev_b32_e32 v8, 16, v8
	v_mov_b32_e32 v12, 0x7fc0
	v_cmp_o_f32_e32 vcc, v3, v3
	v_cndmask_b32_e32 v3, v12, v8, vcc
	v_lshlrev_b32_e32 v8, 16, v3
	s_mov_b32 s4, 0x800000
	v_mov_b32_e32 v12, 0x80
	v_cmp_ngt_f32_e32 vcc, s4, v8
	v_cndmask_b32_e32 v3, v12, v3, vcc
	v_lshlrev_b32_e32 v8, 16, v3
	s_mov_b32 s4, 0x3f7e0000
	v_mov_b32_e32 v12, 0x3f7e
	v_cmp_nlt_f32_e32 vcc, s4, v8
	v_cndmask_b32_e32 v12, v12, v3, vcc
.LBB52_31:
	s_or_b64 exec, exec, s[2:3]
	v_or_b32_e32 v3, 0x700, v0
	v_cmp_gt_i32_e32 vcc, s16, v3
                                        ; implicit-def: $vgpr8
	s_and_saveexec_b64 s[2:3], vcc
	s_cbranch_execnz .LBB52_44
; %bb.32:
	s_or_b64 exec, exec, s[2:3]
	s_and_saveexec_b64 s[2:3], s[0:1]
	s_xor_b64 s[0:1], exec, s[2:3]
	s_cbranch_execnz .LBB52_45
.LBB52_33:
	s_or_b64 exec, exec, s[0:1]
	v_cmp_gt_i32_e32 vcc, s16, v0
	s_and_saveexec_b64 s[0:1], vcc
	s_cbranch_execnz .LBB52_46
.LBB52_34:
	s_or_b64 exec, exec, s[0:1]
	v_cmp_gt_i32_e32 vcc, s16, v0
	s_and_saveexec_b64 s[0:1], vcc
	s_cbranch_execnz .LBB52_47
.LBB52_35:
	s_or_b64 exec, exec, s[0:1]
	v_cmp_gt_i32_e32 vcc, s16, v0
	s_and_saveexec_b64 s[0:1], vcc
	s_cbranch_execnz .LBB52_48
.LBB52_36:
	s_or_b64 exec, exec, s[0:1]
	v_cmp_gt_i32_e32 vcc, s16, v0
	s_and_saveexec_b64 s[0:1], vcc
	s_cbranch_execnz .LBB52_49
.LBB52_37:
	s_or_b64 exec, exec, s[0:1]
	v_cmp_gt_i32_e32 vcc, s16, v0
	s_and_saveexec_b64 s[0:1], vcc
	s_cbranch_execnz .LBB52_50
.LBB52_38:
	s_or_b64 exec, exec, s[0:1]
	v_cmp_gt_i32_e32 vcc, s16, v0
	s_and_saveexec_b64 s[0:1], vcc
	s_cbranch_execnz .LBB52_51
.LBB52_39:
	s_or_b64 exec, exec, s[0:1]
	v_cmp_gt_i32_e32 vcc, s16, v0
	s_and_saveexec_b64 s[0:1], vcc
	s_cbranch_execz .LBB52_41
.LBB52_40:
	v_add_u32_e32 v0, s6, v0
	v_mov_b32_e32 v1, 0
	v_lshlrev_b64 v[0:1], 1, v[0:1]
	v_mov_b32_e32 v2, s9
	v_add_co_u32_e32 v0, vcc, s8, v0
	v_addc_co_u32_e32 v1, vcc, v2, v1, vcc
	global_store_short v[0:1], v8, off
.LBB52_41:
	s_endpgm
.LBB52_42:
	v_add_u32_e32 v8, s6, v4
	v_mov_b32_e32 v9, 0
	v_lshlrev_b64 v[8:9], 1, v[8:9]
	v_mov_b32_e32 v13, s13
	v_add_co_u32_e32 v12, vcc, s12, v8
	v_addc_co_u32_e32 v13, vcc, v13, v9, vcc
	v_mov_b32_e32 v14, s11
	v_add_co_u32_e32 v8, vcc, s10, v8
	v_addc_co_u32_e32 v9, vcc, v14, v9, vcc
	global_load_ushort v14, v[8:9], off
	global_load_ushort v15, v[12:13], off
	s_mov_b32 s4, 0x5040100
	v_add_u32_e32 v4, 0x100, v4
	s_waitcnt vmcnt(0)
	v_perm_b32 v8, v15, v14, s4
	s_or_b64 exec, exec, s[2:3]
	v_cmp_gt_i32_e32 vcc, s16, v4
	s_and_saveexec_b64 s[2:3], vcc
	s_cbranch_execz .LBB52_17
.LBB52_43:
	v_add_u32_e32 v12, s6, v4
	v_mov_b32_e32 v13, 0
	v_lshlrev_b64 v[12:13], 1, v[12:13]
	v_mov_b32_e32 v1, s13
	v_add_co_u32_e32 v14, vcc, s12, v12
	v_addc_co_u32_e32 v15, vcc, v1, v13, vcc
	v_mov_b32_e32 v1, s11
	v_add_co_u32_e32 v12, vcc, s10, v12
	v_addc_co_u32_e32 v13, vcc, v1, v13, vcc
	global_load_ushort v1, v[12:13], off
	global_load_ushort v4, v[14:15], off
	s_mov_b32 s4, 0x5040100
	s_waitcnt vmcnt(0)
	v_perm_b32 v1, v4, v1, s4
	s_or_b64 exec, exec, s[2:3]
                                        ; implicit-def: $vgpr4
	s_and_saveexec_b64 s[2:3], s[0:1]
	s_cbranch_execnz .LBB52_18
	s_branch .LBB52_19
.LBB52_44:
	v_and_b32_e32 v3, 0xffff0000, v1
	v_lshlrev_b32_e32 v1, 16, v1
	v_div_scale_f32 v8, s[4:5], v3, v3, v1
	v_rcp_f32_e32 v13, v8
	s_movk_i32 s4, 0x7fff
	v_fma_f32 v14, -v8, v13, 1.0
	v_fmac_f32_e32 v13, v14, v13
	v_div_scale_f32 v14, vcc, v1, v3, v1
	v_mul_f32_e32 v15, v14, v13
	v_fma_f32 v16, -v8, v15, v14
	v_fmac_f32_e32 v15, v16, v13
	v_fma_f32 v8, -v8, v15, v14
	v_div_fmas_f32 v8, v8, v13, v15
	v_div_fixup_f32 v1, v8, v3, v1
	v_bfe_u32 v3, v1, 16, 1
	v_add3_u32 v3, v1, v3, s4
	v_lshrrev_b32_e32 v3, 16, v3
	v_mov_b32_e32 v8, 0x7fc0
	v_cmp_o_f32_e32 vcc, v1, v1
	v_cndmask_b32_e32 v1, v8, v3, vcc
	v_lshlrev_b32_e32 v3, 16, v1
	s_mov_b32 s4, 0x800000
	v_mov_b32_e32 v8, 0x80
	v_cmp_ngt_f32_e32 vcc, s4, v3
	v_cndmask_b32_e32 v1, v8, v1, vcc
	v_lshlrev_b32_e32 v3, 16, v1
	s_mov_b32 s4, 0x3f7e0000
	v_mov_b32_e32 v8, 0x3f7e
	v_cmp_nlt_f32_e32 vcc, s4, v3
	v_cndmask_b32_e32 v8, v8, v1, vcc
	s_or_b64 exec, exec, s[2:3]
	s_and_saveexec_b64 s[2:3], s[0:1]
	s_xor_b64 s[0:1], exec, s[2:3]
	s_cbranch_execz .LBB52_33
.LBB52_45:
	v_mov_b32_e32 v3, 0
	v_lshlrev_b64 v[0:1], 1, v[2:3]
	v_mov_b32_e32 v2, s9
	v_add_co_u32_e32 v0, vcc, s8, v0
	v_addc_co_u32_e32 v1, vcc, v2, v1, vcc
	global_store_short v[0:1], v4, off
	v_mov_b32_e32 v0, v6
	s_or_b64 exec, exec, s[0:1]
	v_cmp_gt_i32_e32 vcc, s16, v0
	s_and_saveexec_b64 s[0:1], vcc
	s_cbranch_execz .LBB52_34
.LBB52_46:
	v_add_u32_e32 v2, s6, v0
	v_mov_b32_e32 v3, 0
	v_lshlrev_b64 v[2:3], 1, v[2:3]
	v_mov_b32_e32 v1, s9
	v_add_co_u32_e32 v2, vcc, s8, v2
	v_addc_co_u32_e32 v3, vcc, v1, v3, vcc
	v_add_u32_e32 v0, 0x100, v0
	global_store_short v[2:3], v9, off
	s_or_b64 exec, exec, s[0:1]
	v_cmp_gt_i32_e32 vcc, s16, v0
	s_and_saveexec_b64 s[0:1], vcc
	s_cbranch_execz .LBB52_35
.LBB52_47:
	v_add_u32_e32 v2, s6, v0
	v_mov_b32_e32 v3, 0
	v_lshlrev_b64 v[2:3], 1, v[2:3]
	v_mov_b32_e32 v1, s9
	v_add_co_u32_e32 v2, vcc, s8, v2
	v_addc_co_u32_e32 v3, vcc, v1, v3, vcc
	v_add_u32_e32 v0, 0x100, v0
	global_store_short v[2:3], v7, off
	s_or_b64 exec, exec, s[0:1]
	v_cmp_gt_i32_e32 vcc, s16, v0
	s_and_saveexec_b64 s[0:1], vcc
	s_cbranch_execz .LBB52_36
.LBB52_48:
	v_add_u32_e32 v2, s6, v0
	v_mov_b32_e32 v3, 0
	v_lshlrev_b64 v[2:3], 1, v[2:3]
	v_mov_b32_e32 v1, s9
	v_add_co_u32_e32 v2, vcc, s8, v2
	v_addc_co_u32_e32 v3, vcc, v1, v3, vcc
	v_add_u32_e32 v0, 0x100, v0
	global_store_short v[2:3], v11, off
	s_or_b64 exec, exec, s[0:1]
	v_cmp_gt_i32_e32 vcc, s16, v0
	s_and_saveexec_b64 s[0:1], vcc
	s_cbranch_execz .LBB52_37
.LBB52_49:
	v_add_u32_e32 v2, s6, v0
	v_mov_b32_e32 v3, 0
	v_lshlrev_b64 v[2:3], 1, v[2:3]
	v_mov_b32_e32 v1, s9
	v_add_co_u32_e32 v2, vcc, s8, v2
	v_addc_co_u32_e32 v3, vcc, v1, v3, vcc
	v_add_u32_e32 v0, 0x100, v0
	global_store_short v[2:3], v5, off
	s_or_b64 exec, exec, s[0:1]
	v_cmp_gt_i32_e32 vcc, s16, v0
	s_and_saveexec_b64 s[0:1], vcc
	s_cbranch_execz .LBB52_38
.LBB52_50:
	v_add_u32_e32 v2, s6, v0
	v_mov_b32_e32 v3, 0
	v_lshlrev_b64 v[2:3], 1, v[2:3]
	v_mov_b32_e32 v1, s9
	v_add_co_u32_e32 v2, vcc, s8, v2
	v_addc_co_u32_e32 v3, vcc, v1, v3, vcc
	v_add_u32_e32 v0, 0x100, v0
	global_store_short v[2:3], v10, off
	s_or_b64 exec, exec, s[0:1]
	v_cmp_gt_i32_e32 vcc, s16, v0
	s_and_saveexec_b64 s[0:1], vcc
	s_cbranch_execz .LBB52_39
.LBB52_51:
	v_add_u32_e32 v2, s6, v0
	v_mov_b32_e32 v3, 0
	v_lshlrev_b64 v[2:3], 1, v[2:3]
	v_mov_b32_e32 v1, s9
	v_add_co_u32_e32 v2, vcc, s8, v2
	v_addc_co_u32_e32 v3, vcc, v1, v3, vcc
	v_add_u32_e32 v0, 0x100, v0
	global_store_short v[2:3], v12, off
	s_or_b64 exec, exec, s[0:1]
	v_cmp_gt_i32_e32 vcc, s16, v0
	s_and_saveexec_b64 s[0:1], vcc
	s_cbranch_execnz .LBB52_40
	s_branch .LBB52_41
	.section	.rodata,"a",@progbits
	.p2align	6, 0x0
	.amdhsa_kernel _ZN2at6native29vectorized_elementwise_kernelILi2EZZZNS0_23launch_dirichlet_kernelERNS_18TensorIteratorBaseEENKUlvE_clEvENKUlvE2_clEvEUlN3c108BFloat16ES7_E_St5arrayIPcLm3EEEEviT0_T1_
		.amdhsa_group_segment_fixed_size 0
		.amdhsa_private_segment_fixed_size 0
		.amdhsa_kernarg_size 32
		.amdhsa_user_sgpr_count 6
		.amdhsa_user_sgpr_private_segment_buffer 1
		.amdhsa_user_sgpr_dispatch_ptr 0
		.amdhsa_user_sgpr_queue_ptr 0
		.amdhsa_user_sgpr_kernarg_segment_ptr 1
		.amdhsa_user_sgpr_dispatch_id 0
		.amdhsa_user_sgpr_flat_scratch_init 0
		.amdhsa_user_sgpr_kernarg_preload_length 0
		.amdhsa_user_sgpr_kernarg_preload_offset 0
		.amdhsa_user_sgpr_private_segment_size 0
		.amdhsa_uses_dynamic_stack 0
		.amdhsa_system_sgpr_private_segment_wavefront_offset 0
		.amdhsa_system_sgpr_workgroup_id_x 1
		.amdhsa_system_sgpr_workgroup_id_y 0
		.amdhsa_system_sgpr_workgroup_id_z 0
		.amdhsa_system_sgpr_workgroup_info 0
		.amdhsa_system_vgpr_workitem_id 0
		.amdhsa_next_free_vgpr 38
		.amdhsa_next_free_sgpr 18
		.amdhsa_accum_offset 40
		.amdhsa_reserve_vcc 1
		.amdhsa_reserve_flat_scratch 0
		.amdhsa_float_round_mode_32 0
		.amdhsa_float_round_mode_16_64 0
		.amdhsa_float_denorm_mode_32 3
		.amdhsa_float_denorm_mode_16_64 3
		.amdhsa_dx10_clamp 1
		.amdhsa_ieee_mode 1
		.amdhsa_fp16_overflow 0
		.amdhsa_tg_split 0
		.amdhsa_exception_fp_ieee_invalid_op 0
		.amdhsa_exception_fp_denorm_src 0
		.amdhsa_exception_fp_ieee_div_zero 0
		.amdhsa_exception_fp_ieee_overflow 0
		.amdhsa_exception_fp_ieee_underflow 0
		.amdhsa_exception_fp_ieee_inexact 0
		.amdhsa_exception_int_div_zero 0
	.end_amdhsa_kernel
	.section	.text._ZN2at6native29vectorized_elementwise_kernelILi2EZZZNS0_23launch_dirichlet_kernelERNS_18TensorIteratorBaseEENKUlvE_clEvENKUlvE2_clEvEUlN3c108BFloat16ES7_E_St5arrayIPcLm3EEEEviT0_T1_,"axG",@progbits,_ZN2at6native29vectorized_elementwise_kernelILi2EZZZNS0_23launch_dirichlet_kernelERNS_18TensorIteratorBaseEENKUlvE_clEvENKUlvE2_clEvEUlN3c108BFloat16ES7_E_St5arrayIPcLm3EEEEviT0_T1_,comdat
.Lfunc_end52:
	.size	_ZN2at6native29vectorized_elementwise_kernelILi2EZZZNS0_23launch_dirichlet_kernelERNS_18TensorIteratorBaseEENKUlvE_clEvENKUlvE2_clEvEUlN3c108BFloat16ES7_E_St5arrayIPcLm3EEEEviT0_T1_, .Lfunc_end52-_ZN2at6native29vectorized_elementwise_kernelILi2EZZZNS0_23launch_dirichlet_kernelERNS_18TensorIteratorBaseEENKUlvE_clEvENKUlvE2_clEvEUlN3c108BFloat16ES7_E_St5arrayIPcLm3EEEEviT0_T1_
                                        ; -- End function
	.section	.AMDGPU.csdata,"",@progbits
; Kernel info:
; codeLenInByte = 4464
; NumSgprs: 22
; NumVgprs: 38
; NumAgprs: 0
; TotalNumVgprs: 38
; ScratchSize: 0
; MemoryBound: 0
; FloatMode: 240
; IeeeMode: 1
; LDSByteSize: 0 bytes/workgroup (compile time only)
; SGPRBlocks: 2
; VGPRBlocks: 4
; NumSGPRsForWavesPerEU: 22
; NumVGPRsForWavesPerEU: 38
; AccumOffset: 40
; Occupancy: 8
; WaveLimiterHint : 1
; COMPUTE_PGM_RSRC2:SCRATCH_EN: 0
; COMPUTE_PGM_RSRC2:USER_SGPR: 6
; COMPUTE_PGM_RSRC2:TRAP_HANDLER: 0
; COMPUTE_PGM_RSRC2:TGID_X_EN: 1
; COMPUTE_PGM_RSRC2:TGID_Y_EN: 0
; COMPUTE_PGM_RSRC2:TGID_Z_EN: 0
; COMPUTE_PGM_RSRC2:TIDIG_COMP_CNT: 0
; COMPUTE_PGM_RSRC3_GFX90A:ACCUM_OFFSET: 9
; COMPUTE_PGM_RSRC3_GFX90A:TG_SPLIT: 0
	.section	.text._ZN2at6native27unrolled_elementwise_kernelIZZZNS0_23launch_dirichlet_kernelERNS_18TensorIteratorBaseEENKUlvE_clEvENKUlvE2_clEvEUlN3c108BFloat16ES7_E_St5arrayIPcLm3EELi4E23TrivialOffsetCalculatorILi2EjESC_ILi1EjENS0_6memory15LoadWithoutCastENSF_16StoreWithoutCastEEEviT_T0_T2_T3_T4_T5_,"axG",@progbits,_ZN2at6native27unrolled_elementwise_kernelIZZZNS0_23launch_dirichlet_kernelERNS_18TensorIteratorBaseEENKUlvE_clEvENKUlvE2_clEvEUlN3c108BFloat16ES7_E_St5arrayIPcLm3EELi4E23TrivialOffsetCalculatorILi2EjESC_ILi1EjENS0_6memory15LoadWithoutCastENSF_16StoreWithoutCastEEEviT_T0_T2_T3_T4_T5_,comdat
	.globl	_ZN2at6native27unrolled_elementwise_kernelIZZZNS0_23launch_dirichlet_kernelERNS_18TensorIteratorBaseEENKUlvE_clEvENKUlvE2_clEvEUlN3c108BFloat16ES7_E_St5arrayIPcLm3EELi4E23TrivialOffsetCalculatorILi2EjESC_ILi1EjENS0_6memory15LoadWithoutCastENSF_16StoreWithoutCastEEEviT_T0_T2_T3_T4_T5_ ; -- Begin function _ZN2at6native27unrolled_elementwise_kernelIZZZNS0_23launch_dirichlet_kernelERNS_18TensorIteratorBaseEENKUlvE_clEvENKUlvE2_clEvEUlN3c108BFloat16ES7_E_St5arrayIPcLm3EELi4E23TrivialOffsetCalculatorILi2EjESC_ILi1EjENS0_6memory15LoadWithoutCastENSF_16StoreWithoutCastEEEviT_T0_T2_T3_T4_T5_
	.p2align	8
	.type	_ZN2at6native27unrolled_elementwise_kernelIZZZNS0_23launch_dirichlet_kernelERNS_18TensorIteratorBaseEENKUlvE_clEvENKUlvE2_clEvEUlN3c108BFloat16ES7_E_St5arrayIPcLm3EELi4E23TrivialOffsetCalculatorILi2EjESC_ILi1EjENS0_6memory15LoadWithoutCastENSF_16StoreWithoutCastEEEviT_T0_T2_T3_T4_T5_,@function
_ZN2at6native27unrolled_elementwise_kernelIZZZNS0_23launch_dirichlet_kernelERNS_18TensorIteratorBaseEENKUlvE_clEvENKUlvE2_clEvEUlN3c108BFloat16ES7_E_St5arrayIPcLm3EELi4E23TrivialOffsetCalculatorILi2EjESC_ILi1EjENS0_6memory15LoadWithoutCastENSF_16StoreWithoutCastEEEviT_T0_T2_T3_T4_T5_: ; @_ZN2at6native27unrolled_elementwise_kernelIZZZNS0_23launch_dirichlet_kernelERNS_18TensorIteratorBaseEENKUlvE_clEvENKUlvE2_clEvEUlN3c108BFloat16ES7_E_St5arrayIPcLm3EELi4E23TrivialOffsetCalculatorILi2EjESC_ILi1EjENS0_6memory15LoadWithoutCastENSF_16StoreWithoutCastEEEviT_T0_T2_T3_T4_T5_
; %bb.0:
	s_load_dword s0, s[4:5], 0x0
	s_load_dwordx4 s[8:11], s[4:5], 0x8
	s_load_dwordx2 s[2:3], s[4:5], 0x18
	s_lshl_b32 s6, s6, 10
	v_mov_b32_e32 v4, 0
	s_waitcnt lgkmcnt(0)
	s_sub_i32 s7, s0, s6
	v_cmp_gt_i32_e64 s[0:1], s7, v0
	v_or_b32_e32 v2, s6, v0
	v_mov_b32_e32 v6, v0
	v_mov_b32_e32 v9, 0
	;; [unrolled: 1-line block ×3, first 2 shown]
	s_and_saveexec_b64 s[4:5], s[0:1]
	s_cbranch_execz .LBB53_2
; %bb.1:
	v_mov_b32_e32 v3, 0
	v_lshlrev_b64 v[6:7], 1, v[2:3]
	v_mov_b32_e32 v1, s3
	v_add_co_u32_e32 v8, vcc, s2, v6
	v_addc_co_u32_e32 v9, vcc, v1, v7, vcc
	v_mov_b32_e32 v1, s11
	v_add_co_u32_e32 v6, vcc, s10, v6
	v_addc_co_u32_e32 v7, vcc, v1, v7, vcc
	global_load_ushort v1, v[6:7], off
	global_load_ushort v3, v[8:9], off
	v_or_b32_e32 v6, 0x100, v0
	s_waitcnt vmcnt(1)
	v_lshlrev_b32_e32 v9, 16, v1
	s_waitcnt vmcnt(0)
	v_lshlrev_b32_e32 v10, 16, v3
.LBB53_2:
	s_or_b64 exec, exec, s[4:5]
	v_cmp_gt_i32_e32 vcc, s7, v6
	v_mov_b32_e32 v8, 0
	s_and_saveexec_b64 s[4:5], vcc
	s_cbranch_execz .LBB53_4
; %bb.3:
	v_add_u32_e32 v4, s6, v6
	v_mov_b32_e32 v5, 0
	v_lshlrev_b64 v[4:5], 1, v[4:5]
	v_mov_b32_e32 v1, s3
	v_add_co_u32_e32 v12, vcc, s2, v4
	v_addc_co_u32_e32 v13, vcc, v1, v5, vcc
	v_mov_b32_e32 v1, s11
	v_add_co_u32_e32 v4, vcc, s10, v4
	v_addc_co_u32_e32 v5, vcc, v1, v5, vcc
	global_load_ushort v1, v[4:5], off
	global_load_ushort v3, v[12:13], off
	v_add_u32_e32 v6, 0x100, v6
	s_waitcnt vmcnt(1)
	v_lshlrev_b32_e32 v4, 16, v1
	s_waitcnt vmcnt(0)
	v_lshlrev_b32_e32 v8, 16, v3
.LBB53_4:
	s_or_b64 exec, exec, s[4:5]
	v_cmp_gt_i32_e32 vcc, s7, v6
	v_mov_b32_e32 v1, 0
	v_mov_b32_e32 v5, 0
	;; [unrolled: 1-line block ×3, first 2 shown]
	s_and_saveexec_b64 s[4:5], vcc
	s_cbranch_execz .LBB53_6
; %bb.5:
	v_add_u32_e32 v12, s6, v6
	v_mov_b32_e32 v13, 0
	v_lshlrev_b64 v[12:13], 1, v[12:13]
	v_mov_b32_e32 v3, s3
	v_add_co_u32_e32 v14, vcc, s2, v12
	v_addc_co_u32_e32 v15, vcc, v3, v13, vcc
	v_mov_b32_e32 v3, s11
	v_add_co_u32_e32 v12, vcc, s10, v12
	v_addc_co_u32_e32 v13, vcc, v3, v13, vcc
	global_load_ushort v3, v[12:13], off
	global_load_ushort v7, v[14:15], off
	v_add_u32_e32 v6, 0x100, v6
	s_waitcnt vmcnt(1)
	v_lshlrev_b32_e32 v5, 16, v3
	s_waitcnt vmcnt(0)
	v_lshlrev_b32_e32 v7, 16, v7
.LBB53_6:
	s_or_b64 exec, exec, s[4:5]
	v_cmp_gt_i32_e32 vcc, s7, v6
	v_mov_b32_e32 v3, 0
	s_and_saveexec_b64 s[4:5], vcc
	s_cbranch_execz .LBB53_8
; %bb.7:
	v_add_u32_e32 v12, s6, v6
	v_mov_b32_e32 v13, 0
	v_lshlrev_b64 v[12:13], 1, v[12:13]
	v_mov_b32_e32 v1, s3
	v_add_co_u32_e32 v14, vcc, s2, v12
	v_addc_co_u32_e32 v15, vcc, v1, v13, vcc
	v_mov_b32_e32 v1, s11
	v_add_co_u32_e32 v12, vcc, s10, v12
	v_addc_co_u32_e32 v13, vcc, v1, v13, vcc
	global_load_ushort v1, v[12:13], off
	global_load_ushort v3, v[14:15], off
	s_waitcnt vmcnt(1)
	v_lshlrev_b32_e32 v1, 16, v1
	s_waitcnt vmcnt(0)
	v_lshlrev_b32_e32 v3, 16, v3
.LBB53_8:
	s_or_b64 exec, exec, s[4:5]
                                        ; implicit-def: $vgpr6
	s_and_saveexec_b64 s[2:3], s[0:1]
	s_cbranch_execz .LBB53_10
; %bb.9:
	v_div_scale_f32 v6, s[4:5], v10, v10, v9
	v_rcp_f32_e32 v11, v6
	v_div_scale_f32 v12, vcc, v9, v10, v9
	s_movk_i32 s4, 0x7fff
	v_fma_f32 v13, -v6, v11, 1.0
	v_fmac_f32_e32 v11, v13, v11
	v_mul_f32_e32 v13, v12, v11
	v_fma_f32 v14, -v6, v13, v12
	v_fmac_f32_e32 v13, v14, v11
	v_fma_f32 v6, -v6, v13, v12
	v_div_fmas_f32 v6, v6, v11, v13
	v_div_fixup_f32 v6, v6, v10, v9
	v_bfe_u32 v9, v6, 16, 1
	v_add3_u32 v9, v6, v9, s4
	v_lshrrev_b32_e32 v9, 16, v9
	v_mov_b32_e32 v10, 0x7fc0
	v_cmp_o_f32_e32 vcc, v6, v6
	v_cndmask_b32_e32 v6, v10, v9, vcc
	v_lshlrev_b32_e32 v9, 16, v6
	s_mov_b32 s4, 0x800000
	v_mov_b32_e32 v10, 0x80
	v_cmp_ngt_f32_e32 vcc, s4, v9
	v_cndmask_b32_e32 v6, v10, v6, vcc
	v_lshlrev_b32_e32 v9, 16, v6
	s_mov_b32 s4, 0x3f7e0000
	v_mov_b32_e32 v10, 0x3f7e
	v_cmp_nlt_f32_e32 vcc, s4, v9
	v_cndmask_b32_e32 v6, v10, v6, vcc
.LBB53_10:
	s_or_b64 exec, exec, s[2:3]
	v_or_b32_e32 v9, 0x100, v0
	v_cmp_gt_i32_e32 vcc, s7, v9
                                        ; implicit-def: $vgpr10
	s_and_saveexec_b64 s[2:3], vcc
	s_cbranch_execz .LBB53_12
; %bb.11:
	v_div_scale_f32 v10, s[4:5], v8, v8, v4
	v_rcp_f32_e32 v11, v10
	v_div_scale_f32 v12, vcc, v4, v8, v4
	s_movk_i32 s4, 0x7fff
	v_fma_f32 v13, -v10, v11, 1.0
	v_fmac_f32_e32 v11, v13, v11
	v_mul_f32_e32 v13, v12, v11
	v_fma_f32 v14, -v10, v13, v12
	v_fmac_f32_e32 v13, v14, v11
	v_fma_f32 v10, -v10, v13, v12
	v_div_fmas_f32 v10, v10, v11, v13
	v_div_fixup_f32 v4, v10, v8, v4
	v_bfe_u32 v8, v4, 16, 1
	v_add3_u32 v8, v4, v8, s4
	v_lshrrev_b32_e32 v8, 16, v8
	v_mov_b32_e32 v10, 0x7fc0
	v_cmp_o_f32_e32 vcc, v4, v4
	v_cndmask_b32_e32 v4, v10, v8, vcc
	v_lshlrev_b32_e32 v8, 16, v4
	s_mov_b32 s4, 0x800000
	v_mov_b32_e32 v10, 0x80
	v_cmp_ngt_f32_e32 vcc, s4, v8
	v_cndmask_b32_e32 v4, v10, v4, vcc
	v_lshlrev_b32_e32 v8, 16, v4
	s_mov_b32 s4, 0x3f7e0000
	v_mov_b32_e32 v10, 0x3f7e
	v_cmp_nlt_f32_e32 vcc, s4, v8
	v_cndmask_b32_e32 v10, v10, v4, vcc
.LBB53_12:
	s_or_b64 exec, exec, s[2:3]
	v_or_b32_e32 v4, 0x200, v0
	v_cmp_gt_i32_e32 vcc, s7, v4
                                        ; implicit-def: $vgpr4
	s_and_saveexec_b64 s[2:3], vcc
	s_cbranch_execz .LBB53_14
; %bb.13:
	v_div_scale_f32 v4, s[4:5], v7, v7, v5
	v_rcp_f32_e32 v8, v4
	v_div_scale_f32 v11, vcc, v5, v7, v5
	s_movk_i32 s4, 0x7fff
	v_fma_f32 v12, -v4, v8, 1.0
	v_fmac_f32_e32 v8, v12, v8
	v_mul_f32_e32 v12, v11, v8
	v_fma_f32 v13, -v4, v12, v11
	v_fmac_f32_e32 v12, v13, v8
	v_fma_f32 v4, -v4, v12, v11
	v_div_fmas_f32 v4, v4, v8, v12
	v_div_fixup_f32 v4, v4, v7, v5
	v_bfe_u32 v5, v4, 16, 1
	v_add3_u32 v5, v4, v5, s4
	v_lshrrev_b32_e32 v5, 16, v5
	v_mov_b32_e32 v7, 0x7fc0
	v_cmp_o_f32_e32 vcc, v4, v4
	v_cndmask_b32_e32 v4, v7, v5, vcc
	v_lshlrev_b32_e32 v5, 16, v4
	s_mov_b32 s4, 0x800000
	v_mov_b32_e32 v7, 0x80
	v_cmp_ngt_f32_e32 vcc, s4, v5
	v_cndmask_b32_e32 v4, v7, v4, vcc
	v_lshlrev_b32_e32 v5, 16, v4
	s_mov_b32 s4, 0x3f7e0000
	v_mov_b32_e32 v7, 0x3f7e
	v_cmp_nlt_f32_e32 vcc, s4, v5
	v_cndmask_b32_e32 v4, v7, v4, vcc
.LBB53_14:
	s_or_b64 exec, exec, s[2:3]
	v_or_b32_e32 v5, 0x300, v0
	v_cmp_gt_i32_e32 vcc, s7, v5
                                        ; implicit-def: $vgpr5
	s_and_saveexec_b64 s[2:3], vcc
	s_cbranch_execnz .LBB53_20
; %bb.15:
	s_or_b64 exec, exec, s[2:3]
	s_and_saveexec_b64 s[2:3], s[0:1]
	s_xor_b64 s[0:1], exec, s[2:3]
	s_cbranch_execnz .LBB53_21
.LBB53_16:
	s_or_b64 exec, exec, s[0:1]
	v_cmp_gt_i32_e32 vcc, s7, v0
	s_and_saveexec_b64 s[0:1], vcc
	s_cbranch_execnz .LBB53_22
.LBB53_17:
	s_or_b64 exec, exec, s[0:1]
	v_cmp_gt_i32_e32 vcc, s7, v0
	s_and_saveexec_b64 s[0:1], vcc
	s_cbranch_execnz .LBB53_23
.LBB53_18:
	s_or_b64 exec, exec, s[0:1]
	v_cmp_gt_i32_e32 vcc, s7, v0
	s_and_saveexec_b64 s[0:1], vcc
	s_cbranch_execnz .LBB53_24
.LBB53_19:
	s_endpgm
.LBB53_20:
	v_div_scale_f32 v5, s[4:5], v3, v3, v1
	v_rcp_f32_e32 v7, v5
	v_div_scale_f32 v8, vcc, v1, v3, v1
	s_movk_i32 s4, 0x7fff
	v_fma_f32 v11, -v5, v7, 1.0
	v_fmac_f32_e32 v7, v11, v7
	v_mul_f32_e32 v11, v8, v7
	v_fma_f32 v12, -v5, v11, v8
	v_fmac_f32_e32 v11, v12, v7
	v_fma_f32 v5, -v5, v11, v8
	v_div_fmas_f32 v5, v5, v7, v11
	v_div_fixup_f32 v1, v5, v3, v1
	v_bfe_u32 v3, v1, 16, 1
	v_add3_u32 v3, v1, v3, s4
	v_lshrrev_b32_e32 v3, 16, v3
	v_mov_b32_e32 v5, 0x7fc0
	v_cmp_o_f32_e32 vcc, v1, v1
	v_cndmask_b32_e32 v1, v5, v3, vcc
	v_lshlrev_b32_e32 v3, 16, v1
	s_mov_b32 s4, 0x800000
	v_mov_b32_e32 v5, 0x80
	v_cmp_ngt_f32_e32 vcc, s4, v3
	v_cndmask_b32_e32 v1, v5, v1, vcc
	v_lshlrev_b32_e32 v3, 16, v1
	s_mov_b32 s4, 0x3f7e0000
	v_mov_b32_e32 v5, 0x3f7e
	v_cmp_nlt_f32_e32 vcc, s4, v3
	v_cndmask_b32_e32 v5, v5, v1, vcc
	s_or_b64 exec, exec, s[2:3]
	s_and_saveexec_b64 s[2:3], s[0:1]
	s_xor_b64 s[0:1], exec, s[2:3]
	s_cbranch_execz .LBB53_16
.LBB53_21:
	v_mov_b32_e32 v3, 0
	v_lshlrev_b64 v[0:1], 1, v[2:3]
	v_mov_b32_e32 v2, s9
	v_add_co_u32_e32 v0, vcc, s8, v0
	v_addc_co_u32_e32 v1, vcc, v2, v1, vcc
	global_store_short v[0:1], v6, off
	v_mov_b32_e32 v0, v9
	s_or_b64 exec, exec, s[0:1]
	v_cmp_gt_i32_e32 vcc, s7, v0
	s_and_saveexec_b64 s[0:1], vcc
	s_cbranch_execz .LBB53_17
.LBB53_22:
	v_add_u32_e32 v2, 0x100, v0
	v_add_u32_e32 v0, s6, v0
	v_mov_b32_e32 v1, 0
	v_lshlrev_b64 v[0:1], 1, v[0:1]
	v_mov_b32_e32 v3, s9
	v_add_co_u32_e32 v0, vcc, s8, v0
	v_addc_co_u32_e32 v1, vcc, v3, v1, vcc
	global_store_short v[0:1], v10, off
	v_mov_b32_e32 v0, v2
	s_or_b64 exec, exec, s[0:1]
	v_cmp_gt_i32_e32 vcc, s7, v0
	s_and_saveexec_b64 s[0:1], vcc
	s_cbranch_execz .LBB53_18
.LBB53_23:
	v_add_u32_e32 v2, 0x100, v0
	v_add_u32_e32 v0, s6, v0
	v_mov_b32_e32 v1, 0
	v_lshlrev_b64 v[0:1], 1, v[0:1]
	v_mov_b32_e32 v3, s9
	v_add_co_u32_e32 v0, vcc, s8, v0
	v_addc_co_u32_e32 v1, vcc, v3, v1, vcc
	global_store_short v[0:1], v4, off
	v_mov_b32_e32 v0, v2
	s_or_b64 exec, exec, s[0:1]
	v_cmp_gt_i32_e32 vcc, s7, v0
	s_and_saveexec_b64 s[0:1], vcc
	s_cbranch_execz .LBB53_19
.LBB53_24:
	v_add_u32_e32 v0, s6, v0
	v_mov_b32_e32 v1, 0
	v_lshlrev_b64 v[0:1], 1, v[0:1]
	v_mov_b32_e32 v2, s9
	v_add_co_u32_e32 v0, vcc, s8, v0
	v_addc_co_u32_e32 v1, vcc, v2, v1, vcc
	global_store_short v[0:1], v5, off
	s_endpgm
	.section	.rodata,"a",@progbits
	.p2align	6, 0x0
	.amdhsa_kernel _ZN2at6native27unrolled_elementwise_kernelIZZZNS0_23launch_dirichlet_kernelERNS_18TensorIteratorBaseEENKUlvE_clEvENKUlvE2_clEvEUlN3c108BFloat16ES7_E_St5arrayIPcLm3EELi4E23TrivialOffsetCalculatorILi2EjESC_ILi1EjENS0_6memory15LoadWithoutCastENSF_16StoreWithoutCastEEEviT_T0_T2_T3_T4_T5_
		.amdhsa_group_segment_fixed_size 0
		.amdhsa_private_segment_fixed_size 0
		.amdhsa_kernarg_size 36
		.amdhsa_user_sgpr_count 6
		.amdhsa_user_sgpr_private_segment_buffer 1
		.amdhsa_user_sgpr_dispatch_ptr 0
		.amdhsa_user_sgpr_queue_ptr 0
		.amdhsa_user_sgpr_kernarg_segment_ptr 1
		.amdhsa_user_sgpr_dispatch_id 0
		.amdhsa_user_sgpr_flat_scratch_init 0
		.amdhsa_user_sgpr_kernarg_preload_length 0
		.amdhsa_user_sgpr_kernarg_preload_offset 0
		.amdhsa_user_sgpr_private_segment_size 0
		.amdhsa_uses_dynamic_stack 0
		.amdhsa_system_sgpr_private_segment_wavefront_offset 0
		.amdhsa_system_sgpr_workgroup_id_x 1
		.amdhsa_system_sgpr_workgroup_id_y 0
		.amdhsa_system_sgpr_workgroup_id_z 0
		.amdhsa_system_sgpr_workgroup_info 0
		.amdhsa_system_vgpr_workitem_id 0
		.amdhsa_next_free_vgpr 16
		.amdhsa_next_free_sgpr 12
		.amdhsa_accum_offset 16
		.amdhsa_reserve_vcc 1
		.amdhsa_reserve_flat_scratch 0
		.amdhsa_float_round_mode_32 0
		.amdhsa_float_round_mode_16_64 0
		.amdhsa_float_denorm_mode_32 3
		.amdhsa_float_denorm_mode_16_64 3
		.amdhsa_dx10_clamp 1
		.amdhsa_ieee_mode 1
		.amdhsa_fp16_overflow 0
		.amdhsa_tg_split 0
		.amdhsa_exception_fp_ieee_invalid_op 0
		.amdhsa_exception_fp_denorm_src 0
		.amdhsa_exception_fp_ieee_div_zero 0
		.amdhsa_exception_fp_ieee_overflow 0
		.amdhsa_exception_fp_ieee_underflow 0
		.amdhsa_exception_fp_ieee_inexact 0
		.amdhsa_exception_int_div_zero 0
	.end_amdhsa_kernel
	.section	.text._ZN2at6native27unrolled_elementwise_kernelIZZZNS0_23launch_dirichlet_kernelERNS_18TensorIteratorBaseEENKUlvE_clEvENKUlvE2_clEvEUlN3c108BFloat16ES7_E_St5arrayIPcLm3EELi4E23TrivialOffsetCalculatorILi2EjESC_ILi1EjENS0_6memory15LoadWithoutCastENSF_16StoreWithoutCastEEEviT_T0_T2_T3_T4_T5_,"axG",@progbits,_ZN2at6native27unrolled_elementwise_kernelIZZZNS0_23launch_dirichlet_kernelERNS_18TensorIteratorBaseEENKUlvE_clEvENKUlvE2_clEvEUlN3c108BFloat16ES7_E_St5arrayIPcLm3EELi4E23TrivialOffsetCalculatorILi2EjESC_ILi1EjENS0_6memory15LoadWithoutCastENSF_16StoreWithoutCastEEEviT_T0_T2_T3_T4_T5_,comdat
.Lfunc_end53:
	.size	_ZN2at6native27unrolled_elementwise_kernelIZZZNS0_23launch_dirichlet_kernelERNS_18TensorIteratorBaseEENKUlvE_clEvENKUlvE2_clEvEUlN3c108BFloat16ES7_E_St5arrayIPcLm3EELi4E23TrivialOffsetCalculatorILi2EjESC_ILi1EjENS0_6memory15LoadWithoutCastENSF_16StoreWithoutCastEEEviT_T0_T2_T3_T4_T5_, .Lfunc_end53-_ZN2at6native27unrolled_elementwise_kernelIZZZNS0_23launch_dirichlet_kernelERNS_18TensorIteratorBaseEENKUlvE_clEvENKUlvE2_clEvEUlN3c108BFloat16ES7_E_St5arrayIPcLm3EELi4E23TrivialOffsetCalculatorILi2EjESC_ILi1EjENS0_6memory15LoadWithoutCastENSF_16StoreWithoutCastEEEviT_T0_T2_T3_T4_T5_
                                        ; -- End function
	.section	.AMDGPU.csdata,"",@progbits
; Kernel info:
; codeLenInByte = 1508
; NumSgprs: 16
; NumVgprs: 16
; NumAgprs: 0
; TotalNumVgprs: 16
; ScratchSize: 0
; MemoryBound: 0
; FloatMode: 240
; IeeeMode: 1
; LDSByteSize: 0 bytes/workgroup (compile time only)
; SGPRBlocks: 1
; VGPRBlocks: 1
; NumSGPRsForWavesPerEU: 16
; NumVGPRsForWavesPerEU: 16
; AccumOffset: 16
; Occupancy: 8
; WaveLimiterHint : 0
; COMPUTE_PGM_RSRC2:SCRATCH_EN: 0
; COMPUTE_PGM_RSRC2:USER_SGPR: 6
; COMPUTE_PGM_RSRC2:TRAP_HANDLER: 0
; COMPUTE_PGM_RSRC2:TGID_X_EN: 1
; COMPUTE_PGM_RSRC2:TGID_Y_EN: 0
; COMPUTE_PGM_RSRC2:TGID_Z_EN: 0
; COMPUTE_PGM_RSRC2:TIDIG_COMP_CNT: 0
; COMPUTE_PGM_RSRC3_GFX90A:ACCUM_OFFSET: 3
; COMPUTE_PGM_RSRC3_GFX90A:TG_SPLIT: 0
	.section	.text._ZN2at6native32elementwise_kernel_manual_unrollILi128ELi8EZNS0_22gpu_kernel_impl_nocastIZZZNS0_23launch_dirichlet_kernelERNS_18TensorIteratorBaseEENKUlvE_clEvENKUlvE2_clEvEUlN3c108BFloat16ES8_E_EEvS4_RKT_EUlibE_EEviT1_,"axG",@progbits,_ZN2at6native32elementwise_kernel_manual_unrollILi128ELi8EZNS0_22gpu_kernel_impl_nocastIZZZNS0_23launch_dirichlet_kernelERNS_18TensorIteratorBaseEENKUlvE_clEvENKUlvE2_clEvEUlN3c108BFloat16ES8_E_EEvS4_RKT_EUlibE_EEviT1_,comdat
	.globl	_ZN2at6native32elementwise_kernel_manual_unrollILi128ELi8EZNS0_22gpu_kernel_impl_nocastIZZZNS0_23launch_dirichlet_kernelERNS_18TensorIteratorBaseEENKUlvE_clEvENKUlvE2_clEvEUlN3c108BFloat16ES8_E_EEvS4_RKT_EUlibE_EEviT1_ ; -- Begin function _ZN2at6native32elementwise_kernel_manual_unrollILi128ELi8EZNS0_22gpu_kernel_impl_nocastIZZZNS0_23launch_dirichlet_kernelERNS_18TensorIteratorBaseEENKUlvE_clEvENKUlvE2_clEvEUlN3c108BFloat16ES8_E_EEvS4_RKT_EUlibE_EEviT1_
	.p2align	8
	.type	_ZN2at6native32elementwise_kernel_manual_unrollILi128ELi8EZNS0_22gpu_kernel_impl_nocastIZZZNS0_23launch_dirichlet_kernelERNS_18TensorIteratorBaseEENKUlvE_clEvENKUlvE2_clEvEUlN3c108BFloat16ES8_E_EEvS4_RKT_EUlibE_EEviT1_,@function
_ZN2at6native32elementwise_kernel_manual_unrollILi128ELi8EZNS0_22gpu_kernel_impl_nocastIZZZNS0_23launch_dirichlet_kernelERNS_18TensorIteratorBaseEENKUlvE_clEvENKUlvE2_clEvEUlN3c108BFloat16ES8_E_EEvS4_RKT_EUlibE_EEviT1_: ; @_ZN2at6native32elementwise_kernel_manual_unrollILi128ELi8EZNS0_22gpu_kernel_impl_nocastIZZZNS0_23launch_dirichlet_kernelERNS_18TensorIteratorBaseEENKUlvE_clEvENKUlvE2_clEvEUlN3c108BFloat16ES8_E_EEvS4_RKT_EUlibE_EEviT1_
; %bb.0:
	s_load_dword s36, s[4:5], 0x0
	s_load_dword s33, s[4:5], 0x8
	s_or_b32 s4, s4, 8
	v_lshl_or_b32 v32, s6, 10, v0
	v_or_b32_e32 v48, 0x380, v32
	s_waitcnt lgkmcnt(0)
	v_cmp_le_i32_e32 vcc, s36, v48
	s_add_i32 s34, s33, -1
	s_cmp_gt_u32 s34, 1
	s_cselect_b64 s[6:7], -1, 0
	s_and_saveexec_b64 s[0:1], vcc
	s_xor_b64 s[16:17], exec, s[0:1]
	s_cbranch_execz .LBB54_98
; %bb.1:
	s_load_dwordx4 s[12:15], s[4:5], 0x4
	s_load_dwordx2 s[22:23], s[4:5], 0x14
	s_load_dwordx4 s[8:11], s[4:5], 0xc4
	s_load_dwordx2 s[20:21], s[4:5], 0xd4
	s_load_dwordx2 s[18:19], s[4:5], 0x198
	s_load_dwordx4 s[0:3], s[4:5], 0x188
	s_cmp_lg_u32 s33, 0
	s_cselect_b64 s[26:27], -1, 0
	s_min_u32 s35, s34, 15
	s_cmp_gt_u32 s33, 1
	s_cselect_b64 s[24:25], -1, 0
	v_cmp_gt_i32_e32 vcc, s36, v32
	s_and_saveexec_b64 s[28:29], vcc
	s_cbranch_execnz .LBB54_9
; %bb.2:
	s_or_b64 exec, exec, s[28:29]
	v_cmp_gt_i32_e32 vcc, s36, v32
	s_and_saveexec_b64 s[28:29], vcc
	s_cbranch_execnz .LBB54_20
.LBB54_3:
	s_or_b64 exec, exec, s[28:29]
	v_cmp_gt_i32_e32 vcc, s36, v32
	s_and_saveexec_b64 s[28:29], vcc
	s_cbranch_execnz .LBB54_31
.LBB54_4:
	s_or_b64 exec, exec, s[28:29]
	v_cmp_gt_i32_e32 vcc, s36, v32
	s_and_saveexec_b64 s[28:29], vcc
	s_cbranch_execnz .LBB54_42
.LBB54_5:
	s_or_b64 exec, exec, s[28:29]
	v_cmp_gt_i32_e32 vcc, s36, v32
	s_and_saveexec_b64 s[28:29], vcc
	s_cbranch_execnz .LBB54_53
.LBB54_6:
	s_or_b64 exec, exec, s[28:29]
	v_cmp_gt_i32_e32 vcc, s36, v32
	s_and_saveexec_b64 s[28:29], vcc
	s_cbranch_execnz .LBB54_64
.LBB54_7:
	s_or_b64 exec, exec, s[28:29]
	v_cmp_gt_i32_e32 vcc, s36, v32
	s_and_saveexec_b64 s[28:29], vcc
	s_cbranch_execnz .LBB54_75
.LBB54_8:
	s_or_b64 exec, exec, s[28:29]
	v_cmp_gt_i32_e32 vcc, s36, v32
	s_and_saveexec_b64 s[28:29], vcc
	s_cbranch_execnz .LBB54_86
	s_branch .LBB54_97
.LBB54_9:
	s_andn2_b64 vcc, exec, s[6:7]
	s_cbranch_vccnz .LBB54_16
; %bb.10:
	s_andn2_b64 vcc, exec, s[26:27]
	v_mov_b32_e32 v2, 0
	v_mov_b32_e32 v4, 0
	;; [unrolled: 1-line block ×3, first 2 shown]
	s_cbranch_vccnz .LBB54_15
; %bb.11:
	s_add_i32 s30, s35, 1
	s_and_b32 s37, s30, 30
	s_add_u32 s30, s4, 0xffffffec
	s_addc_u32 s31, s5, -1
	v_mov_b32_e32 v0, 0
	v_mov_b32_e32 v1, v32
	;; [unrolled: 1-line block ×4, first 2 shown]
.LBB54_12:                              ; =>This Inner Loop Header: Depth=1
	s_mov_b64 s[38:39], s[30:31]
	s_load_dwordx4 s[40:43], s[38:39], 0x18
	s_load_dwordx2 s[48:49], s[38:39], 0x28
	s_load_dwordx2 s[50:51], s[38:39], 0xe8
	s_load_dwordx4 s[44:47], s[38:39], 0xd8
	s_add_u32 s30, s38, 24
	s_waitcnt lgkmcnt(0)
	v_mul_hi_u32 v3, s41, v1
	v_add_u32_e32 v3, v1, v3
	v_lshrrev_b32_e32 v3, s42, v3
	v_mul_lo_u32 v5, v3, s40
	v_mul_hi_u32 v6, s48, v3
	v_sub_u32_e32 v1, v1, v5
	v_add_u32_e32 v5, v3, v6
	v_mul_lo_u32 v6, v1, s44
	v_mul_lo_u32 v7, v1, s45
	;; [unrolled: 1-line block ×3, first 2 shown]
	v_lshrrev_b32_e32 v1, s49, v5
	v_mul_lo_u32 v5, v1, s43
	v_sub_u32_e32 v3, v3, v5
	s_addc_u32 s31, s39, 0
	s_add_i32 s37, s37, -2
	v_mul_lo_u32 v5, v3, s47
	v_mul_lo_u32 v9, v3, s50
	;; [unrolled: 1-line block ×3, first 2 shown]
	s_cmp_lg_u32 s37, 0
	v_add3_u32 v0, v6, v0, v5
	v_add3_u32 v2, v8, v2, v3
	v_add3_u32 v4, v7, v4, v9
	s_cbranch_scc1 .LBB54_12
; %bb.13:
	s_bitcmp1_b32 s35, 0
	s_cselect_b64 s[38:39], -1, 0
	s_and_b64 vcc, exec, s[38:39]
	s_cbranch_vccnz .LBB54_15
; %bb.14:
	s_load_dwordx2 s[38:39], s[30:31], 0x18
	s_load_dword s37, s[30:31], 0x20
	s_load_dword s42, s[30:31], 0xe0
	s_load_dwordx2 s[40:41], s[30:31], 0xd8
	s_waitcnt lgkmcnt(0)
	v_mul_hi_u32 v3, s39, v1
	v_add_u32_e32 v3, v1, v3
	v_lshrrev_b32_e32 v3, s37, v3
	v_mul_lo_u32 v3, v3, s38
	v_sub_u32_e32 v3, v1, v3
	v_mad_u64_u32 v[0:1], s[30:31], v3, s40, v[0:1]
	v_mad_u64_u32 v[4:5], s[30:31], v3, s41, v[4:5]
	;; [unrolled: 1-line block ×3, first 2 shown]
.LBB54_15:
	s_cbranch_execz .LBB54_17
	s_branch .LBB54_19
.LBB54_16:
                                        ; implicit-def: $vgpr2
                                        ; implicit-def: $vgpr4
                                        ; implicit-def: $vgpr0
.LBB54_17:
	s_waitcnt lgkmcnt(0)
	v_mul_hi_u32 v0, s13, v32
	v_add_u32_e32 v0, v32, v0
	v_lshrrev_b32_e32 v1, s14, v0
	v_mul_lo_u32 v0, v1, s12
	v_sub_u32_e32 v3, v32, v0
	v_mul_lo_u32 v0, v3, s8
	v_mul_lo_u32 v2, v3, s10
	s_andn2_b64 vcc, exec, s[24:25]
	v_mul_lo_u32 v4, v3, s9
	s_cbranch_vccnz .LBB54_19
; %bb.18:
	v_mul_hi_u32 v3, s22, v1
	v_add_u32_e32 v3, v1, v3
	v_lshrrev_b32_e32 v3, s23, v3
	v_mul_lo_u32 v3, v3, s15
	v_sub_u32_e32 v3, v1, v3
	v_mad_u64_u32 v[0:1], s[30:31], v3, s11, v[0:1]
	v_mad_u64_u32 v[4:5], s[30:31], v3, s20, v[4:5]
	;; [unrolled: 1-line block ×3, first 2 shown]
.LBB54_19:
	s_waitcnt lgkmcnt(0)
	global_load_ushort v1, v4, s[2:3]
	global_load_ushort v3, v2, s[18:19]
	s_movk_i32 s37, 0x7fff
	v_mov_b32_e32 v2, 0x7fc0
	s_mov_b32 s38, 0x800000
	v_mov_b32_e32 v4, 0x80
	s_mov_b32 s39, 0x3f7e0000
	v_mov_b32_e32 v7, 0x3f7e
	v_add_u32_e32 v32, 0x80, v32
	s_waitcnt vmcnt(1)
	v_lshlrev_b32_e32 v1, 16, v1
	s_waitcnt vmcnt(0)
	v_lshlrev_b32_e32 v3, 16, v3
	v_div_scale_f32 v5, s[30:31], v3, v3, v1
	v_rcp_f32_e32 v6, v5
	v_div_scale_f32 v8, vcc, v1, v3, v1
	v_fma_f32 v9, -v5, v6, 1.0
	v_fmac_f32_e32 v6, v9, v6
	v_mul_f32_e32 v9, v8, v6
	v_fma_f32 v10, -v5, v9, v8
	v_fmac_f32_e32 v9, v10, v6
	v_fma_f32 v5, -v5, v9, v8
	v_div_fmas_f32 v5, v5, v6, v9
	v_div_fixup_f32 v1, v5, v3, v1
	v_bfe_u32 v3, v1, 16, 1
	v_add3_u32 v3, v1, v3, s37
	v_lshrrev_b32_e32 v3, 16, v3
	v_cmp_o_f32_e32 vcc, v1, v1
	v_cndmask_b32_e32 v1, v2, v3, vcc
	v_lshlrev_b32_e32 v2, 16, v1
	v_cmp_ngt_f32_e32 vcc, s38, v2
	v_cndmask_b32_e32 v1, v4, v1, vcc
	v_lshlrev_b32_e32 v2, 16, v1
	v_cmp_nlt_f32_e32 vcc, s39, v2
	v_cndmask_b32_e32 v1, v7, v1, vcc
	global_store_short v0, v1, s[0:1]
	s_or_b64 exec, exec, s[28:29]
	v_cmp_gt_i32_e32 vcc, s36, v32
	s_and_saveexec_b64 s[28:29], vcc
	s_cbranch_execz .LBB54_3
.LBB54_20:
	s_andn2_b64 vcc, exec, s[6:7]
	s_cbranch_vccnz .LBB54_27
; %bb.21:
	s_andn2_b64 vcc, exec, s[26:27]
	v_mov_b32_e32 v2, 0
	v_mov_b32_e32 v4, 0
	;; [unrolled: 1-line block ×3, first 2 shown]
	s_cbranch_vccnz .LBB54_26
; %bb.22:
	s_add_i32 s30, s35, 1
	s_and_b32 s37, s30, 30
	s_add_u32 s30, s4, 0xffffffec
	s_addc_u32 s31, s5, -1
	v_mov_b32_e32 v0, 0
	v_mov_b32_e32 v1, v32
	;; [unrolled: 1-line block ×4, first 2 shown]
.LBB54_23:                              ; =>This Inner Loop Header: Depth=1
	s_mov_b64 s[38:39], s[30:31]
	s_load_dwordx4 s[40:43], s[38:39], 0x18
	s_load_dwordx2 s[48:49], s[38:39], 0x28
	s_load_dwordx2 s[50:51], s[38:39], 0xe8
	s_load_dwordx4 s[44:47], s[38:39], 0xd8
	s_add_u32 s30, s38, 24
	s_waitcnt lgkmcnt(0)
	v_mul_hi_u32 v3, s41, v1
	v_add_u32_e32 v3, v1, v3
	v_lshrrev_b32_e32 v3, s42, v3
	v_mul_lo_u32 v5, v3, s40
	v_mul_hi_u32 v6, s48, v3
	v_sub_u32_e32 v1, v1, v5
	v_add_u32_e32 v5, v3, v6
	v_mul_lo_u32 v6, v1, s44
	v_mul_lo_u32 v7, v1, s45
	v_mul_lo_u32 v8, v1, s46
	v_lshrrev_b32_e32 v1, s49, v5
	v_mul_lo_u32 v5, v1, s43
	v_sub_u32_e32 v3, v3, v5
	s_addc_u32 s31, s39, 0
	s_add_i32 s37, s37, -2
	v_mul_lo_u32 v5, v3, s47
	v_mul_lo_u32 v9, v3, s50
	v_mul_lo_u32 v3, v3, s51
	s_cmp_eq_u32 s37, 0
	v_add3_u32 v0, v6, v0, v5
	v_add3_u32 v2, v8, v2, v3
	;; [unrolled: 1-line block ×3, first 2 shown]
	s_cbranch_scc0 .LBB54_23
; %bb.24:
	s_bitcmp1_b32 s35, 0
	s_cselect_b64 s[38:39], -1, 0
	s_and_b64 vcc, exec, s[38:39]
	s_cbranch_vccnz .LBB54_26
; %bb.25:
	s_load_dwordx2 s[38:39], s[30:31], 0x18
	s_load_dword s37, s[30:31], 0x20
	s_load_dword s42, s[30:31], 0xe0
	s_load_dwordx2 s[40:41], s[30:31], 0xd8
	s_waitcnt lgkmcnt(0)
	v_mul_hi_u32 v3, s39, v1
	v_add_u32_e32 v3, v1, v3
	v_lshrrev_b32_e32 v3, s37, v3
	v_mul_lo_u32 v3, v3, s38
	v_sub_u32_e32 v3, v1, v3
	v_mad_u64_u32 v[0:1], s[30:31], v3, s40, v[0:1]
	v_mad_u64_u32 v[4:5], s[30:31], v3, s41, v[4:5]
	;; [unrolled: 1-line block ×3, first 2 shown]
.LBB54_26:
	s_cbranch_execz .LBB54_28
	s_branch .LBB54_30
.LBB54_27:
                                        ; implicit-def: $vgpr2
                                        ; implicit-def: $vgpr4
                                        ; implicit-def: $vgpr0
.LBB54_28:
	s_waitcnt lgkmcnt(0)
	v_mul_hi_u32 v0, s13, v32
	v_add_u32_e32 v0, v32, v0
	v_lshrrev_b32_e32 v1, s14, v0
	v_mul_lo_u32 v0, v1, s12
	v_sub_u32_e32 v3, v32, v0
	v_mul_lo_u32 v0, v3, s8
	v_mul_lo_u32 v2, v3, s10
	s_andn2_b64 vcc, exec, s[24:25]
	v_mul_lo_u32 v4, v3, s9
	s_cbranch_vccnz .LBB54_30
; %bb.29:
	v_mul_hi_u32 v3, s22, v1
	v_add_u32_e32 v3, v1, v3
	v_lshrrev_b32_e32 v3, s23, v3
	v_mul_lo_u32 v3, v3, s15
	v_sub_u32_e32 v3, v1, v3
	v_mad_u64_u32 v[0:1], s[30:31], v3, s11, v[0:1]
	v_mad_u64_u32 v[4:5], s[30:31], v3, s20, v[4:5]
	;; [unrolled: 1-line block ×3, first 2 shown]
.LBB54_30:
	s_waitcnt lgkmcnt(0)
	global_load_ushort v1, v4, s[2:3]
	global_load_ushort v3, v2, s[18:19]
	s_movk_i32 s37, 0x7fff
	v_mov_b32_e32 v2, 0x7fc0
	s_mov_b32 s38, 0x800000
	v_mov_b32_e32 v4, 0x80
	s_mov_b32 s39, 0x3f7e0000
	v_mov_b32_e32 v7, 0x3f7e
	v_add_u32_e32 v32, 0x80, v32
	s_waitcnt vmcnt(1)
	v_lshlrev_b32_e32 v1, 16, v1
	s_waitcnt vmcnt(0)
	v_lshlrev_b32_e32 v3, 16, v3
	v_div_scale_f32 v5, s[30:31], v3, v3, v1
	v_rcp_f32_e32 v6, v5
	v_div_scale_f32 v8, vcc, v1, v3, v1
	v_fma_f32 v9, -v5, v6, 1.0
	v_fmac_f32_e32 v6, v9, v6
	v_mul_f32_e32 v9, v8, v6
	v_fma_f32 v10, -v5, v9, v8
	v_fmac_f32_e32 v9, v10, v6
	v_fma_f32 v5, -v5, v9, v8
	v_div_fmas_f32 v5, v5, v6, v9
	v_div_fixup_f32 v1, v5, v3, v1
	v_bfe_u32 v3, v1, 16, 1
	v_add3_u32 v3, v1, v3, s37
	v_lshrrev_b32_e32 v3, 16, v3
	v_cmp_o_f32_e32 vcc, v1, v1
	v_cndmask_b32_e32 v1, v2, v3, vcc
	v_lshlrev_b32_e32 v2, 16, v1
	v_cmp_ngt_f32_e32 vcc, s38, v2
	v_cndmask_b32_e32 v1, v4, v1, vcc
	v_lshlrev_b32_e32 v2, 16, v1
	v_cmp_nlt_f32_e32 vcc, s39, v2
	v_cndmask_b32_e32 v1, v7, v1, vcc
	global_store_short v0, v1, s[0:1]
	s_or_b64 exec, exec, s[28:29]
	v_cmp_gt_i32_e32 vcc, s36, v32
	s_and_saveexec_b64 s[28:29], vcc
	s_cbranch_execz .LBB54_4
.LBB54_31:
	s_andn2_b64 vcc, exec, s[6:7]
	s_cbranch_vccnz .LBB54_38
; %bb.32:
	s_andn2_b64 vcc, exec, s[26:27]
	v_mov_b32_e32 v2, 0
	v_mov_b32_e32 v4, 0
	v_mov_b32_e32 v0, 0
	s_cbranch_vccnz .LBB54_37
; %bb.33:
	s_add_i32 s30, s35, 1
	s_and_b32 s37, s30, 30
	s_add_u32 s30, s4, 0xffffffec
	s_addc_u32 s31, s5, -1
	v_mov_b32_e32 v0, 0
	v_mov_b32_e32 v1, v32
	v_mov_b32_e32 v4, 0
	v_mov_b32_e32 v2, 0
.LBB54_34:                              ; =>This Inner Loop Header: Depth=1
	s_mov_b64 s[38:39], s[30:31]
	s_load_dwordx4 s[40:43], s[38:39], 0x18
	s_load_dwordx2 s[48:49], s[38:39], 0x28
	s_load_dwordx2 s[50:51], s[38:39], 0xe8
	s_load_dwordx4 s[44:47], s[38:39], 0xd8
	s_add_u32 s30, s38, 24
	s_waitcnt lgkmcnt(0)
	v_mul_hi_u32 v3, s41, v1
	v_add_u32_e32 v3, v1, v3
	v_lshrrev_b32_e32 v3, s42, v3
	v_mul_lo_u32 v5, v3, s40
	v_mul_hi_u32 v6, s48, v3
	v_sub_u32_e32 v1, v1, v5
	v_add_u32_e32 v5, v3, v6
	v_mul_lo_u32 v6, v1, s44
	v_mul_lo_u32 v7, v1, s45
	;; [unrolled: 1-line block ×3, first 2 shown]
	v_lshrrev_b32_e32 v1, s49, v5
	v_mul_lo_u32 v5, v1, s43
	v_sub_u32_e32 v3, v3, v5
	s_addc_u32 s31, s39, 0
	s_add_i32 s37, s37, -2
	v_mul_lo_u32 v5, v3, s47
	v_mul_lo_u32 v9, v3, s50
	;; [unrolled: 1-line block ×3, first 2 shown]
	s_cmp_eq_u32 s37, 0
	v_add3_u32 v0, v6, v0, v5
	v_add3_u32 v2, v8, v2, v3
	;; [unrolled: 1-line block ×3, first 2 shown]
	s_cbranch_scc0 .LBB54_34
; %bb.35:
	s_bitcmp1_b32 s35, 0
	s_cselect_b64 s[38:39], -1, 0
	s_and_b64 vcc, exec, s[38:39]
	s_cbranch_vccnz .LBB54_37
; %bb.36:
	s_load_dwordx2 s[38:39], s[30:31], 0x18
	s_load_dword s37, s[30:31], 0x20
	s_load_dword s42, s[30:31], 0xe0
	s_load_dwordx2 s[40:41], s[30:31], 0xd8
	s_waitcnt lgkmcnt(0)
	v_mul_hi_u32 v3, s39, v1
	v_add_u32_e32 v3, v1, v3
	v_lshrrev_b32_e32 v3, s37, v3
	v_mul_lo_u32 v3, v3, s38
	v_sub_u32_e32 v3, v1, v3
	v_mad_u64_u32 v[0:1], s[30:31], v3, s40, v[0:1]
	v_mad_u64_u32 v[4:5], s[30:31], v3, s41, v[4:5]
	;; [unrolled: 1-line block ×3, first 2 shown]
.LBB54_37:
	s_cbranch_execz .LBB54_39
	s_branch .LBB54_41
.LBB54_38:
                                        ; implicit-def: $vgpr2
                                        ; implicit-def: $vgpr4
                                        ; implicit-def: $vgpr0
.LBB54_39:
	s_waitcnt lgkmcnt(0)
	v_mul_hi_u32 v0, s13, v32
	v_add_u32_e32 v0, v32, v0
	v_lshrrev_b32_e32 v1, s14, v0
	v_mul_lo_u32 v0, v1, s12
	v_sub_u32_e32 v3, v32, v0
	v_mul_lo_u32 v0, v3, s8
	v_mul_lo_u32 v2, v3, s10
	s_andn2_b64 vcc, exec, s[24:25]
	v_mul_lo_u32 v4, v3, s9
	s_cbranch_vccnz .LBB54_41
; %bb.40:
	v_mul_hi_u32 v3, s22, v1
	v_add_u32_e32 v3, v1, v3
	v_lshrrev_b32_e32 v3, s23, v3
	v_mul_lo_u32 v3, v3, s15
	v_sub_u32_e32 v3, v1, v3
	v_mad_u64_u32 v[0:1], s[30:31], v3, s11, v[0:1]
	v_mad_u64_u32 v[4:5], s[30:31], v3, s20, v[4:5]
	;; [unrolled: 1-line block ×3, first 2 shown]
.LBB54_41:
	s_waitcnt lgkmcnt(0)
	global_load_ushort v1, v4, s[2:3]
	global_load_ushort v3, v2, s[18:19]
	s_movk_i32 s37, 0x7fff
	v_mov_b32_e32 v2, 0x7fc0
	s_mov_b32 s38, 0x800000
	v_mov_b32_e32 v4, 0x80
	s_mov_b32 s39, 0x3f7e0000
	v_mov_b32_e32 v7, 0x3f7e
	v_add_u32_e32 v32, 0x80, v32
	s_waitcnt vmcnt(1)
	v_lshlrev_b32_e32 v1, 16, v1
	s_waitcnt vmcnt(0)
	v_lshlrev_b32_e32 v3, 16, v3
	v_div_scale_f32 v5, s[30:31], v3, v3, v1
	v_rcp_f32_e32 v6, v5
	v_div_scale_f32 v8, vcc, v1, v3, v1
	v_fma_f32 v9, -v5, v6, 1.0
	v_fmac_f32_e32 v6, v9, v6
	v_mul_f32_e32 v9, v8, v6
	v_fma_f32 v10, -v5, v9, v8
	v_fmac_f32_e32 v9, v10, v6
	v_fma_f32 v5, -v5, v9, v8
	v_div_fmas_f32 v5, v5, v6, v9
	v_div_fixup_f32 v1, v5, v3, v1
	v_bfe_u32 v3, v1, 16, 1
	v_add3_u32 v3, v1, v3, s37
	v_lshrrev_b32_e32 v3, 16, v3
	v_cmp_o_f32_e32 vcc, v1, v1
	v_cndmask_b32_e32 v1, v2, v3, vcc
	v_lshlrev_b32_e32 v2, 16, v1
	v_cmp_ngt_f32_e32 vcc, s38, v2
	v_cndmask_b32_e32 v1, v4, v1, vcc
	v_lshlrev_b32_e32 v2, 16, v1
	v_cmp_nlt_f32_e32 vcc, s39, v2
	v_cndmask_b32_e32 v1, v7, v1, vcc
	global_store_short v0, v1, s[0:1]
	s_or_b64 exec, exec, s[28:29]
	v_cmp_gt_i32_e32 vcc, s36, v32
	s_and_saveexec_b64 s[28:29], vcc
	s_cbranch_execz .LBB54_5
.LBB54_42:
	s_andn2_b64 vcc, exec, s[6:7]
	s_cbranch_vccnz .LBB54_49
; %bb.43:
	s_andn2_b64 vcc, exec, s[26:27]
	v_mov_b32_e32 v2, 0
	v_mov_b32_e32 v4, 0
	;; [unrolled: 1-line block ×3, first 2 shown]
	s_cbranch_vccnz .LBB54_48
; %bb.44:
	s_add_i32 s30, s35, 1
	s_and_b32 s37, s30, 30
	s_add_u32 s30, s4, 0xffffffec
	s_addc_u32 s31, s5, -1
	v_mov_b32_e32 v0, 0
	v_mov_b32_e32 v1, v32
	;; [unrolled: 1-line block ×4, first 2 shown]
.LBB54_45:                              ; =>This Inner Loop Header: Depth=1
	s_mov_b64 s[38:39], s[30:31]
	s_load_dwordx4 s[40:43], s[38:39], 0x18
	s_load_dwordx2 s[48:49], s[38:39], 0x28
	s_load_dwordx2 s[50:51], s[38:39], 0xe8
	s_load_dwordx4 s[44:47], s[38:39], 0xd8
	s_add_u32 s30, s38, 24
	s_waitcnt lgkmcnt(0)
	v_mul_hi_u32 v3, s41, v1
	v_add_u32_e32 v3, v1, v3
	v_lshrrev_b32_e32 v3, s42, v3
	v_mul_lo_u32 v5, v3, s40
	v_mul_hi_u32 v6, s48, v3
	v_sub_u32_e32 v1, v1, v5
	v_add_u32_e32 v5, v3, v6
	v_mul_lo_u32 v6, v1, s44
	v_mul_lo_u32 v7, v1, s45
	;; [unrolled: 1-line block ×3, first 2 shown]
	v_lshrrev_b32_e32 v1, s49, v5
	v_mul_lo_u32 v5, v1, s43
	v_sub_u32_e32 v3, v3, v5
	s_addc_u32 s31, s39, 0
	s_add_i32 s37, s37, -2
	v_mul_lo_u32 v5, v3, s47
	v_mul_lo_u32 v9, v3, s50
	;; [unrolled: 1-line block ×3, first 2 shown]
	s_cmp_eq_u32 s37, 0
	v_add3_u32 v0, v6, v0, v5
	v_add3_u32 v2, v8, v2, v3
	;; [unrolled: 1-line block ×3, first 2 shown]
	s_cbranch_scc0 .LBB54_45
; %bb.46:
	s_bitcmp1_b32 s35, 0
	s_cselect_b64 s[38:39], -1, 0
	s_and_b64 vcc, exec, s[38:39]
	s_cbranch_vccnz .LBB54_48
; %bb.47:
	s_load_dwordx2 s[38:39], s[30:31], 0x18
	s_load_dword s37, s[30:31], 0x20
	s_load_dword s42, s[30:31], 0xe0
	s_load_dwordx2 s[40:41], s[30:31], 0xd8
	s_waitcnt lgkmcnt(0)
	v_mul_hi_u32 v3, s39, v1
	v_add_u32_e32 v3, v1, v3
	v_lshrrev_b32_e32 v3, s37, v3
	v_mul_lo_u32 v3, v3, s38
	v_sub_u32_e32 v3, v1, v3
	v_mad_u64_u32 v[0:1], s[30:31], v3, s40, v[0:1]
	v_mad_u64_u32 v[4:5], s[30:31], v3, s41, v[4:5]
	;; [unrolled: 1-line block ×3, first 2 shown]
.LBB54_48:
	s_cbranch_execz .LBB54_50
	s_branch .LBB54_52
.LBB54_49:
                                        ; implicit-def: $vgpr2
                                        ; implicit-def: $vgpr4
                                        ; implicit-def: $vgpr0
.LBB54_50:
	s_waitcnt lgkmcnt(0)
	v_mul_hi_u32 v0, s13, v32
	v_add_u32_e32 v0, v32, v0
	v_lshrrev_b32_e32 v1, s14, v0
	v_mul_lo_u32 v0, v1, s12
	v_sub_u32_e32 v3, v32, v0
	v_mul_lo_u32 v0, v3, s8
	v_mul_lo_u32 v2, v3, s10
	s_andn2_b64 vcc, exec, s[24:25]
	v_mul_lo_u32 v4, v3, s9
	s_cbranch_vccnz .LBB54_52
; %bb.51:
	v_mul_hi_u32 v3, s22, v1
	v_add_u32_e32 v3, v1, v3
	v_lshrrev_b32_e32 v3, s23, v3
	v_mul_lo_u32 v3, v3, s15
	v_sub_u32_e32 v3, v1, v3
	v_mad_u64_u32 v[0:1], s[30:31], v3, s11, v[0:1]
	v_mad_u64_u32 v[4:5], s[30:31], v3, s20, v[4:5]
	;; [unrolled: 1-line block ×3, first 2 shown]
.LBB54_52:
	s_waitcnt lgkmcnt(0)
	global_load_ushort v1, v4, s[2:3]
	global_load_ushort v3, v2, s[18:19]
	s_movk_i32 s37, 0x7fff
	v_mov_b32_e32 v2, 0x7fc0
	s_mov_b32 s38, 0x800000
	v_mov_b32_e32 v4, 0x80
	s_mov_b32 s39, 0x3f7e0000
	v_mov_b32_e32 v7, 0x3f7e
	v_add_u32_e32 v32, 0x80, v32
	s_waitcnt vmcnt(1)
	v_lshlrev_b32_e32 v1, 16, v1
	s_waitcnt vmcnt(0)
	v_lshlrev_b32_e32 v3, 16, v3
	v_div_scale_f32 v5, s[30:31], v3, v3, v1
	v_rcp_f32_e32 v6, v5
	v_div_scale_f32 v8, vcc, v1, v3, v1
	v_fma_f32 v9, -v5, v6, 1.0
	v_fmac_f32_e32 v6, v9, v6
	v_mul_f32_e32 v9, v8, v6
	v_fma_f32 v10, -v5, v9, v8
	v_fmac_f32_e32 v9, v10, v6
	v_fma_f32 v5, -v5, v9, v8
	v_div_fmas_f32 v5, v5, v6, v9
	v_div_fixup_f32 v1, v5, v3, v1
	v_bfe_u32 v3, v1, 16, 1
	v_add3_u32 v3, v1, v3, s37
	v_lshrrev_b32_e32 v3, 16, v3
	v_cmp_o_f32_e32 vcc, v1, v1
	v_cndmask_b32_e32 v1, v2, v3, vcc
	v_lshlrev_b32_e32 v2, 16, v1
	v_cmp_ngt_f32_e32 vcc, s38, v2
	v_cndmask_b32_e32 v1, v4, v1, vcc
	v_lshlrev_b32_e32 v2, 16, v1
	v_cmp_nlt_f32_e32 vcc, s39, v2
	v_cndmask_b32_e32 v1, v7, v1, vcc
	global_store_short v0, v1, s[0:1]
	s_or_b64 exec, exec, s[28:29]
	v_cmp_gt_i32_e32 vcc, s36, v32
	s_and_saveexec_b64 s[28:29], vcc
	s_cbranch_execz .LBB54_6
.LBB54_53:
	s_andn2_b64 vcc, exec, s[6:7]
	s_cbranch_vccnz .LBB54_60
; %bb.54:
	s_andn2_b64 vcc, exec, s[26:27]
	v_mov_b32_e32 v2, 0
	v_mov_b32_e32 v4, 0
	;; [unrolled: 1-line block ×3, first 2 shown]
	s_cbranch_vccnz .LBB54_59
; %bb.55:
	s_add_i32 s30, s35, 1
	s_and_b32 s37, s30, 30
	s_add_u32 s30, s4, 0xffffffec
	s_addc_u32 s31, s5, -1
	v_mov_b32_e32 v0, 0
	v_mov_b32_e32 v1, v32
	;; [unrolled: 1-line block ×4, first 2 shown]
.LBB54_56:                              ; =>This Inner Loop Header: Depth=1
	s_mov_b64 s[38:39], s[30:31]
	s_load_dwordx4 s[40:43], s[38:39], 0x18
	s_load_dwordx2 s[48:49], s[38:39], 0x28
	s_load_dwordx2 s[50:51], s[38:39], 0xe8
	s_load_dwordx4 s[44:47], s[38:39], 0xd8
	s_add_u32 s30, s38, 24
	s_waitcnt lgkmcnt(0)
	v_mul_hi_u32 v3, s41, v1
	v_add_u32_e32 v3, v1, v3
	v_lshrrev_b32_e32 v3, s42, v3
	v_mul_lo_u32 v5, v3, s40
	v_mul_hi_u32 v6, s48, v3
	v_sub_u32_e32 v1, v1, v5
	v_add_u32_e32 v5, v3, v6
	v_mul_lo_u32 v6, v1, s44
	v_mul_lo_u32 v7, v1, s45
	;; [unrolled: 1-line block ×3, first 2 shown]
	v_lshrrev_b32_e32 v1, s49, v5
	v_mul_lo_u32 v5, v1, s43
	v_sub_u32_e32 v3, v3, v5
	s_addc_u32 s31, s39, 0
	s_add_i32 s37, s37, -2
	v_mul_lo_u32 v5, v3, s47
	v_mul_lo_u32 v9, v3, s50
	;; [unrolled: 1-line block ×3, first 2 shown]
	s_cmp_eq_u32 s37, 0
	v_add3_u32 v0, v6, v0, v5
	v_add3_u32 v2, v8, v2, v3
	;; [unrolled: 1-line block ×3, first 2 shown]
	s_cbranch_scc0 .LBB54_56
; %bb.57:
	s_bitcmp1_b32 s35, 0
	s_cselect_b64 s[38:39], -1, 0
	s_and_b64 vcc, exec, s[38:39]
	s_cbranch_vccnz .LBB54_59
; %bb.58:
	s_load_dwordx2 s[38:39], s[30:31], 0x18
	s_load_dword s37, s[30:31], 0x20
	s_load_dword s42, s[30:31], 0xe0
	s_load_dwordx2 s[40:41], s[30:31], 0xd8
	s_waitcnt lgkmcnt(0)
	v_mul_hi_u32 v3, s39, v1
	v_add_u32_e32 v3, v1, v3
	v_lshrrev_b32_e32 v3, s37, v3
	v_mul_lo_u32 v3, v3, s38
	v_sub_u32_e32 v3, v1, v3
	v_mad_u64_u32 v[0:1], s[30:31], v3, s40, v[0:1]
	v_mad_u64_u32 v[4:5], s[30:31], v3, s41, v[4:5]
	;; [unrolled: 1-line block ×3, first 2 shown]
.LBB54_59:
	s_cbranch_execz .LBB54_61
	s_branch .LBB54_63
.LBB54_60:
                                        ; implicit-def: $vgpr2
                                        ; implicit-def: $vgpr4
                                        ; implicit-def: $vgpr0
.LBB54_61:
	s_waitcnt lgkmcnt(0)
	v_mul_hi_u32 v0, s13, v32
	v_add_u32_e32 v0, v32, v0
	v_lshrrev_b32_e32 v1, s14, v0
	v_mul_lo_u32 v0, v1, s12
	v_sub_u32_e32 v3, v32, v0
	v_mul_lo_u32 v0, v3, s8
	v_mul_lo_u32 v2, v3, s10
	s_andn2_b64 vcc, exec, s[24:25]
	v_mul_lo_u32 v4, v3, s9
	s_cbranch_vccnz .LBB54_63
; %bb.62:
	v_mul_hi_u32 v3, s22, v1
	v_add_u32_e32 v3, v1, v3
	v_lshrrev_b32_e32 v3, s23, v3
	v_mul_lo_u32 v3, v3, s15
	v_sub_u32_e32 v3, v1, v3
	v_mad_u64_u32 v[0:1], s[30:31], v3, s11, v[0:1]
	v_mad_u64_u32 v[4:5], s[30:31], v3, s20, v[4:5]
	;; [unrolled: 1-line block ×3, first 2 shown]
.LBB54_63:
	s_waitcnt lgkmcnt(0)
	global_load_ushort v1, v4, s[2:3]
	global_load_ushort v3, v2, s[18:19]
	s_movk_i32 s37, 0x7fff
	v_mov_b32_e32 v2, 0x7fc0
	s_mov_b32 s38, 0x800000
	v_mov_b32_e32 v4, 0x80
	s_mov_b32 s39, 0x3f7e0000
	v_mov_b32_e32 v7, 0x3f7e
	v_add_u32_e32 v32, 0x80, v32
	s_waitcnt vmcnt(1)
	v_lshlrev_b32_e32 v1, 16, v1
	s_waitcnt vmcnt(0)
	v_lshlrev_b32_e32 v3, 16, v3
	v_div_scale_f32 v5, s[30:31], v3, v3, v1
	v_rcp_f32_e32 v6, v5
	v_div_scale_f32 v8, vcc, v1, v3, v1
	v_fma_f32 v9, -v5, v6, 1.0
	v_fmac_f32_e32 v6, v9, v6
	v_mul_f32_e32 v9, v8, v6
	v_fma_f32 v10, -v5, v9, v8
	v_fmac_f32_e32 v9, v10, v6
	v_fma_f32 v5, -v5, v9, v8
	v_div_fmas_f32 v5, v5, v6, v9
	v_div_fixup_f32 v1, v5, v3, v1
	v_bfe_u32 v3, v1, 16, 1
	v_add3_u32 v3, v1, v3, s37
	v_lshrrev_b32_e32 v3, 16, v3
	v_cmp_o_f32_e32 vcc, v1, v1
	v_cndmask_b32_e32 v1, v2, v3, vcc
	v_lshlrev_b32_e32 v2, 16, v1
	v_cmp_ngt_f32_e32 vcc, s38, v2
	v_cndmask_b32_e32 v1, v4, v1, vcc
	v_lshlrev_b32_e32 v2, 16, v1
	v_cmp_nlt_f32_e32 vcc, s39, v2
	v_cndmask_b32_e32 v1, v7, v1, vcc
	global_store_short v0, v1, s[0:1]
	s_or_b64 exec, exec, s[28:29]
	v_cmp_gt_i32_e32 vcc, s36, v32
	s_and_saveexec_b64 s[28:29], vcc
	s_cbranch_execz .LBB54_7
.LBB54_64:
	s_andn2_b64 vcc, exec, s[6:7]
	s_cbranch_vccnz .LBB54_71
; %bb.65:
	s_andn2_b64 vcc, exec, s[26:27]
	v_mov_b32_e32 v2, 0
	v_mov_b32_e32 v4, 0
	;; [unrolled: 1-line block ×3, first 2 shown]
	s_cbranch_vccnz .LBB54_70
; %bb.66:
	s_add_i32 s30, s35, 1
	s_and_b32 s37, s30, 30
	s_add_u32 s30, s4, 0xffffffec
	s_addc_u32 s31, s5, -1
	v_mov_b32_e32 v0, 0
	v_mov_b32_e32 v1, v32
	;; [unrolled: 1-line block ×4, first 2 shown]
.LBB54_67:                              ; =>This Inner Loop Header: Depth=1
	s_mov_b64 s[38:39], s[30:31]
	s_load_dwordx4 s[40:43], s[38:39], 0x18
	s_load_dwordx2 s[48:49], s[38:39], 0x28
	s_load_dwordx2 s[50:51], s[38:39], 0xe8
	s_load_dwordx4 s[44:47], s[38:39], 0xd8
	s_add_u32 s30, s38, 24
	s_waitcnt lgkmcnt(0)
	v_mul_hi_u32 v3, s41, v1
	v_add_u32_e32 v3, v1, v3
	v_lshrrev_b32_e32 v3, s42, v3
	v_mul_lo_u32 v5, v3, s40
	v_mul_hi_u32 v6, s48, v3
	v_sub_u32_e32 v1, v1, v5
	v_add_u32_e32 v5, v3, v6
	v_mul_lo_u32 v6, v1, s44
	v_mul_lo_u32 v7, v1, s45
	;; [unrolled: 1-line block ×3, first 2 shown]
	v_lshrrev_b32_e32 v1, s49, v5
	v_mul_lo_u32 v5, v1, s43
	v_sub_u32_e32 v3, v3, v5
	s_addc_u32 s31, s39, 0
	s_add_i32 s37, s37, -2
	v_mul_lo_u32 v5, v3, s47
	v_mul_lo_u32 v9, v3, s50
	;; [unrolled: 1-line block ×3, first 2 shown]
	s_cmp_eq_u32 s37, 0
	v_add3_u32 v0, v6, v0, v5
	v_add3_u32 v2, v8, v2, v3
	;; [unrolled: 1-line block ×3, first 2 shown]
	s_cbranch_scc0 .LBB54_67
; %bb.68:
	s_bitcmp1_b32 s35, 0
	s_cselect_b64 s[38:39], -1, 0
	s_and_b64 vcc, exec, s[38:39]
	s_cbranch_vccnz .LBB54_70
; %bb.69:
	s_load_dwordx2 s[38:39], s[30:31], 0x18
	s_load_dword s37, s[30:31], 0x20
	s_load_dword s42, s[30:31], 0xe0
	s_load_dwordx2 s[40:41], s[30:31], 0xd8
	s_waitcnt lgkmcnt(0)
	v_mul_hi_u32 v3, s39, v1
	v_add_u32_e32 v3, v1, v3
	v_lshrrev_b32_e32 v3, s37, v3
	v_mul_lo_u32 v3, v3, s38
	v_sub_u32_e32 v3, v1, v3
	v_mad_u64_u32 v[0:1], s[30:31], v3, s40, v[0:1]
	v_mad_u64_u32 v[4:5], s[30:31], v3, s41, v[4:5]
	;; [unrolled: 1-line block ×3, first 2 shown]
.LBB54_70:
	s_cbranch_execz .LBB54_72
	s_branch .LBB54_74
.LBB54_71:
                                        ; implicit-def: $vgpr2
                                        ; implicit-def: $vgpr4
                                        ; implicit-def: $vgpr0
.LBB54_72:
	s_waitcnt lgkmcnt(0)
	v_mul_hi_u32 v0, s13, v32
	v_add_u32_e32 v0, v32, v0
	v_lshrrev_b32_e32 v1, s14, v0
	v_mul_lo_u32 v0, v1, s12
	v_sub_u32_e32 v3, v32, v0
	v_mul_lo_u32 v0, v3, s8
	v_mul_lo_u32 v2, v3, s10
	s_andn2_b64 vcc, exec, s[24:25]
	v_mul_lo_u32 v4, v3, s9
	s_cbranch_vccnz .LBB54_74
; %bb.73:
	v_mul_hi_u32 v3, s22, v1
	v_add_u32_e32 v3, v1, v3
	v_lshrrev_b32_e32 v3, s23, v3
	v_mul_lo_u32 v3, v3, s15
	v_sub_u32_e32 v3, v1, v3
	v_mad_u64_u32 v[0:1], s[30:31], v3, s11, v[0:1]
	v_mad_u64_u32 v[4:5], s[30:31], v3, s20, v[4:5]
	;; [unrolled: 1-line block ×3, first 2 shown]
.LBB54_74:
	s_waitcnt lgkmcnt(0)
	global_load_ushort v1, v4, s[2:3]
	global_load_ushort v3, v2, s[18:19]
	s_movk_i32 s37, 0x7fff
	v_mov_b32_e32 v2, 0x7fc0
	s_mov_b32 s38, 0x800000
	v_mov_b32_e32 v4, 0x80
	s_mov_b32 s39, 0x3f7e0000
	v_mov_b32_e32 v7, 0x3f7e
	v_add_u32_e32 v32, 0x80, v32
	s_waitcnt vmcnt(1)
	v_lshlrev_b32_e32 v1, 16, v1
	s_waitcnt vmcnt(0)
	v_lshlrev_b32_e32 v3, 16, v3
	v_div_scale_f32 v5, s[30:31], v3, v3, v1
	v_rcp_f32_e32 v6, v5
	v_div_scale_f32 v8, vcc, v1, v3, v1
	v_fma_f32 v9, -v5, v6, 1.0
	v_fmac_f32_e32 v6, v9, v6
	v_mul_f32_e32 v9, v8, v6
	v_fma_f32 v10, -v5, v9, v8
	v_fmac_f32_e32 v9, v10, v6
	v_fma_f32 v5, -v5, v9, v8
	v_div_fmas_f32 v5, v5, v6, v9
	v_div_fixup_f32 v1, v5, v3, v1
	v_bfe_u32 v3, v1, 16, 1
	v_add3_u32 v3, v1, v3, s37
	v_lshrrev_b32_e32 v3, 16, v3
	v_cmp_o_f32_e32 vcc, v1, v1
	v_cndmask_b32_e32 v1, v2, v3, vcc
	v_lshlrev_b32_e32 v2, 16, v1
	v_cmp_ngt_f32_e32 vcc, s38, v2
	v_cndmask_b32_e32 v1, v4, v1, vcc
	v_lshlrev_b32_e32 v2, 16, v1
	v_cmp_nlt_f32_e32 vcc, s39, v2
	v_cndmask_b32_e32 v1, v7, v1, vcc
	global_store_short v0, v1, s[0:1]
	s_or_b64 exec, exec, s[28:29]
	v_cmp_gt_i32_e32 vcc, s36, v32
	s_and_saveexec_b64 s[28:29], vcc
	s_cbranch_execz .LBB54_8
.LBB54_75:
	s_andn2_b64 vcc, exec, s[6:7]
	s_cbranch_vccnz .LBB54_82
; %bb.76:
	s_andn2_b64 vcc, exec, s[26:27]
	v_mov_b32_e32 v2, 0
	v_mov_b32_e32 v4, 0
	v_mov_b32_e32 v0, 0
	s_cbranch_vccnz .LBB54_81
; %bb.77:
	s_add_i32 s30, s35, 1
	s_and_b32 s37, s30, 30
	s_add_u32 s30, s4, 0xffffffec
	s_addc_u32 s31, s5, -1
	v_mov_b32_e32 v0, 0
	v_mov_b32_e32 v1, v32
	;; [unrolled: 1-line block ×4, first 2 shown]
.LBB54_78:                              ; =>This Inner Loop Header: Depth=1
	s_mov_b64 s[38:39], s[30:31]
	s_load_dwordx4 s[40:43], s[38:39], 0x18
	s_load_dwordx2 s[48:49], s[38:39], 0x28
	s_load_dwordx2 s[50:51], s[38:39], 0xe8
	s_load_dwordx4 s[44:47], s[38:39], 0xd8
	s_add_u32 s30, s38, 24
	s_waitcnt lgkmcnt(0)
	v_mul_hi_u32 v3, s41, v1
	v_add_u32_e32 v3, v1, v3
	v_lshrrev_b32_e32 v3, s42, v3
	v_mul_lo_u32 v5, v3, s40
	v_mul_hi_u32 v6, s48, v3
	v_sub_u32_e32 v1, v1, v5
	v_add_u32_e32 v5, v3, v6
	v_mul_lo_u32 v6, v1, s44
	v_mul_lo_u32 v7, v1, s45
	;; [unrolled: 1-line block ×3, first 2 shown]
	v_lshrrev_b32_e32 v1, s49, v5
	v_mul_lo_u32 v5, v1, s43
	v_sub_u32_e32 v3, v3, v5
	s_addc_u32 s31, s39, 0
	s_add_i32 s37, s37, -2
	v_mul_lo_u32 v5, v3, s47
	v_mul_lo_u32 v9, v3, s50
	;; [unrolled: 1-line block ×3, first 2 shown]
	s_cmp_eq_u32 s37, 0
	v_add3_u32 v0, v6, v0, v5
	v_add3_u32 v2, v8, v2, v3
	;; [unrolled: 1-line block ×3, first 2 shown]
	s_cbranch_scc0 .LBB54_78
; %bb.79:
	s_bitcmp1_b32 s35, 0
	s_cselect_b64 s[38:39], -1, 0
	s_and_b64 vcc, exec, s[38:39]
	s_cbranch_vccnz .LBB54_81
; %bb.80:
	s_load_dwordx2 s[38:39], s[30:31], 0x18
	s_load_dword s37, s[30:31], 0x20
	s_load_dword s42, s[30:31], 0xe0
	s_load_dwordx2 s[40:41], s[30:31], 0xd8
	s_waitcnt lgkmcnt(0)
	v_mul_hi_u32 v3, s39, v1
	v_add_u32_e32 v3, v1, v3
	v_lshrrev_b32_e32 v3, s37, v3
	v_mul_lo_u32 v3, v3, s38
	v_sub_u32_e32 v3, v1, v3
	v_mad_u64_u32 v[0:1], s[30:31], v3, s40, v[0:1]
	v_mad_u64_u32 v[4:5], s[30:31], v3, s41, v[4:5]
	;; [unrolled: 1-line block ×3, first 2 shown]
.LBB54_81:
	s_cbranch_execz .LBB54_83
	s_branch .LBB54_85
.LBB54_82:
                                        ; implicit-def: $vgpr2
                                        ; implicit-def: $vgpr4
                                        ; implicit-def: $vgpr0
.LBB54_83:
	s_waitcnt lgkmcnt(0)
	v_mul_hi_u32 v0, s13, v32
	v_add_u32_e32 v0, v32, v0
	v_lshrrev_b32_e32 v1, s14, v0
	v_mul_lo_u32 v0, v1, s12
	v_sub_u32_e32 v3, v32, v0
	v_mul_lo_u32 v0, v3, s8
	v_mul_lo_u32 v2, v3, s10
	s_andn2_b64 vcc, exec, s[24:25]
	v_mul_lo_u32 v4, v3, s9
	s_cbranch_vccnz .LBB54_85
; %bb.84:
	v_mul_hi_u32 v3, s22, v1
	v_add_u32_e32 v3, v1, v3
	v_lshrrev_b32_e32 v3, s23, v3
	v_mul_lo_u32 v3, v3, s15
	v_sub_u32_e32 v3, v1, v3
	v_mad_u64_u32 v[0:1], s[30:31], v3, s11, v[0:1]
	v_mad_u64_u32 v[4:5], s[30:31], v3, s20, v[4:5]
	;; [unrolled: 1-line block ×3, first 2 shown]
.LBB54_85:
	s_waitcnt lgkmcnt(0)
	global_load_ushort v1, v4, s[2:3]
	global_load_ushort v3, v2, s[18:19]
	s_movk_i32 s37, 0x7fff
	v_mov_b32_e32 v2, 0x7fc0
	s_mov_b32 s38, 0x800000
	v_mov_b32_e32 v4, 0x80
	s_mov_b32 s39, 0x3f7e0000
	v_mov_b32_e32 v7, 0x3f7e
	v_add_u32_e32 v32, 0x80, v32
	s_waitcnt vmcnt(1)
	v_lshlrev_b32_e32 v1, 16, v1
	s_waitcnt vmcnt(0)
	v_lshlrev_b32_e32 v3, 16, v3
	v_div_scale_f32 v5, s[30:31], v3, v3, v1
	v_rcp_f32_e32 v6, v5
	v_div_scale_f32 v8, vcc, v1, v3, v1
	v_fma_f32 v9, -v5, v6, 1.0
	v_fmac_f32_e32 v6, v9, v6
	v_mul_f32_e32 v9, v8, v6
	v_fma_f32 v10, -v5, v9, v8
	v_fmac_f32_e32 v9, v10, v6
	v_fma_f32 v5, -v5, v9, v8
	v_div_fmas_f32 v5, v5, v6, v9
	v_div_fixup_f32 v1, v5, v3, v1
	v_bfe_u32 v3, v1, 16, 1
	v_add3_u32 v3, v1, v3, s37
	v_lshrrev_b32_e32 v3, 16, v3
	v_cmp_o_f32_e32 vcc, v1, v1
	v_cndmask_b32_e32 v1, v2, v3, vcc
	v_lshlrev_b32_e32 v2, 16, v1
	v_cmp_ngt_f32_e32 vcc, s38, v2
	v_cndmask_b32_e32 v1, v4, v1, vcc
	v_lshlrev_b32_e32 v2, 16, v1
	v_cmp_nlt_f32_e32 vcc, s39, v2
	v_cndmask_b32_e32 v1, v7, v1, vcc
	global_store_short v0, v1, s[0:1]
	s_or_b64 exec, exec, s[28:29]
	v_cmp_gt_i32_e32 vcc, s36, v32
	s_and_saveexec_b64 s[28:29], vcc
	s_cbranch_execz .LBB54_97
.LBB54_86:
	s_andn2_b64 vcc, exec, s[6:7]
	s_cbranch_vccnz .LBB54_93
; %bb.87:
	s_andn2_b64 vcc, exec, s[26:27]
	v_mov_b32_e32 v2, 0
	v_mov_b32_e32 v4, 0
	;; [unrolled: 1-line block ×3, first 2 shown]
	s_cbranch_vccnz .LBB54_92
; %bb.88:
	s_add_i32 s26, s35, 1
	s_and_b32 s30, s26, 30
	s_add_u32 s26, s4, 0xffffffec
	s_addc_u32 s27, s5, -1
	v_mov_b32_e32 v0, 0
	v_mov_b32_e32 v1, v32
	;; [unrolled: 1-line block ×4, first 2 shown]
.LBB54_89:                              ; =>This Inner Loop Header: Depth=1
	s_mov_b64 s[44:45], s[26:27]
	s_load_dwordx4 s[36:39], s[44:45], 0x18
	s_load_dwordx2 s[46:47], s[44:45], 0x28
	s_load_dwordx2 s[48:49], s[44:45], 0xe8
	s_load_dwordx4 s[40:43], s[44:45], 0xd8
	s_add_u32 s26, s44, 24
	s_waitcnt lgkmcnt(0)
	v_mul_hi_u32 v3, s37, v1
	v_add_u32_e32 v3, v1, v3
	v_lshrrev_b32_e32 v3, s38, v3
	v_mul_lo_u32 v5, v3, s36
	v_mul_hi_u32 v6, s46, v3
	v_sub_u32_e32 v1, v1, v5
	v_add_u32_e32 v5, v3, v6
	v_mul_lo_u32 v6, v1, s40
	v_mul_lo_u32 v7, v1, s41
	;; [unrolled: 1-line block ×3, first 2 shown]
	v_lshrrev_b32_e32 v1, s47, v5
	v_mul_lo_u32 v5, v1, s39
	v_sub_u32_e32 v3, v3, v5
	s_addc_u32 s27, s45, 0
	s_add_i32 s30, s30, -2
	v_mul_lo_u32 v5, v3, s43
	v_mul_lo_u32 v9, v3, s48
	;; [unrolled: 1-line block ×3, first 2 shown]
	s_cmp_eq_u32 s30, 0
	v_add3_u32 v0, v6, v0, v5
	v_add3_u32 v2, v8, v2, v3
	;; [unrolled: 1-line block ×3, first 2 shown]
	s_cbranch_scc0 .LBB54_89
; %bb.90:
	s_bitcmp1_b32 s35, 0
	s_cselect_b64 s[30:31], -1, 0
	s_and_b64 vcc, exec, s[30:31]
	s_cbranch_vccnz .LBB54_92
; %bb.91:
	s_load_dwordx2 s[30:31], s[26:27], 0x18
	s_load_dword s35, s[26:27], 0x20
	s_load_dword s38, s[26:27], 0xe0
	s_load_dwordx2 s[36:37], s[26:27], 0xd8
	s_waitcnt lgkmcnt(0)
	v_mul_hi_u32 v3, s31, v1
	v_add_u32_e32 v3, v1, v3
	v_lshrrev_b32_e32 v3, s35, v3
	v_mul_lo_u32 v3, v3, s30
	v_sub_u32_e32 v3, v1, v3
	v_mad_u64_u32 v[0:1], s[26:27], v3, s36, v[0:1]
	v_mad_u64_u32 v[4:5], s[26:27], v3, s37, v[4:5]
	;; [unrolled: 1-line block ×3, first 2 shown]
.LBB54_92:
	s_cbranch_execz .LBB54_94
	s_branch .LBB54_96
.LBB54_93:
                                        ; implicit-def: $vgpr2
                                        ; implicit-def: $vgpr4
                                        ; implicit-def: $vgpr0
.LBB54_94:
	s_waitcnt lgkmcnt(0)
	v_mul_hi_u32 v0, s13, v32
	v_add_u32_e32 v0, v32, v0
	v_lshrrev_b32_e32 v1, s14, v0
	v_mul_lo_u32 v0, v1, s12
	v_sub_u32_e32 v3, v32, v0
	v_mul_lo_u32 v0, v3, s8
	v_mul_lo_u32 v2, v3, s10
	s_andn2_b64 vcc, exec, s[24:25]
	v_mul_lo_u32 v4, v3, s9
	s_cbranch_vccnz .LBB54_96
; %bb.95:
	v_mul_hi_u32 v3, s22, v1
	v_add_u32_e32 v3, v1, v3
	v_lshrrev_b32_e32 v3, s23, v3
	v_mul_lo_u32 v3, v3, s15
	v_sub_u32_e32 v3, v1, v3
	v_mad_u64_u32 v[0:1], s[8:9], v3, s11, v[0:1]
	v_mad_u64_u32 v[4:5], s[8:9], v3, s20, v[4:5]
	;; [unrolled: 1-line block ×3, first 2 shown]
.LBB54_96:
	s_waitcnt lgkmcnt(0)
	global_load_ushort v1, v4, s[2:3]
	global_load_ushort v3, v2, s[18:19]
	s_movk_i32 s8, 0x7fff
	v_mov_b32_e32 v2, 0x7fc0
	s_mov_b32 s9, 0x800000
	v_mov_b32_e32 v4, 0x80
	s_mov_b32 s10, 0x3f7e0000
	v_mov_b32_e32 v7, 0x3f7e
	s_waitcnt vmcnt(1)
	v_lshlrev_b32_e32 v1, 16, v1
	s_waitcnt vmcnt(0)
	v_lshlrev_b32_e32 v3, 16, v3
	v_div_scale_f32 v5, s[2:3], v3, v3, v1
	v_rcp_f32_e32 v6, v5
	v_div_scale_f32 v8, vcc, v1, v3, v1
	v_fma_f32 v9, -v5, v6, 1.0
	v_fmac_f32_e32 v6, v9, v6
	v_mul_f32_e32 v9, v8, v6
	v_fma_f32 v10, -v5, v9, v8
	v_fmac_f32_e32 v9, v10, v6
	v_fma_f32 v5, -v5, v9, v8
	v_div_fmas_f32 v5, v5, v6, v9
	v_div_fixup_f32 v1, v5, v3, v1
	v_bfe_u32 v3, v1, 16, 1
	v_add3_u32 v3, v1, v3, s8
	v_lshrrev_b32_e32 v3, 16, v3
	v_cmp_o_f32_e32 vcc, v1, v1
	v_cndmask_b32_e32 v1, v2, v3, vcc
	v_lshlrev_b32_e32 v2, 16, v1
	v_cmp_ngt_f32_e32 vcc, s9, v2
	v_cndmask_b32_e32 v1, v4, v1, vcc
	v_lshlrev_b32_e32 v2, 16, v1
	v_cmp_nlt_f32_e32 vcc, s10, v2
	v_cndmask_b32_e32 v1, v7, v1, vcc
	global_store_short v0, v1, s[0:1]
.LBB54_97:
	s_or_b64 exec, exec, s[28:29]
                                        ; implicit-def: $vgpr48
                                        ; implicit-def: $vgpr32
.LBB54_98:
	s_waitcnt lgkmcnt(0)
	s_andn2_saveexec_b64 s[0:1], s[16:17]
	s_cbranch_execz .LBB54_105
; %bb.99:
	v_cndmask_b32_e64 v0, 0, 1, s[6:7]
	v_cmp_ne_u32_e64 s[0:1], 1, v0
	s_andn2_b64 vcc, exec, s[6:7]
	s_cbranch_vccnz .LBB54_106
; %bb.100:
	s_cmp_lg_u32 s33, 0
	v_mov_b32_e32 v4, 0
	v_mov_b32_e32 v6, 0
	;; [unrolled: 1-line block ×3, first 2 shown]
	s_cbranch_scc0 .LBB54_107
; %bb.101:
	s_min_u32 s6, s34, 15
	s_add_i32 s2, s6, 1
	s_and_b32 s7, s2, 30
	s_add_u32 s2, s4, 0xffffffec
	s_addc_u32 s3, s5, -1
	v_mov_b32_e32 v0, 0
	v_mov_b32_e32 v1, v32
	;; [unrolled: 1-line block ×4, first 2 shown]
.LBB54_102:                             ; =>This Inner Loop Header: Depth=1
	s_mov_b64 s[16:17], s[2:3]
	s_load_dwordx4 s[8:11], s[16:17], 0x18
	s_load_dwordx2 s[18:19], s[16:17], 0x28
	s_load_dwordx2 s[20:21], s[16:17], 0xe8
	s_load_dwordx4 s[12:15], s[16:17], 0xd8
	s_add_u32 s2, s16, 24
	s_waitcnt lgkmcnt(0)
	v_mul_hi_u32 v2, s9, v1
	v_add_u32_e32 v2, v1, v2
	v_lshrrev_b32_e32 v2, s10, v2
	v_mul_lo_u32 v3, v2, s8
	v_mul_hi_u32 v5, s18, v2
	v_sub_u32_e32 v1, v1, v3
	v_add_u32_e32 v3, v2, v5
	v_mul_lo_u32 v5, v1, s12
	v_mul_lo_u32 v7, v1, s13
	;; [unrolled: 1-line block ×3, first 2 shown]
	v_lshrrev_b32_e32 v1, s19, v3
	v_mul_lo_u32 v3, v1, s11
	v_sub_u32_e32 v2, v2, v3
	s_addc_u32 s3, s17, 0
	s_add_i32 s7, s7, -2
	v_mul_lo_u32 v3, v2, s15
	v_mul_lo_u32 v9, v2, s20
	;; [unrolled: 1-line block ×3, first 2 shown]
	s_cmp_lg_u32 s7, 0
	v_add3_u32 v0, v5, v0, v3
	v_add3_u32 v4, v8, v4, v2
	;; [unrolled: 1-line block ×3, first 2 shown]
	s_cbranch_scc1 .LBB54_102
; %bb.103:
	s_bitcmp1_b32 s6, 0
	s_cselect_b64 s[6:7], -1, 0
	s_and_b64 vcc, exec, s[6:7]
	s_cbranch_vccnz .LBB54_107
; %bb.104:
	s_load_dwordx2 s[6:7], s[2:3], 0x18
	s_load_dword s10, s[2:3], 0x20
	s_load_dword s11, s[2:3], 0xe0
	s_load_dwordx2 s[8:9], s[2:3], 0xd8
	s_waitcnt lgkmcnt(0)
	v_mul_hi_u32 v2, s7, v1
	v_add_u32_e32 v2, v1, v2
	v_lshrrev_b32_e32 v2, s10, v2
	v_mul_lo_u32 v2, v2, s6
	v_sub_u32_e32 v2, v1, v2
	v_mad_u64_u32 v[0:1], s[2:3], v2, s8, v[0:1]
	v_mad_u64_u32 v[6:7], s[2:3], v2, s9, v[6:7]
	;; [unrolled: 1-line block ×3, first 2 shown]
	s_cbranch_execz .LBB54_108
	s_branch .LBB54_110
.LBB54_105:
	s_endpgm
.LBB54_106:
                                        ; implicit-def: $vgpr4
                                        ; implicit-def: $vgpr6
                                        ; implicit-def: $vgpr0
	s_branch .LBB54_108
.LBB54_107:
	s_cbranch_execnz .LBB54_110
.LBB54_108:
	s_load_dwordx4 s[8:11], s[4:5], 0x4
	s_load_dwordx4 s[12:15], s[4:5], 0xc4
	s_cmp_lt_u32 s33, 2
	s_waitcnt lgkmcnt(0)
	v_mul_hi_u32 v0, s9, v32
	v_add_u32_e32 v0, v32, v0
	v_lshrrev_b32_e32 v1, s10, v0
	v_mul_lo_u32 v0, v1, s8
	v_sub_u32_e32 v2, v32, v0
	v_mul_lo_u32 v0, v2, s12
	v_mul_lo_u32 v4, v2, s14
	;; [unrolled: 1-line block ×3, first 2 shown]
	s_cbranch_scc1 .LBB54_110
; %bb.109:
	s_load_dwordx4 s[8:11], s[4:5], 0x10
	s_load_dwordx4 s[12:15], s[4:5], 0xd0
	s_waitcnt lgkmcnt(0)
	v_mul_hi_u32 v2, s9, v1
	v_add_u32_e32 v2, v1, v2
	v_lshrrev_b32_e32 v2, s10, v2
	v_mul_lo_u32 v2, v2, s8
	v_sub_u32_e32 v2, v1, v2
	v_mad_u64_u32 v[0:1], s[2:3], v2, s12, v[0:1]
	v_mad_u64_u32 v[6:7], s[2:3], v2, s13, v[6:7]
	;; [unrolled: 1-line block ×3, first 2 shown]
.LBB54_110:
	s_and_b64 vcc, exec, s[0:1]
	v_add_u32_e32 v1, 0x80, v32
	s_cbranch_vccnz .LBB54_116
; %bb.111:
	s_cmp_lg_u32 s33, 0
	v_mov_b32_e32 v10, 0
	v_mov_b32_e32 v12, 0
	;; [unrolled: 1-line block ×3, first 2 shown]
	s_cbranch_scc0 .LBB54_117
; %bb.112:
	s_min_u32 s6, s34, 15
	s_add_i32 s2, s6, 1
	s_and_b32 s7, s2, 30
	s_add_u32 s2, s4, 0xffffffec
	s_addc_u32 s3, s5, -1
	v_mov_b32_e32 v2, 0
	v_mov_b32_e32 v3, v1
	;; [unrolled: 1-line block ×4, first 2 shown]
.LBB54_113:                             ; =>This Inner Loop Header: Depth=1
	s_mov_b64 s[16:17], s[2:3]
	s_load_dwordx4 s[8:11], s[16:17], 0x18
	s_load_dwordx2 s[18:19], s[16:17], 0x28
	s_load_dwordx2 s[20:21], s[16:17], 0xe8
	s_load_dwordx4 s[12:15], s[16:17], 0xd8
	s_add_u32 s2, s16, 24
	s_waitcnt lgkmcnt(0)
	v_mul_hi_u32 v5, s9, v3
	v_add_u32_e32 v5, v3, v5
	v_lshrrev_b32_e32 v5, s10, v5
	v_mul_lo_u32 v7, v5, s8
	v_mul_hi_u32 v8, s18, v5
	v_sub_u32_e32 v3, v3, v7
	v_add_u32_e32 v7, v5, v8
	v_mul_lo_u32 v8, v3, s12
	v_mul_lo_u32 v9, v3, s13
	;; [unrolled: 1-line block ×3, first 2 shown]
	v_lshrrev_b32_e32 v3, s19, v7
	v_mul_lo_u32 v7, v3, s11
	v_sub_u32_e32 v5, v5, v7
	s_addc_u32 s3, s17, 0
	s_add_i32 s7, s7, -2
	v_mul_lo_u32 v7, v5, s15
	v_mul_lo_u32 v13, v5, s20
	;; [unrolled: 1-line block ×3, first 2 shown]
	s_cmp_lg_u32 s7, 0
	v_add3_u32 v2, v8, v2, v7
	v_add3_u32 v10, v11, v10, v5
	;; [unrolled: 1-line block ×3, first 2 shown]
	s_cbranch_scc1 .LBB54_113
; %bb.114:
	s_bitcmp1_b32 s6, 0
	s_cselect_b64 s[6:7], -1, 0
	s_and_b64 vcc, exec, s[6:7]
	s_cbranch_vccnz .LBB54_117
; %bb.115:
	s_load_dwordx2 s[6:7], s[2:3], 0x18
	s_load_dword s10, s[2:3], 0x20
	s_load_dword s11, s[2:3], 0xe0
	s_load_dwordx2 s[8:9], s[2:3], 0xd8
	s_waitcnt lgkmcnt(0)
	v_mul_hi_u32 v5, s7, v3
	v_add_u32_e32 v5, v3, v5
	v_lshrrev_b32_e32 v5, s10, v5
	v_mul_lo_u32 v5, v5, s6
	v_sub_u32_e32 v5, v3, v5
	v_mad_u64_u32 v[2:3], s[2:3], v5, s8, v[2:3]
	v_mad_u64_u32 v[12:13], s[2:3], v5, s9, v[12:13]
	;; [unrolled: 1-line block ×3, first 2 shown]
	s_cbranch_execz .LBB54_118
	s_branch .LBB54_120
.LBB54_116:
                                        ; implicit-def: $vgpr10
                                        ; implicit-def: $vgpr12
                                        ; implicit-def: $vgpr2
	s_branch .LBB54_118
.LBB54_117:
	s_cbranch_execnz .LBB54_120
.LBB54_118:
	s_load_dwordx4 s[8:11], s[4:5], 0x4
	s_load_dwordx4 s[12:15], s[4:5], 0xc4
	s_cmp_lt_u32 s33, 2
	s_waitcnt lgkmcnt(0)
	v_mul_hi_u32 v2, s9, v1
	v_add_u32_e32 v2, v1, v2
	v_lshrrev_b32_e32 v3, s10, v2
	v_mul_lo_u32 v2, v3, s8
	v_sub_u32_e32 v1, v1, v2
	v_mul_lo_u32 v2, v1, s12
	v_mul_lo_u32 v10, v1, s14
	;; [unrolled: 1-line block ×3, first 2 shown]
	s_cbranch_scc1 .LBB54_120
; %bb.119:
	s_load_dwordx4 s[8:11], s[4:5], 0x10
	s_load_dwordx4 s[12:15], s[4:5], 0xd0
	s_waitcnt lgkmcnt(0)
	v_mul_hi_u32 v1, s9, v3
	v_add_u32_e32 v1, v3, v1
	v_lshrrev_b32_e32 v1, s10, v1
	v_mul_lo_u32 v1, v1, s8
	v_sub_u32_e32 v1, v3, v1
	v_mad_u64_u32 v[2:3], s[2:3], v1, s12, v[2:3]
	v_mad_u64_u32 v[12:13], s[2:3], v1, s13, v[12:13]
	;; [unrolled: 1-line block ×3, first 2 shown]
.LBB54_120:
	s_and_b64 vcc, exec, s[0:1]
	v_add_u32_e32 v1, 0x100, v32
	s_cbranch_vccnz .LBB54_126
; %bb.121:
	s_cmp_lg_u32 s33, 0
	v_mov_b32_e32 v16, 0
	v_mov_b32_e32 v18, 0
	;; [unrolled: 1-line block ×3, first 2 shown]
	s_cbranch_scc0 .LBB54_127
; %bb.122:
	s_min_u32 s6, s34, 15
	s_add_i32 s2, s6, 1
	s_and_b32 s7, s2, 30
	s_add_u32 s2, s4, 0xffffffec
	s_addc_u32 s3, s5, -1
	v_mov_b32_e32 v8, 0
	v_mov_b32_e32 v3, v1
	;; [unrolled: 1-line block ×4, first 2 shown]
.LBB54_123:                             ; =>This Inner Loop Header: Depth=1
	s_mov_b64 s[16:17], s[2:3]
	s_load_dwordx4 s[8:11], s[16:17], 0x18
	s_load_dwordx2 s[18:19], s[16:17], 0x28
	s_load_dwordx2 s[20:21], s[16:17], 0xe8
	s_load_dwordx4 s[12:15], s[16:17], 0xd8
	s_add_u32 s2, s16, 24
	s_waitcnt lgkmcnt(0)
	v_mul_hi_u32 v5, s9, v3
	v_add_u32_e32 v5, v3, v5
	v_lshrrev_b32_e32 v5, s10, v5
	v_mul_lo_u32 v7, v5, s8
	v_mul_hi_u32 v9, s18, v5
	v_sub_u32_e32 v3, v3, v7
	v_add_u32_e32 v7, v5, v9
	v_mul_lo_u32 v9, v3, s12
	v_mul_lo_u32 v11, v3, s13
	;; [unrolled: 1-line block ×3, first 2 shown]
	v_lshrrev_b32_e32 v3, s19, v7
	v_mul_lo_u32 v7, v3, s11
	v_sub_u32_e32 v5, v5, v7
	s_addc_u32 s3, s17, 0
	s_add_i32 s7, s7, -2
	v_mul_lo_u32 v7, v5, s15
	v_mul_lo_u32 v14, v5, s20
	;; [unrolled: 1-line block ×3, first 2 shown]
	s_cmp_lg_u32 s7, 0
	v_add3_u32 v8, v9, v8, v7
	v_add3_u32 v16, v13, v16, v5
	;; [unrolled: 1-line block ×3, first 2 shown]
	s_cbranch_scc1 .LBB54_123
; %bb.124:
	s_bitcmp1_b32 s6, 0
	s_cselect_b64 s[6:7], -1, 0
	s_and_b64 vcc, exec, s[6:7]
	s_cbranch_vccnz .LBB54_127
; %bb.125:
	s_load_dwordx2 s[6:7], s[2:3], 0x18
	s_load_dword s10, s[2:3], 0x20
	s_load_dword s11, s[2:3], 0xe0
	s_load_dwordx2 s[8:9], s[2:3], 0xd8
	s_waitcnt lgkmcnt(0)
	v_mul_hi_u32 v5, s7, v3
	v_add_u32_e32 v5, v3, v5
	v_lshrrev_b32_e32 v5, s10, v5
	v_mul_lo_u32 v5, v5, s6
	v_sub_u32_e32 v3, v3, v5
	v_mad_u64_u32 v[8:9], s[2:3], v3, s8, v[8:9]
	v_mad_u64_u32 v[18:19], s[2:3], v3, s9, v[18:19]
	;; [unrolled: 1-line block ×3, first 2 shown]
	s_cbranch_execz .LBB54_128
	s_branch .LBB54_130
.LBB54_126:
                                        ; implicit-def: $vgpr16
                                        ; implicit-def: $vgpr18
                                        ; implicit-def: $vgpr8
	s_branch .LBB54_128
.LBB54_127:
	s_cbranch_execnz .LBB54_130
.LBB54_128:
	s_load_dwordx4 s[8:11], s[4:5], 0x4
	s_load_dwordx4 s[12:15], s[4:5], 0xc4
	s_cmp_lt_u32 s33, 2
	s_waitcnt lgkmcnt(0)
	v_mul_hi_u32 v3, s9, v1
	v_add_u32_e32 v3, v1, v3
	v_lshrrev_b32_e32 v3, s10, v3
	v_mul_lo_u32 v5, v3, s8
	v_sub_u32_e32 v1, v1, v5
	v_mul_lo_u32 v8, v1, s12
	v_mul_lo_u32 v16, v1, s14
	;; [unrolled: 1-line block ×3, first 2 shown]
	s_cbranch_scc1 .LBB54_130
; %bb.129:
	s_load_dwordx4 s[8:11], s[4:5], 0x10
	s_load_dwordx4 s[12:15], s[4:5], 0xd0
	s_waitcnt lgkmcnt(0)
	v_mul_hi_u32 v1, s9, v3
	v_add_u32_e32 v1, v3, v1
	v_lshrrev_b32_e32 v1, s10, v1
	v_mul_lo_u32 v1, v1, s8
	v_sub_u32_e32 v1, v3, v1
	v_mad_u64_u32 v[8:9], s[2:3], v1, s12, v[8:9]
	v_mad_u64_u32 v[18:19], s[2:3], v1, s13, v[18:19]
	;; [unrolled: 1-line block ×3, first 2 shown]
.LBB54_130:
	s_and_b64 vcc, exec, s[0:1]
	v_add_u32_e32 v1, 0x180, v32
	s_cbranch_vccnz .LBB54_136
; %bb.131:
	s_cmp_lg_u32 s33, 0
	v_mov_b32_e32 v22, 0
	v_mov_b32_e32 v24, 0
	;; [unrolled: 1-line block ×3, first 2 shown]
	s_cbranch_scc0 .LBB54_137
; %bb.132:
	s_min_u32 s6, s34, 15
	s_add_i32 s2, s6, 1
	s_and_b32 s7, s2, 30
	s_add_u32 s2, s4, 0xffffffec
	s_addc_u32 s3, s5, -1
	v_mov_b32_e32 v14, 0
	v_mov_b32_e32 v3, v1
	;; [unrolled: 1-line block ×4, first 2 shown]
.LBB54_133:                             ; =>This Inner Loop Header: Depth=1
	s_mov_b64 s[16:17], s[2:3]
	s_load_dwordx4 s[8:11], s[16:17], 0x18
	s_load_dwordx2 s[18:19], s[16:17], 0x28
	s_load_dwordx2 s[20:21], s[16:17], 0xe8
	s_load_dwordx4 s[12:15], s[16:17], 0xd8
	s_add_u32 s2, s16, 24
	s_waitcnt lgkmcnt(0)
	v_mul_hi_u32 v5, s9, v3
	v_add_u32_e32 v5, v3, v5
	v_lshrrev_b32_e32 v5, s10, v5
	v_mul_lo_u32 v7, v5, s8
	v_mul_hi_u32 v9, s18, v5
	v_sub_u32_e32 v3, v3, v7
	v_add_u32_e32 v7, v5, v9
	v_mul_lo_u32 v9, v3, s12
	v_mul_lo_u32 v11, v3, s13
	v_mul_lo_u32 v13, v3, s14
	v_lshrrev_b32_e32 v3, s19, v7
	v_mul_lo_u32 v7, v3, s11
	v_sub_u32_e32 v5, v5, v7
	s_addc_u32 s3, s17, 0
	s_add_i32 s7, s7, -2
	v_mul_lo_u32 v7, v5, s15
	v_mul_lo_u32 v15, v5, s20
	;; [unrolled: 1-line block ×3, first 2 shown]
	s_cmp_lg_u32 s7, 0
	v_add3_u32 v14, v9, v14, v7
	v_add3_u32 v22, v13, v22, v5
	v_add3_u32 v24, v11, v24, v15
	s_cbranch_scc1 .LBB54_133
; %bb.134:
	s_bitcmp1_b32 s6, 0
	s_cselect_b64 s[6:7], -1, 0
	s_and_b64 vcc, exec, s[6:7]
	s_cbranch_vccnz .LBB54_137
; %bb.135:
	s_load_dwordx2 s[6:7], s[2:3], 0x18
	s_load_dword s10, s[2:3], 0x20
	s_load_dword s11, s[2:3], 0xe0
	s_load_dwordx2 s[8:9], s[2:3], 0xd8
	s_waitcnt lgkmcnt(0)
	v_mul_hi_u32 v5, s7, v3
	v_add_u32_e32 v5, v3, v5
	v_lshrrev_b32_e32 v5, s10, v5
	v_mul_lo_u32 v5, v5, s6
	v_sub_u32_e32 v3, v3, v5
	v_mad_u64_u32 v[14:15], s[2:3], v3, s8, v[14:15]
	v_mad_u64_u32 v[24:25], s[2:3], v3, s9, v[24:25]
	;; [unrolled: 1-line block ×3, first 2 shown]
	s_cbranch_execz .LBB54_138
	s_branch .LBB54_140
.LBB54_136:
                                        ; implicit-def: $vgpr22
                                        ; implicit-def: $vgpr24
                                        ; implicit-def: $vgpr14
	s_branch .LBB54_138
.LBB54_137:
	s_cbranch_execnz .LBB54_140
.LBB54_138:
	s_load_dwordx4 s[8:11], s[4:5], 0x4
	s_load_dwordx4 s[12:15], s[4:5], 0xc4
	s_cmp_lt_u32 s33, 2
	s_waitcnt lgkmcnt(0)
	v_mul_hi_u32 v3, s9, v1
	v_add_u32_e32 v3, v1, v3
	v_lshrrev_b32_e32 v3, s10, v3
	v_mul_lo_u32 v5, v3, s8
	v_sub_u32_e32 v1, v1, v5
	v_mul_lo_u32 v14, v1, s12
	v_mul_lo_u32 v22, v1, s14
	;; [unrolled: 1-line block ×3, first 2 shown]
	s_cbranch_scc1 .LBB54_140
; %bb.139:
	s_load_dwordx4 s[8:11], s[4:5], 0x10
	s_load_dwordx4 s[12:15], s[4:5], 0xd0
	s_waitcnt lgkmcnt(0)
	v_mul_hi_u32 v1, s9, v3
	v_add_u32_e32 v1, v3, v1
	v_lshrrev_b32_e32 v1, s10, v1
	v_mul_lo_u32 v1, v1, s8
	v_sub_u32_e32 v1, v3, v1
	v_mad_u64_u32 v[14:15], s[2:3], v1, s12, v[14:15]
	v_mad_u64_u32 v[24:25], s[2:3], v1, s13, v[24:25]
	;; [unrolled: 1-line block ×3, first 2 shown]
.LBB54_140:
	s_and_b64 vcc, exec, s[0:1]
	v_add_u32_e32 v1, 0x200, v32
	s_cbranch_vccnz .LBB54_146
; %bb.141:
	s_cmp_lg_u32 s33, 0
	v_mov_b32_e32 v28, 0
	v_mov_b32_e32 v30, 0
	;; [unrolled: 1-line block ×3, first 2 shown]
	s_cbranch_scc0 .LBB54_147
; %bb.142:
	s_min_u32 s6, s34, 15
	s_add_i32 s2, s6, 1
	s_and_b32 s7, s2, 30
	s_add_u32 s2, s4, 0xffffffec
	s_addc_u32 s3, s5, -1
	v_mov_b32_e32 v20, 0
	v_mov_b32_e32 v3, v1
	;; [unrolled: 1-line block ×4, first 2 shown]
.LBB54_143:                             ; =>This Inner Loop Header: Depth=1
	s_mov_b64 s[16:17], s[2:3]
	s_load_dwordx4 s[8:11], s[16:17], 0x18
	s_load_dwordx2 s[18:19], s[16:17], 0x28
	s_load_dwordx2 s[20:21], s[16:17], 0xe8
	s_load_dwordx4 s[12:15], s[16:17], 0xd8
	s_add_u32 s2, s16, 24
	s_waitcnt lgkmcnt(0)
	v_mul_hi_u32 v5, s9, v3
	v_add_u32_e32 v5, v3, v5
	v_lshrrev_b32_e32 v5, s10, v5
	v_mul_lo_u32 v7, v5, s8
	v_mul_hi_u32 v9, s18, v5
	v_sub_u32_e32 v3, v3, v7
	v_add_u32_e32 v7, v5, v9
	v_mul_lo_u32 v9, v3, s12
	v_mul_lo_u32 v11, v3, s13
	;; [unrolled: 1-line block ×3, first 2 shown]
	v_lshrrev_b32_e32 v3, s19, v7
	v_mul_lo_u32 v7, v3, s11
	v_sub_u32_e32 v5, v5, v7
	s_addc_u32 s3, s17, 0
	s_add_i32 s7, s7, -2
	v_mul_lo_u32 v7, v5, s15
	v_mul_lo_u32 v15, v5, s20
	v_mul_lo_u32 v5, v5, s21
	s_cmp_lg_u32 s7, 0
	v_add3_u32 v20, v9, v20, v7
	v_add3_u32 v28, v13, v28, v5
	;; [unrolled: 1-line block ×3, first 2 shown]
	s_cbranch_scc1 .LBB54_143
; %bb.144:
	s_bitcmp1_b32 s6, 0
	s_cselect_b64 s[6:7], -1, 0
	s_and_b64 vcc, exec, s[6:7]
	s_cbranch_vccnz .LBB54_147
; %bb.145:
	s_load_dwordx2 s[6:7], s[2:3], 0x18
	s_load_dword s10, s[2:3], 0x20
	s_load_dword s11, s[2:3], 0xe0
	s_load_dwordx2 s[8:9], s[2:3], 0xd8
	s_waitcnt lgkmcnt(0)
	v_mul_hi_u32 v5, s7, v3
	v_add_u32_e32 v5, v3, v5
	v_lshrrev_b32_e32 v5, s10, v5
	v_mul_lo_u32 v5, v5, s6
	v_sub_u32_e32 v3, v3, v5
	v_mad_u64_u32 v[20:21], s[2:3], v3, s8, v[20:21]
	v_mad_u64_u32 v[30:31], s[2:3], v3, s9, v[30:31]
	;; [unrolled: 1-line block ×3, first 2 shown]
	s_cbranch_execz .LBB54_148
	s_branch .LBB54_150
.LBB54_146:
                                        ; implicit-def: $vgpr28
                                        ; implicit-def: $vgpr30
                                        ; implicit-def: $vgpr20
	s_branch .LBB54_148
.LBB54_147:
	s_cbranch_execnz .LBB54_150
.LBB54_148:
	s_load_dwordx4 s[8:11], s[4:5], 0x4
	s_load_dwordx4 s[12:15], s[4:5], 0xc4
	s_cmp_lt_u32 s33, 2
	s_waitcnt lgkmcnt(0)
	v_mul_hi_u32 v3, s9, v1
	v_add_u32_e32 v3, v1, v3
	v_lshrrev_b32_e32 v3, s10, v3
	v_mul_lo_u32 v5, v3, s8
	v_sub_u32_e32 v1, v1, v5
	v_mul_lo_u32 v20, v1, s12
	v_mul_lo_u32 v28, v1, s14
	;; [unrolled: 1-line block ×3, first 2 shown]
	s_cbranch_scc1 .LBB54_150
; %bb.149:
	s_load_dwordx4 s[8:11], s[4:5], 0x10
	s_load_dwordx4 s[12:15], s[4:5], 0xd0
	s_waitcnt lgkmcnt(0)
	v_mul_hi_u32 v1, s9, v3
	v_add_u32_e32 v1, v3, v1
	v_lshrrev_b32_e32 v1, s10, v1
	v_mul_lo_u32 v1, v1, s8
	v_sub_u32_e32 v1, v3, v1
	v_mad_u64_u32 v[20:21], s[2:3], v1, s12, v[20:21]
	v_mad_u64_u32 v[30:31], s[2:3], v1, s13, v[30:31]
	;; [unrolled: 1-line block ×3, first 2 shown]
.LBB54_150:
	s_and_b64 vcc, exec, s[0:1]
	v_add_u32_e32 v1, 0x280, v32
	s_cbranch_vccnz .LBB54_156
; %bb.151:
	s_cmp_lg_u32 s33, 0
	v_mov_b32_e32 v34, 0
	v_mov_b32_e32 v36, 0
	;; [unrolled: 1-line block ×3, first 2 shown]
	s_cbranch_scc0 .LBB54_157
; %bb.152:
	s_min_u32 s6, s34, 15
	s_add_i32 s2, s6, 1
	s_and_b32 s7, s2, 30
	s_add_u32 s2, s4, 0xffffffec
	s_addc_u32 s3, s5, -1
	v_mov_b32_e32 v26, 0
	v_mov_b32_e32 v3, v1
	;; [unrolled: 1-line block ×4, first 2 shown]
.LBB54_153:                             ; =>This Inner Loop Header: Depth=1
	s_mov_b64 s[16:17], s[2:3]
	s_load_dwordx4 s[8:11], s[16:17], 0x18
	s_load_dwordx2 s[18:19], s[16:17], 0x28
	s_load_dwordx2 s[20:21], s[16:17], 0xe8
	s_load_dwordx4 s[12:15], s[16:17], 0xd8
	s_add_u32 s2, s16, 24
	s_waitcnt lgkmcnt(0)
	v_mul_hi_u32 v5, s9, v3
	v_add_u32_e32 v5, v3, v5
	v_lshrrev_b32_e32 v5, s10, v5
	v_mul_lo_u32 v7, v5, s8
	v_mul_hi_u32 v9, s18, v5
	v_sub_u32_e32 v3, v3, v7
	v_add_u32_e32 v7, v5, v9
	v_mul_lo_u32 v9, v3, s12
	v_mul_lo_u32 v11, v3, s13
	;; [unrolled: 1-line block ×3, first 2 shown]
	v_lshrrev_b32_e32 v3, s19, v7
	v_mul_lo_u32 v7, v3, s11
	v_sub_u32_e32 v5, v5, v7
	s_addc_u32 s3, s17, 0
	s_add_i32 s7, s7, -2
	v_mul_lo_u32 v7, v5, s15
	v_mul_lo_u32 v15, v5, s20
	;; [unrolled: 1-line block ×3, first 2 shown]
	s_cmp_lg_u32 s7, 0
	v_add3_u32 v26, v9, v26, v7
	v_add3_u32 v34, v13, v34, v5
	;; [unrolled: 1-line block ×3, first 2 shown]
	s_cbranch_scc1 .LBB54_153
; %bb.154:
	s_bitcmp1_b32 s6, 0
	s_cselect_b64 s[6:7], -1, 0
	s_and_b64 vcc, exec, s[6:7]
	s_cbranch_vccnz .LBB54_157
; %bb.155:
	s_load_dwordx2 s[6:7], s[2:3], 0x18
	s_load_dword s10, s[2:3], 0x20
	s_load_dword s11, s[2:3], 0xe0
	s_load_dwordx2 s[8:9], s[2:3], 0xd8
	s_waitcnt lgkmcnt(0)
	v_mul_hi_u32 v5, s7, v3
	v_add_u32_e32 v5, v3, v5
	v_lshrrev_b32_e32 v5, s10, v5
	v_mul_lo_u32 v5, v5, s6
	v_sub_u32_e32 v3, v3, v5
	v_mad_u64_u32 v[26:27], s[2:3], v3, s8, v[26:27]
	v_mad_u64_u32 v[36:37], s[2:3], v3, s9, v[36:37]
	v_mad_u64_u32 v[34:35], s[2:3], v3, s11, v[34:35]
	s_cbranch_execz .LBB54_158
	s_branch .LBB54_160
.LBB54_156:
                                        ; implicit-def: $vgpr34
                                        ; implicit-def: $vgpr36
                                        ; implicit-def: $vgpr26
	s_branch .LBB54_158
.LBB54_157:
	s_cbranch_execnz .LBB54_160
.LBB54_158:
	s_load_dwordx4 s[8:11], s[4:5], 0x4
	s_load_dwordx4 s[12:15], s[4:5], 0xc4
	s_cmp_lt_u32 s33, 2
	s_waitcnt lgkmcnt(0)
	v_mul_hi_u32 v3, s9, v1
	v_add_u32_e32 v3, v1, v3
	v_lshrrev_b32_e32 v3, s10, v3
	v_mul_lo_u32 v5, v3, s8
	v_sub_u32_e32 v1, v1, v5
	v_mul_lo_u32 v26, v1, s12
	v_mul_lo_u32 v34, v1, s14
	;; [unrolled: 1-line block ×3, first 2 shown]
	s_cbranch_scc1 .LBB54_160
; %bb.159:
	s_load_dwordx4 s[8:11], s[4:5], 0x10
	s_load_dwordx4 s[12:15], s[4:5], 0xd0
	s_waitcnt lgkmcnt(0)
	v_mul_hi_u32 v1, s9, v3
	v_add_u32_e32 v1, v3, v1
	v_lshrrev_b32_e32 v1, s10, v1
	v_mul_lo_u32 v1, v1, s8
	v_sub_u32_e32 v1, v3, v1
	v_mad_u64_u32 v[26:27], s[2:3], v1, s12, v[26:27]
	v_mad_u64_u32 v[36:37], s[2:3], v1, s13, v[36:37]
	;; [unrolled: 1-line block ×3, first 2 shown]
.LBB54_160:
	s_and_b64 vcc, exec, s[0:1]
	v_add_u32_e32 v1, 0x300, v32
	s_cbranch_vccnz .LBB54_166
; %bb.161:
	s_cmp_lg_u32 s33, 0
	v_mov_b32_e32 v40, 0
	v_mov_b32_e32 v42, 0
	;; [unrolled: 1-line block ×3, first 2 shown]
	s_cbranch_scc0 .LBB54_167
; %bb.162:
	s_min_u32 s6, s34, 15
	s_add_i32 s2, s6, 1
	s_and_b32 s7, s2, 30
	s_add_u32 s2, s4, 0xffffffec
	s_addc_u32 s3, s5, -1
	v_mov_b32_e32 v32, 0
	v_mov_b32_e32 v3, v1
	;; [unrolled: 1-line block ×4, first 2 shown]
.LBB54_163:                             ; =>This Inner Loop Header: Depth=1
	s_mov_b64 s[16:17], s[2:3]
	s_load_dwordx4 s[8:11], s[16:17], 0x18
	s_load_dwordx2 s[18:19], s[16:17], 0x28
	s_load_dwordx2 s[20:21], s[16:17], 0xe8
	s_load_dwordx4 s[12:15], s[16:17], 0xd8
	s_add_u32 s2, s16, 24
	s_waitcnt lgkmcnt(0)
	v_mul_hi_u32 v5, s9, v3
	v_add_u32_e32 v5, v3, v5
	v_lshrrev_b32_e32 v5, s10, v5
	v_mul_lo_u32 v7, v5, s8
	v_mul_hi_u32 v9, s18, v5
	v_sub_u32_e32 v3, v3, v7
	v_add_u32_e32 v7, v5, v9
	v_mul_lo_u32 v9, v3, s12
	v_mul_lo_u32 v11, v3, s13
	;; [unrolled: 1-line block ×3, first 2 shown]
	v_lshrrev_b32_e32 v3, s19, v7
	v_mul_lo_u32 v7, v3, s11
	v_sub_u32_e32 v5, v5, v7
	s_addc_u32 s3, s17, 0
	s_add_i32 s7, s7, -2
	v_mul_lo_u32 v7, v5, s15
	v_mul_lo_u32 v15, v5, s20
	;; [unrolled: 1-line block ×3, first 2 shown]
	s_cmp_lg_u32 s7, 0
	v_add3_u32 v32, v9, v32, v7
	v_add3_u32 v40, v13, v40, v5
	;; [unrolled: 1-line block ×3, first 2 shown]
	s_cbranch_scc1 .LBB54_163
; %bb.164:
	s_bitcmp1_b32 s6, 0
	s_cselect_b64 s[6:7], -1, 0
	s_and_b64 vcc, exec, s[6:7]
	s_cbranch_vccnz .LBB54_167
; %bb.165:
	s_load_dwordx2 s[6:7], s[2:3], 0x18
	s_load_dword s10, s[2:3], 0x20
	s_load_dword s11, s[2:3], 0xe0
	s_load_dwordx2 s[8:9], s[2:3], 0xd8
	s_waitcnt lgkmcnt(0)
	v_mul_hi_u32 v5, s7, v3
	v_add_u32_e32 v5, v3, v5
	v_lshrrev_b32_e32 v5, s10, v5
	v_mul_lo_u32 v5, v5, s6
	v_sub_u32_e32 v3, v3, v5
	v_mad_u64_u32 v[32:33], s[2:3], v3, s8, v[32:33]
	v_mad_u64_u32 v[42:43], s[2:3], v3, s9, v[42:43]
	;; [unrolled: 1-line block ×3, first 2 shown]
	s_cbranch_execz .LBB54_168
	s_branch .LBB54_170
.LBB54_166:
                                        ; implicit-def: $vgpr40
                                        ; implicit-def: $vgpr42
                                        ; implicit-def: $vgpr32
	s_branch .LBB54_168
.LBB54_167:
	s_cbranch_execnz .LBB54_170
.LBB54_168:
	s_load_dwordx4 s[8:11], s[4:5], 0x4
	s_load_dwordx4 s[12:15], s[4:5], 0xc4
	s_cmp_lt_u32 s33, 2
	s_waitcnt lgkmcnt(0)
	v_mul_hi_u32 v3, s9, v1
	v_add_u32_e32 v3, v1, v3
	v_lshrrev_b32_e32 v3, s10, v3
	v_mul_lo_u32 v5, v3, s8
	v_sub_u32_e32 v1, v1, v5
	v_mul_lo_u32 v32, v1, s12
	v_mul_lo_u32 v40, v1, s14
	;; [unrolled: 1-line block ×3, first 2 shown]
	s_cbranch_scc1 .LBB54_170
; %bb.169:
	s_load_dwordx4 s[8:11], s[4:5], 0x10
	s_load_dwordx4 s[12:15], s[4:5], 0xd0
	s_waitcnt lgkmcnt(0)
	v_mul_hi_u32 v1, s9, v3
	v_add_u32_e32 v1, v3, v1
	v_lshrrev_b32_e32 v1, s10, v1
	v_mul_lo_u32 v1, v1, s8
	v_sub_u32_e32 v1, v3, v1
	v_mad_u64_u32 v[32:33], s[2:3], v1, s12, v[32:33]
	v_mad_u64_u32 v[42:43], s[2:3], v1, s13, v[42:43]
	v_mad_u64_u32 v[40:41], s[2:3], v1, s14, v[40:41]
.LBB54_170:
	s_and_b64 vcc, exec, s[0:1]
	s_cbranch_vccnz .LBB54_176
; %bb.171:
	s_cmp_lg_u32 s33, 0
	v_mov_b32_e32 v44, 0
	v_mov_b32_e32 v46, 0
	;; [unrolled: 1-line block ×3, first 2 shown]
	s_cbranch_scc0 .LBB54_177
; %bb.172:
	s_min_u32 s2, s34, 15
	s_add_i32 s0, s2, 1
	s_and_b32 s3, s0, 30
	s_add_u32 s0, s4, 0xffffffec
	s_addc_u32 s1, s5, -1
	v_mov_b32_e32 v38, 0
	v_mov_b32_e32 v1, v48
	;; [unrolled: 1-line block ×4, first 2 shown]
.LBB54_173:                             ; =>This Inner Loop Header: Depth=1
	s_mov_b64 s[6:7], s[0:1]
	s_load_dwordx4 s[8:11], s[6:7], 0x18
	s_load_dwordx2 s[16:17], s[6:7], 0x28
	s_load_dwordx2 s[18:19], s[6:7], 0xe8
	s_load_dwordx4 s[12:15], s[6:7], 0xd8
	s_add_u32 s0, s6, 24
	s_waitcnt lgkmcnt(0)
	v_mul_hi_u32 v3, s9, v1
	v_add_u32_e32 v3, v1, v3
	v_lshrrev_b32_e32 v3, s10, v3
	v_mul_lo_u32 v5, v3, s8
	v_mul_hi_u32 v7, s16, v3
	v_sub_u32_e32 v1, v1, v5
	v_add_u32_e32 v5, v3, v7
	v_mul_lo_u32 v7, v1, s12
	v_mul_lo_u32 v9, v1, s13
	;; [unrolled: 1-line block ×3, first 2 shown]
	v_lshrrev_b32_e32 v1, s17, v5
	v_mul_lo_u32 v5, v1, s11
	v_sub_u32_e32 v3, v3, v5
	s_addc_u32 s1, s7, 0
	s_add_i32 s3, s3, -2
	v_mul_lo_u32 v5, v3, s15
	v_mul_lo_u32 v13, v3, s18
	;; [unrolled: 1-line block ×3, first 2 shown]
	s_cmp_lg_u32 s3, 0
	v_add3_u32 v38, v7, v38, v5
	v_add3_u32 v44, v11, v44, v3
	;; [unrolled: 1-line block ×3, first 2 shown]
	s_cbranch_scc1 .LBB54_173
; %bb.174:
	s_bitcmp1_b32 s2, 0
	s_cselect_b64 s[2:3], -1, 0
	s_and_b64 vcc, exec, s[2:3]
	s_cbranch_vccnz .LBB54_177
; %bb.175:
	s_load_dwordx2 s[2:3], s[0:1], 0x18
	s_load_dword s8, s[0:1], 0x20
	s_load_dword s9, s[0:1], 0xe0
	s_load_dwordx2 s[6:7], s[0:1], 0xd8
	s_waitcnt lgkmcnt(0)
	v_mul_hi_u32 v3, s3, v1
	v_add_u32_e32 v3, v1, v3
	v_lshrrev_b32_e32 v3, s8, v3
	v_mul_lo_u32 v3, v3, s2
	v_sub_u32_e32 v1, v1, v3
	v_mad_u64_u32 v[38:39], s[0:1], v1, s6, v[38:39]
	v_mad_u64_u32 v[46:47], s[0:1], v1, s7, v[46:47]
	;; [unrolled: 1-line block ×3, first 2 shown]
	s_cbranch_execz .LBB54_178
	s_branch .LBB54_180
.LBB54_176:
                                        ; implicit-def: $vgpr44
                                        ; implicit-def: $vgpr46
                                        ; implicit-def: $vgpr38
	s_branch .LBB54_178
.LBB54_177:
	s_cbranch_execnz .LBB54_180
.LBB54_178:
	s_load_dwordx4 s[0:3], s[4:5], 0x4
	s_load_dwordx4 s[8:11], s[4:5], 0xc4
	s_cmp_lt_u32 s33, 2
	s_waitcnt lgkmcnt(0)
	v_mul_hi_u32 v1, s1, v48
	v_add_u32_e32 v1, v48, v1
	v_lshrrev_b32_e32 v1, s2, v1
	v_mul_lo_u32 v3, v1, s0
	v_sub_u32_e32 v3, v48, v3
	v_mul_lo_u32 v38, v3, s8
	v_mul_lo_u32 v44, v3, s10
	;; [unrolled: 1-line block ×3, first 2 shown]
	s_cbranch_scc1 .LBB54_180
; %bb.179:
	s_load_dwordx4 s[0:3], s[4:5], 0x10
	s_load_dwordx4 s[8:11], s[4:5], 0xd0
	s_waitcnt lgkmcnt(0)
	v_mul_hi_u32 v3, s1, v1
	v_add_u32_e32 v3, v1, v3
	v_lshrrev_b32_e32 v3, s2, v3
	v_mul_lo_u32 v3, v3, s0
	v_sub_u32_e32 v1, v1, v3
	v_mad_u64_u32 v[38:39], s[0:1], v1, s8, v[38:39]
	v_mad_u64_u32 v[46:47], s[0:1], v1, s9, v[46:47]
	;; [unrolled: 1-line block ×3, first 2 shown]
.LBB54_180:
	s_load_dwordx4 s[8:11], s[4:5], 0x188
	s_load_dwordx2 s[6:7], s[4:5], 0x198
	s_movk_i32 s12, 0x7fff
	s_mov_b32 s5, 0x800000
	v_mov_b32_e32 v3, 0x80
	s_mov_b32 s4, 0x3f7e0000
	s_waitcnt lgkmcnt(0)
	global_load_ushort v5, v6, s[10:11]
	global_load_ushort v7, v4, s[6:7]
	;; [unrolled: 1-line block ×14, first 2 shown]
	v_mov_b32_e32 v4, 0x7fc0
	v_mov_b32_e32 v1, 0x3f7e
	s_waitcnt vmcnt(13)
	v_lshlrev_b32_e32 v5, 16, v5
	s_waitcnt vmcnt(12)
	v_lshlrev_b32_e32 v7, 16, v7
	v_div_scale_f32 v22, s[0:1], v7, v7, v5
	s_waitcnt vmcnt(11)
	v_lshlrev_b32_e32 v9, 16, v9
	s_waitcnt vmcnt(10)
	v_lshlrev_b32_e32 v11, 16, v11
	v_rcp_f32_e32 v30, v22
	s_waitcnt vmcnt(9)
	v_lshlrev_b32_e32 v13, 16, v13
	s_waitcnt vmcnt(8)
	v_lshlrev_b32_e32 v15, 16, v15
	v_div_scale_f32 v24, s[0:1], v11, v11, v9
	v_div_scale_f32 v27, s[2:3], v15, v15, v13
	v_rcp_f32_e32 v31, v24
	v_rcp_f32_e32 v33, v27
	v_fma_f32 v35, -v22, v30, 1.0
	v_div_scale_f32 v23, vcc, v5, v7, v5
	v_fmac_f32_e32 v30, v35, v30
	v_fma_f32 v36, -v24, v31, 1.0
	v_mul_f32_e32 v35, v23, v30
	v_div_scale_f32 v25, s[0:1], v9, v11, v9
	v_fma_f32 v37, -v27, v33, 1.0
	v_fmac_f32_e32 v31, v36, v31
	v_fma_f32 v40, -v22, v35, v23
	v_div_scale_f32 v28, s[2:3], v13, v15, v13
	v_fmac_f32_e32 v33, v37, v33
	v_mul_f32_e32 v36, v25, v31
	v_fmac_f32_e32 v35, v40, v30
	v_mul_f32_e32 v37, v28, v33
	v_fma_f32 v41, -v24, v36, v25
	v_fma_f32 v22, -v22, v35, v23
	;; [unrolled: 1-line block ×3, first 2 shown]
	v_fmac_f32_e32 v36, v41, v31
	v_div_fmas_f32 v22, v22, v30, v35
	v_fmac_f32_e32 v37, v42, v33
	v_fma_f32 v23, -v24, v36, v25
	v_div_fixup_f32 v5, v22, v7, v5
	s_mov_b64 vcc, s[0:1]
	v_fma_f32 v24, -v27, v37, v28
	v_div_fmas_f32 v7, v23, v31, v36
	v_bfe_u32 v22, v5, 16, 1
	s_mov_b64 vcc, s[2:3]
	v_div_fixup_f32 v7, v7, v11, v9
	v_div_fmas_f32 v9, v24, v33, v37
	v_add3_u32 v11, v5, v22, s12
	v_bfe_u32 v22, v7, 16, 1
	v_div_fixup_f32 v9, v9, v15, v13
	v_lshrrev_b32_e32 v11, 16, v11
	v_cmp_o_f32_e32 vcc, v5, v5
	v_add3_u32 v13, v7, v22, s12
	v_bfe_u32 v15, v9, 16, 1
	v_cndmask_b32_e32 v5, v4, v11, vcc
	v_lshrrev_b32_e32 v11, 16, v13
	v_add3_u32 v13, v9, v15, s12
	v_lshlrev_b32_e32 v15, 16, v5
	v_cmp_o_f32_e32 vcc, v7, v7
	v_cndmask_b32_e32 v7, v4, v11, vcc
	v_cmp_ngt_f32_e32 vcc, s5, v15
	s_waitcnt vmcnt(7)
	v_lshlrev_b32_e32 v17, 16, v17
	s_waitcnt vmcnt(6)
	v_lshlrev_b32_e32 v19, 16, v19
	v_lshrrev_b32_e32 v11, 16, v13
	v_cndmask_b32_e32 v5, v3, v5, vcc
	v_lshlrev_b32_e32 v13, 16, v7
	v_cmp_o_f32_e32 vcc, v9, v9
	v_div_scale_f32 v29, s[14:15], v19, v19, v17
	v_cndmask_b32_e32 v9, v4, v11, vcc
	v_lshlrev_b32_e32 v11, 16, v5
	v_cmp_ngt_f32_e32 vcc, s5, v13
	v_rcp_f32_e32 v34, v29
	v_cndmask_b32_e32 v7, v3, v7, vcc
	v_lshlrev_b32_e32 v13, 16, v9
	v_cmp_nlt_f32_e32 vcc, s4, v11
	v_cndmask_b32_e32 v5, v1, v5, vcc
	v_cmp_ngt_f32_e32 vcc, s5, v13
	v_lshlrev_b32_e32 v11, 16, v7
	v_cndmask_b32_e32 v9, v3, v9, vcc
	v_cmp_nlt_f32_e32 vcc, s4, v11
	v_lshlrev_b32_e32 v11, 16, v9
	v_fma_f32 v39, -v29, v34, 1.0
	v_cndmask_b32_e32 v7, v1, v7, vcc
	v_cmp_nlt_f32_e32 vcc, s4, v11
	v_cndmask_b32_e32 v9, v1, v9, vcc
	v_fmac_f32_e32 v34, v39, v34
	v_div_scale_f32 v11, vcc, v17, v19, v17
	v_mul_f32_e32 v13, v11, v34
	v_fma_f32 v15, -v29, v13, v11
	v_fmac_f32_e32 v13, v15, v34
	v_fma_f32 v11, -v29, v13, v11
	v_div_fmas_f32 v11, v11, v34, v13
	v_div_fixup_f32 v11, v11, v19, v17
	v_bfe_u32 v13, v11, 16, 1
	v_add3_u32 v13, v11, v13, s12
	v_lshrrev_b32_e32 v13, 16, v13
	v_cmp_o_f32_e32 vcc, v11, v11
	v_cndmask_b32_e32 v11, v4, v13, vcc
	v_lshlrev_b32_e32 v13, 16, v11
	v_cmp_ngt_f32_e32 vcc, s5, v13
	global_load_ushort v13, v44, s[6:7]
	global_load_ushort v15, v46, s[10:11]
	s_waitcnt vmcnt(6)
	v_lshlrev_b32_e32 v10, 16, v10
	v_lshlrev_b32_e32 v6, 16, v6
	v_div_scale_f32 v17, s[0:1], v6, v6, v10
	v_rcp_f32_e32 v19, v17
	v_cndmask_b32_e32 v11, v3, v11, vcc
	v_lshlrev_b32_e32 v22, 16, v11
	v_cmp_nlt_f32_e32 vcc, s4, v22
	v_fma_f32 v22, -v17, v19, 1.0
	v_cndmask_b32_e32 v11, v1, v11, vcc
	v_fmac_f32_e32 v19, v22, v19
	v_div_scale_f32 v22, vcc, v10, v6, v10
	v_mul_f32_e32 v23, v22, v19
	v_fma_f32 v24, -v17, v23, v22
	v_fmac_f32_e32 v23, v24, v19
	v_fma_f32 v17, -v17, v23, v22
	v_div_fmas_f32 v17, v17, v19, v23
	v_div_fixup_f32 v6, v17, v6, v10
	v_bfe_u32 v10, v6, 16, 1
	v_add3_u32 v10, v6, v10, s12
	v_lshrrev_b32_e32 v10, 16, v10
	v_cmp_o_f32_e32 vcc, v6, v6
	v_cndmask_b32_e32 v6, v4, v10, vcc
	v_lshlrev_b32_e32 v10, 16, v6
	v_cmp_ngt_f32_e32 vcc, s5, v10
	s_waitcnt vmcnt(4)
	v_lshlrev_b32_e32 v10, 16, v16
	v_lshlrev_b32_e32 v12, 16, v12
	v_div_scale_f32 v16, s[0:1], v12, v12, v10
	v_rcp_f32_e32 v17, v16
	v_cndmask_b32_e32 v6, v3, v6, vcc
	v_lshlrev_b32_e32 v19, 16, v6
	v_cmp_nlt_f32_e32 vcc, s4, v19
	v_fma_f32 v19, -v16, v17, 1.0
	v_cndmask_b32_e32 v6, v1, v6, vcc
	v_fmac_f32_e32 v17, v19, v17
	v_div_scale_f32 v19, vcc, v10, v12, v10
	v_mul_f32_e32 v22, v19, v17
	v_fma_f32 v23, -v16, v22, v19
	v_fmac_f32_e32 v22, v23, v17
	v_fma_f32 v16, -v16, v22, v19
	v_div_fmas_f32 v16, v16, v17, v22
	v_div_fixup_f32 v10, v16, v12, v10
	v_bfe_u32 v12, v10, 16, 1
	v_add3_u32 v12, v10, v12, s12
	v_lshrrev_b32_e32 v12, 16, v12
	v_cmp_o_f32_e32 vcc, v10, v10
	v_cndmask_b32_e32 v10, v4, v12, vcc
	v_lshlrev_b32_e32 v12, 16, v10
	v_cmp_ngt_f32_e32 vcc, s5, v12
	;; [unrolled: 25-line block ×3, first 2 shown]
	s_waitcnt vmcnt(1)
	v_lshlrev_b32_e32 v13, 16, v13
	s_waitcnt vmcnt(0)
	v_lshlrev_b32_e32 v15, 16, v15
	v_div_scale_f32 v16, s[0:1], v13, v13, v15
	v_rcp_f32_e32 v17, v16
	v_cndmask_b32_e32 v12, v3, v12, vcc
	v_lshlrev_b32_e32 v18, 16, v12
	v_cmp_nlt_f32_e32 vcc, s4, v18
	v_fma_f32 v18, -v16, v17, 1.0
	v_cndmask_b32_e32 v12, v1, v12, vcc
	v_fmac_f32_e32 v17, v18, v17
	v_div_scale_f32 v18, vcc, v15, v13, v15
	v_mul_f32_e32 v19, v18, v17
	v_fma_f32 v21, -v16, v19, v18
	v_fmac_f32_e32 v19, v21, v17
	v_fma_f32 v16, -v16, v19, v18
	v_div_fmas_f32 v16, v16, v17, v19
	v_div_fixup_f32 v13, v16, v13, v15
	v_bfe_u32 v15, v13, 16, 1
	v_add3_u32 v15, v13, v15, s12
	v_lshrrev_b32_e32 v15, 16, v15
	v_cmp_o_f32_e32 vcc, v13, v13
	v_cndmask_b32_e32 v4, v4, v15, vcc
	v_lshlrev_b32_e32 v13, 16, v4
	v_cmp_ngt_f32_e32 vcc, s5, v13
	v_cndmask_b32_e32 v3, v3, v4, vcc
	v_lshlrev_b32_e32 v4, 16, v3
	v_cmp_nlt_f32_e32 vcc, s4, v4
	v_cndmask_b32_e32 v1, v1, v3, vcc
	global_store_short v0, v5, s[8:9]
	global_store_short v2, v7, s[8:9]
	;; [unrolled: 1-line block ×8, first 2 shown]
	s_endpgm
	.section	.rodata,"a",@progbits
	.p2align	6, 0x0
	.amdhsa_kernel _ZN2at6native32elementwise_kernel_manual_unrollILi128ELi8EZNS0_22gpu_kernel_impl_nocastIZZZNS0_23launch_dirichlet_kernelERNS_18TensorIteratorBaseEENKUlvE_clEvENKUlvE2_clEvEUlN3c108BFloat16ES8_E_EEvS4_RKT_EUlibE_EEviT1_
		.amdhsa_group_segment_fixed_size 0
		.amdhsa_private_segment_fixed_size 0
		.amdhsa_kernarg_size 432
		.amdhsa_user_sgpr_count 6
		.amdhsa_user_sgpr_private_segment_buffer 1
		.amdhsa_user_sgpr_dispatch_ptr 0
		.amdhsa_user_sgpr_queue_ptr 0
		.amdhsa_user_sgpr_kernarg_segment_ptr 1
		.amdhsa_user_sgpr_dispatch_id 0
		.amdhsa_user_sgpr_flat_scratch_init 0
		.amdhsa_user_sgpr_kernarg_preload_length 0
		.amdhsa_user_sgpr_kernarg_preload_offset 0
		.amdhsa_user_sgpr_private_segment_size 0
		.amdhsa_uses_dynamic_stack 0
		.amdhsa_system_sgpr_private_segment_wavefront_offset 0
		.amdhsa_system_sgpr_workgroup_id_x 1
		.amdhsa_system_sgpr_workgroup_id_y 0
		.amdhsa_system_sgpr_workgroup_id_z 0
		.amdhsa_system_sgpr_workgroup_info 0
		.amdhsa_system_vgpr_workitem_id 0
		.amdhsa_next_free_vgpr 49
		.amdhsa_next_free_sgpr 52
		.amdhsa_accum_offset 52
		.amdhsa_reserve_vcc 1
		.amdhsa_reserve_flat_scratch 0
		.amdhsa_float_round_mode_32 0
		.amdhsa_float_round_mode_16_64 0
		.amdhsa_float_denorm_mode_32 3
		.amdhsa_float_denorm_mode_16_64 3
		.amdhsa_dx10_clamp 1
		.amdhsa_ieee_mode 1
		.amdhsa_fp16_overflow 0
		.amdhsa_tg_split 0
		.amdhsa_exception_fp_ieee_invalid_op 0
		.amdhsa_exception_fp_denorm_src 0
		.amdhsa_exception_fp_ieee_div_zero 0
		.amdhsa_exception_fp_ieee_overflow 0
		.amdhsa_exception_fp_ieee_underflow 0
		.amdhsa_exception_fp_ieee_inexact 0
		.amdhsa_exception_int_div_zero 0
	.end_amdhsa_kernel
	.section	.text._ZN2at6native32elementwise_kernel_manual_unrollILi128ELi8EZNS0_22gpu_kernel_impl_nocastIZZZNS0_23launch_dirichlet_kernelERNS_18TensorIteratorBaseEENKUlvE_clEvENKUlvE2_clEvEUlN3c108BFloat16ES8_E_EEvS4_RKT_EUlibE_EEviT1_,"axG",@progbits,_ZN2at6native32elementwise_kernel_manual_unrollILi128ELi8EZNS0_22gpu_kernel_impl_nocastIZZZNS0_23launch_dirichlet_kernelERNS_18TensorIteratorBaseEENKUlvE_clEvENKUlvE2_clEvEUlN3c108BFloat16ES8_E_EEvS4_RKT_EUlibE_EEviT1_,comdat
.Lfunc_end54:
	.size	_ZN2at6native32elementwise_kernel_manual_unrollILi128ELi8EZNS0_22gpu_kernel_impl_nocastIZZZNS0_23launch_dirichlet_kernelERNS_18TensorIteratorBaseEENKUlvE_clEvENKUlvE2_clEvEUlN3c108BFloat16ES8_E_EEvS4_RKT_EUlibE_EEviT1_, .Lfunc_end54-_ZN2at6native32elementwise_kernel_manual_unrollILi128ELi8EZNS0_22gpu_kernel_impl_nocastIZZZNS0_23launch_dirichlet_kernelERNS_18TensorIteratorBaseEENKUlvE_clEvENKUlvE2_clEvEUlN3c108BFloat16ES8_E_EEvS4_RKT_EUlibE_EEviT1_
                                        ; -- End function
	.section	.AMDGPU.csdata,"",@progbits
; Kernel info:
; codeLenInByte = 11652
; NumSgprs: 56
; NumVgprs: 49
; NumAgprs: 0
; TotalNumVgprs: 49
; ScratchSize: 0
; MemoryBound: 0
; FloatMode: 240
; IeeeMode: 1
; LDSByteSize: 0 bytes/workgroup (compile time only)
; SGPRBlocks: 6
; VGPRBlocks: 6
; NumSGPRsForWavesPerEU: 56
; NumVGPRsForWavesPerEU: 49
; AccumOffset: 52
; Occupancy: 8
; WaveLimiterHint : 1
; COMPUTE_PGM_RSRC2:SCRATCH_EN: 0
; COMPUTE_PGM_RSRC2:USER_SGPR: 6
; COMPUTE_PGM_RSRC2:TRAP_HANDLER: 0
; COMPUTE_PGM_RSRC2:TGID_X_EN: 1
; COMPUTE_PGM_RSRC2:TGID_Y_EN: 0
; COMPUTE_PGM_RSRC2:TGID_Z_EN: 0
; COMPUTE_PGM_RSRC2:TIDIG_COMP_CNT: 0
; COMPUTE_PGM_RSRC3_GFX90A:ACCUM_OFFSET: 12
; COMPUTE_PGM_RSRC3_GFX90A:TG_SPLIT: 0
	.section	.text._ZN2at6native32elementwise_kernel_manual_unrollILi128ELi4EZNS0_15gpu_kernel_implIZZZNS0_23launch_dirichlet_kernelERNS_18TensorIteratorBaseEENKUlvE_clEvENKUlvE2_clEvEUlN3c108BFloat16ES8_E_EEvS4_RKT_EUlibE_EEviT1_,"axG",@progbits,_ZN2at6native32elementwise_kernel_manual_unrollILi128ELi4EZNS0_15gpu_kernel_implIZZZNS0_23launch_dirichlet_kernelERNS_18TensorIteratorBaseEENKUlvE_clEvENKUlvE2_clEvEUlN3c108BFloat16ES8_E_EEvS4_RKT_EUlibE_EEviT1_,comdat
	.globl	_ZN2at6native32elementwise_kernel_manual_unrollILi128ELi4EZNS0_15gpu_kernel_implIZZZNS0_23launch_dirichlet_kernelERNS_18TensorIteratorBaseEENKUlvE_clEvENKUlvE2_clEvEUlN3c108BFloat16ES8_E_EEvS4_RKT_EUlibE_EEviT1_ ; -- Begin function _ZN2at6native32elementwise_kernel_manual_unrollILi128ELi4EZNS0_15gpu_kernel_implIZZZNS0_23launch_dirichlet_kernelERNS_18TensorIteratorBaseEENKUlvE_clEvENKUlvE2_clEvEUlN3c108BFloat16ES8_E_EEvS4_RKT_EUlibE_EEviT1_
	.p2align	8
	.type	_ZN2at6native32elementwise_kernel_manual_unrollILi128ELi4EZNS0_15gpu_kernel_implIZZZNS0_23launch_dirichlet_kernelERNS_18TensorIteratorBaseEENKUlvE_clEvENKUlvE2_clEvEUlN3c108BFloat16ES8_E_EEvS4_RKT_EUlibE_EEviT1_,@function
_ZN2at6native32elementwise_kernel_manual_unrollILi128ELi4EZNS0_15gpu_kernel_implIZZZNS0_23launch_dirichlet_kernelERNS_18TensorIteratorBaseEENKUlvE_clEvENKUlvE2_clEvEUlN3c108BFloat16ES8_E_EEvS4_RKT_EUlibE_EEviT1_: ; @_ZN2at6native32elementwise_kernel_manual_unrollILi128ELi4EZNS0_15gpu_kernel_implIZZZNS0_23launch_dirichlet_kernelERNS_18TensorIteratorBaseEENKUlvE_clEvENKUlvE2_clEvEUlN3c108BFloat16ES8_E_EEvS4_RKT_EUlibE_EEviT1_
; %bb.0:
	v_mov_b32_e32 v1, 0
	global_load_ushort v2, v1, s[4:5] offset:45
	global_load_sbyte v4, v1, s[4:5] offset:47
	s_load_dword s33, s[4:5], 0x0
	s_load_dwordx4 s[8:11], s[4:5], 0x8
	s_load_dwordx2 s[2:3], s[4:5], 0x18
	s_load_dwordx4 s[12:15], s[4:5], 0x20
	v_lshl_or_b32 v3, s6, 9, v0
	v_or_b32_e32 v0, 0x180, v3
	s_mov_b64 s[16:17], 0
	s_waitcnt lgkmcnt(0)
	v_cmp_le_i32_e32 vcc, s33, v0
	s_mov_b64 s[6:7], 0
	s_waitcnt vmcnt(1)
	v_lshrrev_b32_e32 v5, 8, v2
	s_and_saveexec_b64 s[0:1], vcc
	s_xor_b64 s[4:5], exec, s[0:1]
	s_cbranch_execz .LBB55_1544
; %bb.1:
	v_cmp_gt_i32_e32 vcc, s33, v3
	s_mov_b64 s[0:1], -1
	s_mov_b64 s[26:27], 0
	s_mov_b64 s[20:21], 0
	;; [unrolled: 1-line block ×3, first 2 shown]
	s_and_saveexec_b64 s[22:23], vcc
	s_cbranch_execz .LBB55_383
; %bb.2:
	v_mul_lo_u32 v0, v3, s13
	v_ashrrev_i32_e32 v1, 31, v0
	v_mov_b32_e32 v6, s11
	v_add_co_u32_e32 v0, vcc, s10, v0
	v_addc_co_u32_e32 v1, vcc, v6, v1, vcc
	v_mov_b32_e32 v6, 11
	v_cmp_lt_i16_sdwa s[0:1], v5, v6 src0_sel:BYTE_0 src1_sel:DWORD
	s_and_b64 vcc, exec, s[0:1]
	s_cbranch_vccnz .LBB55_9
; %bb.3:
	v_mov_b32_e32 v6, 25
	v_cmp_gt_i16_sdwa s[0:1], v5, v6 src0_sel:BYTE_0 src1_sel:DWORD
	s_and_b64 vcc, exec, s[0:1]
	s_cbranch_vccz .LBB55_18
; %bb.4:
	v_mov_b32_e32 v6, 28
	v_cmp_gt_i16_sdwa s[0:1], v5, v6 src0_sel:BYTE_0 src1_sel:DWORD
	s_and_b64 vcc, exec, s[0:1]
	s_cbranch_vccz .LBB55_28
	;; [unrolled: 5-line block ×4, first 2 shown]
; %bb.7:
	v_mov_b32_e32 v6, 46
	v_cmp_eq_u16_sdwa s[0:1], v5, v6 src0_sel:BYTE_0 src1_sel:DWORD
	s_and_b64 vcc, exec, s[0:1]
	s_cbranch_vccz .LBB55_37
; %bb.8:
	global_load_dword v6, v[0:1], off
	s_mov_b64 s[0:1], -1
	s_branch .LBB55_39
.LBB55_9:
                                        ; implicit-def: $vgpr6
	s_mov_b64 s[0:1], 0
	s_cbranch_execnz .LBB55_105
.LBB55_10:
	s_andn2_b64 vcc, exec, s[0:1]
	s_cbranch_vccnz .LBB55_152
.LBB55_11:
	v_mul_lo_u32 v0, v3, s14
	v_ashrrev_i32_e32 v1, 31, v0
	v_mov_b32_e32 v7, s3
	v_add_co_u32_e32 v0, vcc, s2, v0
	v_addc_co_u32_e32 v1, vcc, v7, v1, vcc
	v_mov_b32_e32 v7, 11
	s_waitcnt vmcnt(0)
	v_cmp_lt_i16_sdwa s[0:1], v4, v7 src0_sel:BYTE_0 src1_sel:DWORD
	s_and_b64 vcc, exec, s[0:1]
	s_cbranch_vccnz .LBB55_19
; %bb.12:
	v_mov_b32_e32 v7, 25
	v_cmp_gt_i16_sdwa s[0:1], v4, v7 src0_sel:BYTE_0 src1_sel:DWORD
	s_and_b64 vcc, exec, s[0:1]
	s_cbranch_vccz .LBB55_29
; %bb.13:
	v_mov_b32_e32 v7, 28
	v_cmp_gt_i16_sdwa s[0:1], v4, v7 src0_sel:BYTE_0 src1_sel:DWORD
	s_and_b64 vcc, exec, s[0:1]
	s_cbranch_vccz .LBB55_32
	;; [unrolled: 5-line block ×4, first 2 shown]
; %bb.16:
	v_mov_b32_e32 v7, 46
	v_cmp_eq_u16_sdwa s[0:1], v4, v7 src0_sel:BYTE_0 src1_sel:DWORD
	s_mov_b64 s[6:7], 0
	s_and_b64 vcc, exec, s[0:1]
	s_cbranch_vccz .LBB55_153
; %bb.17:
	global_load_dword v7, v[0:1], off
	s_mov_b64 s[0:1], -1
	s_mov_b64 s[18:19], 0
	s_branch .LBB55_155
.LBB55_18:
	s_mov_b64 s[0:1], 0
                                        ; implicit-def: $vgpr6
	s_cbranch_execnz .LBB55_70
	s_branch .LBB55_104
.LBB55_19:
	s_mov_b64 s[18:19], 0
                                        ; implicit-def: $vgpr7
	s_mov_b64 s[0:1], 0
	s_cbranch_execnz .LBB55_332
.LBB55_20:
	s_andn2_b64 vcc, exec, s[0:1]
	s_cbranch_vccnz .LBB55_380
.LBB55_21:
	v_lshlrev_b32_e32 v0, 16, v6
	s_waitcnt vmcnt(0)
	v_lshlrev_b32_e32 v1, 16, v7
	v_div_scale_f32 v6, s[0:1], v1, v1, v0
	v_rcp_f32_e32 v7, v6
	s_movk_i32 s0, 0x7fff
	v_fma_f32 v8, -v6, v7, 1.0
	v_fmac_f32_e32 v7, v8, v7
	v_div_scale_f32 v8, vcc, v0, v1, v0
	v_mul_f32_e32 v9, v8, v7
	v_fma_f32 v10, -v6, v9, v8
	v_fmac_f32_e32 v9, v10, v7
	v_fma_f32 v6, -v6, v9, v8
	v_div_fmas_f32 v6, v6, v7, v9
	v_div_fixup_f32 v0, v6, v1, v0
	v_bfe_u32 v1, v0, 16, 1
	v_add3_u32 v1, v0, v1, s0
	v_lshrrev_b32_e32 v1, 16, v1
	v_mov_b32_e32 v6, 0x7fc0
	v_cmp_o_f32_e32 vcc, v0, v0
	v_cndmask_b32_e32 v0, v6, v1, vcc
	v_lshlrev_b32_e32 v1, 16, v0
	s_mov_b32 s0, 0x800000
	v_mov_b32_e32 v6, 0x80
	v_cmp_ngt_f32_e32 vcc, s0, v1
	v_cndmask_b32_e32 v0, v6, v0, vcc
	v_lshlrev_b32_e32 v1, 16, v0
	s_mov_b32 s0, 0x3f7e0000
	v_mov_b32_e32 v6, 0x3f7e
	v_cmp_nlt_f32_e32 vcc, s0, v1
	v_cndmask_b32_e32 v6, v6, v0, vcc
	v_mul_lo_u32 v0, v3, s12
	v_ashrrev_i32_e32 v1, 31, v0
	v_mov_b32_e32 v7, s9
	v_add_co_u32_e32 v0, vcc, s8, v0
	v_addc_co_u32_e32 v1, vcc, v7, v1, vcc
	v_mov_b32_e32 v7, 11
	v_cmp_lt_i16_sdwa s[0:1], v2, v7 src0_sel:BYTE_0 src1_sel:DWORD
	s_and_b64 vcc, exec, s[0:1]
	s_cbranch_vccnz .LBB55_30
; %bb.22:
	v_mov_b32_e32 v7, 25
	v_cmp_gt_i16_sdwa s[0:1], v2, v7 src0_sel:BYTE_0 src1_sel:DWORD
	s_and_b64 vcc, exec, s[0:1]
	s_cbranch_vccz .LBB55_33
; %bb.23:
	v_mov_b32_e32 v7, 28
	v_cmp_gt_i16_sdwa s[0:1], v2, v7 src0_sel:BYTE_0 src1_sel:DWORD
	s_and_b64 vcc, exec, s[0:1]
	s_cbranch_vccz .LBB55_36
	;; [unrolled: 5-line block ×4, first 2 shown]
; %bb.26:
	v_mov_b32_e32 v7, 46
	v_cmp_eq_u16_sdwa s[6:7], v2, v7 src0_sel:BYTE_0 src1_sel:DWORD
	s_mov_b64 s[24:25], 0
	s_mov_b64 s[0:1], -1
	s_and_b64 vcc, exec, s[6:7]
	s_mov_b64 s[6:7], 0
	s_cbranch_vccz .LBB55_159
; %bb.27:
	v_and_b32_e32 v7, 0xffff, v6
	global_store_dword v[0:1], v7, off
	s_mov_b64 s[6:7], -1
	s_mov_b64 s[0:1], 0
	s_branch .LBB55_159
.LBB55_28:
	s_mov_b64 s[6:7], -1
	s_mov_b64 s[0:1], 0
                                        ; implicit-def: $vgpr6
	s_branch .LBB55_51
.LBB55_29:
	s_mov_b64 s[6:7], -1
	s_mov_b64 s[18:19], 0
	s_mov_b64 s[0:1], 0
                                        ; implicit-def: $vgpr7
	s_branch .LBB55_296
.LBB55_30:
	s_mov_b64 s[24:25], -1
	s_mov_b64 s[0:1], 0
	s_mov_b64 s[6:7], 0
	s_branch .LBB55_228
.LBB55_31:
	s_mov_b64 s[6:7], -1
	s_mov_b64 s[0:1], 0
                                        ; implicit-def: $vgpr6
	s_branch .LBB55_46
.LBB55_32:
	s_mov_b64 s[6:7], -1
	s_mov_b64 s[18:19], 0
	s_mov_b64 s[0:1], 0
                                        ; implicit-def: $vgpr7
	s_branch .LBB55_277
.LBB55_33:
	s_mov_b64 s[24:25], -1
	s_mov_b64 s[0:1], 0
	s_mov_b64 s[6:7], 0
	s_branch .LBB55_186
.LBB55_34:
	s_mov_b64 s[6:7], -1
	s_branch .LBB55_38
.LBB55_35:
	s_mov_b64 s[6:7], -1
	s_mov_b64 s[18:19], 0
	s_mov_b64 s[0:1], 0
                                        ; implicit-def: $vgpr7
	s_branch .LBB55_272
.LBB55_36:
	s_mov_b64 s[24:25], -1
	s_mov_b64 s[0:1], 0
	s_mov_b64 s[6:7], 0
	s_branch .LBB55_169
.LBB55_37:
	s_mov_b64 s[20:21], -1
.LBB55_38:
	s_mov_b64 s[0:1], 0
                                        ; implicit-def: $vgpr6
.LBB55_39:
	s_and_b64 vcc, exec, s[6:7]
	s_cbranch_vccz .LBB55_45
; %bb.40:
	s_waitcnt vmcnt(0)
	v_mov_b32_e32 v6, 44
	v_cmp_eq_u16_sdwa s[6:7], v5, v6 src0_sel:BYTE_0 src1_sel:DWORD
	s_and_b64 vcc, exec, s[6:7]
	s_cbranch_vccz .LBB55_44
; %bb.41:
	global_load_ubyte v6, v[0:1], off
	s_movk_i32 s6, 0xff
	v_mov_b32_e32 v7, 0x7f800001
	v_mov_b32_e32 v8, 0x400000
	v_mov_b32_e32 v9, 0x7fc0
	s_mov_b64 s[0:1], -1
	s_mov_b64 s[20:21], 0
	s_waitcnt vmcnt(0)
	v_lshlrev_b32_e32 v10, 23, v6
	v_cmp_ne_u32_e32 vcc, s6, v6
	v_cndmask_b32_e32 v7, v7, v10, vcc
	v_cmp_ne_u32_e32 vcc, 0, v6
	v_cndmask_b32_e32 v6, v8, v7, vcc
	v_add_u32_e32 v7, 0x7fff, v6
	v_lshrrev_b32_e32 v7, 16, v7
	v_cmp_o_f32_e32 vcc, v6, v6
	v_cndmask_b32_e32 v6, v9, v7, vcc
	s_branch .LBB55_45
.LBB55_42:
	s_mov_b64 s[6:7], -1
	s_mov_b64 s[18:19], 0
	s_branch .LBB55_154
.LBB55_43:
	s_mov_b64 s[24:25], -1
	s_mov_b64 s[0:1], 0
	s_mov_b64 s[6:7], 0
	s_branch .LBB55_165
.LBB55_44:
	s_mov_b64 s[20:21], -1
                                        ; implicit-def: $vgpr6
.LBB55_45:
	s_mov_b64 s[6:7], 0
.LBB55_46:
	s_and_b64 vcc, exec, s[6:7]
	s_cbranch_vccz .LBB55_50
; %bb.47:
	s_waitcnt vmcnt(0)
	v_mov_b32_e32 v6, 29
	v_cmp_eq_u16_sdwa s[6:7], v5, v6 src0_sel:BYTE_0 src1_sel:DWORD
	s_and_b64 vcc, exec, s[6:7]
	s_cbranch_vccz .LBB55_49
; %bb.48:
	global_load_dwordx2 v[6:7], v[0:1], off
	s_movk_i32 s6, 0x7fff
	s_mov_b64 s[0:1], -1
	s_mov_b64 s[20:21], 0
	s_waitcnt vmcnt(0)
	v_ffbh_u32_e32 v8, v7
	v_min_u32_e32 v8, 32, v8
	v_lshlrev_b64 v[6:7], v8, v[6:7]
	v_min_u32_e32 v6, 1, v6
	v_or_b32_e32 v6, v7, v6
	v_cvt_f32_u32_e32 v6, v6
	v_sub_u32_e32 v7, 32, v8
	v_ldexp_f32 v6, v6, v7
	v_bfe_u32 v7, v6, 16, 1
	v_add3_u32 v6, v6, v7, s6
	v_lshrrev_b32_e32 v6, 16, v6
	s_branch .LBB55_50
.LBB55_49:
	s_mov_b64 s[20:21], -1
                                        ; implicit-def: $vgpr6
.LBB55_50:
	s_mov_b64 s[6:7], 0
.LBB55_51:
	s_and_b64 vcc, exec, s[6:7]
	s_cbranch_vccz .LBB55_69
; %bb.52:
	s_waitcnt vmcnt(0)
	v_mov_b32_e32 v6, 27
	v_cmp_lt_i16_sdwa s[0:1], v5, v6 src0_sel:BYTE_0 src1_sel:DWORD
	s_and_b64 vcc, exec, s[0:1]
	s_cbranch_vccnz .LBB55_55
; %bb.53:
	v_cmp_gt_i16_sdwa s[0:1], v5, v6 src0_sel:BYTE_0 src1_sel:DWORD
	s_and_b64 vcc, exec, s[0:1]
	s_cbranch_vccz .LBB55_56
; %bb.54:
	global_load_dword v6, v[0:1], off
	s_movk_i32 s0, 0x7fff
	s_waitcnt vmcnt(0)
	v_cvt_f32_u32_e32 v6, v6
	v_bfe_u32 v7, v6, 16, 1
	v_add3_u32 v6, v6, v7, s0
	v_lshrrev_b32_e32 v6, 16, v6
	s_mov_b64 s[0:1], 0
	s_branch .LBB55_57
.LBB55_55:
	s_mov_b64 s[0:1], -1
                                        ; implicit-def: $vgpr6
	s_branch .LBB55_60
.LBB55_56:
	s_mov_b64 s[0:1], -1
                                        ; implicit-def: $vgpr6
.LBB55_57:
	s_andn2_b64 vcc, exec, s[0:1]
	s_cbranch_vccnz .LBB55_59
; %bb.58:
	global_load_ushort v6, v[0:1], off
	s_movk_i32 s0, 0x7fff
	s_waitcnt vmcnt(0)
	v_cvt_f32_u32_e32 v6, v6
	v_bfe_u32 v7, v6, 16, 1
	v_add3_u32 v6, v6, v7, s0
	v_lshrrev_b32_e32 v6, 16, v6
.LBB55_59:
	s_mov_b64 s[0:1], 0
.LBB55_60:
	s_andn2_b64 vcc, exec, s[0:1]
	s_cbranch_vccnz .LBB55_68
; %bb.61:
	global_load_ubyte v6, v[0:1], off
	s_movk_i32 s0, 0x7f
                                        ; implicit-def: $sgpr15
	s_waitcnt vmcnt(0)
	v_cmp_lt_i16_e32 vcc, s0, v6
	s_mov_b64 s[0:1], 0
	s_and_saveexec_b64 s[6:7], vcc
	s_xor_b64 s[6:7], exec, s[6:7]
	s_cbranch_execz .LBB55_81
; %bb.62:
	s_movk_i32 s0, 0x80
	v_cmp_eq_u16_e32 vcc, s0, v6
	s_mov_b64 s[0:1], -1
                                        ; implicit-def: $sgpr15
	s_and_saveexec_b64 s[18:19], vcc
; %bb.63:
	s_mov_b32 s15, 0x7f800001
	s_xor_b64 s[0:1], exec, -1
; %bb.64:
	s_or_b64 exec, exec, s[18:19]
	s_and_b64 s[0:1], s[0:1], exec
	s_or_saveexec_b64 s[6:7], s[6:7]
	v_mov_b32_e32 v7, s15
	s_xor_b64 exec, exec, s[6:7]
	s_cbranch_execnz .LBB55_82
.LBB55_65:
	s_or_b64 exec, exec, s[6:7]
	s_and_saveexec_b64 s[6:7], s[0:1]
	s_cbranch_execz .LBB55_67
.LBB55_66:
	v_lshlrev_b32_e32 v7, 24, v6
	v_and_b32_e32 v6, 0xffff, v6
	v_and_b32_e32 v8, 7, v6
	v_ffbh_u32_e32 v10, v8
	v_min_u32_e32 v10, 32, v10
	v_subrev_u32_e32 v11, 28, v10
	v_bfe_u32 v9, v6, 3, 4
	v_lshlrev_b32_e32 v6, v11, v6
	v_sub_u32_e32 v10, 29, v10
	v_and_b32_e32 v6, 7, v6
	v_cmp_eq_u32_e32 vcc, 0, v9
	v_cndmask_b32_e32 v9, v9, v10, vcc
	v_cndmask_b32_e32 v6, v8, v6, vcc
	v_mov_b32_e32 v8, 0x3b800000
	v_lshlrev_b32_e32 v6, 20, v6
	v_and_b32_e32 v7, 0x80000000, v7
	v_lshl_add_u32 v8, v9, 23, v8
	v_or3_b32 v7, v7, v8, v6
.LBB55_67:
	s_or_b64 exec, exec, s[6:7]
	v_bfe_u32 v6, v7, 16, 1
	s_movk_i32 s0, 0x7fff
	v_add3_u32 v6, v7, v6, s0
	v_lshrrev_b32_e32 v6, 16, v6
	v_mov_b32_e32 v8, 0x7fc0
	v_cmp_o_f32_e32 vcc, v7, v7
	v_cndmask_b32_e32 v6, v8, v6, vcc
.LBB55_68:
	s_mov_b64 s[0:1], -1
.LBB55_69:
	s_branch .LBB55_104
.LBB55_70:
	s_waitcnt vmcnt(0)
	v_mov_b32_e32 v6, 22
	v_cmp_gt_i16_sdwa s[6:7], v5, v6 src0_sel:BYTE_0 src1_sel:DWORD
	s_and_b64 vcc, exec, s[6:7]
	s_cbranch_vccz .LBB55_80
; %bb.71:
	v_mov_b32_e32 v6, 24
	v_cmp_lt_i16_sdwa s[0:1], v5, v6 src0_sel:BYTE_0 src1_sel:DWORD
	s_and_b64 vcc, exec, s[0:1]
	s_cbranch_vccnz .LBB55_83
; %bb.72:
	v_cmp_gt_i16_sdwa s[0:1], v5, v6 src0_sel:BYTE_0 src1_sel:DWORD
	s_and_b64 vcc, exec, s[0:1]
	s_cbranch_vccz .LBB55_84
; %bb.73:
	global_load_ubyte v6, v[0:1], off
	s_movk_i32 s0, 0x7f
                                        ; implicit-def: $sgpr15
	s_waitcnt vmcnt(0)
	v_cmp_lt_i16_e32 vcc, s0, v6
	s_mov_b64 s[0:1], 0
	s_and_saveexec_b64 s[6:7], vcc
	s_xor_b64 s[6:7], exec, s[6:7]
	s_cbranch_execz .LBB55_96
; %bb.74:
	s_movk_i32 s0, 0x80
	v_cmp_eq_u16_e32 vcc, s0, v6
	s_mov_b64 s[0:1], -1
                                        ; implicit-def: $sgpr15
	s_and_saveexec_b64 s[18:19], vcc
; %bb.75:
	s_mov_b32 s15, 0x7f800001
	s_xor_b64 s[0:1], exec, -1
; %bb.76:
	s_or_b64 exec, exec, s[18:19]
	s_and_b64 s[0:1], s[0:1], exec
	s_or_saveexec_b64 s[6:7], s[6:7]
	v_mov_b32_e32 v7, s15
	s_xor_b64 exec, exec, s[6:7]
	s_cbranch_execnz .LBB55_97
.LBB55_77:
	s_or_b64 exec, exec, s[6:7]
	s_and_saveexec_b64 s[6:7], s[0:1]
	s_cbranch_execz .LBB55_79
.LBB55_78:
	v_lshlrev_b32_e32 v7, 24, v6
	v_and_b32_e32 v6, 0xffff, v6
	v_and_b32_e32 v8, 3, v6
	v_ffbh_u32_e32 v10, v8
	v_min_u32_e32 v10, 32, v10
	v_subrev_u32_e32 v11, 29, v10
	v_bfe_u32 v9, v6, 2, 5
	v_lshlrev_b32_e32 v6, v11, v6
	v_sub_u32_e32 v10, 30, v10
	v_and_b32_e32 v6, 3, v6
	v_cmp_eq_u32_e32 vcc, 0, v9
	v_cndmask_b32_e32 v9, v9, v10, vcc
	v_cndmask_b32_e32 v6, v8, v6, vcc
	v_mov_b32_e32 v8, 0x37800000
	v_lshlrev_b32_e32 v6, 21, v6
	v_and_b32_e32 v7, 0x80000000, v7
	v_lshl_add_u32 v8, v9, 23, v8
	v_or3_b32 v7, v7, v8, v6
.LBB55_79:
	s_or_b64 exec, exec, s[6:7]
	v_bfe_u32 v6, v7, 16, 1
	s_movk_i32 s0, 0x7fff
	v_add3_u32 v6, v7, v6, s0
	v_lshrrev_b32_e32 v6, 16, v6
	v_mov_b32_e32 v8, 0x7fc0
	v_cmp_o_f32_e32 vcc, v7, v7
	v_cndmask_b32_e32 v6, v8, v6, vcc
	s_mov_b64 s[0:1], 0
	s_branch .LBB55_85
.LBB55_80:
	s_mov_b64 s[6:7], -1
                                        ; implicit-def: $vgpr6
	s_branch .LBB55_91
.LBB55_81:
	s_or_saveexec_b64 s[6:7], s[6:7]
	v_mov_b32_e32 v7, s15
	s_xor_b64 exec, exec, s[6:7]
	s_cbranch_execz .LBB55_65
.LBB55_82:
	v_cmp_ne_u16_e32 vcc, 0, v6
	s_andn2_b64 s[0:1], s[0:1], exec
	s_and_b64 s[18:19], vcc, exec
	v_mov_b32_e32 v7, 0
	s_or_b64 s[0:1], s[0:1], s[18:19]
	s_or_b64 exec, exec, s[6:7]
	s_and_saveexec_b64 s[6:7], s[0:1]
	s_cbranch_execnz .LBB55_66
	s_branch .LBB55_67
.LBB55_83:
	s_mov_b64 s[0:1], -1
                                        ; implicit-def: $vgpr6
	s_branch .LBB55_88
.LBB55_84:
	s_mov_b64 s[0:1], -1
                                        ; implicit-def: $vgpr6
.LBB55_85:
	s_and_b64 vcc, exec, s[0:1]
	s_cbranch_vccz .LBB55_87
; %bb.86:
	global_load_ubyte v6, v[0:1], off
	s_mov_b32 s0, 0x7f800000
	s_brev_b32 s1, 1
	s_movk_i32 s6, 0x7fff
	v_mov_b32_e32 v7, 0x7fc0
	s_waitcnt vmcnt(0)
	v_lshlrev_b32_e32 v6, 24, v6
	v_and_b32_e32 v8, 0x7f000000, v6
	v_ffbh_u32_e32 v9, v8
	v_min_u32_e32 v9, 32, v9
	v_sub_u32_e64 v9, v9, 4 clamp
	v_lshlrev_b32_e32 v11, v9, v8
	v_lshlrev_b32_e32 v9, 23, v9
	v_lshrrev_b32_e32 v11, 4, v11
	v_add_u32_e32 v10, 0x1000000, v8
	v_sub_u32_e32 v9, v11, v9
	v_ashrrev_i32_e32 v10, 8, v10
	v_add_u32_e32 v9, 0x3c000000, v9
	v_and_or_b32 v9, v10, s0, v9
	v_cmp_ne_u32_e32 vcc, 0, v8
	v_cndmask_b32_e32 v8, 0, v9, vcc
	v_and_or_b32 v6, v6, s1, v8
	v_bfe_u32 v8, v8, 16, 1
	v_add3_u32 v8, v6, v8, s6
	v_lshrrev_b32_e32 v8, 16, v8
	v_cmp_o_f32_e32 vcc, v6, v6
	v_cndmask_b32_e32 v6, v7, v8, vcc
.LBB55_87:
	s_mov_b64 s[0:1], 0
.LBB55_88:
	s_andn2_b64 vcc, exec, s[0:1]
	s_cbranch_vccnz .LBB55_90
; %bb.89:
	global_load_ubyte v6, v[0:1], off
	s_movk_i32 s0, 0x7f00
	s_brev_b32 s1, 16
	s_brev_b32 s6, 1
	s_movk_i32 s7, 0x7fff
	v_mov_b32_e32 v7, 0x7fc0
	s_waitcnt vmcnt(0)
	v_lshlrev_b16_e32 v8, 8, v6
	v_lshlrev_b32_e32 v6, 25, v6
	v_lshrrev_b32_e32 v9, 4, v6
	v_and_or_b32 v10, v8, s0, 0.5
	v_or_b32_e32 v9, 0x70000000, v9
	v_add_f32_e32 v10, -0.5, v10
	v_mul_f32_e32 v9, 0x7800000, v9
	v_cmp_gt_u32_e32 vcc, s1, v6
	v_bfe_i32 v8, v8, 0, 16
	v_cndmask_b32_e32 v6, v9, v10, vcc
	v_and_or_b32 v8, v8, s6, v6
	v_bfe_u32 v6, v6, 16, 1
	v_add3_u32 v6, v8, v6, s7
	v_lshrrev_b32_e32 v6, 16, v6
	v_cmp_o_f32_e32 vcc, v8, v8
	v_cndmask_b32_e32 v6, v7, v6, vcc
.LBB55_90:
	s_mov_b64 s[6:7], 0
	s_mov_b64 s[0:1], -1
.LBB55_91:
	s_andn2_b64 vcc, exec, s[6:7]
	s_cbranch_vccnz .LBB55_104
; %bb.92:
	v_mov_b32_e32 v6, 14
	v_cmp_gt_i16_sdwa s[6:7], v5, v6 src0_sel:BYTE_0 src1_sel:DWORD
	s_and_b64 vcc, exec, s[6:7]
	s_cbranch_vccz .LBB55_95
; %bb.93:
	v_mov_b32_e32 v6, 15
	v_cmp_eq_u16_sdwa s[6:7], v5, v6 src0_sel:BYTE_0 src1_sel:DWORD
	s_and_b64 vcc, exec, s[6:7]
	s_cbranch_vccz .LBB55_98
; %bb.94:
	global_load_ushort v6, v[0:1], off
	s_mov_b64 s[0:1], -1
	s_mov_b64 s[20:21], 0
	s_branch .LBB55_99
.LBB55_95:
	s_mov_b64 s[6:7], -1
                                        ; implicit-def: $vgpr6
	s_branch .LBB55_100
.LBB55_96:
	s_or_saveexec_b64 s[6:7], s[6:7]
	v_mov_b32_e32 v7, s15
	s_xor_b64 exec, exec, s[6:7]
	s_cbranch_execz .LBB55_77
.LBB55_97:
	v_cmp_ne_u16_e32 vcc, 0, v6
	s_andn2_b64 s[0:1], s[0:1], exec
	s_and_b64 s[18:19], vcc, exec
	v_mov_b32_e32 v7, 0
	s_or_b64 s[0:1], s[0:1], s[18:19]
	s_or_b64 exec, exec, s[6:7]
	s_and_saveexec_b64 s[6:7], s[0:1]
	s_cbranch_execnz .LBB55_78
	s_branch .LBB55_79
.LBB55_98:
	s_mov_b64 s[20:21], -1
                                        ; implicit-def: $vgpr6
.LBB55_99:
	s_mov_b64 s[6:7], 0
.LBB55_100:
	s_and_b64 vcc, exec, s[6:7]
	s_cbranch_vccz .LBB55_104
; %bb.101:
	s_waitcnt vmcnt(0)
	v_mov_b32_e32 v6, 11
	v_cmp_eq_u16_sdwa s[6:7], v5, v6 src0_sel:BYTE_0 src1_sel:DWORD
	s_and_b64 vcc, exec, s[6:7]
	s_cbranch_vccz .LBB55_103
; %bb.102:
	global_load_ubyte v6, v[0:1], off
	s_mov_b64 s[0:1], -1
	s_mov_b64 s[20:21], 0
	s_waitcnt vmcnt(0)
	v_cmp_ne_u16_e32 vcc, 0, v6
	v_cndmask_b32_e64 v6, 0, 1.0, vcc
	v_lshrrev_b32_e32 v6, 16, v6
	s_branch .LBB55_104
.LBB55_103:
	s_mov_b64 s[20:21], -1
                                        ; implicit-def: $vgpr6
.LBB55_104:
	s_branch .LBB55_10
.LBB55_105:
	s_waitcnt vmcnt(0)
	v_mov_b32_e32 v6, 5
	v_cmp_lt_i16_sdwa s[0:1], v5, v6 src0_sel:BYTE_0 src1_sel:DWORD
	s_and_b64 vcc, exec, s[0:1]
	s_cbranch_vccnz .LBB55_110
; %bb.106:
	v_mov_b32_e32 v6, 8
	v_cmp_lt_i16_sdwa s[0:1], v5, v6 src0_sel:BYTE_0 src1_sel:DWORD
	s_and_b64 vcc, exec, s[0:1]
	s_cbranch_vccnz .LBB55_111
; %bb.107:
	;; [unrolled: 5-line block ×3, first 2 shown]
	v_cmp_gt_i16_sdwa s[0:1], v5, v6 src0_sel:BYTE_0 src1_sel:DWORD
	s_and_b64 vcc, exec, s[0:1]
	s_cbranch_vccz .LBB55_113
; %bb.109:
	global_load_dwordx2 v[6:7], v[0:1], off
	s_movk_i32 s0, 0x7fff
	v_mov_b32_e32 v8, 0x7fc0
	s_waitcnt vmcnt(0)
	v_cvt_f32_f64_e32 v6, v[6:7]
	v_bfe_u32 v7, v6, 16, 1
	v_add3_u32 v7, v6, v7, s0
	v_lshrrev_b32_e32 v7, 16, v7
	v_cmp_o_f32_e32 vcc, v6, v6
	v_cndmask_b32_e32 v6, v8, v7, vcc
	s_mov_b64 s[0:1], 0
	s_branch .LBB55_114
.LBB55_110:
                                        ; implicit-def: $vgpr6
	s_branch .LBB55_132
.LBB55_111:
	s_mov_b64 s[0:1], -1
                                        ; implicit-def: $vgpr6
	s_branch .LBB55_120
.LBB55_112:
	s_mov_b64 s[0:1], -1
                                        ; implicit-def: $vgpr6
	s_branch .LBB55_117
.LBB55_113:
	s_mov_b64 s[0:1], -1
                                        ; implicit-def: $vgpr6
.LBB55_114:
	s_andn2_b64 vcc, exec, s[0:1]
	s_cbranch_vccnz .LBB55_116
; %bb.115:
	global_load_dword v6, v[0:1], off
	s_movk_i32 s0, 0x7fff
	v_mov_b32_e32 v7, 0x7fc0
	s_waitcnt vmcnt(0)
	v_bfe_u32 v8, v6, 16, 1
	v_add3_u32 v8, v6, v8, s0
	v_lshrrev_b32_e32 v8, 16, v8
	v_cmp_o_f32_e32 vcc, v6, v6
	v_cndmask_b32_e32 v6, v7, v8, vcc
.LBB55_116:
	s_mov_b64 s[0:1], 0
.LBB55_117:
	s_andn2_b64 vcc, exec, s[0:1]
	s_cbranch_vccnz .LBB55_119
; %bb.118:
	global_load_dword v6, v[0:1], off
	s_movk_i32 s0, 0x7fff
	v_mov_b32_e32 v8, 0x7fc0
	s_waitcnt vmcnt(0)
	v_cvt_f32_f16_e32 v7, v6
	v_cmp_o_f16_e32 vcc, v6, v6
	v_bfe_u32 v9, v7, 16, 1
	v_add3_u32 v7, v7, v9, s0
	v_lshrrev_b32_e32 v7, 16, v7
	v_cndmask_b32_e32 v6, v8, v7, vcc
.LBB55_119:
	s_mov_b64 s[0:1], 0
.LBB55_120:
	s_andn2_b64 vcc, exec, s[0:1]
	s_cbranch_vccnz .LBB55_131
; %bb.121:
	v_mov_b32_e32 v6, 6
	v_cmp_lt_i16_sdwa s[0:1], v5, v6 src0_sel:BYTE_0 src1_sel:DWORD
	s_and_b64 vcc, exec, s[0:1]
	s_cbranch_vccnz .LBB55_124
; %bb.122:
	v_cmp_gt_i16_sdwa s[0:1], v5, v6 src0_sel:BYTE_0 src1_sel:DWORD
	s_and_b64 vcc, exec, s[0:1]
	s_cbranch_vccz .LBB55_125
; %bb.123:
	global_load_dwordx2 v[6:7], v[0:1], off
	s_movk_i32 s0, 0x7fff
	v_mov_b32_e32 v8, 0x7fc0
	s_waitcnt vmcnt(0)
	v_cvt_f32_f64_e32 v6, v[6:7]
	v_bfe_u32 v7, v6, 16, 1
	v_add3_u32 v7, v6, v7, s0
	v_lshrrev_b32_e32 v7, 16, v7
	v_cmp_o_f32_e32 vcc, v6, v6
	v_cndmask_b32_e32 v6, v8, v7, vcc
	s_mov_b64 s[0:1], 0
	s_branch .LBB55_126
.LBB55_124:
	s_mov_b64 s[0:1], -1
                                        ; implicit-def: $vgpr6
	s_branch .LBB55_129
.LBB55_125:
	s_mov_b64 s[0:1], -1
                                        ; implicit-def: $vgpr6
.LBB55_126:
	s_andn2_b64 vcc, exec, s[0:1]
	s_cbranch_vccnz .LBB55_128
; %bb.127:
	global_load_dword v6, v[0:1], off
	s_movk_i32 s0, 0x7fff
	v_mov_b32_e32 v7, 0x7fc0
	s_waitcnt vmcnt(0)
	v_bfe_u32 v8, v6, 16, 1
	v_add3_u32 v8, v6, v8, s0
	v_lshrrev_b32_e32 v8, 16, v8
	v_cmp_o_f32_e32 vcc, v6, v6
	v_cndmask_b32_e32 v6, v7, v8, vcc
.LBB55_128:
	s_mov_b64 s[0:1], 0
.LBB55_129:
	s_andn2_b64 vcc, exec, s[0:1]
	s_cbranch_vccnz .LBB55_131
; %bb.130:
	global_load_ushort v6, v[0:1], off
	s_movk_i32 s0, 0x7fff
	v_mov_b32_e32 v8, 0x7fc0
	s_waitcnt vmcnt(0)
	v_cvt_f32_f16_e32 v7, v6
	v_cmp_o_f16_e32 vcc, v6, v6
	v_bfe_u32 v9, v7, 16, 1
	v_add3_u32 v7, v7, v9, s0
	v_lshrrev_b32_e32 v7, 16, v7
	v_cndmask_b32_e32 v6, v8, v7, vcc
.LBB55_131:
	s_cbranch_execnz .LBB55_151
.LBB55_132:
	v_mov_b32_e32 v6, 2
	v_cmp_lt_i16_sdwa s[0:1], v5, v6 src0_sel:BYTE_0 src1_sel:DWORD
	s_and_b64 vcc, exec, s[0:1]
	s_cbranch_vccnz .LBB55_136
; %bb.133:
	v_mov_b32_e32 v6, 3
	v_cmp_lt_i16_sdwa s[0:1], v5, v6 src0_sel:BYTE_0 src1_sel:DWORD
	s_and_b64 vcc, exec, s[0:1]
	s_cbranch_vccnz .LBB55_137
; %bb.134:
	v_cmp_gt_i16_sdwa s[0:1], v5, v6 src0_sel:BYTE_0 src1_sel:DWORD
	s_and_b64 vcc, exec, s[0:1]
	s_cbranch_vccz .LBB55_138
; %bb.135:
	global_load_dwordx2 v[6:7], v[0:1], off
	s_movk_i32 s0, 0x7fff
	s_waitcnt vmcnt(0)
	v_xor_b32_e32 v9, v6, v7
	v_ffbh_i32_e32 v8, v7
	v_ashrrev_i32_e32 v9, 31, v9
	v_add_u32_e32 v8, -1, v8
	v_add_u32_e32 v9, 32, v9
	v_min_u32_e32 v8, v8, v9
	v_lshlrev_b64 v[6:7], v8, v[6:7]
	v_min_u32_e32 v6, 1, v6
	v_or_b32_e32 v6, v7, v6
	v_cvt_f32_i32_e32 v6, v6
	v_sub_u32_e32 v7, 32, v8
	v_ldexp_f32 v6, v6, v7
	v_bfe_u32 v7, v6, 16, 1
	v_add3_u32 v6, v6, v7, s0
	v_lshrrev_b32_e32 v6, 16, v6
	s_mov_b64 s[0:1], 0
	s_branch .LBB55_139
.LBB55_136:
	s_mov_b64 s[0:1], -1
                                        ; implicit-def: $vgpr6
	s_branch .LBB55_145
.LBB55_137:
	s_mov_b64 s[0:1], -1
                                        ; implicit-def: $vgpr6
	s_branch .LBB55_142
.LBB55_138:
	s_mov_b64 s[0:1], -1
                                        ; implicit-def: $vgpr6
.LBB55_139:
	s_andn2_b64 vcc, exec, s[0:1]
	s_cbranch_vccnz .LBB55_141
; %bb.140:
	global_load_dword v6, v[0:1], off
	s_movk_i32 s0, 0x7fff
	s_waitcnt vmcnt(0)
	v_cvt_f32_i32_e32 v6, v6
	v_bfe_u32 v7, v6, 16, 1
	v_add3_u32 v6, v6, v7, s0
	v_lshrrev_b32_e32 v6, 16, v6
.LBB55_141:
	s_mov_b64 s[0:1], 0
.LBB55_142:
	s_andn2_b64 vcc, exec, s[0:1]
	s_cbranch_vccnz .LBB55_144
; %bb.143:
	global_load_sshort v6, v[0:1], off
	s_movk_i32 s0, 0x7fff
	s_waitcnt vmcnt(0)
	v_cvt_f32_i32_e32 v6, v6
	v_bfe_u32 v7, v6, 16, 1
	v_add3_u32 v6, v6, v7, s0
	v_lshrrev_b32_e32 v6, 16, v6
.LBB55_144:
	s_mov_b64 s[0:1], 0
.LBB55_145:
	s_andn2_b64 vcc, exec, s[0:1]
	s_cbranch_vccnz .LBB55_151
; %bb.146:
	v_mov_b32_e32 v6, 0
	v_cmp_gt_i16_sdwa s[0:1], v5, v6 src0_sel:BYTE_0 src1_sel:DWORD
	s_and_b64 vcc, exec, s[0:1]
	s_cbranch_vccz .LBB55_148
; %bb.147:
	global_load_sbyte v6, v[0:1], off
	s_movk_i32 s0, 0x7fff
	s_waitcnt vmcnt(0)
	v_cvt_f32_i32_e32 v6, v6
	v_bfe_u32 v7, v6, 16, 1
	v_add3_u32 v6, v6, v7, s0
	v_lshrrev_b32_e32 v6, 16, v6
	s_mov_b64 s[0:1], 0
	s_branch .LBB55_149
.LBB55_148:
	s_mov_b64 s[0:1], -1
                                        ; implicit-def: $vgpr6
.LBB55_149:
	s_andn2_b64 vcc, exec, s[0:1]
	s_cbranch_vccnz .LBB55_151
; %bb.150:
	global_load_ubyte v0, v[0:1], off
	s_movk_i32 s0, 0x7fff
	s_waitcnt vmcnt(0)
	v_cvt_f32_ubyte0_e32 v0, v0
	v_bfe_u32 v1, v0, 16, 1
	v_add3_u32 v0, v0, v1, s0
	v_lshrrev_b32_e32 v6, 16, v0
.LBB55_151:
	s_branch .LBB55_11
.LBB55_152:
	s_mov_b64 s[0:1], 0
	s_mov_b64 s[18:19], 0
	s_branch .LBB55_381
.LBB55_153:
	s_mov_b64 s[18:19], -1
.LBB55_154:
	s_mov_b64 s[0:1], 0
                                        ; implicit-def: $vgpr7
.LBB55_155:
	s_and_b64 vcc, exec, s[6:7]
	s_cbranch_vccz .LBB55_271
; %bb.156:
	s_waitcnt vmcnt(0)
	v_mov_b32_e32 v7, 44
	v_cmp_eq_u16_sdwa s[6:7], v4, v7 src0_sel:BYTE_0 src1_sel:DWORD
	s_and_b64 vcc, exec, s[6:7]
	s_cbranch_vccz .LBB55_270
; %bb.157:
	global_load_ubyte v7, v[0:1], off
	s_movk_i32 s6, 0xff
	v_mov_b32_e32 v8, 0x7f800001
	v_mov_b32_e32 v9, 0x400000
	;; [unrolled: 1-line block ×3, first 2 shown]
	s_mov_b64 s[0:1], -1
	s_mov_b64 s[18:19], 0
	s_waitcnt vmcnt(0)
	v_lshlrev_b32_e32 v11, 23, v7
	v_cmp_ne_u32_e32 vcc, s6, v7
	v_cndmask_b32_e32 v8, v8, v11, vcc
	v_cmp_ne_u32_e32 vcc, 0, v7
	v_cndmask_b32_e32 v7, v9, v8, vcc
	v_add_u32_e32 v8, 0x7fff, v7
	v_lshrrev_b32_e32 v8, 16, v8
	v_cmp_o_f32_e32 vcc, v7, v7
	v_cndmask_b32_e32 v7, v10, v8, vcc
	s_branch .LBB55_271
.LBB55_158:
	s_mov_b64 s[24:25], -1
	s_mov_b64 s[0:1], 0
	s_mov_b64 s[6:7], 0
.LBB55_159:
	s_and_b64 vcc, exec, s[24:25]
	s_cbranch_vccz .LBB55_164
; %bb.160:
	v_mov_b32_e32 v7, 44
	v_cmp_eq_u16_sdwa s[24:25], v2, v7 src0_sel:BYTE_0 src1_sel:DWORD
	s_mov_b64 s[0:1], -1
	s_and_b64 vcc, exec, s[24:25]
	s_cbranch_vccz .LBB55_164
; %bb.161:
	v_and_b32_e32 v8, 0xffff, v6
	v_bfe_u32 v7, v8, 7, 8
	s_movk_i32 s0, 0xff
	v_cmp_ne_u32_e32 vcc, s0, v7
	v_mov_b32_e32 v9, 0xff
	s_and_saveexec_b64 s[6:7], vcc
; %bb.162:
	v_lshlrev_b32_e32 v10, 16, v8
	s_mov_b32 s0, 0x3f0000
	v_lshrrev_b32_e32 v9, 7, v8
	v_and_b32_e32 v8, 64, v8
	v_and_or_b32 v7, v10, s0, v7
	v_cmp_ne_u32_e32 vcc, 0, v8
	v_cmp_ne_u32_e64 s[0:1], 0, v7
	s_and_b64 s[0:1], vcc, s[0:1]
	v_cndmask_b32_e64 v7, 0, 1, s[0:1]
	v_add_u32_e32 v9, v9, v7
; %bb.163:
	s_or_b64 exec, exec, s[6:7]
	s_mov_b64 s[6:7], -1
	s_mov_b64 s[0:1], 0
	global_store_byte v[0:1], v9, off
.LBB55_164:
	s_mov_b64 s[24:25], 0
.LBB55_165:
	s_and_b64 vcc, exec, s[24:25]
	s_cbranch_vccz .LBB55_168
; %bb.166:
	v_mov_b32_e32 v7, 29
	v_cmp_eq_u16_sdwa s[24:25], v2, v7 src0_sel:BYTE_0 src1_sel:DWORD
	s_mov_b64 s[0:1], -1
	s_and_b64 vcc, exec, s[24:25]
	s_cbranch_vccz .LBB55_168
; %bb.167:
	v_lshlrev_b32_e32 v7, 16, v6
	v_trunc_f32_e32 v7, v7
	v_mul_f32_e32 v8, 0x2f800000, v7
	v_floor_f32_e32 v8, v8
	v_fmac_f32_e32 v7, 0xcf800000, v8
	v_cvt_u32_f32_e32 v9, v8
	v_cvt_u32_f32_e32 v8, v7
	s_mov_b64 s[6:7], -1
	s_mov_b64 s[0:1], 0
	s_mov_b64 s[24:25], 0
	global_store_dwordx2 v[0:1], v[8:9], off
	s_branch .LBB55_169
.LBB55_168:
	s_mov_b64 s[24:25], 0
.LBB55_169:
	s_and_b64 vcc, exec, s[24:25]
	s_cbranch_vccz .LBB55_185
; %bb.170:
	v_mov_b32_e32 v7, 27
	v_cmp_lt_i16_sdwa s[24:25], v2, v7 src0_sel:BYTE_0 src1_sel:DWORD
	s_mov_b64 s[6:7], -1
	s_and_b64 vcc, exec, s[24:25]
	s_cbranch_vccnz .LBB55_176
; %bb.171:
	v_cmp_gt_i16_sdwa s[24:25], v2, v7 src0_sel:BYTE_0 src1_sel:DWORD
	s_and_b64 vcc, exec, s[24:25]
	s_cbranch_vccz .LBB55_173
; %bb.172:
	v_lshlrev_b32_e32 v7, 16, v6
	v_cvt_u32_f32_e32 v7, v7
	s_mov_b64 s[6:7], 0
	global_store_dword v[0:1], v7, off
.LBB55_173:
	s_andn2_b64 vcc, exec, s[6:7]
	s_cbranch_vccnz .LBB55_175
; %bb.174:
	v_lshlrev_b32_e32 v7, 16, v6
	v_cvt_u32_f32_e32 v7, v7
	global_store_short v[0:1], v7, off
.LBB55_175:
	s_mov_b64 s[6:7], 0
.LBB55_176:
	s_andn2_b64 vcc, exec, s[6:7]
	s_cbranch_vccnz .LBB55_184
; %bb.177:
	v_lshlrev_b32_e32 v9, 16, v6
	v_and_b32_e32 v8, 0x7fffffff, v9
	s_mov_b32 s6, 0x43800000
	v_cmp_gt_u32_e32 vcc, s6, v8
	v_mov_b32_e32 v10, 0x80
	s_and_saveexec_b64 s[6:7], vcc
	s_cbranch_execz .LBB55_183
; %bb.178:
	s_mov_b32 s15, 0x3bffffff
	v_and_b32_e32 v7, 0xffff, v6
	v_cmp_lt_u32_e32 vcc, s15, v8
	s_mov_b64 s[24:25], 0
                                        ; implicit-def: $vgpr8
	s_and_saveexec_b64 s[28:29], vcc
	s_xor_b64 s[28:29], exec, s[28:29]
	s_cbranch_execz .LBB55_412
; %bb.179:
	v_bfe_u32 v8, v7, 4, 1
	s_mov_b32 s15, 0x487ffff
	v_add3_u32 v8, v9, v8, s15
	s_mov_b64 s[24:25], exec
	v_lshrrev_b32_e32 v8, 20, v8
                                        ; implicit-def: $vgpr9
	s_or_saveexec_b64 s[28:29], s[28:29]
                                        ; implicit-def: $sgpr15
	s_xor_b64 exec, exec, s[28:29]
	s_cbranch_execnz .LBB55_413
.LBB55_180:
	s_or_b64 exec, exec, s[28:29]
	v_mov_b32_e32 v10, s15
	s_and_saveexec_b64 s[28:29], s[24:25]
.LBB55_181:
	v_lshrrev_b32_e32 v7, 8, v7
	s_movk_i32 s15, 0x80
	v_and_or_b32 v10, v7, s15, v8
.LBB55_182:
	s_or_b64 exec, exec, s[28:29]
.LBB55_183:
	s_or_b64 exec, exec, s[6:7]
	global_store_byte v[0:1], v10, off
.LBB55_184:
	s_mov_b64 s[6:7], -1
.LBB55_185:
	s_mov_b64 s[24:25], 0
.LBB55_186:
	s_and_b64 vcc, exec, s[24:25]
	s_cbranch_vccz .LBB55_227
; %bb.187:
	v_mov_b32_e32 v7, 22
	v_cmp_gt_i16_sdwa s[28:29], v2, v7 src0_sel:BYTE_0 src1_sel:DWORD
	s_mov_b64 s[24:25], -1
	s_and_b64 vcc, exec, s[28:29]
	s_cbranch_vccz .LBB55_219
; %bb.188:
	v_mov_b32_e32 v7, 24
	v_cmp_lt_i16_sdwa s[24:25], v2, v7 src0_sel:BYTE_0 src1_sel:DWORD
	s_mov_b64 s[6:7], -1
	s_and_b64 vcc, exec, s[24:25]
	s_cbranch_vccnz .LBB55_208
; %bb.189:
	v_cmp_gt_i16_sdwa s[24:25], v2, v7 src0_sel:BYTE_0 src1_sel:DWORD
	s_and_b64 vcc, exec, s[24:25]
	s_cbranch_vccz .LBB55_197
; %bb.190:
	v_lshlrev_b32_e32 v9, 16, v6
	v_and_b32_e32 v8, 0x7fffffff, v9
	s_mov_b32 s6, 0x47800000
	v_cmp_gt_u32_e32 vcc, s6, v8
	v_mov_b32_e32 v10, 0x80
	s_and_saveexec_b64 s[6:7], vcc
	s_cbranch_execz .LBB55_196
; %bb.191:
	s_mov_b32 s15, 0x37ffffff
	v_and_b32_e32 v7, 0xffff, v6
	v_cmp_lt_u32_e32 vcc, s15, v8
	s_mov_b64 s[24:25], 0
                                        ; implicit-def: $vgpr8
	s_and_saveexec_b64 s[28:29], vcc
	s_xor_b64 s[28:29], exec, s[28:29]
	s_cbranch_execz .LBB55_531
; %bb.192:
	v_bfe_u32 v8, v7, 5, 1
	s_mov_b32 s15, 0x88fffff
	v_add3_u32 v8, v9, v8, s15
	s_mov_b64 s[24:25], exec
	v_lshrrev_b32_e32 v8, 21, v8
                                        ; implicit-def: $vgpr9
	s_or_saveexec_b64 s[28:29], s[28:29]
                                        ; implicit-def: $sgpr15
	s_xor_b64 exec, exec, s[28:29]
	s_cbranch_execnz .LBB55_532
.LBB55_193:
	s_or_b64 exec, exec, s[28:29]
	v_mov_b32_e32 v10, s15
	s_and_saveexec_b64 s[28:29], s[24:25]
.LBB55_194:
	v_lshrrev_b32_e32 v7, 8, v7
	s_movk_i32 s15, 0x80
	v_and_or_b32 v10, v7, s15, v8
.LBB55_195:
	s_or_b64 exec, exec, s[28:29]
.LBB55_196:
	s_or_b64 exec, exec, s[6:7]
	s_mov_b64 s[6:7], 0
	global_store_byte v[0:1], v10, off
.LBB55_197:
	s_and_b64 vcc, exec, s[6:7]
	s_cbranch_vccz .LBB55_207
; %bb.198:
	v_lshlrev_b32_e32 v9, 16, v6
	v_and_b32_e32 v10, 0x7fffffff, v9
	s_mov_b32 s6, 0x43f00000
	v_and_b32_e32 v7, 0xffff, v6
	v_cmp_gt_u32_e32 vcc, s6, v10
                                        ; implicit-def: $vgpr8
	s_and_saveexec_b64 s[6:7], vcc
	s_xor_b64 s[6:7], exec, s[6:7]
	s_cbranch_execz .LBB55_204
; %bb.199:
	s_mov_b32 s15, 0x3c7fffff
	v_cmp_lt_u32_e32 vcc, s15, v10
                                        ; implicit-def: $vgpr8
	s_and_saveexec_b64 s[24:25], vcc
	s_xor_b64 s[24:25], exec, s[24:25]
; %bb.200:
	v_bfe_u32 v8, v7, 4, 1
	s_mov_b32 s15, 0x407ffff
	v_add3_u32 v8, v9, v8, s15
	v_lshrrev_b32_e32 v9, 20, v8
	v_and_b32_e32 v8, 0xff00000, v8
	s_mov_b32 s15, 0x7f00000
	v_mov_b32_e32 v10, 0x7e
	v_cmp_ne_u32_e32 vcc, s15, v8
	v_cndmask_b32_e32 v8, v10, v9, vcc
                                        ; implicit-def: $vgpr9
; %bb.201:
	s_andn2_saveexec_b64 s[24:25], s[24:25]
; %bb.202:
	s_mov_b32 s15, 0x46800000
	v_add_f32_e64 v8, |v9|, s15
; %bb.203:
	s_or_b64 exec, exec, s[24:25]
                                        ; implicit-def: $vgpr10
.LBB55_204:
	s_andn2_saveexec_b64 s[6:7], s[6:7]
; %bb.205:
	s_mov_b32 s15, 0x7f800000
	v_mov_b32_e32 v8, 0x7e
	v_mov_b32_e32 v9, 0x7f
	v_cmp_lt_u32_e32 vcc, s15, v10
	v_cndmask_b32_e32 v8, v8, v9, vcc
; %bb.206:
	s_or_b64 exec, exec, s[6:7]
	v_lshrrev_b32_e32 v7, 8, v7
	s_movk_i32 s6, 0x80
	v_and_or_b32 v7, v7, s6, v8
	global_store_byte v[0:1], v7, off
.LBB55_207:
	s_mov_b64 s[6:7], 0
.LBB55_208:
	s_andn2_b64 vcc, exec, s[6:7]
	s_cbranch_vccnz .LBB55_218
; %bb.209:
	v_lshlrev_b32_e32 v9, 16, v6
	v_and_b32_e32 v10, 0x7fffffff, v9
	s_mov_b32 s6, 0x47800000
	v_and_b32_e32 v7, 0xffff, v6
	v_cmp_gt_u32_e32 vcc, s6, v10
                                        ; implicit-def: $vgpr8
	s_and_saveexec_b64 s[6:7], vcc
	s_xor_b64 s[6:7], exec, s[6:7]
	s_cbranch_execz .LBB55_215
; %bb.210:
	s_mov_b32 s15, 0x387fffff
	v_cmp_lt_u32_e32 vcc, s15, v10
                                        ; implicit-def: $vgpr8
	s_and_saveexec_b64 s[24:25], vcc
	s_xor_b64 s[24:25], exec, s[24:25]
; %bb.211:
	v_bfe_u32 v8, v7, 5, 1
	s_mov_b32 s15, 0x80fffff
	v_add3_u32 v8, v9, v8, s15
	v_lshrrev_b32_e32 v8, 21, v8
                                        ; implicit-def: $vgpr9
; %bb.212:
	s_andn2_saveexec_b64 s[24:25], s[24:25]
; %bb.213:
	s_mov_b32 s15, 0x43000000
	v_add_f32_e64 v8, |v9|, s15
; %bb.214:
	s_or_b64 exec, exec, s[24:25]
                                        ; implicit-def: $vgpr10
.LBB55_215:
	s_andn2_saveexec_b64 s[6:7], s[6:7]
; %bb.216:
	s_mov_b32 s15, 0x7f800000
	v_mov_b32_e32 v8, 0x7c
	v_mov_b32_e32 v9, 0x7f
	v_cmp_lt_u32_e32 vcc, s15, v10
	v_cndmask_b32_e32 v8, v8, v9, vcc
; %bb.217:
	s_or_b64 exec, exec, s[6:7]
	v_lshrrev_b32_e32 v7, 8, v7
	s_movk_i32 s6, 0x80
	v_and_or_b32 v7, v7, s6, v8
	global_store_byte v[0:1], v7, off
.LBB55_218:
	s_mov_b64 s[24:25], 0
	s_mov_b64 s[6:7], -1
.LBB55_219:
	s_andn2_b64 vcc, exec, s[24:25]
	s_cbranch_vccnz .LBB55_227
; %bb.220:
	v_mov_b32_e32 v7, 14
	v_cmp_gt_i16_sdwa s[28:29], v2, v7 src0_sel:BYTE_0 src1_sel:DWORD
	s_mov_b64 s[24:25], -1
	s_and_b64 vcc, exec, s[28:29]
	s_cbranch_vccz .LBB55_224
; %bb.221:
	v_mov_b32_e32 v7, 15
	v_cmp_eq_u16_sdwa s[24:25], v2, v7 src0_sel:BYTE_0 src1_sel:DWORD
	s_mov_b64 s[0:1], -1
	s_and_b64 vcc, exec, s[24:25]
	s_cbranch_vccz .LBB55_223
; %bb.222:
	global_store_short v[0:1], v6, off
	s_mov_b64 s[6:7], -1
	s_mov_b64 s[0:1], 0
.LBB55_223:
	s_mov_b64 s[24:25], 0
.LBB55_224:
	s_and_b64 vcc, exec, s[24:25]
	s_cbranch_vccz .LBB55_227
; %bb.225:
	v_mov_b32_e32 v7, 11
	v_cmp_eq_u16_sdwa s[24:25], v2, v7 src0_sel:BYTE_0 src1_sel:DWORD
	s_mov_b64 s[0:1], -1
	s_and_b64 vcc, exec, s[24:25]
	s_cbranch_vccz .LBB55_227
; %bb.226:
	v_and_b32_e32 v7, 0x7fff, v6
	v_cmp_ne_u16_e32 vcc, 0, v7
	v_cndmask_b32_e64 v7, 0, 1, vcc
	s_mov_b64 s[6:7], -1
	s_mov_b64 s[0:1], 0
	global_store_byte v[0:1], v7, off
.LBB55_227:
	s_mov_b64 s[24:25], 0
.LBB55_228:
	s_and_b64 vcc, exec, s[24:25]
	s_cbranch_vccz .LBB55_267
; %bb.229:
	v_mov_b32_e32 v7, 5
	v_cmp_lt_i16_sdwa s[24:25], v2, v7 src0_sel:BYTE_0 src1_sel:DWORD
	s_mov_b64 s[6:7], -1
	s_and_b64 vcc, exec, s[24:25]
	s_cbranch_vccnz .LBB55_250
; %bb.230:
	v_mov_b32_e32 v7, 8
	v_cmp_lt_i16_sdwa s[24:25], v2, v7 src0_sel:BYTE_0 src1_sel:DWORD
	s_and_b64 vcc, exec, s[24:25]
	s_cbranch_vccnz .LBB55_240
; %bb.231:
	v_mov_b32_e32 v7, 9
	v_cmp_lt_i16_sdwa s[24:25], v2, v7 src0_sel:BYTE_0 src1_sel:DWORD
	s_and_b64 vcc, exec, s[24:25]
	s_cbranch_vccnz .LBB55_237
; %bb.232:
	v_cmp_gt_i16_sdwa s[24:25], v2, v7 src0_sel:BYTE_0 src1_sel:DWORD
	s_and_b64 vcc, exec, s[24:25]
	s_cbranch_vccz .LBB55_234
; %bb.233:
	v_lshlrev_b32_e32 v7, 16, v6
	v_mov_b32_e32 v10, 0
	v_cvt_f64_f32_e32 v[8:9], v7
	v_mov_b32_e32 v11, v10
	global_store_dwordx4 v[0:1], v[8:11], off
	s_mov_b64 s[6:7], 0
.LBB55_234:
	s_andn2_b64 vcc, exec, s[6:7]
	s_cbranch_vccnz .LBB55_236
; %bb.235:
	v_lshlrev_b32_e32 v8, 16, v6
	v_mov_b32_e32 v9, 0
	global_store_dwordx2 v[0:1], v[8:9], off
.LBB55_236:
	s_mov_b64 s[6:7], 0
.LBB55_237:
	s_andn2_b64 vcc, exec, s[6:7]
	s_cbranch_vccnz .LBB55_239
; %bb.238:
	v_lshlrev_b32_e32 v7, 16, v6
	v_cvt_f16_f32_e32 v7, v7
	global_store_dword v[0:1], v7, off
.LBB55_239:
	s_mov_b64 s[6:7], 0
.LBB55_240:
	s_andn2_b64 vcc, exec, s[6:7]
	s_cbranch_vccnz .LBB55_249
; %bb.241:
	v_mov_b32_e32 v7, 6
	v_cmp_lt_i16_sdwa s[24:25], v2, v7 src0_sel:BYTE_0 src1_sel:DWORD
	s_mov_b64 s[6:7], -1
	s_and_b64 vcc, exec, s[24:25]
	s_cbranch_vccnz .LBB55_247
; %bb.242:
	v_cmp_gt_i16_sdwa s[24:25], v2, v7 src0_sel:BYTE_0 src1_sel:DWORD
	s_and_b64 vcc, exec, s[24:25]
	s_cbranch_vccz .LBB55_244
; %bb.243:
	v_lshlrev_b32_e32 v7, 16, v6
	v_cvt_f64_f32_e32 v[8:9], v7
	global_store_dwordx2 v[0:1], v[8:9], off
	s_mov_b64 s[6:7], 0
.LBB55_244:
	s_andn2_b64 vcc, exec, s[6:7]
	s_cbranch_vccnz .LBB55_246
; %bb.245:
	v_lshlrev_b32_e32 v7, 16, v6
	global_store_dword v[0:1], v7, off
.LBB55_246:
	s_mov_b64 s[6:7], 0
.LBB55_247:
	s_andn2_b64 vcc, exec, s[6:7]
	s_cbranch_vccnz .LBB55_249
; %bb.248:
	v_lshlrev_b32_e32 v7, 16, v6
	v_cvt_f16_f32_e32 v7, v7
	global_store_short v[0:1], v7, off
.LBB55_249:
	s_mov_b64 s[6:7], 0
.LBB55_250:
	s_andn2_b64 vcc, exec, s[6:7]
	s_cbranch_vccnz .LBB55_266
; %bb.251:
	v_mov_b32_e32 v7, 2
	v_cmp_lt_i16_sdwa s[24:25], v2, v7 src0_sel:BYTE_0 src1_sel:DWORD
	s_mov_b64 s[6:7], -1
	s_and_b64 vcc, exec, s[24:25]
	s_cbranch_vccnz .LBB55_261
; %bb.252:
	v_mov_b32_e32 v7, 3
	v_cmp_lt_i16_sdwa s[24:25], v2, v7 src0_sel:BYTE_0 src1_sel:DWORD
	s_and_b64 vcc, exec, s[24:25]
	s_cbranch_vccnz .LBB55_258
; %bb.253:
	v_cmp_gt_i16_sdwa s[24:25], v2, v7 src0_sel:BYTE_0 src1_sel:DWORD
	s_and_b64 vcc, exec, s[24:25]
	s_cbranch_vccz .LBB55_255
; %bb.254:
	v_lshlrev_b32_e32 v7, 16, v6
	v_trunc_f32_e32 v7, v7
	s_mov_b32 s6, 0x2f800000
	v_mul_f32_e64 v8, |v7|, s6
	v_floor_f32_e32 v8, v8
	s_mov_b32 s6, 0xcf800000
	v_cvt_u32_f32_e32 v9, v8
	v_fma_f32 v8, v8, s6, |v7|
	v_cvt_u32_f32_e32 v8, v8
	v_ashrrev_i32_e32 v7, 31, v7
	v_xor_b32_e32 v9, v9, v7
	s_mov_b64 s[6:7], 0
	v_xor_b32_e32 v8, v8, v7
	v_sub_co_u32_e32 v8, vcc, v8, v7
	v_subb_co_u32_e32 v9, vcc, v9, v7, vcc
	global_store_dwordx2 v[0:1], v[8:9], off
.LBB55_255:
	s_andn2_b64 vcc, exec, s[6:7]
	s_cbranch_vccnz .LBB55_257
; %bb.256:
	v_lshlrev_b32_e32 v7, 16, v6
	v_cvt_i32_f32_e32 v7, v7
	global_store_dword v[0:1], v7, off
.LBB55_257:
	s_mov_b64 s[6:7], 0
.LBB55_258:
	s_andn2_b64 vcc, exec, s[6:7]
	s_cbranch_vccnz .LBB55_260
; %bb.259:
	v_lshlrev_b32_e32 v7, 16, v6
	v_cvt_i32_f32_e32 v7, v7
	global_store_short v[0:1], v7, off
.LBB55_260:
	s_mov_b64 s[6:7], 0
.LBB55_261:
	s_andn2_b64 vcc, exec, s[6:7]
	s_cbranch_vccnz .LBB55_266
; %bb.262:
	v_mov_b32_e32 v7, 0
	v_cmp_gt_i16_sdwa s[24:25], v2, v7 src0_sel:BYTE_0 src1_sel:DWORD
	s_mov_b64 s[6:7], -1
	s_and_b64 vcc, exec, s[24:25]
	v_lshlrev_b32_e32 v6, 16, v6
	s_cbranch_vccz .LBB55_264
; %bb.263:
	v_cvt_i32_f32_e32 v7, v6
	s_mov_b64 s[6:7], 0
	global_store_byte v[0:1], v7, off
.LBB55_264:
	s_andn2_b64 vcc, exec, s[6:7]
	s_cbranch_vccnz .LBB55_266
; %bb.265:
	v_trunc_f32_e32 v6, v6
	s_mov_b32 s6, 0x2f800000
	v_mul_f32_e64 v7, |v6|, s6
	v_floor_f32_e32 v7, v7
	s_mov_b32 s6, 0xcf800000
	v_fma_f32 v7, v7, s6, |v6|
	v_cvt_u32_f32_e32 v7, v7
	v_ashrrev_i32_e32 v6, 31, v6
	v_xor_b32_e32 v7, v7, v6
	v_sub_u32_e32 v6, v7, v6
	global_store_byte v[0:1], v6, off
.LBB55_266:
	s_mov_b64 s[6:7], -1
.LBB55_267:
	s_andn2_b64 vcc, exec, s[6:7]
	s_cbranch_vccnz .LBB55_269
; %bb.268:
	v_add_u32_e32 v3, 0x80, v3
	s_mov_b64 s[24:25], -1
	s_branch .LBB55_382
.LBB55_269:
	s_mov_b64 s[24:25], 0
                                        ; implicit-def: $vgpr3
	s_branch .LBB55_382
.LBB55_270:
	s_mov_b64 s[18:19], -1
                                        ; implicit-def: $vgpr7
.LBB55_271:
	s_mov_b64 s[6:7], 0
.LBB55_272:
	s_and_b64 vcc, exec, s[6:7]
	s_cbranch_vccz .LBB55_276
; %bb.273:
	s_waitcnt vmcnt(0)
	v_mov_b32_e32 v7, 29
	v_cmp_eq_u16_sdwa s[6:7], v4, v7 src0_sel:BYTE_0 src1_sel:DWORD
	s_and_b64 vcc, exec, s[6:7]
	s_cbranch_vccz .LBB55_275
; %bb.274:
	global_load_dwordx2 v[8:9], v[0:1], off
	s_movk_i32 s6, 0x7fff
	s_mov_b64 s[0:1], -1
	s_mov_b64 s[18:19], 0
	s_waitcnt vmcnt(0)
	v_ffbh_u32_e32 v7, v9
	v_min_u32_e32 v7, 32, v7
	v_lshlrev_b64 v[8:9], v7, v[8:9]
	v_min_u32_e32 v8, 1, v8
	v_or_b32_e32 v8, v9, v8
	v_cvt_f32_u32_e32 v8, v8
	v_sub_u32_e32 v7, 32, v7
	v_ldexp_f32 v7, v8, v7
	v_bfe_u32 v8, v7, 16, 1
	v_add3_u32 v7, v7, v8, s6
	v_lshrrev_b32_e32 v7, 16, v7
	s_branch .LBB55_276
.LBB55_275:
	s_mov_b64 s[18:19], -1
                                        ; implicit-def: $vgpr7
.LBB55_276:
	s_mov_b64 s[6:7], 0
.LBB55_277:
	s_and_b64 vcc, exec, s[6:7]
	s_cbranch_vccz .LBB55_295
; %bb.278:
	s_waitcnt vmcnt(0)
	v_mov_b32_e32 v7, 27
	v_cmp_lt_i16_sdwa s[0:1], v4, v7 src0_sel:BYTE_0 src1_sel:DWORD
	s_and_b64 vcc, exec, s[0:1]
	s_cbranch_vccnz .LBB55_281
; %bb.279:
	v_cmp_gt_i16_sdwa s[0:1], v4, v7 src0_sel:BYTE_0 src1_sel:DWORD
	s_and_b64 vcc, exec, s[0:1]
	s_cbranch_vccz .LBB55_282
; %bb.280:
	global_load_dword v7, v[0:1], off
	s_movk_i32 s0, 0x7fff
	s_waitcnt vmcnt(0)
	v_cvt_f32_u32_e32 v7, v7
	v_bfe_u32 v8, v7, 16, 1
	v_add3_u32 v7, v7, v8, s0
	v_lshrrev_b32_e32 v7, 16, v7
	s_mov_b64 s[0:1], 0
	s_branch .LBB55_283
.LBB55_281:
	s_mov_b64 s[0:1], -1
                                        ; implicit-def: $vgpr7
	s_branch .LBB55_286
.LBB55_282:
	s_mov_b64 s[0:1], -1
                                        ; implicit-def: $vgpr7
.LBB55_283:
	s_andn2_b64 vcc, exec, s[0:1]
	s_cbranch_vccnz .LBB55_285
; %bb.284:
	global_load_ushort v7, v[0:1], off
	s_movk_i32 s0, 0x7fff
	s_waitcnt vmcnt(0)
	v_cvt_f32_u32_e32 v7, v7
	v_bfe_u32 v8, v7, 16, 1
	v_add3_u32 v7, v7, v8, s0
	v_lshrrev_b32_e32 v7, 16, v7
.LBB55_285:
	s_mov_b64 s[0:1], 0
.LBB55_286:
	s_andn2_b64 vcc, exec, s[0:1]
	s_cbranch_vccnz .LBB55_294
; %bb.287:
	global_load_ubyte v7, v[0:1], off
	s_movk_i32 s0, 0x7f
                                        ; implicit-def: $sgpr15
	s_waitcnt vmcnt(0)
	v_cmp_lt_i16_e32 vcc, s0, v7
	s_mov_b64 s[0:1], 0
	s_and_saveexec_b64 s[6:7], vcc
	s_xor_b64 s[6:7], exec, s[6:7]
	s_cbranch_execz .LBB55_308
; %bb.288:
	s_movk_i32 s0, 0x80
	v_cmp_eq_u16_e32 vcc, s0, v7
	s_mov_b64 s[0:1], -1
                                        ; implicit-def: $sgpr15
	s_and_saveexec_b64 s[24:25], vcc
; %bb.289:
	s_mov_b32 s15, 0x7f800001
	s_xor_b64 s[0:1], exec, -1
; %bb.290:
	s_or_b64 exec, exec, s[24:25]
	s_and_b64 s[0:1], s[0:1], exec
	s_or_saveexec_b64 s[6:7], s[6:7]
	v_mov_b32_e32 v8, s15
	s_xor_b64 exec, exec, s[6:7]
	s_cbranch_execnz .LBB55_309
.LBB55_291:
	s_or_b64 exec, exec, s[6:7]
	s_and_saveexec_b64 s[6:7], s[0:1]
	s_cbranch_execz .LBB55_293
.LBB55_292:
	v_lshlrev_b32_e32 v8, 24, v7
	v_and_b32_e32 v7, 0xffff, v7
	v_and_b32_e32 v9, 7, v7
	v_ffbh_u32_e32 v11, v9
	v_min_u32_e32 v11, 32, v11
	v_subrev_u32_e32 v12, 28, v11
	v_bfe_u32 v10, v7, 3, 4
	v_lshlrev_b32_e32 v7, v12, v7
	v_sub_u32_e32 v11, 29, v11
	v_and_b32_e32 v7, 7, v7
	v_cmp_eq_u32_e32 vcc, 0, v10
	v_cndmask_b32_e32 v10, v10, v11, vcc
	v_cndmask_b32_e32 v7, v9, v7, vcc
	v_mov_b32_e32 v9, 0x3b800000
	v_lshlrev_b32_e32 v7, 20, v7
	v_and_b32_e32 v8, 0x80000000, v8
	v_lshl_add_u32 v9, v10, 23, v9
	v_or3_b32 v8, v8, v9, v7
.LBB55_293:
	s_or_b64 exec, exec, s[6:7]
	v_bfe_u32 v7, v8, 16, 1
	s_movk_i32 s0, 0x7fff
	v_add3_u32 v7, v8, v7, s0
	v_lshrrev_b32_e32 v7, 16, v7
	v_mov_b32_e32 v9, 0x7fc0
	v_cmp_o_f32_e32 vcc, v8, v8
	v_cndmask_b32_e32 v7, v9, v7, vcc
.LBB55_294:
	s_mov_b64 s[0:1], -1
.LBB55_295:
	s_mov_b64 s[6:7], 0
.LBB55_296:
	s_and_b64 vcc, exec, s[6:7]
	s_cbranch_vccz .LBB55_331
; %bb.297:
	s_waitcnt vmcnt(0)
	v_mov_b32_e32 v7, 22
	v_cmp_gt_i16_sdwa s[6:7], v4, v7 src0_sel:BYTE_0 src1_sel:DWORD
	s_and_b64 vcc, exec, s[6:7]
	s_cbranch_vccz .LBB55_307
; %bb.298:
	v_mov_b32_e32 v7, 24
	v_cmp_lt_i16_sdwa s[0:1], v4, v7 src0_sel:BYTE_0 src1_sel:DWORD
	s_and_b64 vcc, exec, s[0:1]
	s_cbranch_vccnz .LBB55_310
; %bb.299:
	v_cmp_gt_i16_sdwa s[0:1], v4, v7 src0_sel:BYTE_0 src1_sel:DWORD
	s_and_b64 vcc, exec, s[0:1]
	s_cbranch_vccz .LBB55_311
; %bb.300:
	global_load_ubyte v7, v[0:1], off
	s_movk_i32 s0, 0x7f
                                        ; implicit-def: $sgpr15
	s_waitcnt vmcnt(0)
	v_cmp_lt_i16_e32 vcc, s0, v7
	s_mov_b64 s[0:1], 0
	s_and_saveexec_b64 s[6:7], vcc
	s_xor_b64 s[6:7], exec, s[6:7]
	s_cbranch_execz .LBB55_323
; %bb.301:
	s_movk_i32 s0, 0x80
	v_cmp_eq_u16_e32 vcc, s0, v7
	s_mov_b64 s[0:1], -1
                                        ; implicit-def: $sgpr15
	s_and_saveexec_b64 s[24:25], vcc
; %bb.302:
	s_mov_b32 s15, 0x7f800001
	s_xor_b64 s[0:1], exec, -1
; %bb.303:
	s_or_b64 exec, exec, s[24:25]
	s_and_b64 s[0:1], s[0:1], exec
	s_or_saveexec_b64 s[6:7], s[6:7]
	v_mov_b32_e32 v8, s15
	s_xor_b64 exec, exec, s[6:7]
	s_cbranch_execnz .LBB55_324
.LBB55_304:
	s_or_b64 exec, exec, s[6:7]
	s_and_saveexec_b64 s[6:7], s[0:1]
	s_cbranch_execz .LBB55_306
.LBB55_305:
	v_lshlrev_b32_e32 v8, 24, v7
	v_and_b32_e32 v7, 0xffff, v7
	v_and_b32_e32 v9, 3, v7
	v_ffbh_u32_e32 v11, v9
	v_min_u32_e32 v11, 32, v11
	v_subrev_u32_e32 v12, 29, v11
	v_bfe_u32 v10, v7, 2, 5
	v_lshlrev_b32_e32 v7, v12, v7
	v_sub_u32_e32 v11, 30, v11
	v_and_b32_e32 v7, 3, v7
	v_cmp_eq_u32_e32 vcc, 0, v10
	v_cndmask_b32_e32 v10, v10, v11, vcc
	v_cndmask_b32_e32 v7, v9, v7, vcc
	v_mov_b32_e32 v9, 0x37800000
	v_lshlrev_b32_e32 v7, 21, v7
	v_and_b32_e32 v8, 0x80000000, v8
	v_lshl_add_u32 v9, v10, 23, v9
	v_or3_b32 v8, v8, v9, v7
.LBB55_306:
	s_or_b64 exec, exec, s[6:7]
	v_bfe_u32 v7, v8, 16, 1
	s_movk_i32 s0, 0x7fff
	v_add3_u32 v7, v8, v7, s0
	v_lshrrev_b32_e32 v7, 16, v7
	v_mov_b32_e32 v9, 0x7fc0
	v_cmp_o_f32_e32 vcc, v8, v8
	v_cndmask_b32_e32 v7, v9, v7, vcc
	s_mov_b64 s[0:1], 0
	s_branch .LBB55_312
.LBB55_307:
	s_mov_b64 s[6:7], -1
                                        ; implicit-def: $vgpr7
	s_branch .LBB55_318
.LBB55_308:
	s_or_saveexec_b64 s[6:7], s[6:7]
	v_mov_b32_e32 v8, s15
	s_xor_b64 exec, exec, s[6:7]
	s_cbranch_execz .LBB55_291
.LBB55_309:
	v_cmp_ne_u16_e32 vcc, 0, v7
	s_andn2_b64 s[0:1], s[0:1], exec
	s_and_b64 s[24:25], vcc, exec
	v_mov_b32_e32 v8, 0
	s_or_b64 s[0:1], s[0:1], s[24:25]
	s_or_b64 exec, exec, s[6:7]
	s_and_saveexec_b64 s[6:7], s[0:1]
	s_cbranch_execnz .LBB55_292
	s_branch .LBB55_293
.LBB55_310:
	s_mov_b64 s[0:1], -1
                                        ; implicit-def: $vgpr7
	s_branch .LBB55_315
.LBB55_311:
	s_mov_b64 s[0:1], -1
                                        ; implicit-def: $vgpr7
.LBB55_312:
	s_and_b64 vcc, exec, s[0:1]
	s_cbranch_vccz .LBB55_314
; %bb.313:
	global_load_ubyte v7, v[0:1], off
	s_mov_b32 s0, 0x7f800000
	s_brev_b32 s1, 1
	s_movk_i32 s6, 0x7fff
	v_mov_b32_e32 v8, 0x7fc0
	s_waitcnt vmcnt(0)
	v_lshlrev_b32_e32 v7, 24, v7
	v_and_b32_e32 v9, 0x7f000000, v7
	v_ffbh_u32_e32 v10, v9
	v_min_u32_e32 v10, 32, v10
	v_sub_u32_e64 v10, v10, 4 clamp
	v_lshlrev_b32_e32 v12, v10, v9
	v_lshlrev_b32_e32 v10, 23, v10
	v_lshrrev_b32_e32 v12, 4, v12
	v_add_u32_e32 v11, 0x1000000, v9
	v_sub_u32_e32 v10, v12, v10
	v_ashrrev_i32_e32 v11, 8, v11
	v_add_u32_e32 v10, 0x3c000000, v10
	v_and_or_b32 v10, v11, s0, v10
	v_cmp_ne_u32_e32 vcc, 0, v9
	v_cndmask_b32_e32 v9, 0, v10, vcc
	v_and_or_b32 v7, v7, s1, v9
	v_bfe_u32 v9, v9, 16, 1
	v_add3_u32 v9, v7, v9, s6
	v_lshrrev_b32_e32 v9, 16, v9
	v_cmp_o_f32_e32 vcc, v7, v7
	v_cndmask_b32_e32 v7, v8, v9, vcc
.LBB55_314:
	s_mov_b64 s[0:1], 0
.LBB55_315:
	s_andn2_b64 vcc, exec, s[0:1]
	s_cbranch_vccnz .LBB55_317
; %bb.316:
	global_load_ubyte v7, v[0:1], off
	s_movk_i32 s0, 0x7f00
	s_brev_b32 s1, 16
	s_brev_b32 s6, 1
	s_movk_i32 s7, 0x7fff
	v_mov_b32_e32 v8, 0x7fc0
	s_waitcnt vmcnt(0)
	v_lshlrev_b16_e32 v9, 8, v7
	v_lshlrev_b32_e32 v7, 25, v7
	v_lshrrev_b32_e32 v10, 4, v7
	v_and_or_b32 v11, v9, s0, 0.5
	v_or_b32_e32 v10, 0x70000000, v10
	v_add_f32_e32 v11, -0.5, v11
	v_mul_f32_e32 v10, 0x7800000, v10
	v_cmp_gt_u32_e32 vcc, s1, v7
	v_bfe_i32 v9, v9, 0, 16
	v_cndmask_b32_e32 v7, v10, v11, vcc
	v_and_or_b32 v9, v9, s6, v7
	v_bfe_u32 v7, v7, 16, 1
	v_add3_u32 v7, v9, v7, s7
	v_lshrrev_b32_e32 v7, 16, v7
	v_cmp_o_f32_e32 vcc, v9, v9
	v_cndmask_b32_e32 v7, v8, v7, vcc
.LBB55_317:
	s_mov_b64 s[6:7], 0
	s_mov_b64 s[0:1], -1
.LBB55_318:
	s_andn2_b64 vcc, exec, s[6:7]
	s_cbranch_vccnz .LBB55_331
; %bb.319:
	v_mov_b32_e32 v7, 14
	v_cmp_gt_i16_sdwa s[6:7], v4, v7 src0_sel:BYTE_0 src1_sel:DWORD
	s_and_b64 vcc, exec, s[6:7]
	s_cbranch_vccz .LBB55_322
; %bb.320:
	v_mov_b32_e32 v7, 15
	v_cmp_eq_u16_sdwa s[6:7], v4, v7 src0_sel:BYTE_0 src1_sel:DWORD
	s_and_b64 vcc, exec, s[6:7]
	s_cbranch_vccz .LBB55_325
; %bb.321:
	global_load_ushort v7, v[0:1], off
	s_mov_b64 s[0:1], -1
	s_mov_b64 s[18:19], 0
	s_branch .LBB55_326
.LBB55_322:
	s_mov_b64 s[6:7], -1
                                        ; implicit-def: $vgpr7
	s_branch .LBB55_327
.LBB55_323:
	s_or_saveexec_b64 s[6:7], s[6:7]
	v_mov_b32_e32 v8, s15
	s_xor_b64 exec, exec, s[6:7]
	s_cbranch_execz .LBB55_304
.LBB55_324:
	v_cmp_ne_u16_e32 vcc, 0, v7
	s_andn2_b64 s[0:1], s[0:1], exec
	s_and_b64 s[24:25], vcc, exec
	v_mov_b32_e32 v8, 0
	s_or_b64 s[0:1], s[0:1], s[24:25]
	s_or_b64 exec, exec, s[6:7]
	s_and_saveexec_b64 s[6:7], s[0:1]
	s_cbranch_execnz .LBB55_305
	s_branch .LBB55_306
.LBB55_325:
	s_mov_b64 s[18:19], -1
                                        ; implicit-def: $vgpr7
.LBB55_326:
	s_mov_b64 s[6:7], 0
.LBB55_327:
	s_and_b64 vcc, exec, s[6:7]
	s_cbranch_vccz .LBB55_331
; %bb.328:
	s_waitcnt vmcnt(0)
	v_mov_b32_e32 v7, 11
	v_cmp_eq_u16_sdwa s[6:7], v4, v7 src0_sel:BYTE_0 src1_sel:DWORD
	s_and_b64 vcc, exec, s[6:7]
	s_cbranch_vccz .LBB55_330
; %bb.329:
	global_load_ubyte v7, v[0:1], off
	s_mov_b64 s[0:1], -1
	s_mov_b64 s[18:19], 0
	s_waitcnt vmcnt(0)
	v_cmp_ne_u16_e32 vcc, 0, v7
	v_cndmask_b32_e64 v7, 0, 1.0, vcc
	v_lshrrev_b32_e32 v7, 16, v7
	s_branch .LBB55_331
.LBB55_330:
	s_mov_b64 s[18:19], -1
                                        ; implicit-def: $vgpr7
.LBB55_331:
	s_branch .LBB55_20
.LBB55_332:
	s_waitcnt vmcnt(0)
	v_mov_b32_e32 v7, 5
	v_cmp_lt_i16_sdwa s[0:1], v4, v7 src0_sel:BYTE_0 src1_sel:DWORD
	s_and_b64 vcc, exec, s[0:1]
	s_cbranch_vccnz .LBB55_337
; %bb.333:
	v_mov_b32_e32 v7, 8
	v_cmp_lt_i16_sdwa s[0:1], v4, v7 src0_sel:BYTE_0 src1_sel:DWORD
	s_and_b64 vcc, exec, s[0:1]
	s_cbranch_vccnz .LBB55_338
; %bb.334:
	v_mov_b32_e32 v7, 9
	v_cmp_lt_i16_sdwa s[0:1], v4, v7 src0_sel:BYTE_0 src1_sel:DWORD
	s_and_b64 vcc, exec, s[0:1]
	s_cbranch_vccnz .LBB55_339
; %bb.335:
	v_cmp_gt_i16_sdwa s[0:1], v4, v7 src0_sel:BYTE_0 src1_sel:DWORD
	s_and_b64 vcc, exec, s[0:1]
	s_cbranch_vccz .LBB55_340
; %bb.336:
	global_load_dwordx2 v[8:9], v[0:1], off
	s_movk_i32 s0, 0x7fff
	v_mov_b32_e32 v7, 0x7fc0
	s_waitcnt vmcnt(0)
	v_cvt_f32_f64_e32 v8, v[8:9]
	v_bfe_u32 v9, v8, 16, 1
	v_add3_u32 v9, v8, v9, s0
	v_lshrrev_b32_e32 v9, 16, v9
	v_cmp_o_f32_e32 vcc, v8, v8
	v_cndmask_b32_e32 v7, v7, v9, vcc
	s_mov_b64 s[0:1], 0
	s_branch .LBB55_341
.LBB55_337:
	s_mov_b64 s[0:1], -1
                                        ; implicit-def: $vgpr7
	s_branch .LBB55_359
.LBB55_338:
	s_mov_b64 s[0:1], -1
                                        ; implicit-def: $vgpr7
	s_branch .LBB55_347
.LBB55_339:
	s_mov_b64 s[0:1], -1
                                        ; implicit-def: $vgpr7
	s_branch .LBB55_344
.LBB55_340:
	s_mov_b64 s[0:1], -1
                                        ; implicit-def: $vgpr7
.LBB55_341:
	s_andn2_b64 vcc, exec, s[0:1]
	s_cbranch_vccnz .LBB55_343
; %bb.342:
	global_load_dword v7, v[0:1], off
	s_movk_i32 s0, 0x7fff
	v_mov_b32_e32 v8, 0x7fc0
	s_waitcnt vmcnt(0)
	v_bfe_u32 v9, v7, 16, 1
	v_add3_u32 v9, v7, v9, s0
	v_lshrrev_b32_e32 v9, 16, v9
	v_cmp_o_f32_e32 vcc, v7, v7
	v_cndmask_b32_e32 v7, v8, v9, vcc
.LBB55_343:
	s_mov_b64 s[0:1], 0
.LBB55_344:
	s_andn2_b64 vcc, exec, s[0:1]
	s_cbranch_vccnz .LBB55_346
; %bb.345:
	global_load_dword v7, v[0:1], off
	s_movk_i32 s0, 0x7fff
	v_mov_b32_e32 v9, 0x7fc0
	s_waitcnt vmcnt(0)
	v_cvt_f32_f16_e32 v8, v7
	v_cmp_o_f16_e32 vcc, v7, v7
	v_bfe_u32 v10, v8, 16, 1
	v_add3_u32 v8, v8, v10, s0
	v_lshrrev_b32_e32 v8, 16, v8
	v_cndmask_b32_e32 v7, v9, v8, vcc
.LBB55_346:
	s_mov_b64 s[0:1], 0
.LBB55_347:
	s_andn2_b64 vcc, exec, s[0:1]
	s_cbranch_vccnz .LBB55_358
; %bb.348:
	v_mov_b32_e32 v7, 6
	v_cmp_lt_i16_sdwa s[0:1], v4, v7 src0_sel:BYTE_0 src1_sel:DWORD
	s_and_b64 vcc, exec, s[0:1]
	s_cbranch_vccnz .LBB55_351
; %bb.349:
	v_cmp_gt_i16_sdwa s[0:1], v4, v7 src0_sel:BYTE_0 src1_sel:DWORD
	s_and_b64 vcc, exec, s[0:1]
	s_cbranch_vccz .LBB55_352
; %bb.350:
	global_load_dwordx2 v[8:9], v[0:1], off
	s_movk_i32 s0, 0x7fff
	v_mov_b32_e32 v7, 0x7fc0
	s_waitcnt vmcnt(0)
	v_cvt_f32_f64_e32 v8, v[8:9]
	v_bfe_u32 v9, v8, 16, 1
	v_add3_u32 v9, v8, v9, s0
	v_lshrrev_b32_e32 v9, 16, v9
	v_cmp_o_f32_e32 vcc, v8, v8
	v_cndmask_b32_e32 v7, v7, v9, vcc
	s_mov_b64 s[0:1], 0
	s_branch .LBB55_353
.LBB55_351:
	s_mov_b64 s[0:1], -1
                                        ; implicit-def: $vgpr7
	s_branch .LBB55_356
.LBB55_352:
	s_mov_b64 s[0:1], -1
                                        ; implicit-def: $vgpr7
.LBB55_353:
	s_andn2_b64 vcc, exec, s[0:1]
	s_cbranch_vccnz .LBB55_355
; %bb.354:
	global_load_dword v7, v[0:1], off
	s_movk_i32 s0, 0x7fff
	v_mov_b32_e32 v8, 0x7fc0
	s_waitcnt vmcnt(0)
	v_bfe_u32 v9, v7, 16, 1
	v_add3_u32 v9, v7, v9, s0
	v_lshrrev_b32_e32 v9, 16, v9
	v_cmp_o_f32_e32 vcc, v7, v7
	v_cndmask_b32_e32 v7, v8, v9, vcc
.LBB55_355:
	s_mov_b64 s[0:1], 0
.LBB55_356:
	s_andn2_b64 vcc, exec, s[0:1]
	s_cbranch_vccnz .LBB55_358
; %bb.357:
	global_load_ushort v7, v[0:1], off
	s_movk_i32 s0, 0x7fff
	v_mov_b32_e32 v9, 0x7fc0
	s_waitcnt vmcnt(0)
	v_cvt_f32_f16_e32 v8, v7
	v_cmp_o_f16_e32 vcc, v7, v7
	v_bfe_u32 v10, v8, 16, 1
	v_add3_u32 v8, v8, v10, s0
	v_lshrrev_b32_e32 v8, 16, v8
	v_cndmask_b32_e32 v7, v9, v8, vcc
.LBB55_358:
	s_mov_b64 s[0:1], 0
.LBB55_359:
	s_andn2_b64 vcc, exec, s[0:1]
	s_cbranch_vccnz .LBB55_379
; %bb.360:
	v_mov_b32_e32 v7, 2
	v_cmp_lt_i16_sdwa s[0:1], v4, v7 src0_sel:BYTE_0 src1_sel:DWORD
	s_and_b64 vcc, exec, s[0:1]
	s_cbranch_vccnz .LBB55_364
; %bb.361:
	v_mov_b32_e32 v7, 3
	v_cmp_lt_i16_sdwa s[0:1], v4, v7 src0_sel:BYTE_0 src1_sel:DWORD
	s_and_b64 vcc, exec, s[0:1]
	s_cbranch_vccnz .LBB55_365
; %bb.362:
	v_cmp_gt_i16_sdwa s[0:1], v4, v7 src0_sel:BYTE_0 src1_sel:DWORD
	s_and_b64 vcc, exec, s[0:1]
	s_cbranch_vccz .LBB55_366
; %bb.363:
	global_load_dwordx2 v[8:9], v[0:1], off
	s_movk_i32 s0, 0x7fff
	s_waitcnt vmcnt(0)
	v_xor_b32_e32 v10, v8, v9
	v_ffbh_i32_e32 v7, v9
	v_ashrrev_i32_e32 v10, 31, v10
	v_add_u32_e32 v7, -1, v7
	v_add_u32_e32 v10, 32, v10
	v_min_u32_e32 v7, v7, v10
	v_lshlrev_b64 v[8:9], v7, v[8:9]
	v_min_u32_e32 v8, 1, v8
	v_or_b32_e32 v8, v9, v8
	v_cvt_f32_i32_e32 v8, v8
	v_sub_u32_e32 v7, 32, v7
	v_ldexp_f32 v7, v8, v7
	v_bfe_u32 v8, v7, 16, 1
	v_add3_u32 v7, v7, v8, s0
	v_lshrrev_b32_e32 v7, 16, v7
	s_mov_b64 s[0:1], 0
	s_branch .LBB55_367
.LBB55_364:
	s_mov_b64 s[0:1], -1
                                        ; implicit-def: $vgpr7
	s_branch .LBB55_373
.LBB55_365:
	s_mov_b64 s[0:1], -1
                                        ; implicit-def: $vgpr7
	s_branch .LBB55_370
.LBB55_366:
	s_mov_b64 s[0:1], -1
                                        ; implicit-def: $vgpr7
.LBB55_367:
	s_andn2_b64 vcc, exec, s[0:1]
	s_cbranch_vccnz .LBB55_369
; %bb.368:
	global_load_dword v7, v[0:1], off
	s_movk_i32 s0, 0x7fff
	s_waitcnt vmcnt(0)
	v_cvt_f32_i32_e32 v7, v7
	v_bfe_u32 v8, v7, 16, 1
	v_add3_u32 v7, v7, v8, s0
	v_lshrrev_b32_e32 v7, 16, v7
.LBB55_369:
	s_mov_b64 s[0:1], 0
.LBB55_370:
	s_andn2_b64 vcc, exec, s[0:1]
	s_cbranch_vccnz .LBB55_372
; %bb.371:
	global_load_sshort v7, v[0:1], off
	s_movk_i32 s0, 0x7fff
	s_waitcnt vmcnt(0)
	v_cvt_f32_i32_e32 v7, v7
	v_bfe_u32 v8, v7, 16, 1
	v_add3_u32 v7, v7, v8, s0
	v_lshrrev_b32_e32 v7, 16, v7
.LBB55_372:
	s_mov_b64 s[0:1], 0
.LBB55_373:
	s_andn2_b64 vcc, exec, s[0:1]
	s_cbranch_vccnz .LBB55_379
; %bb.374:
	v_mov_b32_e32 v7, 0
	v_cmp_gt_i16_sdwa s[0:1], v4, v7 src0_sel:BYTE_0 src1_sel:DWORD
	s_and_b64 vcc, exec, s[0:1]
	s_cbranch_vccz .LBB55_376
; %bb.375:
	global_load_sbyte v7, v[0:1], off
	s_movk_i32 s0, 0x7fff
	s_waitcnt vmcnt(0)
	v_cvt_f32_i32_e32 v7, v7
	v_bfe_u32 v8, v7, 16, 1
	v_add3_u32 v7, v7, v8, s0
	v_lshrrev_b32_e32 v7, 16, v7
	s_mov_b64 s[0:1], 0
	s_branch .LBB55_377
.LBB55_376:
	s_mov_b64 s[0:1], -1
                                        ; implicit-def: $vgpr7
.LBB55_377:
	s_andn2_b64 vcc, exec, s[0:1]
	s_cbranch_vccnz .LBB55_379
; %bb.378:
	global_load_ubyte v0, v[0:1], off
	s_movk_i32 s0, 0x7fff
	s_waitcnt vmcnt(0)
	v_cvt_f32_ubyte0_e32 v0, v0
	v_bfe_u32 v1, v0, 16, 1
	v_add3_u32 v0, v0, v1, s0
	v_lshrrev_b32_e32 v7, 16, v0
.LBB55_379:
	s_branch .LBB55_21
.LBB55_380:
	s_mov_b64 s[0:1], 0
.LBB55_381:
                                        ; implicit-def: $vgpr3
	s_mov_b64 s[24:25], 0
.LBB55_382:
	s_and_b64 s[6:7], s[0:1], exec
	s_and_b64 s[18:19], s[18:19], exec
	;; [unrolled: 1-line block ×3, first 2 shown]
	s_orn2_b64 s[0:1], s[24:25], exec
.LBB55_383:
	s_or_b64 exec, exec, s[22:23]
	s_mov_b64 s[30:31], 0
	s_mov_b64 s[28:29], 0
                                        ; implicit-def: $vgpr7
                                        ; implicit-def: $vgpr0_vgpr1
                                        ; implicit-def: $vgpr6
	s_and_saveexec_b64 s[22:23], s[0:1]
	s_cbranch_execz .LBB55_392
; %bb.384:
	v_cmp_gt_i32_e32 vcc, s33, v3
	s_mov_b64 s[0:1], -1
	s_mov_b64 s[24:25], s[20:21]
	s_mov_b64 s[26:27], s[18:19]
	;; [unrolled: 1-line block ×3, first 2 shown]
	s_and_saveexec_b64 s[30:31], vcc
	s_cbranch_execz .LBB55_773
; %bb.385:
	v_mul_lo_u32 v0, v3, s13
	v_ashrrev_i32_e32 v1, 31, v0
	s_waitcnt vmcnt(0)
	v_mov_b32_e32 v6, s11
	v_add_co_u32_e32 v0, vcc, s10, v0
	v_addc_co_u32_e32 v1, vcc, v6, v1, vcc
	v_mov_b32_e32 v6, 11
	v_cmp_lt_i16_sdwa s[0:1], v5, v6 src0_sel:BYTE_0 src1_sel:DWORD
	s_and_b64 vcc, exec, s[0:1]
	s_cbranch_vccnz .LBB55_395
; %bb.386:
	v_mov_b32_e32 v6, 25
	v_cmp_gt_i16_sdwa s[0:1], v5, v6 src0_sel:BYTE_0 src1_sel:DWORD
	s_and_b64 vcc, exec, s[0:1]
	s_cbranch_vccz .LBB55_404
; %bb.387:
	v_mov_b32_e32 v6, 28
	v_cmp_gt_i16_sdwa s[0:1], v5, v6 src0_sel:BYTE_0 src1_sel:DWORD
	s_and_b64 vcc, exec, s[0:1]
	s_cbranch_vccz .LBB55_406
	;; [unrolled: 5-line block ×4, first 2 shown]
; %bb.390:
	v_mov_b32_e32 v6, 46
	v_cmp_eq_u16_sdwa s[0:1], v5, v6 src0_sel:BYTE_0 src1_sel:DWORD
	s_mov_b64 s[26:27], 0
	s_and_b64 vcc, exec, s[0:1]
	s_cbranch_vccz .LBB55_414
; %bb.391:
	global_load_dword v6, v[0:1], off
	s_mov_b64 s[0:1], -1
	s_mov_b64 s[24:25], 0
	s_branch .LBB55_415
.LBB55_392:
	s_or_b64 exec, exec, s[22:23]
	s_mov_b64 s[22:23], 0
	s_and_saveexec_b64 s[0:1], s[20:21]
	s_cbranch_execnz .LBB55_1248
.LBB55_393:
	s_or_b64 exec, exec, s[0:1]
	s_and_saveexec_b64 s[0:1], s[26:27]
	s_xor_b64 s[0:1], exec, s[0:1]
	s_cbranch_execz .LBB55_1249
.LBB55_394:
	global_load_ubyte v5, v[0:1], off
	s_or_b64 s[28:29], s[28:29], exec
	s_waitcnt vmcnt(0)
	v_cmp_ne_u16_e32 vcc, 0, v5
	v_cndmask_b32_e64 v5, 0, 1.0, vcc
	v_lshrrev_b32_e32 v6, 16, v5
	s_or_b64 exec, exec, s[0:1]
	s_and_saveexec_b64 s[0:1], s[30:31]
	s_cbranch_execz .LBB55_1295
	s_branch .LBB55_1250
.LBB55_395:
	s_mov_b64 s[0:1], 0
                                        ; implicit-def: $vgpr6
	s_mov_b64 s[24:25], s[20:21]
	s_cbranch_execnz .LBB55_481
.LBB55_396:
	s_andn2_b64 vcc, exec, s[0:1]
	s_cbranch_vccnz .LBB55_529
.LBB55_397:
	v_mul_lo_u32 v0, v3, s14
	v_ashrrev_i32_e32 v1, 31, v0
	v_mov_b32_e32 v7, s3
	v_add_co_u32_e32 v0, vcc, s2, v0
	v_addc_co_u32_e32 v1, vcc, v7, v1, vcc
	v_mov_b32_e32 v7, 11
	v_cmp_lt_i16_sdwa s[0:1], v4, v7 src0_sel:BYTE_0 src1_sel:DWORD
	s_and_b64 vcc, exec, s[0:1]
	s_cbranch_vccnz .LBB55_405
; %bb.398:
	v_mov_b32_e32 v7, 25
	v_cmp_gt_i16_sdwa s[0:1], v4, v7 src0_sel:BYTE_0 src1_sel:DWORD
	s_and_b64 vcc, exec, s[0:1]
	s_cbranch_vccz .LBB55_407
; %bb.399:
	v_mov_b32_e32 v7, 28
	v_cmp_gt_i16_sdwa s[0:1], v4, v7 src0_sel:BYTE_0 src1_sel:DWORD
	s_and_b64 vcc, exec, s[0:1]
	s_cbranch_vccz .LBB55_409
	;; [unrolled: 5-line block ×4, first 2 shown]
; %bb.402:
	v_mov_b32_e32 v7, 46
	v_cmp_eq_u16_sdwa s[0:1], v4, v7 src0_sel:BYTE_0 src1_sel:DWORD
	s_mov_b64 s[28:29], 0
	s_and_b64 vcc, exec, s[0:1]
	s_cbranch_vccz .LBB55_533
; %bb.403:
	global_load_dword v7, v[0:1], off
	s_mov_b64 s[0:1], -1
	s_mov_b64 s[26:27], 0
	s_branch .LBB55_534
.LBB55_404:
	s_mov_b64 s[26:27], -1
	s_mov_b64 s[0:1], 0
	s_mov_b64 s[24:25], s[20:21]
                                        ; implicit-def: $vgpr6
	s_branch .LBB55_445
.LBB55_405:
	s_mov_b64 s[28:29], -1
	s_mov_b64 s[0:1], 0
                                        ; implicit-def: $vgpr7
	s_mov_b64 s[26:27], s[18:19]
	s_branch .LBB55_599
.LBB55_406:
	s_mov_b64 s[26:27], -1
	s_mov_b64 s[0:1], 0
	s_mov_b64 s[24:25], s[20:21]
                                        ; implicit-def: $vgpr6
	s_branch .LBB55_426
.LBB55_407:
	s_mov_b64 s[28:29], -1
	s_mov_b64 s[0:1], 0
	s_mov_b64 s[26:27], s[18:19]
                                        ; implicit-def: $vgpr7
	s_branch .LBB55_563
.LBB55_408:
	s_mov_b64 s[26:27], -1
	s_mov_b64 s[0:1], 0
	s_mov_b64 s[24:25], s[20:21]
                                        ; implicit-def: $vgpr6
	s_branch .LBB55_421
.LBB55_409:
	s_mov_b64 s[28:29], -1
	s_mov_b64 s[0:1], 0
	s_mov_b64 s[26:27], s[18:19]
                                        ; implicit-def: $vgpr7
	s_branch .LBB55_544
.LBB55_410:
	s_mov_b64 s[26:27], -1
	s_mov_b64 s[0:1], 0
	s_mov_b64 s[24:25], s[20:21]
                                        ; implicit-def: $vgpr6
	s_branch .LBB55_415
.LBB55_411:
	s_mov_b64 s[28:29], -1
	s_mov_b64 s[0:1], 0
	s_mov_b64 s[26:27], s[18:19]
                                        ; implicit-def: $vgpr7
	s_branch .LBB55_539
.LBB55_412:
	s_or_saveexec_b64 s[28:29], s[28:29]
                                        ; implicit-def: $sgpr15
	s_xor_b64 exec, exec, s[28:29]
	s_cbranch_execz .LBB55_180
.LBB55_413:
	s_mov_b32 s15, 0x46000000
	v_add_f32_e64 v8, |v9|, s15
	v_and_b32_e32 v8, 0xff, v8
	v_cmp_ne_u32_e32 vcc, 0, v8
	s_andn2_b64 s[24:25], s[24:25], exec
	s_and_b64 s[30:31], vcc, exec
	s_mov_b32 s15, 0
	s_or_b64 s[24:25], s[24:25], s[30:31]
	s_or_b64 exec, exec, s[28:29]
	v_mov_b32_e32 v10, s15
	s_and_saveexec_b64 s[28:29], s[24:25]
	s_cbranch_execnz .LBB55_181
	s_branch .LBB55_182
.LBB55_414:
	s_mov_b64 s[24:25], -1
                                        ; implicit-def: $vgpr6
	s_mov_b64 s[0:1], 0
.LBB55_415:
	s_and_b64 vcc, exec, s[26:27]
	s_cbranch_vccz .LBB55_420
; %bb.416:
	s_waitcnt vmcnt(0)
	v_mov_b32_e32 v6, 44
	v_cmp_eq_u16_sdwa s[24:25], v5, v6 src0_sel:BYTE_0 src1_sel:DWORD
	s_and_b64 vcc, exec, s[24:25]
	s_cbranch_vccz .LBB55_419
; %bb.417:
	global_load_ubyte v6, v[0:1], off
	s_movk_i32 s15, 0xff
	v_mov_b32_e32 v7, 0x7f800001
	v_mov_b32_e32 v8, 0x400000
	;; [unrolled: 1-line block ×3, first 2 shown]
	s_mov_b64 s[0:1], -1
	s_mov_b64 s[24:25], 0
	s_waitcnt vmcnt(0)
	v_lshlrev_b32_e32 v10, 23, v6
	v_cmp_ne_u32_e32 vcc, s15, v6
	v_cndmask_b32_e32 v7, v7, v10, vcc
	v_cmp_ne_u32_e32 vcc, 0, v6
	v_cndmask_b32_e32 v6, v8, v7, vcc
	v_add_u32_e32 v7, 0x7fff, v6
	v_lshrrev_b32_e32 v7, 16, v7
	v_cmp_o_f32_e32 vcc, v6, v6
	v_cndmask_b32_e32 v6, v9, v7, vcc
	s_branch .LBB55_420
.LBB55_418:
	s_mov_b64 s[28:29], -1
	s_mov_b64 s[0:1], 0
	s_mov_b64 s[26:27], s[18:19]
                                        ; implicit-def: $vgpr7
	s_branch .LBB55_534
.LBB55_419:
	s_mov_b64 s[24:25], -1
                                        ; implicit-def: $vgpr6
.LBB55_420:
	s_mov_b64 s[26:27], 0
.LBB55_421:
	s_and_b64 vcc, exec, s[26:27]
	s_cbranch_vccz .LBB55_425
; %bb.422:
	s_waitcnt vmcnt(0)
	v_mov_b32_e32 v6, 29
	v_cmp_eq_u16_sdwa s[24:25], v5, v6 src0_sel:BYTE_0 src1_sel:DWORD
	s_and_b64 vcc, exec, s[24:25]
	s_cbranch_vccz .LBB55_424
; %bb.423:
	global_load_dwordx2 v[6:7], v[0:1], off
	s_movk_i32 s15, 0x7fff
	s_mov_b64 s[0:1], -1
	s_mov_b64 s[24:25], 0
	s_mov_b64 s[26:27], 0
	s_waitcnt vmcnt(0)
	v_ffbh_u32_e32 v8, v7
	v_min_u32_e32 v8, 32, v8
	v_lshlrev_b64 v[6:7], v8, v[6:7]
	v_min_u32_e32 v6, 1, v6
	v_or_b32_e32 v6, v7, v6
	v_cvt_f32_u32_e32 v6, v6
	v_sub_u32_e32 v7, 32, v8
	v_ldexp_f32 v6, v6, v7
	v_bfe_u32 v7, v6, 16, 1
	v_add3_u32 v6, v6, v7, s15
	v_lshrrev_b32_e32 v6, 16, v6
	s_branch .LBB55_426
.LBB55_424:
	s_mov_b64 s[24:25], -1
                                        ; implicit-def: $vgpr6
.LBB55_425:
	s_mov_b64 s[26:27], 0
.LBB55_426:
	s_and_b64 vcc, exec, s[26:27]
	s_cbranch_vccz .LBB55_444
; %bb.427:
	s_waitcnt vmcnt(0)
	v_mov_b32_e32 v6, 27
	v_cmp_lt_i16_sdwa s[0:1], v5, v6 src0_sel:BYTE_0 src1_sel:DWORD
	s_and_b64 vcc, exec, s[0:1]
	s_cbranch_vccnz .LBB55_430
; %bb.428:
	v_cmp_gt_i16_sdwa s[0:1], v5, v6 src0_sel:BYTE_0 src1_sel:DWORD
	s_and_b64 vcc, exec, s[0:1]
	s_cbranch_vccz .LBB55_431
; %bb.429:
	global_load_dword v6, v[0:1], off
	s_movk_i32 s0, 0x7fff
	s_waitcnt vmcnt(0)
	v_cvt_f32_u32_e32 v6, v6
	v_bfe_u32 v7, v6, 16, 1
	v_add3_u32 v6, v6, v7, s0
	v_lshrrev_b32_e32 v6, 16, v6
	s_mov_b64 s[0:1], 0
	s_branch .LBB55_432
.LBB55_430:
	s_mov_b64 s[0:1], -1
                                        ; implicit-def: $vgpr6
	s_branch .LBB55_435
.LBB55_431:
	s_mov_b64 s[0:1], -1
                                        ; implicit-def: $vgpr6
.LBB55_432:
	s_andn2_b64 vcc, exec, s[0:1]
	s_cbranch_vccnz .LBB55_434
; %bb.433:
	global_load_ushort v6, v[0:1], off
	s_movk_i32 s0, 0x7fff
	s_waitcnt vmcnt(0)
	v_cvt_f32_u32_e32 v6, v6
	v_bfe_u32 v7, v6, 16, 1
	v_add3_u32 v6, v6, v7, s0
	v_lshrrev_b32_e32 v6, 16, v6
.LBB55_434:
	s_mov_b64 s[0:1], 0
.LBB55_435:
	s_andn2_b64 vcc, exec, s[0:1]
	s_cbranch_vccnz .LBB55_443
; %bb.436:
	global_load_ubyte v6, v[0:1], off
	s_movk_i32 s0, 0x7f
                                        ; implicit-def: $sgpr15
	s_waitcnt vmcnt(0)
	v_cmp_lt_i16_e32 vcc, s0, v6
	s_mov_b64 s[0:1], 0
	s_and_saveexec_b64 s[26:27], vcc
	s_xor_b64 s[26:27], exec, s[26:27]
	s_cbranch_execz .LBB55_457
; %bb.437:
	s_movk_i32 s0, 0x80
	v_cmp_eq_u16_e32 vcc, s0, v6
	s_mov_b64 s[0:1], -1
                                        ; implicit-def: $sgpr15
	s_and_saveexec_b64 s[28:29], vcc
; %bb.438:
	s_mov_b32 s15, 0x7f800001
	s_xor_b64 s[0:1], exec, -1
; %bb.439:
	s_or_b64 exec, exec, s[28:29]
	s_and_b64 s[0:1], s[0:1], exec
	s_or_saveexec_b64 s[26:27], s[26:27]
	v_mov_b32_e32 v7, s15
	s_xor_b64 exec, exec, s[26:27]
	s_cbranch_execnz .LBB55_458
.LBB55_440:
	s_or_b64 exec, exec, s[26:27]
	s_and_saveexec_b64 s[26:27], s[0:1]
	s_cbranch_execz .LBB55_442
.LBB55_441:
	v_lshlrev_b32_e32 v7, 24, v6
	v_and_b32_e32 v6, 0xffff, v6
	v_and_b32_e32 v8, 7, v6
	v_ffbh_u32_e32 v10, v8
	v_min_u32_e32 v10, 32, v10
	v_subrev_u32_e32 v11, 28, v10
	v_bfe_u32 v9, v6, 3, 4
	v_lshlrev_b32_e32 v6, v11, v6
	v_sub_u32_e32 v10, 29, v10
	v_and_b32_e32 v6, 7, v6
	v_cmp_eq_u32_e32 vcc, 0, v9
	v_cndmask_b32_e32 v9, v9, v10, vcc
	v_cndmask_b32_e32 v6, v8, v6, vcc
	v_mov_b32_e32 v8, 0x3b800000
	v_lshlrev_b32_e32 v6, 20, v6
	v_and_b32_e32 v7, 0x80000000, v7
	v_lshl_add_u32 v8, v9, 23, v8
	v_or3_b32 v7, v7, v8, v6
.LBB55_442:
	s_or_b64 exec, exec, s[26:27]
	v_bfe_u32 v6, v7, 16, 1
	s_movk_i32 s0, 0x7fff
	v_add3_u32 v6, v7, v6, s0
	v_lshrrev_b32_e32 v6, 16, v6
	v_mov_b32_e32 v8, 0x7fc0
	v_cmp_o_f32_e32 vcc, v7, v7
	v_cndmask_b32_e32 v6, v8, v6, vcc
.LBB55_443:
	s_mov_b64 s[0:1], -1
.LBB55_444:
	s_mov_b64 s[26:27], 0
.LBB55_445:
	s_and_b64 vcc, exec, s[26:27]
	s_cbranch_vccz .LBB55_480
; %bb.446:
	s_waitcnt vmcnt(0)
	v_mov_b32_e32 v6, 22
	v_cmp_gt_i16_sdwa s[26:27], v5, v6 src0_sel:BYTE_0 src1_sel:DWORD
	s_and_b64 vcc, exec, s[26:27]
	s_cbranch_vccz .LBB55_456
; %bb.447:
	v_mov_b32_e32 v6, 24
	v_cmp_lt_i16_sdwa s[0:1], v5, v6 src0_sel:BYTE_0 src1_sel:DWORD
	s_and_b64 vcc, exec, s[0:1]
	s_cbranch_vccnz .LBB55_459
; %bb.448:
	v_cmp_gt_i16_sdwa s[0:1], v5, v6 src0_sel:BYTE_0 src1_sel:DWORD
	s_and_b64 vcc, exec, s[0:1]
	s_cbranch_vccz .LBB55_460
; %bb.449:
	global_load_ubyte v6, v[0:1], off
	s_movk_i32 s0, 0x7f
                                        ; implicit-def: $sgpr15
	s_waitcnt vmcnt(0)
	v_cmp_lt_i16_e32 vcc, s0, v6
	s_mov_b64 s[0:1], 0
	s_and_saveexec_b64 s[26:27], vcc
	s_xor_b64 s[26:27], exec, s[26:27]
	s_cbranch_execz .LBB55_472
; %bb.450:
	s_movk_i32 s0, 0x80
	v_cmp_eq_u16_e32 vcc, s0, v6
	s_mov_b64 s[0:1], -1
                                        ; implicit-def: $sgpr15
	s_and_saveexec_b64 s[28:29], vcc
; %bb.451:
	s_mov_b32 s15, 0x7f800001
	s_xor_b64 s[0:1], exec, -1
; %bb.452:
	s_or_b64 exec, exec, s[28:29]
	s_and_b64 s[0:1], s[0:1], exec
	s_or_saveexec_b64 s[26:27], s[26:27]
	v_mov_b32_e32 v7, s15
	s_xor_b64 exec, exec, s[26:27]
	s_cbranch_execnz .LBB55_473
.LBB55_453:
	s_or_b64 exec, exec, s[26:27]
	s_and_saveexec_b64 s[26:27], s[0:1]
	s_cbranch_execz .LBB55_455
.LBB55_454:
	v_lshlrev_b32_e32 v7, 24, v6
	v_and_b32_e32 v6, 0xffff, v6
	v_and_b32_e32 v8, 3, v6
	v_ffbh_u32_e32 v10, v8
	v_min_u32_e32 v10, 32, v10
	v_subrev_u32_e32 v11, 29, v10
	v_bfe_u32 v9, v6, 2, 5
	v_lshlrev_b32_e32 v6, v11, v6
	v_sub_u32_e32 v10, 30, v10
	v_and_b32_e32 v6, 3, v6
	v_cmp_eq_u32_e32 vcc, 0, v9
	v_cndmask_b32_e32 v9, v9, v10, vcc
	v_cndmask_b32_e32 v6, v8, v6, vcc
	v_mov_b32_e32 v8, 0x37800000
	v_lshlrev_b32_e32 v6, 21, v6
	v_and_b32_e32 v7, 0x80000000, v7
	v_lshl_add_u32 v8, v9, 23, v8
	v_or3_b32 v7, v7, v8, v6
.LBB55_455:
	s_or_b64 exec, exec, s[26:27]
	v_bfe_u32 v6, v7, 16, 1
	s_movk_i32 s0, 0x7fff
	v_add3_u32 v6, v7, v6, s0
	v_lshrrev_b32_e32 v6, 16, v6
	v_mov_b32_e32 v8, 0x7fc0
	v_cmp_o_f32_e32 vcc, v7, v7
	v_cndmask_b32_e32 v6, v8, v6, vcc
	s_mov_b64 s[0:1], 0
	s_branch .LBB55_461
.LBB55_456:
	s_mov_b64 s[26:27], -1
                                        ; implicit-def: $vgpr6
	s_branch .LBB55_467
.LBB55_457:
	s_or_saveexec_b64 s[26:27], s[26:27]
	v_mov_b32_e32 v7, s15
	s_xor_b64 exec, exec, s[26:27]
	s_cbranch_execz .LBB55_440
.LBB55_458:
	v_cmp_ne_u16_e32 vcc, 0, v6
	s_andn2_b64 s[0:1], s[0:1], exec
	s_and_b64 s[28:29], vcc, exec
	v_mov_b32_e32 v7, 0
	s_or_b64 s[0:1], s[0:1], s[28:29]
	s_or_b64 exec, exec, s[26:27]
	s_and_saveexec_b64 s[26:27], s[0:1]
	s_cbranch_execnz .LBB55_441
	s_branch .LBB55_442
.LBB55_459:
	s_mov_b64 s[0:1], -1
                                        ; implicit-def: $vgpr6
	s_branch .LBB55_464
.LBB55_460:
	s_mov_b64 s[0:1], -1
                                        ; implicit-def: $vgpr6
.LBB55_461:
	s_and_b64 vcc, exec, s[0:1]
	s_cbranch_vccz .LBB55_463
; %bb.462:
	global_load_ubyte v6, v[0:1], off
	s_mov_b32 s0, 0x7f800000
	s_brev_b32 s1, 1
	s_movk_i32 s15, 0x7fff
	v_mov_b32_e32 v7, 0x7fc0
	s_waitcnt vmcnt(0)
	v_lshlrev_b32_e32 v6, 24, v6
	v_and_b32_e32 v8, 0x7f000000, v6
	v_ffbh_u32_e32 v9, v8
	v_min_u32_e32 v9, 32, v9
	v_sub_u32_e64 v9, v9, 4 clamp
	v_lshlrev_b32_e32 v11, v9, v8
	v_lshlrev_b32_e32 v9, 23, v9
	v_lshrrev_b32_e32 v11, 4, v11
	v_add_u32_e32 v10, 0x1000000, v8
	v_sub_u32_e32 v9, v11, v9
	v_ashrrev_i32_e32 v10, 8, v10
	v_add_u32_e32 v9, 0x3c000000, v9
	v_and_or_b32 v9, v10, s0, v9
	v_cmp_ne_u32_e32 vcc, 0, v8
	v_cndmask_b32_e32 v8, 0, v9, vcc
	v_and_or_b32 v6, v6, s1, v8
	v_bfe_u32 v8, v8, 16, 1
	v_add3_u32 v8, v6, v8, s15
	v_lshrrev_b32_e32 v8, 16, v8
	v_cmp_o_f32_e32 vcc, v6, v6
	v_cndmask_b32_e32 v6, v7, v8, vcc
.LBB55_463:
	s_mov_b64 s[0:1], 0
.LBB55_464:
	s_andn2_b64 vcc, exec, s[0:1]
	s_cbranch_vccnz .LBB55_466
; %bb.465:
	global_load_ubyte v6, v[0:1], off
	s_movk_i32 s0, 0x7f00
	s_brev_b32 s1, 16
	s_brev_b32 s15, 1
	s_movk_i32 s26, 0x7fff
	v_mov_b32_e32 v7, 0x7fc0
	s_waitcnt vmcnt(0)
	v_lshlrev_b16_e32 v8, 8, v6
	v_lshlrev_b32_e32 v6, 25, v6
	v_lshrrev_b32_e32 v9, 4, v6
	v_and_or_b32 v10, v8, s0, 0.5
	v_or_b32_e32 v9, 0x70000000, v9
	v_add_f32_e32 v10, -0.5, v10
	v_mul_f32_e32 v9, 0x7800000, v9
	v_cmp_gt_u32_e32 vcc, s1, v6
	v_bfe_i32 v8, v8, 0, 16
	v_cndmask_b32_e32 v6, v9, v10, vcc
	v_and_or_b32 v8, v8, s15, v6
	v_bfe_u32 v6, v6, 16, 1
	v_add3_u32 v6, v8, v6, s26
	v_lshrrev_b32_e32 v6, 16, v6
	v_cmp_o_f32_e32 vcc, v8, v8
	v_cndmask_b32_e32 v6, v7, v6, vcc
.LBB55_466:
	s_mov_b64 s[26:27], 0
	s_mov_b64 s[0:1], -1
.LBB55_467:
	s_andn2_b64 vcc, exec, s[26:27]
	s_cbranch_vccnz .LBB55_480
; %bb.468:
	v_mov_b32_e32 v6, 14
	v_cmp_gt_i16_sdwa s[26:27], v5, v6 src0_sel:BYTE_0 src1_sel:DWORD
	s_and_b64 vcc, exec, s[26:27]
	s_cbranch_vccz .LBB55_471
; %bb.469:
	v_mov_b32_e32 v6, 15
	v_cmp_eq_u16_sdwa s[24:25], v5, v6 src0_sel:BYTE_0 src1_sel:DWORD
	s_and_b64 vcc, exec, s[24:25]
	s_cbranch_vccz .LBB55_474
; %bb.470:
	global_load_ushort v6, v[0:1], off
	s_mov_b64 s[0:1], -1
	s_mov_b64 s[24:25], 0
	s_branch .LBB55_475
.LBB55_471:
	s_mov_b64 s[26:27], -1
                                        ; implicit-def: $vgpr6
	s_branch .LBB55_476
.LBB55_472:
	s_or_saveexec_b64 s[26:27], s[26:27]
	v_mov_b32_e32 v7, s15
	s_xor_b64 exec, exec, s[26:27]
	s_cbranch_execz .LBB55_453
.LBB55_473:
	v_cmp_ne_u16_e32 vcc, 0, v6
	s_andn2_b64 s[0:1], s[0:1], exec
	s_and_b64 s[28:29], vcc, exec
	v_mov_b32_e32 v7, 0
	s_or_b64 s[0:1], s[0:1], s[28:29]
	s_or_b64 exec, exec, s[26:27]
	s_and_saveexec_b64 s[26:27], s[0:1]
	s_cbranch_execnz .LBB55_454
	s_branch .LBB55_455
.LBB55_474:
	s_mov_b64 s[24:25], -1
                                        ; implicit-def: $vgpr6
.LBB55_475:
	s_mov_b64 s[26:27], 0
.LBB55_476:
	s_and_b64 vcc, exec, s[26:27]
	s_cbranch_vccz .LBB55_480
; %bb.477:
	s_waitcnt vmcnt(0)
	v_mov_b32_e32 v6, 11
	v_cmp_eq_u16_sdwa s[24:25], v5, v6 src0_sel:BYTE_0 src1_sel:DWORD
	s_and_b64 vcc, exec, s[24:25]
	s_cbranch_vccz .LBB55_479
; %bb.478:
	global_load_ubyte v6, v[0:1], off
	s_mov_b64 s[0:1], -1
	s_mov_b64 s[24:25], 0
	s_waitcnt vmcnt(0)
	v_cmp_ne_u16_e32 vcc, 0, v6
	v_cndmask_b32_e64 v6, 0, 1.0, vcc
	v_lshrrev_b32_e32 v6, 16, v6
	s_branch .LBB55_480
.LBB55_479:
	s_mov_b64 s[24:25], -1
                                        ; implicit-def: $vgpr6
.LBB55_480:
	s_branch .LBB55_396
.LBB55_481:
	s_waitcnt vmcnt(0)
	v_mov_b32_e32 v6, 5
	v_cmp_lt_i16_sdwa s[0:1], v5, v6 src0_sel:BYTE_0 src1_sel:DWORD
	s_and_b64 vcc, exec, s[0:1]
	s_cbranch_vccnz .LBB55_486
; %bb.482:
	v_mov_b32_e32 v6, 8
	v_cmp_lt_i16_sdwa s[0:1], v5, v6 src0_sel:BYTE_0 src1_sel:DWORD
	s_and_b64 vcc, exec, s[0:1]
	s_cbranch_vccnz .LBB55_487
; %bb.483:
	;; [unrolled: 5-line block ×3, first 2 shown]
	v_cmp_gt_i16_sdwa s[0:1], v5, v6 src0_sel:BYTE_0 src1_sel:DWORD
	s_and_b64 vcc, exec, s[0:1]
	s_cbranch_vccz .LBB55_489
; %bb.485:
	global_load_dwordx2 v[6:7], v[0:1], off
	s_movk_i32 s0, 0x7fff
	v_mov_b32_e32 v8, 0x7fc0
	s_waitcnt vmcnt(0)
	v_cvt_f32_f64_e32 v6, v[6:7]
	v_bfe_u32 v7, v6, 16, 1
	v_add3_u32 v7, v6, v7, s0
	v_lshrrev_b32_e32 v7, 16, v7
	v_cmp_o_f32_e32 vcc, v6, v6
	v_cndmask_b32_e32 v6, v8, v7, vcc
	s_mov_b64 s[0:1], 0
	s_branch .LBB55_490
.LBB55_486:
	s_mov_b64 s[0:1], -1
                                        ; implicit-def: $vgpr6
	s_branch .LBB55_508
.LBB55_487:
	s_mov_b64 s[0:1], -1
                                        ; implicit-def: $vgpr6
	s_branch .LBB55_496
.LBB55_488:
	s_mov_b64 s[0:1], -1
                                        ; implicit-def: $vgpr6
	s_branch .LBB55_493
.LBB55_489:
	s_mov_b64 s[0:1], -1
                                        ; implicit-def: $vgpr6
.LBB55_490:
	s_andn2_b64 vcc, exec, s[0:1]
	s_cbranch_vccnz .LBB55_492
; %bb.491:
	global_load_dword v6, v[0:1], off
	s_movk_i32 s0, 0x7fff
	v_mov_b32_e32 v7, 0x7fc0
	s_waitcnt vmcnt(0)
	v_bfe_u32 v8, v6, 16, 1
	v_add3_u32 v8, v6, v8, s0
	v_lshrrev_b32_e32 v8, 16, v8
	v_cmp_o_f32_e32 vcc, v6, v6
	v_cndmask_b32_e32 v6, v7, v8, vcc
.LBB55_492:
	s_mov_b64 s[0:1], 0
.LBB55_493:
	s_andn2_b64 vcc, exec, s[0:1]
	s_cbranch_vccnz .LBB55_495
; %bb.494:
	global_load_dword v6, v[0:1], off
	s_movk_i32 s0, 0x7fff
	v_mov_b32_e32 v8, 0x7fc0
	s_waitcnt vmcnt(0)
	v_cvt_f32_f16_e32 v7, v6
	v_cmp_o_f16_e32 vcc, v6, v6
	v_bfe_u32 v9, v7, 16, 1
	v_add3_u32 v7, v7, v9, s0
	v_lshrrev_b32_e32 v7, 16, v7
	v_cndmask_b32_e32 v6, v8, v7, vcc
.LBB55_495:
	s_mov_b64 s[0:1], 0
.LBB55_496:
	s_andn2_b64 vcc, exec, s[0:1]
	s_cbranch_vccnz .LBB55_507
; %bb.497:
	v_mov_b32_e32 v6, 6
	v_cmp_lt_i16_sdwa s[0:1], v5, v6 src0_sel:BYTE_0 src1_sel:DWORD
	s_and_b64 vcc, exec, s[0:1]
	s_cbranch_vccnz .LBB55_500
; %bb.498:
	v_cmp_gt_i16_sdwa s[0:1], v5, v6 src0_sel:BYTE_0 src1_sel:DWORD
	s_and_b64 vcc, exec, s[0:1]
	s_cbranch_vccz .LBB55_501
; %bb.499:
	global_load_dwordx2 v[6:7], v[0:1], off
	s_movk_i32 s0, 0x7fff
	v_mov_b32_e32 v8, 0x7fc0
	s_waitcnt vmcnt(0)
	v_cvt_f32_f64_e32 v6, v[6:7]
	v_bfe_u32 v7, v6, 16, 1
	v_add3_u32 v7, v6, v7, s0
	v_lshrrev_b32_e32 v7, 16, v7
	v_cmp_o_f32_e32 vcc, v6, v6
	v_cndmask_b32_e32 v6, v8, v7, vcc
	s_mov_b64 s[0:1], 0
	s_branch .LBB55_502
.LBB55_500:
	s_mov_b64 s[0:1], -1
                                        ; implicit-def: $vgpr6
	s_branch .LBB55_505
.LBB55_501:
	s_mov_b64 s[0:1], -1
                                        ; implicit-def: $vgpr6
.LBB55_502:
	s_andn2_b64 vcc, exec, s[0:1]
	s_cbranch_vccnz .LBB55_504
; %bb.503:
	global_load_dword v6, v[0:1], off
	s_movk_i32 s0, 0x7fff
	v_mov_b32_e32 v7, 0x7fc0
	s_waitcnt vmcnt(0)
	v_bfe_u32 v8, v6, 16, 1
	v_add3_u32 v8, v6, v8, s0
	v_lshrrev_b32_e32 v8, 16, v8
	v_cmp_o_f32_e32 vcc, v6, v6
	v_cndmask_b32_e32 v6, v7, v8, vcc
.LBB55_504:
	s_mov_b64 s[0:1], 0
.LBB55_505:
	s_andn2_b64 vcc, exec, s[0:1]
	s_cbranch_vccnz .LBB55_507
; %bb.506:
	global_load_ushort v6, v[0:1], off
	s_movk_i32 s0, 0x7fff
	v_mov_b32_e32 v8, 0x7fc0
	s_waitcnt vmcnt(0)
	v_cvt_f32_f16_e32 v7, v6
	v_cmp_o_f16_e32 vcc, v6, v6
	v_bfe_u32 v9, v7, 16, 1
	v_add3_u32 v7, v7, v9, s0
	v_lshrrev_b32_e32 v7, 16, v7
	v_cndmask_b32_e32 v6, v8, v7, vcc
.LBB55_507:
	s_mov_b64 s[0:1], 0
.LBB55_508:
	s_andn2_b64 vcc, exec, s[0:1]
	s_cbranch_vccnz .LBB55_528
; %bb.509:
	v_mov_b32_e32 v6, 2
	v_cmp_lt_i16_sdwa s[0:1], v5, v6 src0_sel:BYTE_0 src1_sel:DWORD
	s_and_b64 vcc, exec, s[0:1]
	s_cbranch_vccnz .LBB55_513
; %bb.510:
	v_mov_b32_e32 v6, 3
	v_cmp_lt_i16_sdwa s[0:1], v5, v6 src0_sel:BYTE_0 src1_sel:DWORD
	s_and_b64 vcc, exec, s[0:1]
	s_cbranch_vccnz .LBB55_514
; %bb.511:
	v_cmp_gt_i16_sdwa s[0:1], v5, v6 src0_sel:BYTE_0 src1_sel:DWORD
	s_and_b64 vcc, exec, s[0:1]
	s_cbranch_vccz .LBB55_515
; %bb.512:
	global_load_dwordx2 v[6:7], v[0:1], off
	s_movk_i32 s0, 0x7fff
	s_waitcnt vmcnt(0)
	v_xor_b32_e32 v9, v6, v7
	v_ffbh_i32_e32 v8, v7
	v_ashrrev_i32_e32 v9, 31, v9
	v_add_u32_e32 v8, -1, v8
	v_add_u32_e32 v9, 32, v9
	v_min_u32_e32 v8, v8, v9
	v_lshlrev_b64 v[6:7], v8, v[6:7]
	v_min_u32_e32 v6, 1, v6
	v_or_b32_e32 v6, v7, v6
	v_cvt_f32_i32_e32 v6, v6
	v_sub_u32_e32 v7, 32, v8
	v_ldexp_f32 v6, v6, v7
	v_bfe_u32 v7, v6, 16, 1
	v_add3_u32 v6, v6, v7, s0
	v_lshrrev_b32_e32 v6, 16, v6
	s_mov_b64 s[0:1], 0
	s_branch .LBB55_516
.LBB55_513:
	s_mov_b64 s[0:1], -1
                                        ; implicit-def: $vgpr6
	s_branch .LBB55_522
.LBB55_514:
	s_mov_b64 s[0:1], -1
                                        ; implicit-def: $vgpr6
	s_branch .LBB55_519
.LBB55_515:
	s_mov_b64 s[0:1], -1
                                        ; implicit-def: $vgpr6
.LBB55_516:
	s_andn2_b64 vcc, exec, s[0:1]
	s_cbranch_vccnz .LBB55_518
; %bb.517:
	global_load_dword v6, v[0:1], off
	s_movk_i32 s0, 0x7fff
	s_waitcnt vmcnt(0)
	v_cvt_f32_i32_e32 v6, v6
	v_bfe_u32 v7, v6, 16, 1
	v_add3_u32 v6, v6, v7, s0
	v_lshrrev_b32_e32 v6, 16, v6
.LBB55_518:
	s_mov_b64 s[0:1], 0
.LBB55_519:
	s_andn2_b64 vcc, exec, s[0:1]
	s_cbranch_vccnz .LBB55_521
; %bb.520:
	global_load_sshort v6, v[0:1], off
	s_movk_i32 s0, 0x7fff
	s_waitcnt vmcnt(0)
	v_cvt_f32_i32_e32 v6, v6
	v_bfe_u32 v7, v6, 16, 1
	v_add3_u32 v6, v6, v7, s0
	v_lshrrev_b32_e32 v6, 16, v6
.LBB55_521:
	s_mov_b64 s[0:1], 0
.LBB55_522:
	s_andn2_b64 vcc, exec, s[0:1]
	s_cbranch_vccnz .LBB55_528
; %bb.523:
	v_mov_b32_e32 v6, 0
	v_cmp_gt_i16_sdwa s[0:1], v5, v6 src0_sel:BYTE_0 src1_sel:DWORD
	s_and_b64 vcc, exec, s[0:1]
	s_cbranch_vccz .LBB55_525
; %bb.524:
	global_load_sbyte v6, v[0:1], off
	s_movk_i32 s0, 0x7fff
	s_waitcnt vmcnt(0)
	v_cvt_f32_i32_e32 v6, v6
	v_bfe_u32 v7, v6, 16, 1
	v_add3_u32 v6, v6, v7, s0
	v_lshrrev_b32_e32 v6, 16, v6
	s_mov_b64 s[0:1], 0
	s_branch .LBB55_526
.LBB55_525:
	s_mov_b64 s[0:1], -1
                                        ; implicit-def: $vgpr6
.LBB55_526:
	s_andn2_b64 vcc, exec, s[0:1]
	s_cbranch_vccnz .LBB55_528
; %bb.527:
	global_load_ubyte v0, v[0:1], off
	s_movk_i32 s0, 0x7fff
	s_waitcnt vmcnt(0)
	v_cvt_f32_ubyte0_e32 v0, v0
	v_bfe_u32 v1, v0, 16, 1
	v_add3_u32 v0, v0, v1, s0
	v_lshrrev_b32_e32 v6, 16, v0
.LBB55_528:
	s_branch .LBB55_397
.LBB55_529:
	s_mov_b64 s[34:35], 0
	s_mov_b64 s[0:1], s[6:7]
	;; [unrolled: 1-line block ×3, first 2 shown]
.LBB55_530:
                                        ; implicit-def: $vgpr3
	s_branch .LBB55_772
.LBB55_531:
	s_or_saveexec_b64 s[28:29], s[28:29]
                                        ; implicit-def: $sgpr15
	s_xor_b64 exec, exec, s[28:29]
	s_cbranch_execz .LBB55_193
.LBB55_532:
	s_mov_b32 s15, 0x42800000
	v_add_f32_e64 v8, |v9|, s15
	v_and_b32_e32 v8, 0xff, v8
	v_cmp_ne_u32_e32 vcc, 0, v8
	s_andn2_b64 s[24:25], s[24:25], exec
	s_and_b64 s[30:31], vcc, exec
	s_mov_b32 s15, 0
	s_or_b64 s[24:25], s[24:25], s[30:31]
	s_or_b64 exec, exec, s[28:29]
	v_mov_b32_e32 v10, s15
	s_and_saveexec_b64 s[28:29], s[24:25]
	s_cbranch_execnz .LBB55_194
	s_branch .LBB55_195
.LBB55_533:
	s_mov_b64 s[26:27], -1
                                        ; implicit-def: $vgpr7
	s_mov_b64 s[0:1], 0
.LBB55_534:
	s_and_b64 vcc, exec, s[28:29]
	s_cbranch_vccz .LBB55_538
; %bb.535:
	s_waitcnt vmcnt(0)
	v_mov_b32_e32 v7, 44
	v_cmp_eq_u16_sdwa s[26:27], v4, v7 src0_sel:BYTE_0 src1_sel:DWORD
	s_and_b64 vcc, exec, s[26:27]
	s_cbranch_vccz .LBB55_537
; %bb.536:
	global_load_ubyte v7, v[0:1], off
	s_movk_i32 s15, 0xff
	v_mov_b32_e32 v8, 0x7f800001
	v_mov_b32_e32 v9, 0x400000
	;; [unrolled: 1-line block ×3, first 2 shown]
	s_mov_b64 s[0:1], -1
	s_mov_b64 s[26:27], 0
	s_waitcnt vmcnt(0)
	v_lshlrev_b32_e32 v11, 23, v7
	v_cmp_ne_u32_e32 vcc, s15, v7
	v_cndmask_b32_e32 v8, v8, v11, vcc
	v_cmp_ne_u32_e32 vcc, 0, v7
	v_cndmask_b32_e32 v7, v9, v8, vcc
	v_add_u32_e32 v8, 0x7fff, v7
	v_lshrrev_b32_e32 v8, 16, v8
	v_cmp_o_f32_e32 vcc, v7, v7
	v_cndmask_b32_e32 v7, v10, v8, vcc
	s_branch .LBB55_538
.LBB55_537:
	s_mov_b64 s[26:27], -1
                                        ; implicit-def: $vgpr7
.LBB55_538:
	s_mov_b64 s[28:29], 0
.LBB55_539:
	s_and_b64 vcc, exec, s[28:29]
	s_cbranch_vccz .LBB55_543
; %bb.540:
	s_waitcnt vmcnt(0)
	v_mov_b32_e32 v7, 29
	v_cmp_eq_u16_sdwa s[26:27], v4, v7 src0_sel:BYTE_0 src1_sel:DWORD
	s_and_b64 vcc, exec, s[26:27]
	s_cbranch_vccz .LBB55_542
; %bb.541:
	global_load_dwordx2 v[8:9], v[0:1], off
	s_movk_i32 s15, 0x7fff
	s_mov_b64 s[0:1], -1
	s_mov_b64 s[26:27], 0
	s_mov_b64 s[28:29], 0
	s_waitcnt vmcnt(0)
	v_ffbh_u32_e32 v7, v9
	v_min_u32_e32 v7, 32, v7
	v_lshlrev_b64 v[8:9], v7, v[8:9]
	v_min_u32_e32 v8, 1, v8
	v_or_b32_e32 v8, v9, v8
	v_cvt_f32_u32_e32 v8, v8
	v_sub_u32_e32 v7, 32, v7
	v_ldexp_f32 v7, v8, v7
	v_bfe_u32 v8, v7, 16, 1
	v_add3_u32 v7, v7, v8, s15
	v_lshrrev_b32_e32 v7, 16, v7
	s_branch .LBB55_544
.LBB55_542:
	s_mov_b64 s[26:27], -1
                                        ; implicit-def: $vgpr7
.LBB55_543:
	s_mov_b64 s[28:29], 0
.LBB55_544:
	s_and_b64 vcc, exec, s[28:29]
	s_cbranch_vccz .LBB55_562
; %bb.545:
	s_waitcnt vmcnt(0)
	v_mov_b32_e32 v7, 27
	v_cmp_lt_i16_sdwa s[0:1], v4, v7 src0_sel:BYTE_0 src1_sel:DWORD
	s_and_b64 vcc, exec, s[0:1]
	s_cbranch_vccnz .LBB55_548
; %bb.546:
	v_cmp_gt_i16_sdwa s[0:1], v4, v7 src0_sel:BYTE_0 src1_sel:DWORD
	s_and_b64 vcc, exec, s[0:1]
	s_cbranch_vccz .LBB55_549
; %bb.547:
	global_load_dword v7, v[0:1], off
	s_movk_i32 s0, 0x7fff
	s_waitcnt vmcnt(0)
	v_cvt_f32_u32_e32 v7, v7
	v_bfe_u32 v8, v7, 16, 1
	v_add3_u32 v7, v7, v8, s0
	v_lshrrev_b32_e32 v7, 16, v7
	s_mov_b64 s[0:1], 0
	s_branch .LBB55_550
.LBB55_548:
	s_mov_b64 s[0:1], -1
                                        ; implicit-def: $vgpr7
	s_branch .LBB55_553
.LBB55_549:
	s_mov_b64 s[0:1], -1
                                        ; implicit-def: $vgpr7
.LBB55_550:
	s_andn2_b64 vcc, exec, s[0:1]
	s_cbranch_vccnz .LBB55_552
; %bb.551:
	global_load_ushort v7, v[0:1], off
	s_movk_i32 s0, 0x7fff
	s_waitcnt vmcnt(0)
	v_cvt_f32_u32_e32 v7, v7
	v_bfe_u32 v8, v7, 16, 1
	v_add3_u32 v7, v7, v8, s0
	v_lshrrev_b32_e32 v7, 16, v7
.LBB55_552:
	s_mov_b64 s[0:1], 0
.LBB55_553:
	s_andn2_b64 vcc, exec, s[0:1]
	s_cbranch_vccnz .LBB55_561
; %bb.554:
	global_load_ubyte v7, v[0:1], off
	s_movk_i32 s0, 0x7f
                                        ; implicit-def: $sgpr15
	s_waitcnt vmcnt(0)
	v_cmp_lt_i16_e32 vcc, s0, v7
	s_mov_b64 s[0:1], 0
	s_and_saveexec_b64 s[28:29], vcc
	s_xor_b64 s[28:29], exec, s[28:29]
	s_cbranch_execz .LBB55_575
; %bb.555:
	s_movk_i32 s0, 0x80
	v_cmp_eq_u16_e32 vcc, s0, v7
	s_mov_b64 s[0:1], -1
                                        ; implicit-def: $sgpr15
	s_and_saveexec_b64 s[34:35], vcc
; %bb.556:
	s_mov_b32 s15, 0x7f800001
	s_xor_b64 s[0:1], exec, -1
; %bb.557:
	s_or_b64 exec, exec, s[34:35]
	s_and_b64 s[0:1], s[0:1], exec
	s_or_saveexec_b64 s[28:29], s[28:29]
	v_mov_b32_e32 v8, s15
	s_xor_b64 exec, exec, s[28:29]
	s_cbranch_execnz .LBB55_576
.LBB55_558:
	s_or_b64 exec, exec, s[28:29]
	s_and_saveexec_b64 s[28:29], s[0:1]
	s_cbranch_execz .LBB55_560
.LBB55_559:
	v_lshlrev_b32_e32 v8, 24, v7
	v_and_b32_e32 v7, 0xffff, v7
	v_and_b32_e32 v9, 7, v7
	v_ffbh_u32_e32 v11, v9
	v_min_u32_e32 v11, 32, v11
	v_subrev_u32_e32 v12, 28, v11
	v_bfe_u32 v10, v7, 3, 4
	v_lshlrev_b32_e32 v7, v12, v7
	v_sub_u32_e32 v11, 29, v11
	v_and_b32_e32 v7, 7, v7
	v_cmp_eq_u32_e32 vcc, 0, v10
	v_cndmask_b32_e32 v10, v10, v11, vcc
	v_cndmask_b32_e32 v7, v9, v7, vcc
	v_mov_b32_e32 v9, 0x3b800000
	v_lshlrev_b32_e32 v7, 20, v7
	v_and_b32_e32 v8, 0x80000000, v8
	v_lshl_add_u32 v9, v10, 23, v9
	v_or3_b32 v8, v8, v9, v7
.LBB55_560:
	s_or_b64 exec, exec, s[28:29]
	v_bfe_u32 v7, v8, 16, 1
	s_movk_i32 s0, 0x7fff
	v_add3_u32 v7, v8, v7, s0
	v_lshrrev_b32_e32 v7, 16, v7
	v_mov_b32_e32 v9, 0x7fc0
	v_cmp_o_f32_e32 vcc, v8, v8
	v_cndmask_b32_e32 v7, v9, v7, vcc
.LBB55_561:
	s_mov_b64 s[0:1], -1
.LBB55_562:
	s_mov_b64 s[28:29], 0
.LBB55_563:
	s_and_b64 vcc, exec, s[28:29]
	s_cbranch_vccz .LBB55_598
; %bb.564:
	s_waitcnt vmcnt(0)
	v_mov_b32_e32 v7, 22
	v_cmp_gt_i16_sdwa s[28:29], v4, v7 src0_sel:BYTE_0 src1_sel:DWORD
	s_and_b64 vcc, exec, s[28:29]
	s_cbranch_vccz .LBB55_574
; %bb.565:
	v_mov_b32_e32 v7, 24
	v_cmp_lt_i16_sdwa s[0:1], v4, v7 src0_sel:BYTE_0 src1_sel:DWORD
	s_and_b64 vcc, exec, s[0:1]
	s_cbranch_vccnz .LBB55_577
; %bb.566:
	v_cmp_gt_i16_sdwa s[0:1], v4, v7 src0_sel:BYTE_0 src1_sel:DWORD
	s_and_b64 vcc, exec, s[0:1]
	s_cbranch_vccz .LBB55_578
; %bb.567:
	global_load_ubyte v7, v[0:1], off
	s_movk_i32 s0, 0x7f
                                        ; implicit-def: $sgpr15
	s_waitcnt vmcnt(0)
	v_cmp_lt_i16_e32 vcc, s0, v7
	s_mov_b64 s[0:1], 0
	s_and_saveexec_b64 s[28:29], vcc
	s_xor_b64 s[28:29], exec, s[28:29]
	s_cbranch_execz .LBB55_590
; %bb.568:
	s_movk_i32 s0, 0x80
	v_cmp_eq_u16_e32 vcc, s0, v7
	s_mov_b64 s[0:1], -1
                                        ; implicit-def: $sgpr15
	s_and_saveexec_b64 s[34:35], vcc
; %bb.569:
	s_mov_b32 s15, 0x7f800001
	s_xor_b64 s[0:1], exec, -1
; %bb.570:
	s_or_b64 exec, exec, s[34:35]
	s_and_b64 s[0:1], s[0:1], exec
	s_or_saveexec_b64 s[28:29], s[28:29]
	v_mov_b32_e32 v8, s15
	s_xor_b64 exec, exec, s[28:29]
	s_cbranch_execnz .LBB55_591
.LBB55_571:
	s_or_b64 exec, exec, s[28:29]
	s_and_saveexec_b64 s[28:29], s[0:1]
	s_cbranch_execz .LBB55_573
.LBB55_572:
	v_lshlrev_b32_e32 v8, 24, v7
	v_and_b32_e32 v7, 0xffff, v7
	v_and_b32_e32 v9, 3, v7
	v_ffbh_u32_e32 v11, v9
	v_min_u32_e32 v11, 32, v11
	v_subrev_u32_e32 v12, 29, v11
	v_bfe_u32 v10, v7, 2, 5
	v_lshlrev_b32_e32 v7, v12, v7
	v_sub_u32_e32 v11, 30, v11
	v_and_b32_e32 v7, 3, v7
	v_cmp_eq_u32_e32 vcc, 0, v10
	v_cndmask_b32_e32 v10, v10, v11, vcc
	v_cndmask_b32_e32 v7, v9, v7, vcc
	v_mov_b32_e32 v9, 0x37800000
	v_lshlrev_b32_e32 v7, 21, v7
	v_and_b32_e32 v8, 0x80000000, v8
	v_lshl_add_u32 v9, v10, 23, v9
	v_or3_b32 v8, v8, v9, v7
.LBB55_573:
	s_or_b64 exec, exec, s[28:29]
	v_bfe_u32 v7, v8, 16, 1
	s_movk_i32 s0, 0x7fff
	v_add3_u32 v7, v8, v7, s0
	v_lshrrev_b32_e32 v7, 16, v7
	v_mov_b32_e32 v9, 0x7fc0
	v_cmp_o_f32_e32 vcc, v8, v8
	v_cndmask_b32_e32 v7, v9, v7, vcc
	s_mov_b64 s[0:1], 0
	s_branch .LBB55_579
.LBB55_574:
	s_mov_b64 s[28:29], -1
                                        ; implicit-def: $vgpr7
	s_branch .LBB55_585
.LBB55_575:
	s_or_saveexec_b64 s[28:29], s[28:29]
	v_mov_b32_e32 v8, s15
	s_xor_b64 exec, exec, s[28:29]
	s_cbranch_execz .LBB55_558
.LBB55_576:
	v_cmp_ne_u16_e32 vcc, 0, v7
	s_andn2_b64 s[0:1], s[0:1], exec
	s_and_b64 s[34:35], vcc, exec
	v_mov_b32_e32 v8, 0
	s_or_b64 s[0:1], s[0:1], s[34:35]
	s_or_b64 exec, exec, s[28:29]
	s_and_saveexec_b64 s[28:29], s[0:1]
	s_cbranch_execnz .LBB55_559
	s_branch .LBB55_560
.LBB55_577:
	s_mov_b64 s[0:1], -1
                                        ; implicit-def: $vgpr7
	s_branch .LBB55_582
.LBB55_578:
	s_mov_b64 s[0:1], -1
                                        ; implicit-def: $vgpr7
.LBB55_579:
	s_and_b64 vcc, exec, s[0:1]
	s_cbranch_vccz .LBB55_581
; %bb.580:
	global_load_ubyte v7, v[0:1], off
	s_mov_b32 s0, 0x7f800000
	s_brev_b32 s1, 1
	s_movk_i32 s15, 0x7fff
	v_mov_b32_e32 v8, 0x7fc0
	s_waitcnt vmcnt(0)
	v_lshlrev_b32_e32 v7, 24, v7
	v_and_b32_e32 v9, 0x7f000000, v7
	v_ffbh_u32_e32 v10, v9
	v_min_u32_e32 v10, 32, v10
	v_sub_u32_e64 v10, v10, 4 clamp
	v_lshlrev_b32_e32 v12, v10, v9
	v_lshlrev_b32_e32 v10, 23, v10
	v_lshrrev_b32_e32 v12, 4, v12
	v_add_u32_e32 v11, 0x1000000, v9
	v_sub_u32_e32 v10, v12, v10
	v_ashrrev_i32_e32 v11, 8, v11
	v_add_u32_e32 v10, 0x3c000000, v10
	v_and_or_b32 v10, v11, s0, v10
	v_cmp_ne_u32_e32 vcc, 0, v9
	v_cndmask_b32_e32 v9, 0, v10, vcc
	v_and_or_b32 v7, v7, s1, v9
	v_bfe_u32 v9, v9, 16, 1
	v_add3_u32 v9, v7, v9, s15
	v_lshrrev_b32_e32 v9, 16, v9
	v_cmp_o_f32_e32 vcc, v7, v7
	v_cndmask_b32_e32 v7, v8, v9, vcc
.LBB55_581:
	s_mov_b64 s[0:1], 0
.LBB55_582:
	s_andn2_b64 vcc, exec, s[0:1]
	s_cbranch_vccnz .LBB55_584
; %bb.583:
	global_load_ubyte v7, v[0:1], off
	s_movk_i32 s0, 0x7f00
	s_brev_b32 s1, 16
	s_brev_b32 s15, 1
	s_movk_i32 s28, 0x7fff
	v_mov_b32_e32 v8, 0x7fc0
	s_waitcnt vmcnt(0)
	v_lshlrev_b16_e32 v9, 8, v7
	v_lshlrev_b32_e32 v7, 25, v7
	v_lshrrev_b32_e32 v10, 4, v7
	v_and_or_b32 v11, v9, s0, 0.5
	v_or_b32_e32 v10, 0x70000000, v10
	v_add_f32_e32 v11, -0.5, v11
	v_mul_f32_e32 v10, 0x7800000, v10
	v_cmp_gt_u32_e32 vcc, s1, v7
	v_bfe_i32 v9, v9, 0, 16
	v_cndmask_b32_e32 v7, v10, v11, vcc
	v_and_or_b32 v9, v9, s15, v7
	v_bfe_u32 v7, v7, 16, 1
	v_add3_u32 v7, v9, v7, s28
	v_lshrrev_b32_e32 v7, 16, v7
	v_cmp_o_f32_e32 vcc, v9, v9
	v_cndmask_b32_e32 v7, v8, v7, vcc
.LBB55_584:
	s_mov_b64 s[28:29], 0
	s_mov_b64 s[0:1], -1
.LBB55_585:
	s_andn2_b64 vcc, exec, s[28:29]
	s_cbranch_vccnz .LBB55_598
; %bb.586:
	v_mov_b32_e32 v7, 14
	v_cmp_gt_i16_sdwa s[28:29], v4, v7 src0_sel:BYTE_0 src1_sel:DWORD
	s_and_b64 vcc, exec, s[28:29]
	s_cbranch_vccz .LBB55_589
; %bb.587:
	v_mov_b32_e32 v7, 15
	v_cmp_eq_u16_sdwa s[26:27], v4, v7 src0_sel:BYTE_0 src1_sel:DWORD
	s_and_b64 vcc, exec, s[26:27]
	s_cbranch_vccz .LBB55_592
; %bb.588:
	global_load_ushort v7, v[0:1], off
	s_mov_b64 s[0:1], -1
	s_mov_b64 s[26:27], 0
	s_branch .LBB55_593
.LBB55_589:
	s_mov_b64 s[28:29], -1
                                        ; implicit-def: $vgpr7
	s_branch .LBB55_594
.LBB55_590:
	s_or_saveexec_b64 s[28:29], s[28:29]
	v_mov_b32_e32 v8, s15
	s_xor_b64 exec, exec, s[28:29]
	s_cbranch_execz .LBB55_571
.LBB55_591:
	v_cmp_ne_u16_e32 vcc, 0, v7
	s_andn2_b64 s[0:1], s[0:1], exec
	s_and_b64 s[34:35], vcc, exec
	v_mov_b32_e32 v8, 0
	s_or_b64 s[0:1], s[0:1], s[34:35]
	s_or_b64 exec, exec, s[28:29]
	s_and_saveexec_b64 s[28:29], s[0:1]
	s_cbranch_execnz .LBB55_572
	s_branch .LBB55_573
.LBB55_592:
	s_mov_b64 s[26:27], -1
                                        ; implicit-def: $vgpr7
.LBB55_593:
	s_mov_b64 s[28:29], 0
.LBB55_594:
	s_and_b64 vcc, exec, s[28:29]
	s_cbranch_vccz .LBB55_598
; %bb.595:
	s_waitcnt vmcnt(0)
	v_mov_b32_e32 v7, 11
	v_cmp_eq_u16_sdwa s[26:27], v4, v7 src0_sel:BYTE_0 src1_sel:DWORD
	s_and_b64 vcc, exec, s[26:27]
	s_cbranch_vccz .LBB55_597
; %bb.596:
	global_load_ubyte v7, v[0:1], off
	s_mov_b64 s[0:1], -1
	s_mov_b64 s[26:27], 0
	s_waitcnt vmcnt(0)
	v_cmp_ne_u16_e32 vcc, 0, v7
	v_cndmask_b32_e64 v7, 0, 1.0, vcc
	v_lshrrev_b32_e32 v7, 16, v7
	s_branch .LBB55_598
.LBB55_597:
	s_mov_b64 s[26:27], -1
                                        ; implicit-def: $vgpr7
.LBB55_598:
	s_mov_b64 s[28:29], 0
.LBB55_599:
	s_and_b64 vcc, exec, s[28:29]
	s_cbranch_vccz .LBB55_648
; %bb.600:
	s_waitcnt vmcnt(0)
	v_mov_b32_e32 v7, 5
	v_cmp_lt_i16_sdwa s[0:1], v4, v7 src0_sel:BYTE_0 src1_sel:DWORD
	s_and_b64 vcc, exec, s[0:1]
	s_cbranch_vccnz .LBB55_605
; %bb.601:
	v_mov_b32_e32 v7, 8
	v_cmp_lt_i16_sdwa s[0:1], v4, v7 src0_sel:BYTE_0 src1_sel:DWORD
	s_and_b64 vcc, exec, s[0:1]
	s_cbranch_vccnz .LBB55_606
; %bb.602:
	;; [unrolled: 5-line block ×3, first 2 shown]
	v_cmp_gt_i16_sdwa s[0:1], v4, v7 src0_sel:BYTE_0 src1_sel:DWORD
	s_and_b64 vcc, exec, s[0:1]
	s_cbranch_vccz .LBB55_608
; %bb.604:
	global_load_dwordx2 v[8:9], v[0:1], off
	s_movk_i32 s0, 0x7fff
	v_mov_b32_e32 v7, 0x7fc0
	s_waitcnt vmcnt(0)
	v_cvt_f32_f64_e32 v8, v[8:9]
	v_bfe_u32 v9, v8, 16, 1
	v_add3_u32 v9, v8, v9, s0
	v_lshrrev_b32_e32 v9, 16, v9
	v_cmp_o_f32_e32 vcc, v8, v8
	v_cndmask_b32_e32 v7, v7, v9, vcc
	s_mov_b64 s[0:1], 0
	s_branch .LBB55_609
.LBB55_605:
	s_mov_b64 s[0:1], -1
                                        ; implicit-def: $vgpr7
	s_branch .LBB55_627
.LBB55_606:
	s_mov_b64 s[0:1], -1
                                        ; implicit-def: $vgpr7
	s_branch .LBB55_615
.LBB55_607:
	s_mov_b64 s[0:1], -1
                                        ; implicit-def: $vgpr7
	s_branch .LBB55_612
.LBB55_608:
	s_mov_b64 s[0:1], -1
                                        ; implicit-def: $vgpr7
.LBB55_609:
	s_andn2_b64 vcc, exec, s[0:1]
	s_cbranch_vccnz .LBB55_611
; %bb.610:
	global_load_dword v7, v[0:1], off
	s_movk_i32 s0, 0x7fff
	v_mov_b32_e32 v8, 0x7fc0
	s_waitcnt vmcnt(0)
	v_bfe_u32 v9, v7, 16, 1
	v_add3_u32 v9, v7, v9, s0
	v_lshrrev_b32_e32 v9, 16, v9
	v_cmp_o_f32_e32 vcc, v7, v7
	v_cndmask_b32_e32 v7, v8, v9, vcc
.LBB55_611:
	s_mov_b64 s[0:1], 0
.LBB55_612:
	s_andn2_b64 vcc, exec, s[0:1]
	s_cbranch_vccnz .LBB55_614
; %bb.613:
	global_load_dword v7, v[0:1], off
	s_movk_i32 s0, 0x7fff
	v_mov_b32_e32 v9, 0x7fc0
	s_waitcnt vmcnt(0)
	v_cvt_f32_f16_e32 v8, v7
	v_cmp_o_f16_e32 vcc, v7, v7
	v_bfe_u32 v10, v8, 16, 1
	v_add3_u32 v8, v8, v10, s0
	v_lshrrev_b32_e32 v8, 16, v8
	v_cndmask_b32_e32 v7, v9, v8, vcc
.LBB55_614:
	s_mov_b64 s[0:1], 0
.LBB55_615:
	s_andn2_b64 vcc, exec, s[0:1]
	s_cbranch_vccnz .LBB55_626
; %bb.616:
	v_mov_b32_e32 v7, 6
	v_cmp_lt_i16_sdwa s[0:1], v4, v7 src0_sel:BYTE_0 src1_sel:DWORD
	s_and_b64 vcc, exec, s[0:1]
	s_cbranch_vccnz .LBB55_619
; %bb.617:
	v_cmp_gt_i16_sdwa s[0:1], v4, v7 src0_sel:BYTE_0 src1_sel:DWORD
	s_and_b64 vcc, exec, s[0:1]
	s_cbranch_vccz .LBB55_620
; %bb.618:
	global_load_dwordx2 v[8:9], v[0:1], off
	s_movk_i32 s0, 0x7fff
	v_mov_b32_e32 v7, 0x7fc0
	s_waitcnt vmcnt(0)
	v_cvt_f32_f64_e32 v8, v[8:9]
	v_bfe_u32 v9, v8, 16, 1
	v_add3_u32 v9, v8, v9, s0
	v_lshrrev_b32_e32 v9, 16, v9
	v_cmp_o_f32_e32 vcc, v8, v8
	v_cndmask_b32_e32 v7, v7, v9, vcc
	s_mov_b64 s[0:1], 0
	s_branch .LBB55_621
.LBB55_619:
	s_mov_b64 s[0:1], -1
                                        ; implicit-def: $vgpr7
	s_branch .LBB55_624
.LBB55_620:
	s_mov_b64 s[0:1], -1
                                        ; implicit-def: $vgpr7
.LBB55_621:
	s_andn2_b64 vcc, exec, s[0:1]
	s_cbranch_vccnz .LBB55_623
; %bb.622:
	global_load_dword v7, v[0:1], off
	s_movk_i32 s0, 0x7fff
	v_mov_b32_e32 v8, 0x7fc0
	s_waitcnt vmcnt(0)
	v_bfe_u32 v9, v7, 16, 1
	v_add3_u32 v9, v7, v9, s0
	v_lshrrev_b32_e32 v9, 16, v9
	v_cmp_o_f32_e32 vcc, v7, v7
	v_cndmask_b32_e32 v7, v8, v9, vcc
.LBB55_623:
	s_mov_b64 s[0:1], 0
.LBB55_624:
	s_andn2_b64 vcc, exec, s[0:1]
	s_cbranch_vccnz .LBB55_626
; %bb.625:
	global_load_ushort v7, v[0:1], off
	s_movk_i32 s0, 0x7fff
	v_mov_b32_e32 v9, 0x7fc0
	s_waitcnt vmcnt(0)
	v_cvt_f32_f16_e32 v8, v7
	v_cmp_o_f16_e32 vcc, v7, v7
	v_bfe_u32 v10, v8, 16, 1
	v_add3_u32 v8, v8, v10, s0
	v_lshrrev_b32_e32 v8, 16, v8
	v_cndmask_b32_e32 v7, v9, v8, vcc
.LBB55_626:
	s_mov_b64 s[0:1], 0
.LBB55_627:
	s_andn2_b64 vcc, exec, s[0:1]
	s_cbranch_vccnz .LBB55_647
; %bb.628:
	v_mov_b32_e32 v7, 2
	v_cmp_lt_i16_sdwa s[0:1], v4, v7 src0_sel:BYTE_0 src1_sel:DWORD
	s_and_b64 vcc, exec, s[0:1]
	s_cbranch_vccnz .LBB55_632
; %bb.629:
	v_mov_b32_e32 v7, 3
	v_cmp_lt_i16_sdwa s[0:1], v4, v7 src0_sel:BYTE_0 src1_sel:DWORD
	s_and_b64 vcc, exec, s[0:1]
	s_cbranch_vccnz .LBB55_633
; %bb.630:
	v_cmp_gt_i16_sdwa s[0:1], v4, v7 src0_sel:BYTE_0 src1_sel:DWORD
	s_and_b64 vcc, exec, s[0:1]
	s_cbranch_vccz .LBB55_634
; %bb.631:
	global_load_dwordx2 v[8:9], v[0:1], off
	s_movk_i32 s0, 0x7fff
	s_waitcnt vmcnt(0)
	v_xor_b32_e32 v10, v8, v9
	v_ffbh_i32_e32 v7, v9
	v_ashrrev_i32_e32 v10, 31, v10
	v_add_u32_e32 v7, -1, v7
	v_add_u32_e32 v10, 32, v10
	v_min_u32_e32 v7, v7, v10
	v_lshlrev_b64 v[8:9], v7, v[8:9]
	v_min_u32_e32 v8, 1, v8
	v_or_b32_e32 v8, v9, v8
	v_cvt_f32_i32_e32 v8, v8
	v_sub_u32_e32 v7, 32, v7
	v_ldexp_f32 v7, v8, v7
	v_bfe_u32 v8, v7, 16, 1
	v_add3_u32 v7, v7, v8, s0
	v_lshrrev_b32_e32 v7, 16, v7
	s_mov_b64 s[0:1], 0
	s_branch .LBB55_635
.LBB55_632:
	s_mov_b64 s[0:1], -1
                                        ; implicit-def: $vgpr7
	s_branch .LBB55_641
.LBB55_633:
	s_mov_b64 s[0:1], -1
                                        ; implicit-def: $vgpr7
	s_branch .LBB55_638
.LBB55_634:
	s_mov_b64 s[0:1], -1
                                        ; implicit-def: $vgpr7
.LBB55_635:
	s_andn2_b64 vcc, exec, s[0:1]
	s_cbranch_vccnz .LBB55_637
; %bb.636:
	global_load_dword v7, v[0:1], off
	s_movk_i32 s0, 0x7fff
	s_waitcnt vmcnt(0)
	v_cvt_f32_i32_e32 v7, v7
	v_bfe_u32 v8, v7, 16, 1
	v_add3_u32 v7, v7, v8, s0
	v_lshrrev_b32_e32 v7, 16, v7
.LBB55_637:
	s_mov_b64 s[0:1], 0
.LBB55_638:
	s_andn2_b64 vcc, exec, s[0:1]
	s_cbranch_vccnz .LBB55_640
; %bb.639:
	global_load_sshort v7, v[0:1], off
	s_movk_i32 s0, 0x7fff
	s_waitcnt vmcnt(0)
	v_cvt_f32_i32_e32 v7, v7
	v_bfe_u32 v8, v7, 16, 1
	v_add3_u32 v7, v7, v8, s0
	v_lshrrev_b32_e32 v7, 16, v7
.LBB55_640:
	s_mov_b64 s[0:1], 0
.LBB55_641:
	s_andn2_b64 vcc, exec, s[0:1]
	s_cbranch_vccnz .LBB55_647
; %bb.642:
	v_mov_b32_e32 v7, 0
	v_cmp_gt_i16_sdwa s[0:1], v4, v7 src0_sel:BYTE_0 src1_sel:DWORD
	s_and_b64 vcc, exec, s[0:1]
	s_cbranch_vccz .LBB55_644
; %bb.643:
	global_load_sbyte v7, v[0:1], off
	s_movk_i32 s0, 0x7fff
	s_waitcnt vmcnt(0)
	v_cvt_f32_i32_e32 v7, v7
	v_bfe_u32 v8, v7, 16, 1
	v_add3_u32 v7, v7, v8, s0
	v_lshrrev_b32_e32 v7, 16, v7
	s_mov_b64 s[0:1], 0
	s_branch .LBB55_645
.LBB55_644:
	s_mov_b64 s[0:1], -1
                                        ; implicit-def: $vgpr7
.LBB55_645:
	s_andn2_b64 vcc, exec, s[0:1]
	s_cbranch_vccnz .LBB55_647
; %bb.646:
	global_load_ubyte v0, v[0:1], off
	s_movk_i32 s0, 0x7fff
	s_waitcnt vmcnt(0)
	v_cvt_f32_ubyte0_e32 v0, v0
	v_bfe_u32 v1, v0, 16, 1
	v_add3_u32 v0, v0, v1, s0
	v_lshrrev_b32_e32 v7, 16, v0
.LBB55_647:
	s_mov_b64 s[0:1], -1
.LBB55_648:
	s_andn2_b64 vcc, exec, s[0:1]
	s_cbranch_vccnz .LBB55_656
; %bb.649:
	s_waitcnt vmcnt(0)
	v_lshlrev_b32_e32 v0, 16, v6
	v_lshlrev_b32_e32 v1, 16, v7
	v_div_scale_f32 v6, s[0:1], v1, v1, v0
	v_rcp_f32_e32 v7, v6
	s_movk_i32 s0, 0x7fff
	v_fma_f32 v8, -v6, v7, 1.0
	v_fmac_f32_e32 v7, v8, v7
	v_div_scale_f32 v8, vcc, v0, v1, v0
	v_mul_f32_e32 v9, v8, v7
	v_fma_f32 v10, -v6, v9, v8
	v_fmac_f32_e32 v9, v10, v7
	v_fma_f32 v6, -v6, v9, v8
	v_div_fmas_f32 v6, v6, v7, v9
	v_div_fixup_f32 v0, v6, v1, v0
	v_bfe_u32 v1, v0, 16, 1
	v_add3_u32 v1, v0, v1, s0
	v_lshrrev_b32_e32 v1, 16, v1
	v_mov_b32_e32 v6, 0x7fc0
	v_cmp_o_f32_e32 vcc, v0, v0
	v_cndmask_b32_e32 v0, v6, v1, vcc
	v_lshlrev_b32_e32 v1, 16, v0
	s_mov_b32 s0, 0x800000
	v_mov_b32_e32 v6, 0x80
	v_cmp_ngt_f32_e32 vcc, s0, v1
	v_cndmask_b32_e32 v0, v6, v0, vcc
	v_lshlrev_b32_e32 v1, 16, v0
	s_mov_b32 s0, 0x3f7e0000
	v_mov_b32_e32 v6, 0x3f7e
	v_cmp_nlt_f32_e32 vcc, s0, v1
	v_cndmask_b32_e32 v6, v6, v0, vcc
	v_mul_lo_u32 v0, v3, s12
	v_ashrrev_i32_e32 v1, 31, v0
	v_mov_b32_e32 v7, s9
	v_add_co_u32_e32 v0, vcc, s8, v0
	v_addc_co_u32_e32 v1, vcc, v7, v1, vcc
	v_mov_b32_e32 v7, 11
	v_cmp_lt_i16_sdwa s[0:1], v2, v7 src0_sel:BYTE_0 src1_sel:DWORD
	s_and_b64 vcc, exec, s[0:1]
	s_cbranch_vccnz .LBB55_657
; %bb.650:
	v_mov_b32_e32 v7, 25
	v_cmp_gt_i16_sdwa s[0:1], v2, v7 src0_sel:BYTE_0 src1_sel:DWORD
	s_and_b64 vcc, exec, s[0:1]
	s_cbranch_vccz .LBB55_658
; %bb.651:
	v_mov_b32_e32 v7, 28
	v_cmp_gt_i16_sdwa s[0:1], v2, v7 src0_sel:BYTE_0 src1_sel:DWORD
	s_and_b64 vcc, exec, s[0:1]
	s_cbranch_vccz .LBB55_659
	;; [unrolled: 5-line block ×4, first 2 shown]
; %bb.654:
	v_mov_b32_e32 v7, 46
	v_cmp_eq_u16_sdwa s[28:29], v2, v7 src0_sel:BYTE_0 src1_sel:DWORD
	s_mov_b64 s[34:35], 0
	s_mov_b64 s[0:1], -1
	s_and_b64 vcc, exec, s[28:29]
	s_mov_b64 s[28:29], 0
	s_cbranch_vccz .LBB55_662
; %bb.655:
	v_and_b32_e32 v7, 0xffff, v6
	global_store_dword v[0:1], v7, off
	s_mov_b64 s[28:29], -1
	s_mov_b64 s[0:1], 0
	s_branch .LBB55_662
.LBB55_656:
	s_mov_b64 s[34:35], 0
                                        ; implicit-def: $vgpr3
	s_mov_b64 s[0:1], s[6:7]
	s_branch .LBB55_772
.LBB55_657:
	s_mov_b64 s[34:35], -1
	s_mov_b64 s[28:29], 0
	s_mov_b64 s[0:1], s[6:7]
	s_branch .LBB55_731
.LBB55_658:
	s_mov_b64 s[34:35], -1
	s_mov_b64 s[28:29], 0
	s_mov_b64 s[0:1], s[6:7]
	s_branch .LBB55_689
.LBB55_659:
	s_mov_b64 s[34:35], -1
	s_mov_b64 s[28:29], 0
	s_mov_b64 s[0:1], s[6:7]
	s_branch .LBB55_672
.LBB55_660:
	s_mov_b64 s[34:35], -1
	s_mov_b64 s[28:29], 0
	s_mov_b64 s[0:1], s[6:7]
	s_branch .LBB55_668
.LBB55_661:
	s_mov_b64 s[34:35], -1
	s_mov_b64 s[28:29], 0
	s_mov_b64 s[0:1], s[6:7]
.LBB55_662:
	s_and_b64 vcc, exec, s[34:35]
	s_cbranch_vccz .LBB55_667
; %bb.663:
	v_mov_b32_e32 v7, 44
	v_cmp_eq_u16_sdwa s[34:35], v2, v7 src0_sel:BYTE_0 src1_sel:DWORD
	s_mov_b64 s[0:1], -1
	s_and_b64 vcc, exec, s[34:35]
	s_cbranch_vccz .LBB55_667
; %bb.664:
	v_and_b32_e32 v8, 0xffff, v6
	v_bfe_u32 v7, v8, 7, 8
	s_movk_i32 s0, 0xff
	v_cmp_ne_u32_e32 vcc, s0, v7
	v_mov_b32_e32 v9, 0xff
	s_and_saveexec_b64 s[28:29], vcc
; %bb.665:
	v_lshlrev_b32_e32 v10, 16, v8
	s_mov_b32 s0, 0x3f0000
	v_lshrrev_b32_e32 v9, 7, v8
	v_and_b32_e32 v8, 64, v8
	v_and_or_b32 v7, v10, s0, v7
	v_cmp_ne_u32_e32 vcc, 0, v8
	v_cmp_ne_u32_e64 s[0:1], 0, v7
	s_and_b64 s[0:1], vcc, s[0:1]
	v_cndmask_b32_e64 v7, 0, 1, s[0:1]
	v_add_u32_e32 v9, v9, v7
; %bb.666:
	s_or_b64 exec, exec, s[28:29]
	s_mov_b64 s[28:29], -1
	s_mov_b64 s[0:1], 0
	global_store_byte v[0:1], v9, off
.LBB55_667:
	s_mov_b64 s[34:35], 0
.LBB55_668:
	s_and_b64 vcc, exec, s[34:35]
	s_cbranch_vccz .LBB55_671
; %bb.669:
	v_mov_b32_e32 v7, 29
	v_cmp_eq_u16_sdwa s[34:35], v2, v7 src0_sel:BYTE_0 src1_sel:DWORD
	s_mov_b64 s[0:1], -1
	s_and_b64 vcc, exec, s[34:35]
	s_cbranch_vccz .LBB55_671
; %bb.670:
	v_lshlrev_b32_e32 v7, 16, v6
	v_trunc_f32_e32 v7, v7
	v_mul_f32_e32 v8, 0x2f800000, v7
	v_floor_f32_e32 v8, v8
	v_fmac_f32_e32 v7, 0xcf800000, v8
	v_cvt_u32_f32_e32 v9, v8
	v_cvt_u32_f32_e32 v8, v7
	s_mov_b64 s[28:29], -1
	s_mov_b64 s[0:1], 0
	s_mov_b64 s[34:35], 0
	global_store_dwordx2 v[0:1], v[8:9], off
	s_branch .LBB55_672
.LBB55_671:
	s_mov_b64 s[34:35], 0
.LBB55_672:
	s_and_b64 vcc, exec, s[34:35]
	s_cbranch_vccz .LBB55_688
; %bb.673:
	v_mov_b32_e32 v7, 27
	v_cmp_lt_i16_sdwa s[34:35], v2, v7 src0_sel:BYTE_0 src1_sel:DWORD
	s_mov_b64 s[28:29], -1
	s_and_b64 vcc, exec, s[34:35]
	s_cbranch_vccnz .LBB55_679
; %bb.674:
	v_cmp_gt_i16_sdwa s[34:35], v2, v7 src0_sel:BYTE_0 src1_sel:DWORD
	s_and_b64 vcc, exec, s[34:35]
	s_cbranch_vccz .LBB55_676
; %bb.675:
	v_lshlrev_b32_e32 v7, 16, v6
	v_cvt_u32_f32_e32 v7, v7
	s_mov_b64 s[28:29], 0
	global_store_dword v[0:1], v7, off
.LBB55_676:
	s_andn2_b64 vcc, exec, s[28:29]
	s_cbranch_vccnz .LBB55_678
; %bb.677:
	v_lshlrev_b32_e32 v7, 16, v6
	v_cvt_u32_f32_e32 v7, v7
	global_store_short v[0:1], v7, off
.LBB55_678:
	s_mov_b64 s[28:29], 0
.LBB55_679:
	s_andn2_b64 vcc, exec, s[28:29]
	s_cbranch_vccnz .LBB55_687
; %bb.680:
	v_lshlrev_b32_e32 v9, 16, v6
	v_and_b32_e32 v8, 0x7fffffff, v9
	s_mov_b32 s15, 0x43800000
	v_cmp_gt_u32_e32 vcc, s15, v8
	v_mov_b32_e32 v10, 0x80
	s_and_saveexec_b64 s[28:29], vcc
	s_cbranch_execz .LBB55_686
; %bb.681:
	s_mov_b32 s15, 0x3bffffff
	v_and_b32_e32 v7, 0xffff, v6
	v_cmp_lt_u32_e32 vcc, s15, v8
	s_mov_b64 s[34:35], 0
                                        ; implicit-def: $vgpr8
	s_and_saveexec_b64 s[36:37], vcc
	s_xor_b64 s[36:37], exec, s[36:37]
	s_cbranch_execz .LBB55_788
; %bb.682:
	v_bfe_u32 v8, v7, 4, 1
	s_mov_b32 s15, 0x487ffff
	v_add3_u32 v8, v9, v8, s15
	s_mov_b64 s[34:35], exec
	v_lshrrev_b32_e32 v8, 20, v8
                                        ; implicit-def: $vgpr9
	s_or_saveexec_b64 s[36:37], s[36:37]
                                        ; implicit-def: $sgpr15
	s_xor_b64 exec, exec, s[36:37]
	s_cbranch_execnz .LBB55_789
.LBB55_683:
	s_or_b64 exec, exec, s[36:37]
	v_mov_b32_e32 v10, s15
	s_and_saveexec_b64 s[36:37], s[34:35]
.LBB55_684:
	v_lshrrev_b32_e32 v7, 8, v7
	s_movk_i32 s15, 0x80
	v_and_or_b32 v10, v7, s15, v8
.LBB55_685:
	s_or_b64 exec, exec, s[36:37]
.LBB55_686:
	s_or_b64 exec, exec, s[28:29]
	global_store_byte v[0:1], v10, off
.LBB55_687:
	s_mov_b64 s[28:29], -1
.LBB55_688:
	s_mov_b64 s[34:35], 0
.LBB55_689:
	s_and_b64 vcc, exec, s[34:35]
	s_cbranch_vccz .LBB55_730
; %bb.690:
	v_mov_b32_e32 v7, 22
	v_cmp_gt_i16_sdwa s[36:37], v2, v7 src0_sel:BYTE_0 src1_sel:DWORD
	s_mov_b64 s[34:35], -1
	s_and_b64 vcc, exec, s[36:37]
	s_cbranch_vccz .LBB55_722
; %bb.691:
	v_mov_b32_e32 v7, 24
	v_cmp_lt_i16_sdwa s[34:35], v2, v7 src0_sel:BYTE_0 src1_sel:DWORD
	s_mov_b64 s[28:29], -1
	s_and_b64 vcc, exec, s[34:35]
	s_cbranch_vccnz .LBB55_711
; %bb.692:
	v_cmp_gt_i16_sdwa s[34:35], v2, v7 src0_sel:BYTE_0 src1_sel:DWORD
	s_and_b64 vcc, exec, s[34:35]
	s_cbranch_vccz .LBB55_700
; %bb.693:
	v_lshlrev_b32_e32 v9, 16, v6
	v_and_b32_e32 v8, 0x7fffffff, v9
	s_mov_b32 s15, 0x47800000
	v_cmp_gt_u32_e32 vcc, s15, v8
	v_mov_b32_e32 v10, 0x80
	s_and_saveexec_b64 s[28:29], vcc
	s_cbranch_execz .LBB55_699
; %bb.694:
	s_mov_b32 s15, 0x37ffffff
	v_and_b32_e32 v7, 0xffff, v6
	v_cmp_lt_u32_e32 vcc, s15, v8
	s_mov_b64 s[34:35], 0
                                        ; implicit-def: $vgpr8
	s_and_saveexec_b64 s[36:37], vcc
	s_xor_b64 s[36:37], exec, s[36:37]
	s_cbranch_execz .LBB55_920
; %bb.695:
	v_bfe_u32 v8, v7, 5, 1
	s_mov_b32 s15, 0x88fffff
	v_add3_u32 v8, v9, v8, s15
	s_mov_b64 s[34:35], exec
	v_lshrrev_b32_e32 v8, 21, v8
                                        ; implicit-def: $vgpr9
	s_or_saveexec_b64 s[36:37], s[36:37]
                                        ; implicit-def: $sgpr15
	s_xor_b64 exec, exec, s[36:37]
	s_cbranch_execnz .LBB55_921
.LBB55_696:
	s_or_b64 exec, exec, s[36:37]
	v_mov_b32_e32 v10, s15
	s_and_saveexec_b64 s[36:37], s[34:35]
.LBB55_697:
	v_lshrrev_b32_e32 v7, 8, v7
	s_movk_i32 s15, 0x80
	v_and_or_b32 v10, v7, s15, v8
.LBB55_698:
	s_or_b64 exec, exec, s[36:37]
.LBB55_699:
	s_or_b64 exec, exec, s[28:29]
	s_mov_b64 s[28:29], 0
	global_store_byte v[0:1], v10, off
.LBB55_700:
	s_and_b64 vcc, exec, s[28:29]
	s_cbranch_vccz .LBB55_710
; %bb.701:
	v_lshlrev_b32_e32 v9, 16, v6
	v_and_b32_e32 v10, 0x7fffffff, v9
	s_mov_b32 s15, 0x43f00000
	v_and_b32_e32 v7, 0xffff, v6
	v_cmp_gt_u32_e32 vcc, s15, v10
                                        ; implicit-def: $vgpr8
	s_and_saveexec_b64 s[28:29], vcc
	s_xor_b64 s[28:29], exec, s[28:29]
	s_cbranch_execz .LBB55_707
; %bb.702:
	s_mov_b32 s15, 0x3c7fffff
	v_cmp_lt_u32_e32 vcc, s15, v10
                                        ; implicit-def: $vgpr8
	s_and_saveexec_b64 s[34:35], vcc
	s_xor_b64 s[34:35], exec, s[34:35]
; %bb.703:
	v_bfe_u32 v8, v7, 4, 1
	s_mov_b32 s15, 0x407ffff
	v_add3_u32 v8, v9, v8, s15
	v_lshrrev_b32_e32 v9, 20, v8
	v_and_b32_e32 v8, 0xff00000, v8
	s_mov_b32 s15, 0x7f00000
	v_mov_b32_e32 v10, 0x7e
	v_cmp_ne_u32_e32 vcc, s15, v8
	v_cndmask_b32_e32 v8, v10, v9, vcc
                                        ; implicit-def: $vgpr9
; %bb.704:
	s_andn2_saveexec_b64 s[34:35], s[34:35]
; %bb.705:
	s_mov_b32 s15, 0x46800000
	v_add_f32_e64 v8, |v9|, s15
; %bb.706:
	s_or_b64 exec, exec, s[34:35]
                                        ; implicit-def: $vgpr10
.LBB55_707:
	s_andn2_saveexec_b64 s[28:29], s[28:29]
; %bb.708:
	s_mov_b32 s15, 0x7f800000
	v_mov_b32_e32 v8, 0x7e
	v_mov_b32_e32 v9, 0x7f
	v_cmp_lt_u32_e32 vcc, s15, v10
	v_cndmask_b32_e32 v8, v8, v9, vcc
; %bb.709:
	s_or_b64 exec, exec, s[28:29]
	v_lshrrev_b32_e32 v7, 8, v7
	s_movk_i32 s15, 0x80
	v_and_or_b32 v7, v7, s15, v8
	global_store_byte v[0:1], v7, off
.LBB55_710:
	s_mov_b64 s[28:29], 0
.LBB55_711:
	s_andn2_b64 vcc, exec, s[28:29]
	s_cbranch_vccnz .LBB55_721
; %bb.712:
	v_lshlrev_b32_e32 v9, 16, v6
	v_and_b32_e32 v10, 0x7fffffff, v9
	s_mov_b32 s15, 0x47800000
	v_and_b32_e32 v7, 0xffff, v6
	v_cmp_gt_u32_e32 vcc, s15, v10
                                        ; implicit-def: $vgpr8
	s_and_saveexec_b64 s[28:29], vcc
	s_xor_b64 s[28:29], exec, s[28:29]
	s_cbranch_execz .LBB55_718
; %bb.713:
	s_mov_b32 s15, 0x387fffff
	v_cmp_lt_u32_e32 vcc, s15, v10
                                        ; implicit-def: $vgpr8
	s_and_saveexec_b64 s[34:35], vcc
	s_xor_b64 s[34:35], exec, s[34:35]
; %bb.714:
	v_bfe_u32 v8, v7, 5, 1
	s_mov_b32 s15, 0x80fffff
	v_add3_u32 v8, v9, v8, s15
	v_lshrrev_b32_e32 v8, 21, v8
                                        ; implicit-def: $vgpr9
; %bb.715:
	s_andn2_saveexec_b64 s[34:35], s[34:35]
; %bb.716:
	s_mov_b32 s15, 0x43000000
	v_add_f32_e64 v8, |v9|, s15
; %bb.717:
	s_or_b64 exec, exec, s[34:35]
                                        ; implicit-def: $vgpr10
.LBB55_718:
	s_andn2_saveexec_b64 s[28:29], s[28:29]
; %bb.719:
	s_mov_b32 s15, 0x7f800000
	v_mov_b32_e32 v8, 0x7c
	v_mov_b32_e32 v9, 0x7f
	v_cmp_lt_u32_e32 vcc, s15, v10
	v_cndmask_b32_e32 v8, v8, v9, vcc
; %bb.720:
	s_or_b64 exec, exec, s[28:29]
	v_lshrrev_b32_e32 v7, 8, v7
	s_movk_i32 s15, 0x80
	v_and_or_b32 v7, v7, s15, v8
	global_store_byte v[0:1], v7, off
.LBB55_721:
	s_mov_b64 s[34:35], 0
	s_mov_b64 s[28:29], -1
.LBB55_722:
	s_andn2_b64 vcc, exec, s[34:35]
	s_cbranch_vccnz .LBB55_730
; %bb.723:
	v_mov_b32_e32 v7, 14
	v_cmp_gt_i16_sdwa s[36:37], v2, v7 src0_sel:BYTE_0 src1_sel:DWORD
	s_mov_b64 s[34:35], -1
	s_and_b64 vcc, exec, s[36:37]
	s_cbranch_vccz .LBB55_727
; %bb.724:
	v_mov_b32_e32 v7, 15
	v_cmp_eq_u16_sdwa s[34:35], v2, v7 src0_sel:BYTE_0 src1_sel:DWORD
	s_mov_b64 s[0:1], -1
	s_and_b64 vcc, exec, s[34:35]
	s_cbranch_vccz .LBB55_726
; %bb.725:
	global_store_short v[0:1], v6, off
	s_mov_b64 s[28:29], -1
	s_mov_b64 s[0:1], 0
.LBB55_726:
	s_mov_b64 s[34:35], 0
.LBB55_727:
	s_and_b64 vcc, exec, s[34:35]
	s_cbranch_vccz .LBB55_730
; %bb.728:
	v_mov_b32_e32 v7, 11
	v_cmp_eq_u16_sdwa s[34:35], v2, v7 src0_sel:BYTE_0 src1_sel:DWORD
	s_mov_b64 s[0:1], -1
	s_and_b64 vcc, exec, s[34:35]
	s_cbranch_vccz .LBB55_730
; %bb.729:
	v_and_b32_e32 v7, 0x7fff, v6
	v_cmp_ne_u16_e32 vcc, 0, v7
	v_cndmask_b32_e64 v7, 0, 1, vcc
	s_mov_b64 s[28:29], -1
	s_mov_b64 s[0:1], 0
	global_store_byte v[0:1], v7, off
.LBB55_730:
	s_mov_b64 s[34:35], 0
.LBB55_731:
	s_and_b64 vcc, exec, s[34:35]
	s_cbranch_vccz .LBB55_770
; %bb.732:
	v_mov_b32_e32 v7, 5
	v_cmp_lt_i16_sdwa s[34:35], v2, v7 src0_sel:BYTE_0 src1_sel:DWORD
	s_mov_b64 s[28:29], -1
	s_and_b64 vcc, exec, s[34:35]
	s_cbranch_vccnz .LBB55_753
; %bb.733:
	v_mov_b32_e32 v7, 8
	v_cmp_lt_i16_sdwa s[34:35], v2, v7 src0_sel:BYTE_0 src1_sel:DWORD
	s_and_b64 vcc, exec, s[34:35]
	s_cbranch_vccnz .LBB55_743
; %bb.734:
	v_mov_b32_e32 v7, 9
	v_cmp_lt_i16_sdwa s[34:35], v2, v7 src0_sel:BYTE_0 src1_sel:DWORD
	s_and_b64 vcc, exec, s[34:35]
	s_cbranch_vccnz .LBB55_740
; %bb.735:
	v_cmp_gt_i16_sdwa s[34:35], v2, v7 src0_sel:BYTE_0 src1_sel:DWORD
	s_and_b64 vcc, exec, s[34:35]
	s_cbranch_vccz .LBB55_737
; %bb.736:
	v_lshlrev_b32_e32 v7, 16, v6
	v_mov_b32_e32 v10, 0
	v_cvt_f64_f32_e32 v[8:9], v7
	v_mov_b32_e32 v11, v10
	s_mov_b64 s[28:29], 0
	global_store_dwordx4 v[0:1], v[8:11], off
.LBB55_737:
	s_andn2_b64 vcc, exec, s[28:29]
	s_cbranch_vccnz .LBB55_739
; %bb.738:
	v_lshlrev_b32_e32 v8, 16, v6
	v_mov_b32_e32 v9, 0
	global_store_dwordx2 v[0:1], v[8:9], off
.LBB55_739:
	s_mov_b64 s[28:29], 0
.LBB55_740:
	s_andn2_b64 vcc, exec, s[28:29]
	s_cbranch_vccnz .LBB55_742
; %bb.741:
	v_lshlrev_b32_e32 v7, 16, v6
	v_cvt_f16_f32_e32 v7, v7
	global_store_dword v[0:1], v7, off
.LBB55_742:
	s_mov_b64 s[28:29], 0
.LBB55_743:
	s_andn2_b64 vcc, exec, s[28:29]
	s_cbranch_vccnz .LBB55_752
; %bb.744:
	v_mov_b32_e32 v7, 6
	v_cmp_lt_i16_sdwa s[34:35], v2, v7 src0_sel:BYTE_0 src1_sel:DWORD
	s_mov_b64 s[28:29], -1
	s_and_b64 vcc, exec, s[34:35]
	s_cbranch_vccnz .LBB55_750
; %bb.745:
	v_cmp_gt_i16_sdwa s[34:35], v2, v7 src0_sel:BYTE_0 src1_sel:DWORD
	s_and_b64 vcc, exec, s[34:35]
	s_cbranch_vccz .LBB55_747
; %bb.746:
	v_lshlrev_b32_e32 v7, 16, v6
	v_cvt_f64_f32_e32 v[8:9], v7
	s_mov_b64 s[28:29], 0
	global_store_dwordx2 v[0:1], v[8:9], off
.LBB55_747:
	s_andn2_b64 vcc, exec, s[28:29]
	s_cbranch_vccnz .LBB55_749
; %bb.748:
	v_lshlrev_b32_e32 v7, 16, v6
	global_store_dword v[0:1], v7, off
.LBB55_749:
	s_mov_b64 s[28:29], 0
.LBB55_750:
	s_andn2_b64 vcc, exec, s[28:29]
	s_cbranch_vccnz .LBB55_752
; %bb.751:
	v_lshlrev_b32_e32 v7, 16, v6
	v_cvt_f16_f32_e32 v7, v7
	global_store_short v[0:1], v7, off
.LBB55_752:
	s_mov_b64 s[28:29], 0
.LBB55_753:
	s_andn2_b64 vcc, exec, s[28:29]
	s_cbranch_vccnz .LBB55_769
; %bb.754:
	v_mov_b32_e32 v7, 2
	v_cmp_lt_i16_sdwa s[34:35], v2, v7 src0_sel:BYTE_0 src1_sel:DWORD
	s_mov_b64 s[28:29], -1
	s_and_b64 vcc, exec, s[34:35]
	s_cbranch_vccnz .LBB55_764
; %bb.755:
	v_mov_b32_e32 v7, 3
	v_cmp_lt_i16_sdwa s[34:35], v2, v7 src0_sel:BYTE_0 src1_sel:DWORD
	s_and_b64 vcc, exec, s[34:35]
	s_cbranch_vccnz .LBB55_761
; %bb.756:
	v_cmp_gt_i16_sdwa s[34:35], v2, v7 src0_sel:BYTE_0 src1_sel:DWORD
	s_and_b64 vcc, exec, s[34:35]
	s_cbranch_vccz .LBB55_758
; %bb.757:
	v_lshlrev_b32_e32 v7, 16, v6
	v_trunc_f32_e32 v7, v7
	s_mov_b32 s15, 0x2f800000
	v_mul_f32_e64 v8, |v7|, s15
	v_floor_f32_e32 v8, v8
	s_mov_b32 s15, 0xcf800000
	v_cvt_u32_f32_e32 v9, v8
	v_fma_f32 v8, v8, s15, |v7|
	v_cvt_u32_f32_e32 v8, v8
	v_ashrrev_i32_e32 v7, 31, v7
	v_xor_b32_e32 v9, v9, v7
	s_mov_b64 s[28:29], 0
	v_xor_b32_e32 v8, v8, v7
	v_sub_co_u32_e32 v8, vcc, v8, v7
	v_subb_co_u32_e32 v9, vcc, v9, v7, vcc
	global_store_dwordx2 v[0:1], v[8:9], off
.LBB55_758:
	s_andn2_b64 vcc, exec, s[28:29]
	s_cbranch_vccnz .LBB55_760
; %bb.759:
	v_lshlrev_b32_e32 v7, 16, v6
	v_cvt_i32_f32_e32 v7, v7
	global_store_dword v[0:1], v7, off
.LBB55_760:
	s_mov_b64 s[28:29], 0
.LBB55_761:
	s_andn2_b64 vcc, exec, s[28:29]
	s_cbranch_vccnz .LBB55_763
; %bb.762:
	v_lshlrev_b32_e32 v7, 16, v6
	v_cvt_i32_f32_e32 v7, v7
	global_store_short v[0:1], v7, off
.LBB55_763:
	s_mov_b64 s[28:29], 0
.LBB55_764:
	s_andn2_b64 vcc, exec, s[28:29]
	s_cbranch_vccnz .LBB55_769
; %bb.765:
	v_mov_b32_e32 v7, 0
	v_cmp_gt_i16_sdwa s[34:35], v2, v7 src0_sel:BYTE_0 src1_sel:DWORD
	s_mov_b64 s[28:29], -1
	s_and_b64 vcc, exec, s[34:35]
	v_lshlrev_b32_e32 v6, 16, v6
	s_cbranch_vccz .LBB55_767
; %bb.766:
	v_cvt_i32_f32_e32 v7, v6
	s_mov_b64 s[28:29], 0
	global_store_byte v[0:1], v7, off
.LBB55_767:
	s_andn2_b64 vcc, exec, s[28:29]
	s_cbranch_vccnz .LBB55_769
; %bb.768:
	v_trunc_f32_e32 v6, v6
	s_mov_b32 s15, 0x2f800000
	v_mul_f32_e64 v7, |v6|, s15
	v_floor_f32_e32 v7, v7
	s_mov_b32 s15, 0xcf800000
	v_fma_f32 v7, v7, s15, |v6|
	v_cvt_u32_f32_e32 v7, v7
	v_ashrrev_i32_e32 v6, 31, v6
	v_xor_b32_e32 v7, v7, v6
	v_sub_u32_e32 v6, v7, v6
	global_store_byte v[0:1], v6, off
.LBB55_769:
	s_mov_b64 s[28:29], -1
.LBB55_770:
	s_andn2_b64 vcc, exec, s[28:29]
	s_cbranch_vccnz .LBB55_783
; %bb.771:
	v_add_u32_e32 v3, 0x80, v3
	s_mov_b64 s[34:35], -1
.LBB55_772:
	s_andn2_b64 s[28:29], s[6:7], exec
	s_and_b64 s[0:1], s[0:1], exec
	s_or_b64 s[28:29], s[28:29], s[0:1]
	s_andn2_b64 s[0:1], s[18:19], exec
	s_and_b64 s[26:27], s[26:27], exec
	s_or_b64 s[26:27], s[0:1], s[26:27]
	;; [unrolled: 3-line block ×3, first 2 shown]
	s_orn2_b64 s[0:1], s[34:35], exec
.LBB55_773:
	s_or_b64 exec, exec, s[30:31]
	s_mov_b64 s[34:35], 0
	s_mov_b64 s[36:37], 0
	;; [unrolled: 1-line block ×3, first 2 shown]
                                        ; implicit-def: $vgpr7
                                        ; implicit-def: $vgpr0_vgpr1
                                        ; implicit-def: $vgpr6
	s_and_saveexec_b64 s[30:31], s[0:1]
	s_cbranch_execz .LBB55_1247
; %bb.774:
	v_cmp_gt_i32_e32 vcc, s33, v3
	s_mov_b64 s[46:47], -1
	s_mov_b64 s[0:1], s[24:25]
	s_mov_b64 s[38:39], s[26:27]
	;; [unrolled: 1-line block ×3, first 2 shown]
	s_and_saveexec_b64 s[34:35], vcc
	s_cbranch_execz .LBB55_1162
; %bb.775:
	v_mul_lo_u32 v0, v3, s13
	v_ashrrev_i32_e32 v1, 31, v0
	s_waitcnt vmcnt(0)
	v_mov_b32_e32 v6, s11
	v_add_co_u32_e32 v0, vcc, s10, v0
	v_addc_co_u32_e32 v1, vcc, v6, v1, vcc
	v_mov_b32_e32 v6, 11
	v_cmp_lt_i16_sdwa s[0:1], v5, v6 src0_sel:BYTE_0 src1_sel:DWORD
	s_and_b64 vcc, exec, s[0:1]
	s_cbranch_vccnz .LBB55_782
; %bb.776:
	v_mov_b32_e32 v6, 25
	v_cmp_gt_i16_sdwa s[0:1], v5, v6 src0_sel:BYTE_0 src1_sel:DWORD
	s_and_b64 vcc, exec, s[0:1]
	s_cbranch_vccz .LBB55_784
; %bb.777:
	v_mov_b32_e32 v6, 28
	v_cmp_gt_i16_sdwa s[0:1], v5, v6 src0_sel:BYTE_0 src1_sel:DWORD
	s_and_b64 vcc, exec, s[0:1]
	s_cbranch_vccz .LBB55_785
	;; [unrolled: 5-line block ×4, first 2 shown]
; %bb.780:
	v_mov_b32_e32 v6, 46
	v_cmp_eq_u16_sdwa s[0:1], v5, v6 src0_sel:BYTE_0 src1_sel:DWORD
	s_mov_b64 s[38:39], 0
	s_and_b64 vcc, exec, s[0:1]
	s_cbranch_vccz .LBB55_790
; %bb.781:
	global_load_dword v6, v[0:1], off
	s_mov_b64 s[0:1], -1
	s_branch .LBB55_791
.LBB55_782:
	s_mov_b64 s[38:39], -1
	s_mov_b64 s[0:1], 0
                                        ; implicit-def: $vgpr6
	s_mov_b64 s[36:37], s[24:25]
	s_branch .LBB55_856
.LBB55_783:
	s_mov_b64 s[34:35], 0
	s_branch .LBB55_530
.LBB55_784:
	s_mov_b64 s[38:39], -1
	s_mov_b64 s[0:1], 0
	s_mov_b64 s[36:37], s[24:25]
                                        ; implicit-def: $vgpr6
	s_branch .LBB55_820
.LBB55_785:
	s_mov_b64 s[38:39], -1
	s_mov_b64 s[0:1], 0
	s_mov_b64 s[36:37], s[24:25]
                                        ; implicit-def: $vgpr6
	s_branch .LBB55_801
.LBB55_786:
	s_mov_b64 s[38:39], -1
	s_mov_b64 s[0:1], 0
	s_mov_b64 s[36:37], s[24:25]
                                        ; implicit-def: $vgpr6
	s_branch .LBB55_796
.LBB55_787:
	s_mov_b64 s[38:39], -1
	s_mov_b64 s[0:1], 0
	s_mov_b64 s[36:37], s[24:25]
                                        ; implicit-def: $vgpr6
	s_branch .LBB55_791
.LBB55_788:
	s_or_saveexec_b64 s[36:37], s[36:37]
                                        ; implicit-def: $sgpr15
	s_xor_b64 exec, exec, s[36:37]
	s_cbranch_execz .LBB55_683
.LBB55_789:
	s_mov_b32 s15, 0x46000000
	v_add_f32_e64 v8, |v9|, s15
	v_and_b32_e32 v8, 0xff, v8
	v_cmp_ne_u32_e32 vcc, 0, v8
	s_andn2_b64 s[34:35], s[34:35], exec
	s_and_b64 s[38:39], vcc, exec
	s_mov_b32 s15, 0
	s_or_b64 s[34:35], s[34:35], s[38:39]
	s_or_b64 exec, exec, s[36:37]
	v_mov_b32_e32 v10, s15
	s_and_saveexec_b64 s[36:37], s[34:35]
	s_cbranch_execnz .LBB55_684
	s_branch .LBB55_685
.LBB55_790:
	s_mov_b64 s[36:37], -1
                                        ; implicit-def: $vgpr6
	s_mov_b64 s[0:1], 0
.LBB55_791:
	s_and_b64 vcc, exec, s[38:39]
	s_cbranch_vccz .LBB55_795
; %bb.792:
	s_waitcnt vmcnt(0)
	v_mov_b32_e32 v6, 44
	v_cmp_eq_u16_sdwa s[36:37], v5, v6 src0_sel:BYTE_0 src1_sel:DWORD
	s_and_b64 vcc, exec, s[36:37]
	s_cbranch_vccz .LBB55_794
; %bb.793:
	global_load_ubyte v6, v[0:1], off
	s_movk_i32 s15, 0xff
	v_mov_b32_e32 v7, 0x7f800001
	v_mov_b32_e32 v8, 0x400000
	;; [unrolled: 1-line block ×3, first 2 shown]
	s_mov_b64 s[0:1], -1
	s_mov_b64 s[36:37], 0
	s_waitcnt vmcnt(0)
	v_lshlrev_b32_e32 v10, 23, v6
	v_cmp_ne_u32_e32 vcc, s15, v6
	v_cndmask_b32_e32 v7, v7, v10, vcc
	v_cmp_ne_u32_e32 vcc, 0, v6
	v_cndmask_b32_e32 v6, v8, v7, vcc
	v_add_u32_e32 v7, 0x7fff, v6
	v_lshrrev_b32_e32 v7, 16, v7
	v_cmp_o_f32_e32 vcc, v6, v6
	v_cndmask_b32_e32 v6, v9, v7, vcc
	s_branch .LBB55_795
.LBB55_794:
	s_mov_b64 s[36:37], -1
                                        ; implicit-def: $vgpr6
.LBB55_795:
	s_mov_b64 s[38:39], 0
.LBB55_796:
	s_and_b64 vcc, exec, s[38:39]
	s_cbranch_vccz .LBB55_800
; %bb.797:
	s_waitcnt vmcnt(0)
	v_mov_b32_e32 v6, 29
	v_cmp_eq_u16_sdwa s[36:37], v5, v6 src0_sel:BYTE_0 src1_sel:DWORD
	s_and_b64 vcc, exec, s[36:37]
	s_cbranch_vccz .LBB55_799
; %bb.798:
	global_load_dwordx2 v[6:7], v[0:1], off
	s_movk_i32 s15, 0x7fff
	s_mov_b64 s[0:1], -1
	s_mov_b64 s[36:37], 0
	s_mov_b64 s[38:39], 0
	s_waitcnt vmcnt(0)
	v_ffbh_u32_e32 v8, v7
	v_min_u32_e32 v8, 32, v8
	v_lshlrev_b64 v[6:7], v8, v[6:7]
	v_min_u32_e32 v6, 1, v6
	v_or_b32_e32 v6, v7, v6
	v_cvt_f32_u32_e32 v6, v6
	v_sub_u32_e32 v7, 32, v8
	v_ldexp_f32 v6, v6, v7
	v_bfe_u32 v7, v6, 16, 1
	v_add3_u32 v6, v6, v7, s15
	v_lshrrev_b32_e32 v6, 16, v6
	s_branch .LBB55_801
.LBB55_799:
	s_mov_b64 s[36:37], -1
                                        ; implicit-def: $vgpr6
.LBB55_800:
	s_mov_b64 s[38:39], 0
.LBB55_801:
	s_and_b64 vcc, exec, s[38:39]
	s_cbranch_vccz .LBB55_819
; %bb.802:
	s_waitcnt vmcnt(0)
	v_mov_b32_e32 v6, 27
	v_cmp_lt_i16_sdwa s[0:1], v5, v6 src0_sel:BYTE_0 src1_sel:DWORD
	s_and_b64 vcc, exec, s[0:1]
	s_cbranch_vccnz .LBB55_805
; %bb.803:
	v_cmp_gt_i16_sdwa s[0:1], v5, v6 src0_sel:BYTE_0 src1_sel:DWORD
	s_and_b64 vcc, exec, s[0:1]
	s_cbranch_vccz .LBB55_806
; %bb.804:
	global_load_dword v6, v[0:1], off
	s_movk_i32 s0, 0x7fff
	s_waitcnt vmcnt(0)
	v_cvt_f32_u32_e32 v6, v6
	v_bfe_u32 v7, v6, 16, 1
	v_add3_u32 v6, v6, v7, s0
	v_lshrrev_b32_e32 v6, 16, v6
	s_mov_b64 s[0:1], 0
	s_branch .LBB55_807
.LBB55_805:
	s_mov_b64 s[0:1], -1
                                        ; implicit-def: $vgpr6
	s_branch .LBB55_810
.LBB55_806:
	s_mov_b64 s[0:1], -1
                                        ; implicit-def: $vgpr6
.LBB55_807:
	s_andn2_b64 vcc, exec, s[0:1]
	s_cbranch_vccnz .LBB55_809
; %bb.808:
	global_load_ushort v6, v[0:1], off
	s_movk_i32 s0, 0x7fff
	s_waitcnt vmcnt(0)
	v_cvt_f32_u32_e32 v6, v6
	v_bfe_u32 v7, v6, 16, 1
	v_add3_u32 v6, v6, v7, s0
	v_lshrrev_b32_e32 v6, 16, v6
.LBB55_809:
	s_mov_b64 s[0:1], 0
.LBB55_810:
	s_andn2_b64 vcc, exec, s[0:1]
	s_cbranch_vccnz .LBB55_818
; %bb.811:
	global_load_ubyte v6, v[0:1], off
	s_movk_i32 s0, 0x7f
                                        ; implicit-def: $sgpr15
	s_waitcnt vmcnt(0)
	v_cmp_lt_i16_e32 vcc, s0, v6
	s_mov_b64 s[0:1], 0
	s_and_saveexec_b64 s[38:39], vcc
	s_xor_b64 s[38:39], exec, s[38:39]
	s_cbranch_execz .LBB55_832
; %bb.812:
	s_movk_i32 s0, 0x80
	v_cmp_eq_u16_e32 vcc, s0, v6
	s_mov_b64 s[0:1], -1
                                        ; implicit-def: $sgpr15
	s_and_saveexec_b64 s[40:41], vcc
; %bb.813:
	s_mov_b32 s15, 0x7f800001
	s_xor_b64 s[0:1], exec, -1
; %bb.814:
	s_or_b64 exec, exec, s[40:41]
	s_and_b64 s[0:1], s[0:1], exec
	s_or_saveexec_b64 s[38:39], s[38:39]
	v_mov_b32_e32 v7, s15
	s_xor_b64 exec, exec, s[38:39]
	s_cbranch_execnz .LBB55_833
.LBB55_815:
	s_or_b64 exec, exec, s[38:39]
	s_and_saveexec_b64 s[38:39], s[0:1]
	s_cbranch_execz .LBB55_817
.LBB55_816:
	v_lshlrev_b32_e32 v7, 24, v6
	v_and_b32_e32 v6, 0xffff, v6
	v_and_b32_e32 v8, 7, v6
	v_ffbh_u32_e32 v10, v8
	v_min_u32_e32 v10, 32, v10
	v_subrev_u32_e32 v11, 28, v10
	v_bfe_u32 v9, v6, 3, 4
	v_lshlrev_b32_e32 v6, v11, v6
	v_sub_u32_e32 v10, 29, v10
	v_and_b32_e32 v6, 7, v6
	v_cmp_eq_u32_e32 vcc, 0, v9
	v_cndmask_b32_e32 v9, v9, v10, vcc
	v_cndmask_b32_e32 v6, v8, v6, vcc
	v_mov_b32_e32 v8, 0x3b800000
	v_lshlrev_b32_e32 v6, 20, v6
	v_and_b32_e32 v7, 0x80000000, v7
	v_lshl_add_u32 v8, v9, 23, v8
	v_or3_b32 v7, v7, v8, v6
.LBB55_817:
	s_or_b64 exec, exec, s[38:39]
	v_bfe_u32 v6, v7, 16, 1
	s_movk_i32 s0, 0x7fff
	v_add3_u32 v6, v7, v6, s0
	v_lshrrev_b32_e32 v6, 16, v6
	v_mov_b32_e32 v8, 0x7fc0
	v_cmp_o_f32_e32 vcc, v7, v7
	v_cndmask_b32_e32 v6, v8, v6, vcc
.LBB55_818:
	s_mov_b64 s[0:1], -1
.LBB55_819:
	s_mov_b64 s[38:39], 0
.LBB55_820:
	s_and_b64 vcc, exec, s[38:39]
	s_cbranch_vccz .LBB55_855
; %bb.821:
	s_waitcnt vmcnt(0)
	v_mov_b32_e32 v6, 22
	v_cmp_gt_i16_sdwa s[38:39], v5, v6 src0_sel:BYTE_0 src1_sel:DWORD
	s_and_b64 vcc, exec, s[38:39]
	s_cbranch_vccz .LBB55_831
; %bb.822:
	v_mov_b32_e32 v6, 24
	v_cmp_lt_i16_sdwa s[0:1], v5, v6 src0_sel:BYTE_0 src1_sel:DWORD
	s_and_b64 vcc, exec, s[0:1]
	s_cbranch_vccnz .LBB55_834
; %bb.823:
	v_cmp_gt_i16_sdwa s[0:1], v5, v6 src0_sel:BYTE_0 src1_sel:DWORD
	s_and_b64 vcc, exec, s[0:1]
	s_cbranch_vccz .LBB55_835
; %bb.824:
	global_load_ubyte v6, v[0:1], off
	s_movk_i32 s0, 0x7f
                                        ; implicit-def: $sgpr15
	s_waitcnt vmcnt(0)
	v_cmp_lt_i16_e32 vcc, s0, v6
	s_mov_b64 s[0:1], 0
	s_and_saveexec_b64 s[38:39], vcc
	s_xor_b64 s[38:39], exec, s[38:39]
	s_cbranch_execz .LBB55_847
; %bb.825:
	s_movk_i32 s0, 0x80
	v_cmp_eq_u16_e32 vcc, s0, v6
	s_mov_b64 s[0:1], -1
                                        ; implicit-def: $sgpr15
	s_and_saveexec_b64 s[40:41], vcc
; %bb.826:
	s_mov_b32 s15, 0x7f800001
	s_xor_b64 s[0:1], exec, -1
; %bb.827:
	s_or_b64 exec, exec, s[40:41]
	s_and_b64 s[0:1], s[0:1], exec
	s_or_saveexec_b64 s[38:39], s[38:39]
	v_mov_b32_e32 v7, s15
	s_xor_b64 exec, exec, s[38:39]
	s_cbranch_execnz .LBB55_848
.LBB55_828:
	s_or_b64 exec, exec, s[38:39]
	s_and_saveexec_b64 s[38:39], s[0:1]
	s_cbranch_execz .LBB55_830
.LBB55_829:
	v_lshlrev_b32_e32 v7, 24, v6
	v_and_b32_e32 v6, 0xffff, v6
	v_and_b32_e32 v8, 3, v6
	v_ffbh_u32_e32 v10, v8
	v_min_u32_e32 v10, 32, v10
	v_subrev_u32_e32 v11, 29, v10
	v_bfe_u32 v9, v6, 2, 5
	v_lshlrev_b32_e32 v6, v11, v6
	v_sub_u32_e32 v10, 30, v10
	v_and_b32_e32 v6, 3, v6
	v_cmp_eq_u32_e32 vcc, 0, v9
	v_cndmask_b32_e32 v9, v9, v10, vcc
	v_cndmask_b32_e32 v6, v8, v6, vcc
	v_mov_b32_e32 v8, 0x37800000
	v_lshlrev_b32_e32 v6, 21, v6
	v_and_b32_e32 v7, 0x80000000, v7
	v_lshl_add_u32 v8, v9, 23, v8
	v_or3_b32 v7, v7, v8, v6
.LBB55_830:
	s_or_b64 exec, exec, s[38:39]
	v_bfe_u32 v6, v7, 16, 1
	s_movk_i32 s0, 0x7fff
	v_add3_u32 v6, v7, v6, s0
	v_lshrrev_b32_e32 v6, 16, v6
	v_mov_b32_e32 v8, 0x7fc0
	v_cmp_o_f32_e32 vcc, v7, v7
	v_cndmask_b32_e32 v6, v8, v6, vcc
	s_mov_b64 s[0:1], 0
	s_branch .LBB55_836
.LBB55_831:
	s_mov_b64 s[38:39], -1
                                        ; implicit-def: $vgpr6
	s_branch .LBB55_842
.LBB55_832:
	s_or_saveexec_b64 s[38:39], s[38:39]
	v_mov_b32_e32 v7, s15
	s_xor_b64 exec, exec, s[38:39]
	s_cbranch_execz .LBB55_815
.LBB55_833:
	v_cmp_ne_u16_e32 vcc, 0, v6
	s_andn2_b64 s[0:1], s[0:1], exec
	s_and_b64 s[40:41], vcc, exec
	v_mov_b32_e32 v7, 0
	s_or_b64 s[0:1], s[0:1], s[40:41]
	s_or_b64 exec, exec, s[38:39]
	s_and_saveexec_b64 s[38:39], s[0:1]
	s_cbranch_execnz .LBB55_816
	s_branch .LBB55_817
.LBB55_834:
	s_mov_b64 s[0:1], -1
                                        ; implicit-def: $vgpr6
	s_branch .LBB55_839
.LBB55_835:
	s_mov_b64 s[0:1], -1
                                        ; implicit-def: $vgpr6
.LBB55_836:
	s_and_b64 vcc, exec, s[0:1]
	s_cbranch_vccz .LBB55_838
; %bb.837:
	global_load_ubyte v6, v[0:1], off
	s_mov_b32 s0, 0x7f800000
	s_brev_b32 s1, 1
	s_movk_i32 s15, 0x7fff
	v_mov_b32_e32 v7, 0x7fc0
	s_waitcnt vmcnt(0)
	v_lshlrev_b32_e32 v6, 24, v6
	v_and_b32_e32 v8, 0x7f000000, v6
	v_ffbh_u32_e32 v9, v8
	v_min_u32_e32 v9, 32, v9
	v_sub_u32_e64 v9, v9, 4 clamp
	v_lshlrev_b32_e32 v11, v9, v8
	v_lshlrev_b32_e32 v9, 23, v9
	v_lshrrev_b32_e32 v11, 4, v11
	v_add_u32_e32 v10, 0x1000000, v8
	v_sub_u32_e32 v9, v11, v9
	v_ashrrev_i32_e32 v10, 8, v10
	v_add_u32_e32 v9, 0x3c000000, v9
	v_and_or_b32 v9, v10, s0, v9
	v_cmp_ne_u32_e32 vcc, 0, v8
	v_cndmask_b32_e32 v8, 0, v9, vcc
	v_and_or_b32 v6, v6, s1, v8
	v_bfe_u32 v8, v8, 16, 1
	v_add3_u32 v8, v6, v8, s15
	v_lshrrev_b32_e32 v8, 16, v8
	v_cmp_o_f32_e32 vcc, v6, v6
	v_cndmask_b32_e32 v6, v7, v8, vcc
.LBB55_838:
	s_mov_b64 s[0:1], 0
.LBB55_839:
	s_andn2_b64 vcc, exec, s[0:1]
	s_cbranch_vccnz .LBB55_841
; %bb.840:
	global_load_ubyte v6, v[0:1], off
	s_movk_i32 s0, 0x7f00
	s_brev_b32 s1, 16
	s_brev_b32 s15, 1
	s_movk_i32 s38, 0x7fff
	v_mov_b32_e32 v7, 0x7fc0
	s_waitcnt vmcnt(0)
	v_lshlrev_b16_e32 v8, 8, v6
	v_lshlrev_b32_e32 v6, 25, v6
	v_lshrrev_b32_e32 v9, 4, v6
	v_and_or_b32 v10, v8, s0, 0.5
	v_or_b32_e32 v9, 0x70000000, v9
	v_add_f32_e32 v10, -0.5, v10
	v_mul_f32_e32 v9, 0x7800000, v9
	v_cmp_gt_u32_e32 vcc, s1, v6
	v_bfe_i32 v8, v8, 0, 16
	v_cndmask_b32_e32 v6, v9, v10, vcc
	v_and_or_b32 v8, v8, s15, v6
	v_bfe_u32 v6, v6, 16, 1
	v_add3_u32 v6, v8, v6, s38
	v_lshrrev_b32_e32 v6, 16, v6
	v_cmp_o_f32_e32 vcc, v8, v8
	v_cndmask_b32_e32 v6, v7, v6, vcc
.LBB55_841:
	s_mov_b64 s[38:39], 0
	s_mov_b64 s[0:1], -1
.LBB55_842:
	s_andn2_b64 vcc, exec, s[38:39]
	s_cbranch_vccnz .LBB55_855
; %bb.843:
	v_mov_b32_e32 v6, 14
	v_cmp_gt_i16_sdwa s[38:39], v5, v6 src0_sel:BYTE_0 src1_sel:DWORD
	s_and_b64 vcc, exec, s[38:39]
	s_cbranch_vccz .LBB55_846
; %bb.844:
	v_mov_b32_e32 v6, 15
	v_cmp_eq_u16_sdwa s[36:37], v5, v6 src0_sel:BYTE_0 src1_sel:DWORD
	s_and_b64 vcc, exec, s[36:37]
	s_cbranch_vccz .LBB55_849
; %bb.845:
	global_load_ushort v6, v[0:1], off
	s_mov_b64 s[0:1], -1
	s_mov_b64 s[36:37], 0
	s_branch .LBB55_850
.LBB55_846:
	s_mov_b64 s[38:39], -1
                                        ; implicit-def: $vgpr6
	s_branch .LBB55_851
.LBB55_847:
	s_or_saveexec_b64 s[38:39], s[38:39]
	v_mov_b32_e32 v7, s15
	s_xor_b64 exec, exec, s[38:39]
	s_cbranch_execz .LBB55_828
.LBB55_848:
	v_cmp_ne_u16_e32 vcc, 0, v6
	s_andn2_b64 s[0:1], s[0:1], exec
	s_and_b64 s[40:41], vcc, exec
	v_mov_b32_e32 v7, 0
	s_or_b64 s[0:1], s[0:1], s[40:41]
	s_or_b64 exec, exec, s[38:39]
	s_and_saveexec_b64 s[38:39], s[0:1]
	s_cbranch_execnz .LBB55_829
	s_branch .LBB55_830
.LBB55_849:
	s_mov_b64 s[36:37], -1
                                        ; implicit-def: $vgpr6
.LBB55_850:
	s_mov_b64 s[38:39], 0
.LBB55_851:
	s_and_b64 vcc, exec, s[38:39]
	s_cbranch_vccz .LBB55_855
; %bb.852:
	s_waitcnt vmcnt(0)
	v_mov_b32_e32 v6, 11
	v_cmp_eq_u16_sdwa s[36:37], v5, v6 src0_sel:BYTE_0 src1_sel:DWORD
	s_and_b64 vcc, exec, s[36:37]
	s_cbranch_vccz .LBB55_854
; %bb.853:
	global_load_ubyte v6, v[0:1], off
	s_mov_b64 s[0:1], -1
	s_mov_b64 s[36:37], 0
	s_waitcnt vmcnt(0)
	v_cmp_ne_u16_e32 vcc, 0, v6
	v_cndmask_b32_e64 v6, 0, 1.0, vcc
	v_lshrrev_b32_e32 v6, 16, v6
	s_branch .LBB55_855
.LBB55_854:
	s_mov_b64 s[36:37], -1
                                        ; implicit-def: $vgpr6
.LBB55_855:
	s_mov_b64 s[38:39], 0
.LBB55_856:
	s_and_b64 vcc, exec, s[38:39]
	s_cbranch_vccz .LBB55_905
; %bb.857:
	s_waitcnt vmcnt(0)
	v_mov_b32_e32 v6, 5
	v_cmp_lt_i16_sdwa s[0:1], v5, v6 src0_sel:BYTE_0 src1_sel:DWORD
	s_and_b64 vcc, exec, s[0:1]
	s_cbranch_vccnz .LBB55_862
; %bb.858:
	v_mov_b32_e32 v6, 8
	v_cmp_lt_i16_sdwa s[0:1], v5, v6 src0_sel:BYTE_0 src1_sel:DWORD
	s_and_b64 vcc, exec, s[0:1]
	s_cbranch_vccnz .LBB55_863
; %bb.859:
	;; [unrolled: 5-line block ×3, first 2 shown]
	v_cmp_gt_i16_sdwa s[0:1], v5, v6 src0_sel:BYTE_0 src1_sel:DWORD
	s_and_b64 vcc, exec, s[0:1]
	s_cbranch_vccz .LBB55_865
; %bb.861:
	global_load_dwordx2 v[6:7], v[0:1], off
	s_movk_i32 s0, 0x7fff
	v_mov_b32_e32 v8, 0x7fc0
	s_waitcnt vmcnt(0)
	v_cvt_f32_f64_e32 v6, v[6:7]
	v_bfe_u32 v7, v6, 16, 1
	v_add3_u32 v7, v6, v7, s0
	v_lshrrev_b32_e32 v7, 16, v7
	v_cmp_o_f32_e32 vcc, v6, v6
	v_cndmask_b32_e32 v6, v8, v7, vcc
	s_mov_b64 s[0:1], 0
	s_branch .LBB55_866
.LBB55_862:
	s_mov_b64 s[0:1], -1
                                        ; implicit-def: $vgpr6
	s_branch .LBB55_884
.LBB55_863:
	s_mov_b64 s[0:1], -1
                                        ; implicit-def: $vgpr6
	s_branch .LBB55_872
.LBB55_864:
	s_mov_b64 s[0:1], -1
                                        ; implicit-def: $vgpr6
	s_branch .LBB55_869
.LBB55_865:
	s_mov_b64 s[0:1], -1
                                        ; implicit-def: $vgpr6
.LBB55_866:
	s_andn2_b64 vcc, exec, s[0:1]
	s_cbranch_vccnz .LBB55_868
; %bb.867:
	global_load_dword v6, v[0:1], off
	s_movk_i32 s0, 0x7fff
	v_mov_b32_e32 v7, 0x7fc0
	s_waitcnt vmcnt(0)
	v_bfe_u32 v8, v6, 16, 1
	v_add3_u32 v8, v6, v8, s0
	v_lshrrev_b32_e32 v8, 16, v8
	v_cmp_o_f32_e32 vcc, v6, v6
	v_cndmask_b32_e32 v6, v7, v8, vcc
.LBB55_868:
	s_mov_b64 s[0:1], 0
.LBB55_869:
	s_andn2_b64 vcc, exec, s[0:1]
	s_cbranch_vccnz .LBB55_871
; %bb.870:
	global_load_dword v6, v[0:1], off
	s_movk_i32 s0, 0x7fff
	v_mov_b32_e32 v8, 0x7fc0
	s_waitcnt vmcnt(0)
	v_cvt_f32_f16_e32 v7, v6
	v_cmp_o_f16_e32 vcc, v6, v6
	v_bfe_u32 v9, v7, 16, 1
	v_add3_u32 v7, v7, v9, s0
	v_lshrrev_b32_e32 v7, 16, v7
	v_cndmask_b32_e32 v6, v8, v7, vcc
.LBB55_871:
	s_mov_b64 s[0:1], 0
.LBB55_872:
	s_andn2_b64 vcc, exec, s[0:1]
	s_cbranch_vccnz .LBB55_883
; %bb.873:
	v_mov_b32_e32 v6, 6
	v_cmp_lt_i16_sdwa s[0:1], v5, v6 src0_sel:BYTE_0 src1_sel:DWORD
	s_and_b64 vcc, exec, s[0:1]
	s_cbranch_vccnz .LBB55_876
; %bb.874:
	v_cmp_gt_i16_sdwa s[0:1], v5, v6 src0_sel:BYTE_0 src1_sel:DWORD
	s_and_b64 vcc, exec, s[0:1]
	s_cbranch_vccz .LBB55_877
; %bb.875:
	global_load_dwordx2 v[6:7], v[0:1], off
	s_movk_i32 s0, 0x7fff
	v_mov_b32_e32 v8, 0x7fc0
	s_waitcnt vmcnt(0)
	v_cvt_f32_f64_e32 v6, v[6:7]
	v_bfe_u32 v7, v6, 16, 1
	v_add3_u32 v7, v6, v7, s0
	v_lshrrev_b32_e32 v7, 16, v7
	v_cmp_o_f32_e32 vcc, v6, v6
	v_cndmask_b32_e32 v6, v8, v7, vcc
	s_mov_b64 s[0:1], 0
	s_branch .LBB55_878
.LBB55_876:
	s_mov_b64 s[0:1], -1
                                        ; implicit-def: $vgpr6
	s_branch .LBB55_881
.LBB55_877:
	s_mov_b64 s[0:1], -1
                                        ; implicit-def: $vgpr6
.LBB55_878:
	s_andn2_b64 vcc, exec, s[0:1]
	s_cbranch_vccnz .LBB55_880
; %bb.879:
	global_load_dword v6, v[0:1], off
	s_movk_i32 s0, 0x7fff
	v_mov_b32_e32 v7, 0x7fc0
	s_waitcnt vmcnt(0)
	v_bfe_u32 v8, v6, 16, 1
	v_add3_u32 v8, v6, v8, s0
	v_lshrrev_b32_e32 v8, 16, v8
	v_cmp_o_f32_e32 vcc, v6, v6
	v_cndmask_b32_e32 v6, v7, v8, vcc
.LBB55_880:
	s_mov_b64 s[0:1], 0
.LBB55_881:
	s_andn2_b64 vcc, exec, s[0:1]
	s_cbranch_vccnz .LBB55_883
; %bb.882:
	global_load_ushort v6, v[0:1], off
	s_movk_i32 s0, 0x7fff
	v_mov_b32_e32 v8, 0x7fc0
	s_waitcnt vmcnt(0)
	v_cvt_f32_f16_e32 v7, v6
	v_cmp_o_f16_e32 vcc, v6, v6
	v_bfe_u32 v9, v7, 16, 1
	v_add3_u32 v7, v7, v9, s0
	v_lshrrev_b32_e32 v7, 16, v7
	v_cndmask_b32_e32 v6, v8, v7, vcc
.LBB55_883:
	s_mov_b64 s[0:1], 0
.LBB55_884:
	s_andn2_b64 vcc, exec, s[0:1]
	s_cbranch_vccnz .LBB55_904
; %bb.885:
	v_mov_b32_e32 v6, 2
	v_cmp_lt_i16_sdwa s[0:1], v5, v6 src0_sel:BYTE_0 src1_sel:DWORD
	s_and_b64 vcc, exec, s[0:1]
	s_cbranch_vccnz .LBB55_889
; %bb.886:
	v_mov_b32_e32 v6, 3
	v_cmp_lt_i16_sdwa s[0:1], v5, v6 src0_sel:BYTE_0 src1_sel:DWORD
	s_and_b64 vcc, exec, s[0:1]
	s_cbranch_vccnz .LBB55_890
; %bb.887:
	v_cmp_gt_i16_sdwa s[0:1], v5, v6 src0_sel:BYTE_0 src1_sel:DWORD
	s_and_b64 vcc, exec, s[0:1]
	s_cbranch_vccz .LBB55_891
; %bb.888:
	global_load_dwordx2 v[6:7], v[0:1], off
	s_movk_i32 s0, 0x7fff
	s_waitcnt vmcnt(0)
	v_xor_b32_e32 v9, v6, v7
	v_ffbh_i32_e32 v8, v7
	v_ashrrev_i32_e32 v9, 31, v9
	v_add_u32_e32 v8, -1, v8
	v_add_u32_e32 v9, 32, v9
	v_min_u32_e32 v8, v8, v9
	v_lshlrev_b64 v[6:7], v8, v[6:7]
	v_min_u32_e32 v6, 1, v6
	v_or_b32_e32 v6, v7, v6
	v_cvt_f32_i32_e32 v6, v6
	v_sub_u32_e32 v7, 32, v8
	v_ldexp_f32 v6, v6, v7
	v_bfe_u32 v7, v6, 16, 1
	v_add3_u32 v6, v6, v7, s0
	v_lshrrev_b32_e32 v6, 16, v6
	s_mov_b64 s[0:1], 0
	s_branch .LBB55_892
.LBB55_889:
	s_mov_b64 s[0:1], -1
                                        ; implicit-def: $vgpr6
	s_branch .LBB55_898
.LBB55_890:
	s_mov_b64 s[0:1], -1
                                        ; implicit-def: $vgpr6
	s_branch .LBB55_895
.LBB55_891:
	s_mov_b64 s[0:1], -1
                                        ; implicit-def: $vgpr6
.LBB55_892:
	s_andn2_b64 vcc, exec, s[0:1]
	s_cbranch_vccnz .LBB55_894
; %bb.893:
	global_load_dword v6, v[0:1], off
	s_movk_i32 s0, 0x7fff
	s_waitcnt vmcnt(0)
	v_cvt_f32_i32_e32 v6, v6
	v_bfe_u32 v7, v6, 16, 1
	v_add3_u32 v6, v6, v7, s0
	v_lshrrev_b32_e32 v6, 16, v6
.LBB55_894:
	s_mov_b64 s[0:1], 0
.LBB55_895:
	s_andn2_b64 vcc, exec, s[0:1]
	s_cbranch_vccnz .LBB55_897
; %bb.896:
	global_load_sshort v6, v[0:1], off
	s_movk_i32 s0, 0x7fff
	s_waitcnt vmcnt(0)
	v_cvt_f32_i32_e32 v6, v6
	v_bfe_u32 v7, v6, 16, 1
	v_add3_u32 v6, v6, v7, s0
	v_lshrrev_b32_e32 v6, 16, v6
.LBB55_897:
	s_mov_b64 s[0:1], 0
.LBB55_898:
	s_andn2_b64 vcc, exec, s[0:1]
	s_cbranch_vccnz .LBB55_904
; %bb.899:
	v_mov_b32_e32 v6, 0
	v_cmp_gt_i16_sdwa s[0:1], v5, v6 src0_sel:BYTE_0 src1_sel:DWORD
	s_and_b64 vcc, exec, s[0:1]
	s_cbranch_vccz .LBB55_901
; %bb.900:
	global_load_sbyte v6, v[0:1], off
	s_movk_i32 s0, 0x7fff
	s_waitcnt vmcnt(0)
	v_cvt_f32_i32_e32 v6, v6
	v_bfe_u32 v7, v6, 16, 1
	v_add3_u32 v6, v6, v7, s0
	v_lshrrev_b32_e32 v6, 16, v6
	s_mov_b64 s[0:1], 0
	s_branch .LBB55_902
.LBB55_901:
	s_mov_b64 s[0:1], -1
                                        ; implicit-def: $vgpr6
.LBB55_902:
	s_andn2_b64 vcc, exec, s[0:1]
	s_cbranch_vccnz .LBB55_904
; %bb.903:
	global_load_ubyte v0, v[0:1], off
	s_movk_i32 s0, 0x7fff
	s_waitcnt vmcnt(0)
	v_cvt_f32_ubyte0_e32 v0, v0
	v_bfe_u32 v1, v0, 16, 1
	v_add3_u32 v0, v0, v1, s0
	v_lshrrev_b32_e32 v6, 16, v0
.LBB55_904:
	s_mov_b64 s[0:1], -1
.LBB55_905:
	s_andn2_b64 vcc, exec, s[0:1]
	s_cbranch_vccnz .LBB55_913
; %bb.906:
	v_mul_lo_u32 v0, v3, s14
	v_ashrrev_i32_e32 v1, 31, v0
	v_mov_b32_e32 v7, s3
	v_add_co_u32_e32 v0, vcc, s2, v0
	v_addc_co_u32_e32 v1, vcc, v7, v1, vcc
	v_mov_b32_e32 v7, 11
	v_cmp_lt_i16_sdwa s[0:1], v4, v7 src0_sel:BYTE_0 src1_sel:DWORD
	s_and_b64 vcc, exec, s[0:1]
	s_cbranch_vccnz .LBB55_915
; %bb.907:
	v_mov_b32_e32 v7, 25
	v_cmp_gt_i16_sdwa s[0:1], v4, v7 src0_sel:BYTE_0 src1_sel:DWORD
	s_and_b64 vcc, exec, s[0:1]
	s_cbranch_vccz .LBB55_916
; %bb.908:
	v_mov_b32_e32 v7, 28
	v_cmp_gt_i16_sdwa s[0:1], v4, v7 src0_sel:BYTE_0 src1_sel:DWORD
	s_and_b64 vcc, exec, s[0:1]
	s_cbranch_vccz .LBB55_917
	;; [unrolled: 5-line block ×4, first 2 shown]
; %bb.911:
	v_mov_b32_e32 v7, 46
	v_cmp_eq_u16_sdwa s[0:1], v4, v7 src0_sel:BYTE_0 src1_sel:DWORD
	s_mov_b64 s[40:41], 0
	s_and_b64 vcc, exec, s[0:1]
	s_cbranch_vccz .LBB55_922
; %bb.912:
	global_load_dword v7, v[0:1], off
	s_mov_b64 s[0:1], -1
	s_mov_b64 s[38:39], 0
	s_branch .LBB55_923
.LBB55_913:
	s_mov_b64 s[42:43], 0
	s_mov_b64 s[0:1], s[28:29]
	;; [unrolled: 1-line block ×3, first 2 shown]
.LBB55_914:
                                        ; implicit-def: $vgpr3
	s_branch .LBB55_1161
.LBB55_915:
	s_mov_b64 s[40:41], -1
	s_mov_b64 s[0:1], 0
                                        ; implicit-def: $vgpr7
	s_mov_b64 s[38:39], s[26:27]
	s_branch .LBB55_988
.LBB55_916:
	s_mov_b64 s[40:41], -1
	s_mov_b64 s[0:1], 0
	s_mov_b64 s[38:39], s[26:27]
                                        ; implicit-def: $vgpr7
	s_branch .LBB55_952
.LBB55_917:
	s_mov_b64 s[40:41], -1
	s_mov_b64 s[0:1], 0
	s_mov_b64 s[38:39], s[26:27]
                                        ; implicit-def: $vgpr7
	s_branch .LBB55_933
.LBB55_918:
	s_mov_b64 s[40:41], -1
	s_mov_b64 s[0:1], 0
	s_mov_b64 s[38:39], s[26:27]
                                        ; implicit-def: $vgpr7
	s_branch .LBB55_928
.LBB55_919:
	s_mov_b64 s[40:41], -1
	s_mov_b64 s[0:1], 0
	s_mov_b64 s[38:39], s[26:27]
                                        ; implicit-def: $vgpr7
	s_branch .LBB55_923
.LBB55_920:
	s_or_saveexec_b64 s[36:37], s[36:37]
                                        ; implicit-def: $sgpr15
	s_xor_b64 exec, exec, s[36:37]
	s_cbranch_execz .LBB55_696
.LBB55_921:
	s_mov_b32 s15, 0x42800000
	v_add_f32_e64 v8, |v9|, s15
	v_and_b32_e32 v8, 0xff, v8
	v_cmp_ne_u32_e32 vcc, 0, v8
	s_andn2_b64 s[34:35], s[34:35], exec
	s_and_b64 s[38:39], vcc, exec
	s_mov_b32 s15, 0
	s_or_b64 s[34:35], s[34:35], s[38:39]
	s_or_b64 exec, exec, s[36:37]
	v_mov_b32_e32 v10, s15
	s_and_saveexec_b64 s[36:37], s[34:35]
	s_cbranch_execnz .LBB55_697
	s_branch .LBB55_698
.LBB55_922:
	s_mov_b64 s[38:39], -1
                                        ; implicit-def: $vgpr7
	s_mov_b64 s[0:1], 0
.LBB55_923:
	s_and_b64 vcc, exec, s[40:41]
	s_cbranch_vccz .LBB55_927
; %bb.924:
	s_waitcnt vmcnt(0)
	v_mov_b32_e32 v7, 44
	v_cmp_eq_u16_sdwa s[38:39], v4, v7 src0_sel:BYTE_0 src1_sel:DWORD
	s_and_b64 vcc, exec, s[38:39]
	s_cbranch_vccz .LBB55_926
; %bb.925:
	global_load_ubyte v7, v[0:1], off
	s_movk_i32 s15, 0xff
	v_mov_b32_e32 v8, 0x7f800001
	v_mov_b32_e32 v9, 0x400000
	;; [unrolled: 1-line block ×3, first 2 shown]
	s_mov_b64 s[0:1], -1
	s_mov_b64 s[38:39], 0
	s_waitcnt vmcnt(0)
	v_lshlrev_b32_e32 v11, 23, v7
	v_cmp_ne_u32_e32 vcc, s15, v7
	v_cndmask_b32_e32 v8, v8, v11, vcc
	v_cmp_ne_u32_e32 vcc, 0, v7
	v_cndmask_b32_e32 v7, v9, v8, vcc
	v_add_u32_e32 v8, 0x7fff, v7
	v_lshrrev_b32_e32 v8, 16, v8
	v_cmp_o_f32_e32 vcc, v7, v7
	v_cndmask_b32_e32 v7, v10, v8, vcc
	s_branch .LBB55_927
.LBB55_926:
	s_mov_b64 s[38:39], -1
                                        ; implicit-def: $vgpr7
.LBB55_927:
	s_mov_b64 s[40:41], 0
.LBB55_928:
	s_and_b64 vcc, exec, s[40:41]
	s_cbranch_vccz .LBB55_932
; %bb.929:
	s_waitcnt vmcnt(0)
	v_mov_b32_e32 v7, 29
	v_cmp_eq_u16_sdwa s[38:39], v4, v7 src0_sel:BYTE_0 src1_sel:DWORD
	s_and_b64 vcc, exec, s[38:39]
	s_cbranch_vccz .LBB55_931
; %bb.930:
	global_load_dwordx2 v[8:9], v[0:1], off
	s_movk_i32 s15, 0x7fff
	s_mov_b64 s[0:1], -1
	s_mov_b64 s[38:39], 0
	s_mov_b64 s[40:41], 0
	s_waitcnt vmcnt(0)
	v_ffbh_u32_e32 v7, v9
	v_min_u32_e32 v7, 32, v7
	v_lshlrev_b64 v[8:9], v7, v[8:9]
	v_min_u32_e32 v8, 1, v8
	v_or_b32_e32 v8, v9, v8
	v_cvt_f32_u32_e32 v8, v8
	v_sub_u32_e32 v7, 32, v7
	v_ldexp_f32 v7, v8, v7
	v_bfe_u32 v8, v7, 16, 1
	v_add3_u32 v7, v7, v8, s15
	v_lshrrev_b32_e32 v7, 16, v7
	s_branch .LBB55_933
.LBB55_931:
	s_mov_b64 s[38:39], -1
                                        ; implicit-def: $vgpr7
.LBB55_932:
	s_mov_b64 s[40:41], 0
.LBB55_933:
	s_and_b64 vcc, exec, s[40:41]
	s_cbranch_vccz .LBB55_951
; %bb.934:
	s_waitcnt vmcnt(0)
	v_mov_b32_e32 v7, 27
	v_cmp_lt_i16_sdwa s[0:1], v4, v7 src0_sel:BYTE_0 src1_sel:DWORD
	s_and_b64 vcc, exec, s[0:1]
	s_cbranch_vccnz .LBB55_937
; %bb.935:
	v_cmp_gt_i16_sdwa s[0:1], v4, v7 src0_sel:BYTE_0 src1_sel:DWORD
	s_and_b64 vcc, exec, s[0:1]
	s_cbranch_vccz .LBB55_938
; %bb.936:
	global_load_dword v7, v[0:1], off
	s_movk_i32 s0, 0x7fff
	s_waitcnt vmcnt(0)
	v_cvt_f32_u32_e32 v7, v7
	v_bfe_u32 v8, v7, 16, 1
	v_add3_u32 v7, v7, v8, s0
	v_lshrrev_b32_e32 v7, 16, v7
	s_mov_b64 s[0:1], 0
	s_branch .LBB55_939
.LBB55_937:
	s_mov_b64 s[0:1], -1
                                        ; implicit-def: $vgpr7
	s_branch .LBB55_942
.LBB55_938:
	s_mov_b64 s[0:1], -1
                                        ; implicit-def: $vgpr7
.LBB55_939:
	s_andn2_b64 vcc, exec, s[0:1]
	s_cbranch_vccnz .LBB55_941
; %bb.940:
	global_load_ushort v7, v[0:1], off
	s_movk_i32 s0, 0x7fff
	s_waitcnt vmcnt(0)
	v_cvt_f32_u32_e32 v7, v7
	v_bfe_u32 v8, v7, 16, 1
	v_add3_u32 v7, v7, v8, s0
	v_lshrrev_b32_e32 v7, 16, v7
.LBB55_941:
	s_mov_b64 s[0:1], 0
.LBB55_942:
	s_andn2_b64 vcc, exec, s[0:1]
	s_cbranch_vccnz .LBB55_950
; %bb.943:
	global_load_ubyte v7, v[0:1], off
	s_movk_i32 s0, 0x7f
                                        ; implicit-def: $sgpr15
	s_waitcnt vmcnt(0)
	v_cmp_lt_i16_e32 vcc, s0, v7
	s_mov_b64 s[0:1], 0
	s_and_saveexec_b64 s[40:41], vcc
	s_xor_b64 s[40:41], exec, s[40:41]
	s_cbranch_execz .LBB55_964
; %bb.944:
	s_movk_i32 s0, 0x80
	v_cmp_eq_u16_e32 vcc, s0, v7
	s_mov_b64 s[0:1], -1
                                        ; implicit-def: $sgpr15
	s_and_saveexec_b64 s[42:43], vcc
; %bb.945:
	s_mov_b32 s15, 0x7f800001
	s_xor_b64 s[0:1], exec, -1
; %bb.946:
	s_or_b64 exec, exec, s[42:43]
	s_and_b64 s[0:1], s[0:1], exec
	s_or_saveexec_b64 s[40:41], s[40:41]
	v_mov_b32_e32 v8, s15
	s_xor_b64 exec, exec, s[40:41]
	s_cbranch_execnz .LBB55_965
.LBB55_947:
	s_or_b64 exec, exec, s[40:41]
	s_and_saveexec_b64 s[40:41], s[0:1]
	s_cbranch_execz .LBB55_949
.LBB55_948:
	v_lshlrev_b32_e32 v8, 24, v7
	v_and_b32_e32 v7, 0xffff, v7
	v_and_b32_e32 v9, 7, v7
	v_ffbh_u32_e32 v11, v9
	v_min_u32_e32 v11, 32, v11
	v_subrev_u32_e32 v12, 28, v11
	v_bfe_u32 v10, v7, 3, 4
	v_lshlrev_b32_e32 v7, v12, v7
	v_sub_u32_e32 v11, 29, v11
	v_and_b32_e32 v7, 7, v7
	v_cmp_eq_u32_e32 vcc, 0, v10
	v_cndmask_b32_e32 v10, v10, v11, vcc
	v_cndmask_b32_e32 v7, v9, v7, vcc
	v_mov_b32_e32 v9, 0x3b800000
	v_lshlrev_b32_e32 v7, 20, v7
	v_and_b32_e32 v8, 0x80000000, v8
	v_lshl_add_u32 v9, v10, 23, v9
	v_or3_b32 v8, v8, v9, v7
.LBB55_949:
	s_or_b64 exec, exec, s[40:41]
	v_bfe_u32 v7, v8, 16, 1
	s_movk_i32 s0, 0x7fff
	v_add3_u32 v7, v8, v7, s0
	v_lshrrev_b32_e32 v7, 16, v7
	v_mov_b32_e32 v9, 0x7fc0
	v_cmp_o_f32_e32 vcc, v8, v8
	v_cndmask_b32_e32 v7, v9, v7, vcc
.LBB55_950:
	s_mov_b64 s[0:1], -1
.LBB55_951:
	s_mov_b64 s[40:41], 0
.LBB55_952:
	s_and_b64 vcc, exec, s[40:41]
	s_cbranch_vccz .LBB55_987
; %bb.953:
	s_waitcnt vmcnt(0)
	v_mov_b32_e32 v7, 22
	v_cmp_gt_i16_sdwa s[40:41], v4, v7 src0_sel:BYTE_0 src1_sel:DWORD
	s_and_b64 vcc, exec, s[40:41]
	s_cbranch_vccz .LBB55_963
; %bb.954:
	v_mov_b32_e32 v7, 24
	v_cmp_lt_i16_sdwa s[0:1], v4, v7 src0_sel:BYTE_0 src1_sel:DWORD
	s_and_b64 vcc, exec, s[0:1]
	s_cbranch_vccnz .LBB55_966
; %bb.955:
	v_cmp_gt_i16_sdwa s[0:1], v4, v7 src0_sel:BYTE_0 src1_sel:DWORD
	s_and_b64 vcc, exec, s[0:1]
	s_cbranch_vccz .LBB55_967
; %bb.956:
	global_load_ubyte v7, v[0:1], off
	s_movk_i32 s0, 0x7f
                                        ; implicit-def: $sgpr15
	s_waitcnt vmcnt(0)
	v_cmp_lt_i16_e32 vcc, s0, v7
	s_mov_b64 s[0:1], 0
	s_and_saveexec_b64 s[40:41], vcc
	s_xor_b64 s[40:41], exec, s[40:41]
	s_cbranch_execz .LBB55_979
; %bb.957:
	s_movk_i32 s0, 0x80
	v_cmp_eq_u16_e32 vcc, s0, v7
	s_mov_b64 s[0:1], -1
                                        ; implicit-def: $sgpr15
	s_and_saveexec_b64 s[42:43], vcc
; %bb.958:
	s_mov_b32 s15, 0x7f800001
	s_xor_b64 s[0:1], exec, -1
; %bb.959:
	s_or_b64 exec, exec, s[42:43]
	s_and_b64 s[0:1], s[0:1], exec
	s_or_saveexec_b64 s[40:41], s[40:41]
	v_mov_b32_e32 v8, s15
	s_xor_b64 exec, exec, s[40:41]
	s_cbranch_execnz .LBB55_980
.LBB55_960:
	s_or_b64 exec, exec, s[40:41]
	s_and_saveexec_b64 s[40:41], s[0:1]
	s_cbranch_execz .LBB55_962
.LBB55_961:
	v_lshlrev_b32_e32 v8, 24, v7
	v_and_b32_e32 v7, 0xffff, v7
	v_and_b32_e32 v9, 3, v7
	v_ffbh_u32_e32 v11, v9
	v_min_u32_e32 v11, 32, v11
	v_subrev_u32_e32 v12, 29, v11
	v_bfe_u32 v10, v7, 2, 5
	v_lshlrev_b32_e32 v7, v12, v7
	v_sub_u32_e32 v11, 30, v11
	v_and_b32_e32 v7, 3, v7
	v_cmp_eq_u32_e32 vcc, 0, v10
	v_cndmask_b32_e32 v10, v10, v11, vcc
	v_cndmask_b32_e32 v7, v9, v7, vcc
	v_mov_b32_e32 v9, 0x37800000
	v_lshlrev_b32_e32 v7, 21, v7
	v_and_b32_e32 v8, 0x80000000, v8
	v_lshl_add_u32 v9, v10, 23, v9
	v_or3_b32 v8, v8, v9, v7
.LBB55_962:
	s_or_b64 exec, exec, s[40:41]
	v_bfe_u32 v7, v8, 16, 1
	s_movk_i32 s0, 0x7fff
	v_add3_u32 v7, v8, v7, s0
	v_lshrrev_b32_e32 v7, 16, v7
	v_mov_b32_e32 v9, 0x7fc0
	v_cmp_o_f32_e32 vcc, v8, v8
	v_cndmask_b32_e32 v7, v9, v7, vcc
	s_mov_b64 s[0:1], 0
	s_branch .LBB55_968
.LBB55_963:
	s_mov_b64 s[40:41], -1
                                        ; implicit-def: $vgpr7
	s_branch .LBB55_974
.LBB55_964:
	s_or_saveexec_b64 s[40:41], s[40:41]
	v_mov_b32_e32 v8, s15
	s_xor_b64 exec, exec, s[40:41]
	s_cbranch_execz .LBB55_947
.LBB55_965:
	v_cmp_ne_u16_e32 vcc, 0, v7
	s_andn2_b64 s[0:1], s[0:1], exec
	s_and_b64 s[42:43], vcc, exec
	v_mov_b32_e32 v8, 0
	s_or_b64 s[0:1], s[0:1], s[42:43]
	s_or_b64 exec, exec, s[40:41]
	s_and_saveexec_b64 s[40:41], s[0:1]
	s_cbranch_execnz .LBB55_948
	s_branch .LBB55_949
.LBB55_966:
	s_mov_b64 s[0:1], -1
                                        ; implicit-def: $vgpr7
	s_branch .LBB55_971
.LBB55_967:
	s_mov_b64 s[0:1], -1
                                        ; implicit-def: $vgpr7
.LBB55_968:
	s_and_b64 vcc, exec, s[0:1]
	s_cbranch_vccz .LBB55_970
; %bb.969:
	global_load_ubyte v7, v[0:1], off
	s_mov_b32 s0, 0x7f800000
	s_brev_b32 s1, 1
	s_movk_i32 s15, 0x7fff
	v_mov_b32_e32 v8, 0x7fc0
	s_waitcnt vmcnt(0)
	v_lshlrev_b32_e32 v7, 24, v7
	v_and_b32_e32 v9, 0x7f000000, v7
	v_ffbh_u32_e32 v10, v9
	v_min_u32_e32 v10, 32, v10
	v_sub_u32_e64 v10, v10, 4 clamp
	v_lshlrev_b32_e32 v12, v10, v9
	v_lshlrev_b32_e32 v10, 23, v10
	v_lshrrev_b32_e32 v12, 4, v12
	v_add_u32_e32 v11, 0x1000000, v9
	v_sub_u32_e32 v10, v12, v10
	v_ashrrev_i32_e32 v11, 8, v11
	v_add_u32_e32 v10, 0x3c000000, v10
	v_and_or_b32 v10, v11, s0, v10
	v_cmp_ne_u32_e32 vcc, 0, v9
	v_cndmask_b32_e32 v9, 0, v10, vcc
	v_and_or_b32 v7, v7, s1, v9
	v_bfe_u32 v9, v9, 16, 1
	v_add3_u32 v9, v7, v9, s15
	v_lshrrev_b32_e32 v9, 16, v9
	v_cmp_o_f32_e32 vcc, v7, v7
	v_cndmask_b32_e32 v7, v8, v9, vcc
.LBB55_970:
	s_mov_b64 s[0:1], 0
.LBB55_971:
	s_andn2_b64 vcc, exec, s[0:1]
	s_cbranch_vccnz .LBB55_973
; %bb.972:
	global_load_ubyte v7, v[0:1], off
	s_movk_i32 s0, 0x7f00
	s_brev_b32 s1, 16
	s_brev_b32 s15, 1
	s_movk_i32 s40, 0x7fff
	v_mov_b32_e32 v8, 0x7fc0
	s_waitcnt vmcnt(0)
	v_lshlrev_b16_e32 v9, 8, v7
	v_lshlrev_b32_e32 v7, 25, v7
	v_lshrrev_b32_e32 v10, 4, v7
	v_and_or_b32 v11, v9, s0, 0.5
	v_or_b32_e32 v10, 0x70000000, v10
	v_add_f32_e32 v11, -0.5, v11
	v_mul_f32_e32 v10, 0x7800000, v10
	v_cmp_gt_u32_e32 vcc, s1, v7
	v_bfe_i32 v9, v9, 0, 16
	v_cndmask_b32_e32 v7, v10, v11, vcc
	v_and_or_b32 v9, v9, s15, v7
	v_bfe_u32 v7, v7, 16, 1
	v_add3_u32 v7, v9, v7, s40
	v_lshrrev_b32_e32 v7, 16, v7
	v_cmp_o_f32_e32 vcc, v9, v9
	v_cndmask_b32_e32 v7, v8, v7, vcc
.LBB55_973:
	s_mov_b64 s[40:41], 0
	s_mov_b64 s[0:1], -1
.LBB55_974:
	s_andn2_b64 vcc, exec, s[40:41]
	s_cbranch_vccnz .LBB55_987
; %bb.975:
	v_mov_b32_e32 v7, 14
	v_cmp_gt_i16_sdwa s[40:41], v4, v7 src0_sel:BYTE_0 src1_sel:DWORD
	s_and_b64 vcc, exec, s[40:41]
	s_cbranch_vccz .LBB55_978
; %bb.976:
	v_mov_b32_e32 v7, 15
	v_cmp_eq_u16_sdwa s[38:39], v4, v7 src0_sel:BYTE_0 src1_sel:DWORD
	s_and_b64 vcc, exec, s[38:39]
	s_cbranch_vccz .LBB55_981
; %bb.977:
	global_load_ushort v7, v[0:1], off
	s_mov_b64 s[0:1], -1
	s_mov_b64 s[38:39], 0
	s_branch .LBB55_982
.LBB55_978:
	s_mov_b64 s[40:41], -1
                                        ; implicit-def: $vgpr7
	s_branch .LBB55_983
.LBB55_979:
	s_or_saveexec_b64 s[40:41], s[40:41]
	v_mov_b32_e32 v8, s15
	s_xor_b64 exec, exec, s[40:41]
	s_cbranch_execz .LBB55_960
.LBB55_980:
	v_cmp_ne_u16_e32 vcc, 0, v7
	s_andn2_b64 s[0:1], s[0:1], exec
	s_and_b64 s[42:43], vcc, exec
	v_mov_b32_e32 v8, 0
	s_or_b64 s[0:1], s[0:1], s[42:43]
	s_or_b64 exec, exec, s[40:41]
	s_and_saveexec_b64 s[40:41], s[0:1]
	s_cbranch_execnz .LBB55_961
	s_branch .LBB55_962
.LBB55_981:
	s_mov_b64 s[38:39], -1
                                        ; implicit-def: $vgpr7
.LBB55_982:
	s_mov_b64 s[40:41], 0
.LBB55_983:
	s_and_b64 vcc, exec, s[40:41]
	s_cbranch_vccz .LBB55_987
; %bb.984:
	s_waitcnt vmcnt(0)
	v_mov_b32_e32 v7, 11
	v_cmp_eq_u16_sdwa s[38:39], v4, v7 src0_sel:BYTE_0 src1_sel:DWORD
	s_and_b64 vcc, exec, s[38:39]
	s_cbranch_vccz .LBB55_986
; %bb.985:
	global_load_ubyte v7, v[0:1], off
	s_mov_b64 s[0:1], -1
	s_mov_b64 s[38:39], 0
	s_waitcnt vmcnt(0)
	v_cmp_ne_u16_e32 vcc, 0, v7
	v_cndmask_b32_e64 v7, 0, 1.0, vcc
	v_lshrrev_b32_e32 v7, 16, v7
	s_branch .LBB55_987
.LBB55_986:
	s_mov_b64 s[38:39], -1
                                        ; implicit-def: $vgpr7
.LBB55_987:
	s_mov_b64 s[40:41], 0
.LBB55_988:
	s_and_b64 vcc, exec, s[40:41]
	s_cbranch_vccz .LBB55_1037
; %bb.989:
	s_waitcnt vmcnt(0)
	v_mov_b32_e32 v7, 5
	v_cmp_lt_i16_sdwa s[0:1], v4, v7 src0_sel:BYTE_0 src1_sel:DWORD
	s_and_b64 vcc, exec, s[0:1]
	s_cbranch_vccnz .LBB55_994
; %bb.990:
	v_mov_b32_e32 v7, 8
	v_cmp_lt_i16_sdwa s[0:1], v4, v7 src0_sel:BYTE_0 src1_sel:DWORD
	s_and_b64 vcc, exec, s[0:1]
	s_cbranch_vccnz .LBB55_995
; %bb.991:
	v_mov_b32_e32 v7, 9
	v_cmp_lt_i16_sdwa s[0:1], v4, v7 src0_sel:BYTE_0 src1_sel:DWORD
	s_and_b64 vcc, exec, s[0:1]
	s_cbranch_vccnz .LBB55_996
; %bb.992:
	v_cmp_gt_i16_sdwa s[0:1], v4, v7 src0_sel:BYTE_0 src1_sel:DWORD
	s_and_b64 vcc, exec, s[0:1]
	s_cbranch_vccz .LBB55_997
; %bb.993:
	global_load_dwordx2 v[8:9], v[0:1], off
	s_movk_i32 s0, 0x7fff
	v_mov_b32_e32 v7, 0x7fc0
	s_waitcnt vmcnt(0)
	v_cvt_f32_f64_e32 v8, v[8:9]
	v_bfe_u32 v9, v8, 16, 1
	v_add3_u32 v9, v8, v9, s0
	v_lshrrev_b32_e32 v9, 16, v9
	v_cmp_o_f32_e32 vcc, v8, v8
	v_cndmask_b32_e32 v7, v7, v9, vcc
	s_mov_b64 s[0:1], 0
	s_branch .LBB55_998
.LBB55_994:
	s_mov_b64 s[0:1], -1
                                        ; implicit-def: $vgpr7
	s_branch .LBB55_1016
.LBB55_995:
	s_mov_b64 s[0:1], -1
                                        ; implicit-def: $vgpr7
	s_branch .LBB55_1004
.LBB55_996:
	s_mov_b64 s[0:1], -1
                                        ; implicit-def: $vgpr7
	s_branch .LBB55_1001
.LBB55_997:
	s_mov_b64 s[0:1], -1
                                        ; implicit-def: $vgpr7
.LBB55_998:
	s_andn2_b64 vcc, exec, s[0:1]
	s_cbranch_vccnz .LBB55_1000
; %bb.999:
	global_load_dword v7, v[0:1], off
	s_movk_i32 s0, 0x7fff
	v_mov_b32_e32 v8, 0x7fc0
	s_waitcnt vmcnt(0)
	v_bfe_u32 v9, v7, 16, 1
	v_add3_u32 v9, v7, v9, s0
	v_lshrrev_b32_e32 v9, 16, v9
	v_cmp_o_f32_e32 vcc, v7, v7
	v_cndmask_b32_e32 v7, v8, v9, vcc
.LBB55_1000:
	s_mov_b64 s[0:1], 0
.LBB55_1001:
	s_andn2_b64 vcc, exec, s[0:1]
	s_cbranch_vccnz .LBB55_1003
; %bb.1002:
	global_load_dword v7, v[0:1], off
	s_movk_i32 s0, 0x7fff
	v_mov_b32_e32 v9, 0x7fc0
	s_waitcnt vmcnt(0)
	v_cvt_f32_f16_e32 v8, v7
	v_cmp_o_f16_e32 vcc, v7, v7
	v_bfe_u32 v10, v8, 16, 1
	v_add3_u32 v8, v8, v10, s0
	v_lshrrev_b32_e32 v8, 16, v8
	v_cndmask_b32_e32 v7, v9, v8, vcc
.LBB55_1003:
	s_mov_b64 s[0:1], 0
.LBB55_1004:
	s_andn2_b64 vcc, exec, s[0:1]
	s_cbranch_vccnz .LBB55_1015
; %bb.1005:
	v_mov_b32_e32 v7, 6
	v_cmp_lt_i16_sdwa s[0:1], v4, v7 src0_sel:BYTE_0 src1_sel:DWORD
	s_and_b64 vcc, exec, s[0:1]
	s_cbranch_vccnz .LBB55_1008
; %bb.1006:
	v_cmp_gt_i16_sdwa s[0:1], v4, v7 src0_sel:BYTE_0 src1_sel:DWORD
	s_and_b64 vcc, exec, s[0:1]
	s_cbranch_vccz .LBB55_1009
; %bb.1007:
	global_load_dwordx2 v[8:9], v[0:1], off
	s_movk_i32 s0, 0x7fff
	v_mov_b32_e32 v7, 0x7fc0
	s_waitcnt vmcnt(0)
	v_cvt_f32_f64_e32 v8, v[8:9]
	v_bfe_u32 v9, v8, 16, 1
	v_add3_u32 v9, v8, v9, s0
	v_lshrrev_b32_e32 v9, 16, v9
	v_cmp_o_f32_e32 vcc, v8, v8
	v_cndmask_b32_e32 v7, v7, v9, vcc
	s_mov_b64 s[0:1], 0
	s_branch .LBB55_1010
.LBB55_1008:
	s_mov_b64 s[0:1], -1
                                        ; implicit-def: $vgpr7
	s_branch .LBB55_1013
.LBB55_1009:
	s_mov_b64 s[0:1], -1
                                        ; implicit-def: $vgpr7
.LBB55_1010:
	s_andn2_b64 vcc, exec, s[0:1]
	s_cbranch_vccnz .LBB55_1012
; %bb.1011:
	global_load_dword v7, v[0:1], off
	s_movk_i32 s0, 0x7fff
	v_mov_b32_e32 v8, 0x7fc0
	s_waitcnt vmcnt(0)
	v_bfe_u32 v9, v7, 16, 1
	v_add3_u32 v9, v7, v9, s0
	v_lshrrev_b32_e32 v9, 16, v9
	v_cmp_o_f32_e32 vcc, v7, v7
	v_cndmask_b32_e32 v7, v8, v9, vcc
.LBB55_1012:
	s_mov_b64 s[0:1], 0
.LBB55_1013:
	s_andn2_b64 vcc, exec, s[0:1]
	s_cbranch_vccnz .LBB55_1015
; %bb.1014:
	global_load_ushort v7, v[0:1], off
	s_movk_i32 s0, 0x7fff
	v_mov_b32_e32 v9, 0x7fc0
	s_waitcnt vmcnt(0)
	v_cvt_f32_f16_e32 v8, v7
	v_cmp_o_f16_e32 vcc, v7, v7
	v_bfe_u32 v10, v8, 16, 1
	v_add3_u32 v8, v8, v10, s0
	v_lshrrev_b32_e32 v8, 16, v8
	v_cndmask_b32_e32 v7, v9, v8, vcc
.LBB55_1015:
	s_mov_b64 s[0:1], 0
.LBB55_1016:
	s_andn2_b64 vcc, exec, s[0:1]
	s_cbranch_vccnz .LBB55_1036
; %bb.1017:
	v_mov_b32_e32 v7, 2
	v_cmp_lt_i16_sdwa s[0:1], v4, v7 src0_sel:BYTE_0 src1_sel:DWORD
	s_and_b64 vcc, exec, s[0:1]
	s_cbranch_vccnz .LBB55_1021
; %bb.1018:
	v_mov_b32_e32 v7, 3
	v_cmp_lt_i16_sdwa s[0:1], v4, v7 src0_sel:BYTE_0 src1_sel:DWORD
	s_and_b64 vcc, exec, s[0:1]
	s_cbranch_vccnz .LBB55_1022
; %bb.1019:
	v_cmp_gt_i16_sdwa s[0:1], v4, v7 src0_sel:BYTE_0 src1_sel:DWORD
	s_and_b64 vcc, exec, s[0:1]
	s_cbranch_vccz .LBB55_1023
; %bb.1020:
	global_load_dwordx2 v[8:9], v[0:1], off
	s_movk_i32 s0, 0x7fff
	s_waitcnt vmcnt(0)
	v_xor_b32_e32 v10, v8, v9
	v_ffbh_i32_e32 v7, v9
	v_ashrrev_i32_e32 v10, 31, v10
	v_add_u32_e32 v7, -1, v7
	v_add_u32_e32 v10, 32, v10
	v_min_u32_e32 v7, v7, v10
	v_lshlrev_b64 v[8:9], v7, v[8:9]
	v_min_u32_e32 v8, 1, v8
	v_or_b32_e32 v8, v9, v8
	v_cvt_f32_i32_e32 v8, v8
	v_sub_u32_e32 v7, 32, v7
	v_ldexp_f32 v7, v8, v7
	v_bfe_u32 v8, v7, 16, 1
	v_add3_u32 v7, v7, v8, s0
	v_lshrrev_b32_e32 v7, 16, v7
	s_mov_b64 s[0:1], 0
	s_branch .LBB55_1024
.LBB55_1021:
	s_mov_b64 s[0:1], -1
                                        ; implicit-def: $vgpr7
	s_branch .LBB55_1030
.LBB55_1022:
	s_mov_b64 s[0:1], -1
                                        ; implicit-def: $vgpr7
	s_branch .LBB55_1027
.LBB55_1023:
	s_mov_b64 s[0:1], -1
                                        ; implicit-def: $vgpr7
.LBB55_1024:
	s_andn2_b64 vcc, exec, s[0:1]
	s_cbranch_vccnz .LBB55_1026
; %bb.1025:
	global_load_dword v7, v[0:1], off
	s_movk_i32 s0, 0x7fff
	s_waitcnt vmcnt(0)
	v_cvt_f32_i32_e32 v7, v7
	v_bfe_u32 v8, v7, 16, 1
	v_add3_u32 v7, v7, v8, s0
	v_lshrrev_b32_e32 v7, 16, v7
.LBB55_1026:
	s_mov_b64 s[0:1], 0
.LBB55_1027:
	s_andn2_b64 vcc, exec, s[0:1]
	s_cbranch_vccnz .LBB55_1029
; %bb.1028:
	global_load_sshort v7, v[0:1], off
	s_movk_i32 s0, 0x7fff
	s_waitcnt vmcnt(0)
	v_cvt_f32_i32_e32 v7, v7
	v_bfe_u32 v8, v7, 16, 1
	v_add3_u32 v7, v7, v8, s0
	v_lshrrev_b32_e32 v7, 16, v7
.LBB55_1029:
	s_mov_b64 s[0:1], 0
.LBB55_1030:
	s_andn2_b64 vcc, exec, s[0:1]
	s_cbranch_vccnz .LBB55_1036
; %bb.1031:
	v_mov_b32_e32 v7, 0
	v_cmp_gt_i16_sdwa s[0:1], v4, v7 src0_sel:BYTE_0 src1_sel:DWORD
	s_and_b64 vcc, exec, s[0:1]
	s_cbranch_vccz .LBB55_1033
; %bb.1032:
	global_load_sbyte v7, v[0:1], off
	s_movk_i32 s0, 0x7fff
	s_waitcnt vmcnt(0)
	v_cvt_f32_i32_e32 v7, v7
	v_bfe_u32 v8, v7, 16, 1
	v_add3_u32 v7, v7, v8, s0
	v_lshrrev_b32_e32 v7, 16, v7
	s_mov_b64 s[0:1], 0
	s_branch .LBB55_1034
.LBB55_1033:
	s_mov_b64 s[0:1], -1
                                        ; implicit-def: $vgpr7
.LBB55_1034:
	s_andn2_b64 vcc, exec, s[0:1]
	s_cbranch_vccnz .LBB55_1036
; %bb.1035:
	global_load_ubyte v0, v[0:1], off
	s_movk_i32 s0, 0x7fff
	s_waitcnt vmcnt(0)
	v_cvt_f32_ubyte0_e32 v0, v0
	v_bfe_u32 v1, v0, 16, 1
	v_add3_u32 v0, v0, v1, s0
	v_lshrrev_b32_e32 v7, 16, v0
.LBB55_1036:
	s_mov_b64 s[0:1], -1
.LBB55_1037:
	s_andn2_b64 vcc, exec, s[0:1]
	s_cbranch_vccnz .LBB55_1045
; %bb.1038:
	s_waitcnt vmcnt(0)
	v_lshlrev_b32_e32 v0, 16, v6
	v_lshlrev_b32_e32 v1, 16, v7
	v_div_scale_f32 v6, s[0:1], v1, v1, v0
	v_rcp_f32_e32 v7, v6
	s_movk_i32 s0, 0x7fff
	v_fma_f32 v8, -v6, v7, 1.0
	v_fmac_f32_e32 v7, v8, v7
	v_div_scale_f32 v8, vcc, v0, v1, v0
	v_mul_f32_e32 v9, v8, v7
	v_fma_f32 v10, -v6, v9, v8
	v_fmac_f32_e32 v9, v10, v7
	v_fma_f32 v6, -v6, v9, v8
	v_div_fmas_f32 v6, v6, v7, v9
	v_div_fixup_f32 v0, v6, v1, v0
	v_bfe_u32 v1, v0, 16, 1
	v_add3_u32 v1, v0, v1, s0
	v_lshrrev_b32_e32 v1, 16, v1
	v_mov_b32_e32 v6, 0x7fc0
	v_cmp_o_f32_e32 vcc, v0, v0
	v_cndmask_b32_e32 v0, v6, v1, vcc
	v_lshlrev_b32_e32 v1, 16, v0
	s_mov_b32 s0, 0x800000
	v_mov_b32_e32 v6, 0x80
	v_cmp_ngt_f32_e32 vcc, s0, v1
	v_cndmask_b32_e32 v0, v6, v0, vcc
	v_lshlrev_b32_e32 v1, 16, v0
	s_mov_b32 s0, 0x3f7e0000
	v_mov_b32_e32 v6, 0x3f7e
	v_cmp_nlt_f32_e32 vcc, s0, v1
	v_cndmask_b32_e32 v6, v6, v0, vcc
	v_mul_lo_u32 v0, v3, s12
	v_ashrrev_i32_e32 v1, 31, v0
	v_mov_b32_e32 v7, s9
	v_add_co_u32_e32 v0, vcc, s8, v0
	v_addc_co_u32_e32 v1, vcc, v7, v1, vcc
	v_mov_b32_e32 v7, 11
	v_cmp_lt_i16_sdwa s[0:1], v2, v7 src0_sel:BYTE_0 src1_sel:DWORD
	s_and_b64 vcc, exec, s[0:1]
	s_cbranch_vccnz .LBB55_1046
; %bb.1039:
	v_mov_b32_e32 v7, 25
	v_cmp_gt_i16_sdwa s[0:1], v2, v7 src0_sel:BYTE_0 src1_sel:DWORD
	s_and_b64 vcc, exec, s[0:1]
	s_cbranch_vccz .LBB55_1047
; %bb.1040:
	v_mov_b32_e32 v7, 28
	v_cmp_gt_i16_sdwa s[0:1], v2, v7 src0_sel:BYTE_0 src1_sel:DWORD
	s_and_b64 vcc, exec, s[0:1]
	s_cbranch_vccz .LBB55_1048
	;; [unrolled: 5-line block ×4, first 2 shown]
; %bb.1043:
	v_mov_b32_e32 v7, 46
	v_cmp_eq_u16_sdwa s[40:41], v2, v7 src0_sel:BYTE_0 src1_sel:DWORD
	s_mov_b64 s[42:43], 0
	s_mov_b64 s[0:1], -1
	s_and_b64 vcc, exec, s[40:41]
	s_mov_b64 s[40:41], 0
	s_cbranch_vccz .LBB55_1051
; %bb.1044:
	v_and_b32_e32 v7, 0xffff, v6
	global_store_dword v[0:1], v7, off
	s_mov_b64 s[40:41], -1
	s_mov_b64 s[0:1], 0
	s_branch .LBB55_1051
.LBB55_1045:
	s_mov_b64 s[42:43], 0
                                        ; implicit-def: $vgpr3
	s_mov_b64 s[0:1], s[28:29]
	s_branch .LBB55_1161
.LBB55_1046:
	s_mov_b64 s[42:43], -1
	s_mov_b64 s[40:41], 0
	s_mov_b64 s[0:1], s[28:29]
	s_branch .LBB55_1120
.LBB55_1047:
	s_mov_b64 s[42:43], -1
	s_mov_b64 s[40:41], 0
	s_mov_b64 s[0:1], s[28:29]
	s_branch .LBB55_1078
.LBB55_1048:
	s_mov_b64 s[42:43], -1
	s_mov_b64 s[40:41], 0
	s_mov_b64 s[0:1], s[28:29]
	s_branch .LBB55_1061
.LBB55_1049:
	s_mov_b64 s[42:43], -1
	s_mov_b64 s[40:41], 0
	s_mov_b64 s[0:1], s[28:29]
	s_branch .LBB55_1057
.LBB55_1050:
	s_mov_b64 s[42:43], -1
	s_mov_b64 s[40:41], 0
	s_mov_b64 s[0:1], s[28:29]
.LBB55_1051:
	s_and_b64 vcc, exec, s[42:43]
	s_cbranch_vccz .LBB55_1056
; %bb.1052:
	v_mov_b32_e32 v7, 44
	v_cmp_eq_u16_sdwa s[42:43], v2, v7 src0_sel:BYTE_0 src1_sel:DWORD
	s_mov_b64 s[0:1], -1
	s_and_b64 vcc, exec, s[42:43]
	s_cbranch_vccz .LBB55_1056
; %bb.1053:
	v_and_b32_e32 v8, 0xffff, v6
	v_bfe_u32 v7, v8, 7, 8
	s_movk_i32 s0, 0xff
	v_cmp_ne_u32_e32 vcc, s0, v7
	v_mov_b32_e32 v9, 0xff
	s_and_saveexec_b64 s[40:41], vcc
; %bb.1054:
	v_lshlrev_b32_e32 v10, 16, v8
	s_mov_b32 s0, 0x3f0000
	v_lshrrev_b32_e32 v9, 7, v8
	v_and_b32_e32 v8, 64, v8
	v_and_or_b32 v7, v10, s0, v7
	v_cmp_ne_u32_e32 vcc, 0, v8
	v_cmp_ne_u32_e64 s[0:1], 0, v7
	s_and_b64 s[0:1], vcc, s[0:1]
	v_cndmask_b32_e64 v7, 0, 1, s[0:1]
	v_add_u32_e32 v9, v9, v7
; %bb.1055:
	s_or_b64 exec, exec, s[40:41]
	s_mov_b64 s[40:41], -1
	s_mov_b64 s[0:1], 0
	global_store_byte v[0:1], v9, off
.LBB55_1056:
	s_mov_b64 s[42:43], 0
.LBB55_1057:
	s_and_b64 vcc, exec, s[42:43]
	s_cbranch_vccz .LBB55_1060
; %bb.1058:
	v_mov_b32_e32 v7, 29
	v_cmp_eq_u16_sdwa s[42:43], v2, v7 src0_sel:BYTE_0 src1_sel:DWORD
	s_mov_b64 s[0:1], -1
	s_and_b64 vcc, exec, s[42:43]
	s_cbranch_vccz .LBB55_1060
; %bb.1059:
	v_lshlrev_b32_e32 v7, 16, v6
	v_trunc_f32_e32 v7, v7
	v_mul_f32_e32 v8, 0x2f800000, v7
	v_floor_f32_e32 v8, v8
	v_fmac_f32_e32 v7, 0xcf800000, v8
	v_cvt_u32_f32_e32 v9, v8
	v_cvt_u32_f32_e32 v8, v7
	s_mov_b64 s[40:41], -1
	s_mov_b64 s[0:1], 0
	s_mov_b64 s[42:43], 0
	global_store_dwordx2 v[0:1], v[8:9], off
	s_branch .LBB55_1061
.LBB55_1060:
	s_mov_b64 s[42:43], 0
.LBB55_1061:
	s_and_b64 vcc, exec, s[42:43]
	s_cbranch_vccz .LBB55_1077
; %bb.1062:
	v_mov_b32_e32 v7, 27
	v_cmp_lt_i16_sdwa s[42:43], v2, v7 src0_sel:BYTE_0 src1_sel:DWORD
	s_mov_b64 s[40:41], -1
	s_and_b64 vcc, exec, s[42:43]
	s_cbranch_vccnz .LBB55_1068
; %bb.1063:
	v_cmp_gt_i16_sdwa s[42:43], v2, v7 src0_sel:BYTE_0 src1_sel:DWORD
	s_and_b64 vcc, exec, s[42:43]
	s_cbranch_vccz .LBB55_1065
; %bb.1064:
	v_lshlrev_b32_e32 v7, 16, v6
	v_cvt_u32_f32_e32 v7, v7
	s_mov_b64 s[40:41], 0
	global_store_dword v[0:1], v7, off
.LBB55_1065:
	s_andn2_b64 vcc, exec, s[40:41]
	s_cbranch_vccnz .LBB55_1067
; %bb.1066:
	v_lshlrev_b32_e32 v7, 16, v6
	v_cvt_u32_f32_e32 v7, v7
	global_store_short v[0:1], v7, off
.LBB55_1067:
	s_mov_b64 s[40:41], 0
.LBB55_1068:
	s_andn2_b64 vcc, exec, s[40:41]
	s_cbranch_vccnz .LBB55_1076
; %bb.1069:
	v_lshlrev_b32_e32 v9, 16, v6
	v_and_b32_e32 v8, 0x7fffffff, v9
	s_mov_b32 s15, 0x43800000
	v_cmp_gt_u32_e32 vcc, s15, v8
	v_mov_b32_e32 v10, 0x80
	s_and_saveexec_b64 s[40:41], vcc
	s_cbranch_execz .LBB55_1075
; %bb.1070:
	s_mov_b32 s15, 0x3bffffff
	v_and_b32_e32 v7, 0xffff, v6
	v_cmp_lt_u32_e32 vcc, s15, v8
	s_mov_b64 s[42:43], 0
                                        ; implicit-def: $vgpr8
	s_and_saveexec_b64 s[44:45], vcc
	s_xor_b64 s[44:45], exec, s[44:45]
	s_cbranch_execz .LBB55_1177
; %bb.1071:
	v_bfe_u32 v8, v7, 4, 1
	s_mov_b32 s15, 0x487ffff
	v_add3_u32 v8, v9, v8, s15
	s_mov_b64 s[42:43], exec
	v_lshrrev_b32_e32 v8, 20, v8
                                        ; implicit-def: $vgpr9
	s_or_saveexec_b64 s[44:45], s[44:45]
                                        ; implicit-def: $sgpr15
	s_xor_b64 exec, exec, s[44:45]
	s_cbranch_execnz .LBB55_1178
.LBB55_1072:
	s_or_b64 exec, exec, s[44:45]
	v_mov_b32_e32 v10, s15
	s_and_saveexec_b64 s[44:45], s[42:43]
.LBB55_1073:
	v_lshrrev_b32_e32 v7, 8, v7
	s_movk_i32 s15, 0x80
	v_and_or_b32 v10, v7, s15, v8
.LBB55_1074:
	s_or_b64 exec, exec, s[44:45]
.LBB55_1075:
	s_or_b64 exec, exec, s[40:41]
	global_store_byte v[0:1], v10, off
.LBB55_1076:
	s_mov_b64 s[40:41], -1
.LBB55_1077:
	s_mov_b64 s[42:43], 0
.LBB55_1078:
	s_and_b64 vcc, exec, s[42:43]
	s_cbranch_vccz .LBB55_1119
; %bb.1079:
	v_mov_b32_e32 v7, 22
	v_cmp_gt_i16_sdwa s[44:45], v2, v7 src0_sel:BYTE_0 src1_sel:DWORD
	s_mov_b64 s[42:43], -1
	s_and_b64 vcc, exec, s[44:45]
	s_cbranch_vccz .LBB55_1111
; %bb.1080:
	v_mov_b32_e32 v7, 24
	v_cmp_lt_i16_sdwa s[42:43], v2, v7 src0_sel:BYTE_0 src1_sel:DWORD
	s_mov_b64 s[40:41], -1
	s_and_b64 vcc, exec, s[42:43]
	s_cbranch_vccnz .LBB55_1100
; %bb.1081:
	v_cmp_gt_i16_sdwa s[42:43], v2, v7 src0_sel:BYTE_0 src1_sel:DWORD
	s_and_b64 vcc, exec, s[42:43]
	s_cbranch_vccz .LBB55_1089
; %bb.1082:
	v_lshlrev_b32_e32 v9, 16, v6
	v_and_b32_e32 v8, 0x7fffffff, v9
	s_mov_b32 s15, 0x47800000
	v_cmp_gt_u32_e32 vcc, s15, v8
	v_mov_b32_e32 v10, 0x80
	s_and_saveexec_b64 s[40:41], vcc
	s_cbranch_execz .LBB55_1088
; %bb.1083:
	s_mov_b32 s15, 0x37ffffff
	v_and_b32_e32 v7, 0xffff, v6
	v_cmp_lt_u32_e32 vcc, s15, v8
	s_mov_b64 s[42:43], 0
                                        ; implicit-def: $vgpr8
	s_and_saveexec_b64 s[44:45], vcc
	s_xor_b64 s[44:45], exec, s[44:45]
	s_cbranch_execz .LBB55_2200
; %bb.1084:
	v_bfe_u32 v8, v7, 5, 1
	s_mov_b32 s15, 0x88fffff
	v_add3_u32 v8, v9, v8, s15
	s_mov_b64 s[42:43], exec
	v_lshrrev_b32_e32 v8, 21, v8
                                        ; implicit-def: $vgpr9
	s_or_saveexec_b64 s[44:45], s[44:45]
                                        ; implicit-def: $sgpr15
	s_xor_b64 exec, exec, s[44:45]
	s_cbranch_execnz .LBB55_2201
.LBB55_1085:
	s_or_b64 exec, exec, s[44:45]
	v_mov_b32_e32 v10, s15
	s_and_saveexec_b64 s[44:45], s[42:43]
.LBB55_1086:
	v_lshrrev_b32_e32 v7, 8, v7
	s_movk_i32 s15, 0x80
	v_and_or_b32 v10, v7, s15, v8
.LBB55_1087:
	s_or_b64 exec, exec, s[44:45]
.LBB55_1088:
	s_or_b64 exec, exec, s[40:41]
	s_mov_b64 s[40:41], 0
	global_store_byte v[0:1], v10, off
.LBB55_1089:
	s_and_b64 vcc, exec, s[40:41]
	s_cbranch_vccz .LBB55_1099
; %bb.1090:
	v_lshlrev_b32_e32 v9, 16, v6
	v_and_b32_e32 v10, 0x7fffffff, v9
	s_mov_b32 s15, 0x43f00000
	v_and_b32_e32 v7, 0xffff, v6
	v_cmp_gt_u32_e32 vcc, s15, v10
                                        ; implicit-def: $vgpr8
	s_and_saveexec_b64 s[40:41], vcc
	s_xor_b64 s[40:41], exec, s[40:41]
	s_cbranch_execz .LBB55_1096
; %bb.1091:
	s_mov_b32 s15, 0x3c7fffff
	v_cmp_lt_u32_e32 vcc, s15, v10
                                        ; implicit-def: $vgpr8
	s_and_saveexec_b64 s[42:43], vcc
	s_xor_b64 s[42:43], exec, s[42:43]
; %bb.1092:
	v_bfe_u32 v8, v7, 4, 1
	s_mov_b32 s15, 0x407ffff
	v_add3_u32 v8, v9, v8, s15
	v_lshrrev_b32_e32 v9, 20, v8
	v_and_b32_e32 v8, 0xff00000, v8
	s_mov_b32 s15, 0x7f00000
	v_mov_b32_e32 v10, 0x7e
	v_cmp_ne_u32_e32 vcc, s15, v8
	v_cndmask_b32_e32 v8, v10, v9, vcc
                                        ; implicit-def: $vgpr9
; %bb.1093:
	s_andn2_saveexec_b64 s[42:43], s[42:43]
; %bb.1094:
	s_mov_b32 s15, 0x46800000
	v_add_f32_e64 v8, |v9|, s15
; %bb.1095:
	s_or_b64 exec, exec, s[42:43]
                                        ; implicit-def: $vgpr10
.LBB55_1096:
	s_andn2_saveexec_b64 s[40:41], s[40:41]
; %bb.1097:
	s_mov_b32 s15, 0x7f800000
	v_mov_b32_e32 v8, 0x7e
	v_mov_b32_e32 v9, 0x7f
	v_cmp_lt_u32_e32 vcc, s15, v10
	v_cndmask_b32_e32 v8, v8, v9, vcc
; %bb.1098:
	s_or_b64 exec, exec, s[40:41]
	v_lshrrev_b32_e32 v7, 8, v7
	s_movk_i32 s15, 0x80
	v_and_or_b32 v7, v7, s15, v8
	global_store_byte v[0:1], v7, off
.LBB55_1099:
	s_mov_b64 s[40:41], 0
.LBB55_1100:
	s_andn2_b64 vcc, exec, s[40:41]
	s_cbranch_vccnz .LBB55_1110
; %bb.1101:
	v_lshlrev_b32_e32 v9, 16, v6
	v_and_b32_e32 v10, 0x7fffffff, v9
	s_mov_b32 s15, 0x47800000
	v_and_b32_e32 v7, 0xffff, v6
	v_cmp_gt_u32_e32 vcc, s15, v10
                                        ; implicit-def: $vgpr8
	s_and_saveexec_b64 s[40:41], vcc
	s_xor_b64 s[40:41], exec, s[40:41]
	s_cbranch_execz .LBB55_1107
; %bb.1102:
	s_mov_b32 s15, 0x387fffff
	v_cmp_lt_u32_e32 vcc, s15, v10
                                        ; implicit-def: $vgpr8
	s_and_saveexec_b64 s[42:43], vcc
	s_xor_b64 s[42:43], exec, s[42:43]
; %bb.1103:
	v_bfe_u32 v8, v7, 5, 1
	s_mov_b32 s15, 0x80fffff
	v_add3_u32 v8, v9, v8, s15
	v_lshrrev_b32_e32 v8, 21, v8
                                        ; implicit-def: $vgpr9
; %bb.1104:
	s_andn2_saveexec_b64 s[42:43], s[42:43]
; %bb.1105:
	s_mov_b32 s15, 0x43000000
	v_add_f32_e64 v8, |v9|, s15
; %bb.1106:
	s_or_b64 exec, exec, s[42:43]
                                        ; implicit-def: $vgpr10
.LBB55_1107:
	s_andn2_saveexec_b64 s[40:41], s[40:41]
; %bb.1108:
	s_mov_b32 s15, 0x7f800000
	v_mov_b32_e32 v8, 0x7c
	v_mov_b32_e32 v9, 0x7f
	v_cmp_lt_u32_e32 vcc, s15, v10
	v_cndmask_b32_e32 v8, v8, v9, vcc
; %bb.1109:
	s_or_b64 exec, exec, s[40:41]
	v_lshrrev_b32_e32 v7, 8, v7
	s_movk_i32 s15, 0x80
	v_and_or_b32 v7, v7, s15, v8
	global_store_byte v[0:1], v7, off
.LBB55_1110:
	s_mov_b64 s[42:43], 0
	s_mov_b64 s[40:41], -1
.LBB55_1111:
	s_andn2_b64 vcc, exec, s[42:43]
	s_cbranch_vccnz .LBB55_1119
; %bb.1112:
	v_mov_b32_e32 v7, 14
	v_cmp_gt_i16_sdwa s[44:45], v2, v7 src0_sel:BYTE_0 src1_sel:DWORD
	s_mov_b64 s[42:43], -1
	s_and_b64 vcc, exec, s[44:45]
	s_cbranch_vccz .LBB55_1116
; %bb.1113:
	v_mov_b32_e32 v7, 15
	v_cmp_eq_u16_sdwa s[42:43], v2, v7 src0_sel:BYTE_0 src1_sel:DWORD
	s_mov_b64 s[0:1], -1
	s_and_b64 vcc, exec, s[42:43]
	s_cbranch_vccz .LBB55_1115
; %bb.1114:
	global_store_short v[0:1], v6, off
	s_mov_b64 s[40:41], -1
	s_mov_b64 s[0:1], 0
.LBB55_1115:
	s_mov_b64 s[42:43], 0
.LBB55_1116:
	s_and_b64 vcc, exec, s[42:43]
	s_cbranch_vccz .LBB55_1119
; %bb.1117:
	v_mov_b32_e32 v7, 11
	v_cmp_eq_u16_sdwa s[42:43], v2, v7 src0_sel:BYTE_0 src1_sel:DWORD
	s_mov_b64 s[0:1], -1
	s_and_b64 vcc, exec, s[42:43]
	s_cbranch_vccz .LBB55_1119
; %bb.1118:
	v_and_b32_e32 v7, 0x7fff, v6
	v_cmp_ne_u16_e32 vcc, 0, v7
	v_cndmask_b32_e64 v7, 0, 1, vcc
	s_mov_b64 s[40:41], -1
	s_mov_b64 s[0:1], 0
	global_store_byte v[0:1], v7, off
.LBB55_1119:
	s_mov_b64 s[42:43], 0
.LBB55_1120:
	s_and_b64 vcc, exec, s[42:43]
	s_cbranch_vccz .LBB55_1159
; %bb.1121:
	v_mov_b32_e32 v7, 5
	v_cmp_lt_i16_sdwa s[42:43], v2, v7 src0_sel:BYTE_0 src1_sel:DWORD
	s_mov_b64 s[40:41], -1
	s_and_b64 vcc, exec, s[42:43]
	s_cbranch_vccnz .LBB55_1142
; %bb.1122:
	v_mov_b32_e32 v7, 8
	v_cmp_lt_i16_sdwa s[42:43], v2, v7 src0_sel:BYTE_0 src1_sel:DWORD
	s_and_b64 vcc, exec, s[42:43]
	s_cbranch_vccnz .LBB55_1132
; %bb.1123:
	v_mov_b32_e32 v7, 9
	v_cmp_lt_i16_sdwa s[42:43], v2, v7 src0_sel:BYTE_0 src1_sel:DWORD
	s_and_b64 vcc, exec, s[42:43]
	s_cbranch_vccnz .LBB55_1129
; %bb.1124:
	v_cmp_gt_i16_sdwa s[42:43], v2, v7 src0_sel:BYTE_0 src1_sel:DWORD
	s_and_b64 vcc, exec, s[42:43]
	s_cbranch_vccz .LBB55_1126
; %bb.1125:
	v_lshlrev_b32_e32 v7, 16, v6
	v_mov_b32_e32 v10, 0
	v_cvt_f64_f32_e32 v[8:9], v7
	v_mov_b32_e32 v11, v10
	s_mov_b64 s[40:41], 0
	global_store_dwordx4 v[0:1], v[8:11], off
.LBB55_1126:
	s_andn2_b64 vcc, exec, s[40:41]
	s_cbranch_vccnz .LBB55_1128
; %bb.1127:
	v_lshlrev_b32_e32 v8, 16, v6
	v_mov_b32_e32 v9, 0
	global_store_dwordx2 v[0:1], v[8:9], off
.LBB55_1128:
	s_mov_b64 s[40:41], 0
.LBB55_1129:
	s_andn2_b64 vcc, exec, s[40:41]
	s_cbranch_vccnz .LBB55_1131
; %bb.1130:
	v_lshlrev_b32_e32 v7, 16, v6
	v_cvt_f16_f32_e32 v7, v7
	global_store_dword v[0:1], v7, off
.LBB55_1131:
	s_mov_b64 s[40:41], 0
.LBB55_1132:
	s_andn2_b64 vcc, exec, s[40:41]
	s_cbranch_vccnz .LBB55_1141
; %bb.1133:
	v_mov_b32_e32 v7, 6
	v_cmp_lt_i16_sdwa s[42:43], v2, v7 src0_sel:BYTE_0 src1_sel:DWORD
	s_mov_b64 s[40:41], -1
	s_and_b64 vcc, exec, s[42:43]
	s_cbranch_vccnz .LBB55_1139
; %bb.1134:
	v_cmp_gt_i16_sdwa s[42:43], v2, v7 src0_sel:BYTE_0 src1_sel:DWORD
	s_and_b64 vcc, exec, s[42:43]
	s_cbranch_vccz .LBB55_1136
; %bb.1135:
	v_lshlrev_b32_e32 v7, 16, v6
	v_cvt_f64_f32_e32 v[8:9], v7
	s_mov_b64 s[40:41], 0
	global_store_dwordx2 v[0:1], v[8:9], off
.LBB55_1136:
	s_andn2_b64 vcc, exec, s[40:41]
	s_cbranch_vccnz .LBB55_1138
; %bb.1137:
	v_lshlrev_b32_e32 v7, 16, v6
	global_store_dword v[0:1], v7, off
.LBB55_1138:
	s_mov_b64 s[40:41], 0
.LBB55_1139:
	s_andn2_b64 vcc, exec, s[40:41]
	s_cbranch_vccnz .LBB55_1141
; %bb.1140:
	v_lshlrev_b32_e32 v7, 16, v6
	v_cvt_f16_f32_e32 v7, v7
	global_store_short v[0:1], v7, off
.LBB55_1141:
	s_mov_b64 s[40:41], 0
.LBB55_1142:
	s_andn2_b64 vcc, exec, s[40:41]
	s_cbranch_vccnz .LBB55_1158
; %bb.1143:
	v_mov_b32_e32 v7, 2
	v_cmp_lt_i16_sdwa s[42:43], v2, v7 src0_sel:BYTE_0 src1_sel:DWORD
	s_mov_b64 s[40:41], -1
	s_and_b64 vcc, exec, s[42:43]
	s_cbranch_vccnz .LBB55_1153
; %bb.1144:
	v_mov_b32_e32 v7, 3
	v_cmp_lt_i16_sdwa s[42:43], v2, v7 src0_sel:BYTE_0 src1_sel:DWORD
	s_and_b64 vcc, exec, s[42:43]
	s_cbranch_vccnz .LBB55_1150
; %bb.1145:
	v_cmp_gt_i16_sdwa s[42:43], v2, v7 src0_sel:BYTE_0 src1_sel:DWORD
	s_and_b64 vcc, exec, s[42:43]
	s_cbranch_vccz .LBB55_1147
; %bb.1146:
	v_lshlrev_b32_e32 v7, 16, v6
	v_trunc_f32_e32 v7, v7
	s_mov_b32 s15, 0x2f800000
	v_mul_f32_e64 v8, |v7|, s15
	v_floor_f32_e32 v8, v8
	s_mov_b32 s15, 0xcf800000
	v_cvt_u32_f32_e32 v9, v8
	v_fma_f32 v8, v8, s15, |v7|
	v_cvt_u32_f32_e32 v8, v8
	v_ashrrev_i32_e32 v7, 31, v7
	v_xor_b32_e32 v9, v9, v7
	s_mov_b64 s[40:41], 0
	v_xor_b32_e32 v8, v8, v7
	v_sub_co_u32_e32 v8, vcc, v8, v7
	v_subb_co_u32_e32 v9, vcc, v9, v7, vcc
	global_store_dwordx2 v[0:1], v[8:9], off
.LBB55_1147:
	s_andn2_b64 vcc, exec, s[40:41]
	s_cbranch_vccnz .LBB55_1149
; %bb.1148:
	v_lshlrev_b32_e32 v7, 16, v6
	v_cvt_i32_f32_e32 v7, v7
	global_store_dword v[0:1], v7, off
.LBB55_1149:
	s_mov_b64 s[40:41], 0
.LBB55_1150:
	s_andn2_b64 vcc, exec, s[40:41]
	s_cbranch_vccnz .LBB55_1152
; %bb.1151:
	v_lshlrev_b32_e32 v7, 16, v6
	v_cvt_i32_f32_e32 v7, v7
	global_store_short v[0:1], v7, off
.LBB55_1152:
	s_mov_b64 s[40:41], 0
.LBB55_1153:
	s_andn2_b64 vcc, exec, s[40:41]
	s_cbranch_vccnz .LBB55_1158
; %bb.1154:
	v_mov_b32_e32 v7, 0
	v_cmp_gt_i16_sdwa s[42:43], v2, v7 src0_sel:BYTE_0 src1_sel:DWORD
	s_mov_b64 s[40:41], -1
	s_and_b64 vcc, exec, s[42:43]
	v_lshlrev_b32_e32 v6, 16, v6
	s_cbranch_vccz .LBB55_1156
; %bb.1155:
	v_cvt_i32_f32_e32 v7, v6
	s_mov_b64 s[40:41], 0
	global_store_byte v[0:1], v7, off
.LBB55_1156:
	s_andn2_b64 vcc, exec, s[40:41]
	s_cbranch_vccnz .LBB55_1158
; %bb.1157:
	v_trunc_f32_e32 v6, v6
	s_mov_b32 s15, 0x2f800000
	v_mul_f32_e64 v7, |v6|, s15
	v_floor_f32_e32 v7, v7
	s_mov_b32 s15, 0xcf800000
	v_fma_f32 v7, v7, s15, |v6|
	v_cvt_u32_f32_e32 v7, v7
	v_ashrrev_i32_e32 v6, 31, v6
	v_xor_b32_e32 v7, v7, v6
	v_sub_u32_e32 v6, v7, v6
	global_store_byte v[0:1], v6, off
.LBB55_1158:
	s_mov_b64 s[40:41], -1
.LBB55_1159:
	s_andn2_b64 vcc, exec, s[40:41]
	s_cbranch_vccnz .LBB55_1172
; %bb.1160:
	v_add_u32_e32 v3, 0x80, v3
	s_mov_b64 s[42:43], -1
.LBB55_1161:
	s_andn2_b64 s[40:41], s[28:29], exec
	s_and_b64 s[0:1], s[0:1], exec
	s_or_b64 s[40:41], s[40:41], s[0:1]
	s_andn2_b64 s[0:1], s[26:27], exec
	s_and_b64 s[38:39], s[38:39], exec
	s_or_b64 s[38:39], s[0:1], s[38:39]
	;; [unrolled: 3-line block ×3, first 2 shown]
	s_orn2_b64 s[46:47], s[42:43], exec
.LBB55_1162:
	s_or_b64 exec, exec, s[34:35]
	s_mov_b64 s[42:43], 0
	s_mov_b64 s[36:37], 0
	;; [unrolled: 1-line block ×3, first 2 shown]
                                        ; implicit-def: $vgpr7
                                        ; implicit-def: $vgpr0_vgpr1
                                        ; implicit-def: $vgpr6
	s_and_saveexec_b64 s[34:35], s[46:47]
	s_cbranch_execz .LBB55_1246
; %bb.1163:
	v_cmp_gt_i32_e32 vcc, s33, v3
	s_mov_b64 s[46:47], 0
	s_mov_b64 s[48:49], s[0:1]
	;; [unrolled: 1-line block ×4, first 2 shown]
                                        ; implicit-def: $vgpr7
                                        ; implicit-def: $vgpr0_vgpr1
                                        ; implicit-def: $vgpr6
	s_and_saveexec_b64 s[36:37], vcc
	s_cbranch_execz .LBB55_1245
; %bb.1164:
	v_mul_lo_u32 v0, v3, s13
	v_ashrrev_i32_e32 v1, 31, v0
	s_waitcnt vmcnt(0)
	v_mov_b32_e32 v6, s11
	v_add_co_u32_e32 v0, vcc, s10, v0
	v_addc_co_u32_e32 v1, vcc, v6, v1, vcc
	v_and_b32_e32 v7, 0xff, v5
	v_cmp_gt_i16_e32 vcc, 11, v7
	s_cbranch_vccnz .LBB55_1171
; %bb.1165:
	v_cmp_lt_i16_e32 vcc, 25, v7
	s_cbranch_vccz .LBB55_1173
; %bb.1166:
	v_cmp_lt_i16_e32 vcc, 28, v7
	s_cbranch_vccz .LBB55_1174
; %bb.1167:
	v_cmp_lt_i16_e32 vcc, 43, v7
	s_cbranch_vccz .LBB55_1175
; %bb.1168:
	v_cmp_lt_i16_e32 vcc, 45, v7
	s_cbranch_vccz .LBB55_1176
; %bb.1169:
	v_cmp_eq_u16_e32 vcc, 46, v7
	s_mov_b64 s[48:49], 0
	s_cbranch_vccz .LBB55_1179
; %bb.1170:
	global_load_dword v6, v[0:1], off
	s_mov_b64 s[46:47], -1
	s_branch .LBB55_1181
.LBB55_1171:
	s_mov_b64 s[48:49], -1
                                        ; implicit-def: $vgpr6
	s_mov_b64 s[42:43], s[0:1]
	s_branch .LBB55_1244
.LBB55_1172:
	s_mov_b64 s[42:43], 0
	s_branch .LBB55_914
.LBB55_1173:
	s_mov_b64 s[48:49], -1
	s_mov_b64 s[42:43], s[0:1]
                                        ; implicit-def: $vgpr6
	s_branch .LBB55_1210
.LBB55_1174:
	s_mov_b64 s[48:49], -1
	s_mov_b64 s[42:43], s[0:1]
                                        ; implicit-def: $vgpr6
	s_branch .LBB55_1191
.LBB55_1175:
	s_mov_b64 s[48:49], -1
	s_mov_b64 s[42:43], s[0:1]
                                        ; implicit-def: $vgpr6
	s_branch .LBB55_1186
.LBB55_1176:
	s_mov_b64 s[48:49], -1
	s_mov_b64 s[42:43], s[0:1]
	s_branch .LBB55_1180
.LBB55_1177:
	s_or_saveexec_b64 s[44:45], s[44:45]
                                        ; implicit-def: $sgpr15
	s_xor_b64 exec, exec, s[44:45]
	s_cbranch_execz .LBB55_1072
.LBB55_1178:
	s_mov_b32 s15, 0x46000000
	v_add_f32_e64 v8, |v9|, s15
	v_and_b32_e32 v8, 0xff, v8
	v_cmp_ne_u32_e32 vcc, 0, v8
	s_andn2_b64 s[42:43], s[42:43], exec
	s_and_b64 s[46:47], vcc, exec
	s_mov_b32 s15, 0
	s_or_b64 s[42:43], s[42:43], s[46:47]
	s_or_b64 exec, exec, s[44:45]
	v_mov_b32_e32 v10, s15
	s_and_saveexec_b64 s[44:45], s[42:43]
	s_cbranch_execnz .LBB55_1073
	s_branch .LBB55_1074
.LBB55_1179:
	s_mov_b64 s[42:43], -1
.LBB55_1180:
                                        ; implicit-def: $vgpr6
.LBB55_1181:
	s_and_b64 vcc, exec, s[48:49]
	s_cbranch_vccz .LBB55_1185
; %bb.1182:
	v_cmp_eq_u16_e32 vcc, 44, v7
	s_cbranch_vccz .LBB55_1184
; %bb.1183:
	global_load_ubyte v5, v[0:1], off
	s_movk_i32 s15, 0xff
	s_waitcnt vmcnt(1)
	v_mov_b32_e32 v6, 0x7f800001
	v_mov_b32_e32 v8, 0x400000
	;; [unrolled: 1-line block ×3, first 2 shown]
	s_mov_b64 s[42:43], 0
	s_mov_b64 s[46:47], -1
	s_waitcnt vmcnt(0)
	v_lshlrev_b32_e32 v10, 23, v5
	v_cmp_ne_u32_e32 vcc, s15, v5
	v_cndmask_b32_e32 v6, v6, v10, vcc
	v_cmp_ne_u32_e32 vcc, 0, v5
	v_cndmask_b32_e32 v5, v8, v6, vcc
	v_add_u32_e32 v6, 0x7fff, v5
	v_lshrrev_b32_e32 v6, 16, v6
	v_cmp_o_f32_e32 vcc, v5, v5
	v_cndmask_b32_e32 v6, v9, v6, vcc
	s_branch .LBB55_1185
.LBB55_1184:
	s_mov_b64 s[42:43], -1
                                        ; implicit-def: $vgpr6
.LBB55_1185:
	s_mov_b64 s[48:49], 0
.LBB55_1186:
	s_and_b64 vcc, exec, s[48:49]
	s_cbranch_vccz .LBB55_1190
; %bb.1187:
	v_cmp_eq_u16_e32 vcc, 29, v7
	s_cbranch_vccz .LBB55_1189
; %bb.1188:
	global_load_dwordx2 v[8:9], v[0:1], off
	s_movk_i32 s15, 0x7fff
	s_mov_b64 s[42:43], 0
	s_mov_b64 s[46:47], -1
	s_mov_b64 s[48:49], 0
	s_waitcnt vmcnt(0)
	v_ffbh_u32_e32 v5, v9
	v_min_u32_e32 v5, 32, v5
	v_lshlrev_b64 v[8:9], v5, v[8:9]
	v_min_u32_e32 v6, 1, v8
	v_or_b32_e32 v6, v9, v6
	v_cvt_f32_u32_e32 v6, v6
	v_sub_u32_e32 v5, 32, v5
	v_ldexp_f32 v5, v6, v5
	v_bfe_u32 v6, v5, 16, 1
	v_add3_u32 v5, v5, v6, s15
	v_lshrrev_b32_e32 v6, 16, v5
	s_branch .LBB55_1191
.LBB55_1189:
	s_mov_b64 s[42:43], -1
                                        ; implicit-def: $vgpr6
.LBB55_1190:
	s_mov_b64 s[48:49], 0
.LBB55_1191:
	s_and_b64 vcc, exec, s[48:49]
	s_cbranch_vccz .LBB55_1209
; %bb.1192:
	v_cmp_gt_i16_e32 vcc, 27, v7
	s_cbranch_vccnz .LBB55_1195
; %bb.1193:
	v_cmp_lt_i16_e32 vcc, 27, v7
	s_cbranch_vccz .LBB55_1196
; %bb.1194:
	global_load_dword v5, v[0:1], off
	s_movk_i32 s15, 0x7fff
	s_mov_b64 s[46:47], 0
	s_waitcnt vmcnt(0)
	v_cvt_f32_u32_e32 v5, v5
	v_bfe_u32 v6, v5, 16, 1
	v_add3_u32 v5, v5, v6, s15
	v_lshrrev_b32_e32 v6, 16, v5
	s_branch .LBB55_1197
.LBB55_1195:
	s_mov_b64 s[46:47], -1
                                        ; implicit-def: $vgpr6
	s_branch .LBB55_1200
.LBB55_1196:
	s_mov_b64 s[46:47], -1
                                        ; implicit-def: $vgpr6
.LBB55_1197:
	s_andn2_b64 vcc, exec, s[46:47]
	s_cbranch_vccnz .LBB55_1199
; %bb.1198:
	global_load_ushort v5, v[0:1], off
	s_movk_i32 s15, 0x7fff
	s_waitcnt vmcnt(0)
	v_cvt_f32_u32_e32 v5, v5
	v_bfe_u32 v6, v5, 16, 1
	v_add3_u32 v5, v5, v6, s15
	v_lshrrev_b32_e32 v6, 16, v5
.LBB55_1199:
	s_mov_b64 s[46:47], 0
.LBB55_1200:
	s_andn2_b64 vcc, exec, s[46:47]
	s_cbranch_vccnz .LBB55_1208
; %bb.1201:
	global_load_ubyte v5, v[0:1], off
	s_movk_i32 s15, 0x7f
	s_mov_b64 s[46:47], 0
	s_waitcnt vmcnt(0)
	v_cmp_lt_i16_e32 vcc, s15, v5
                                        ; implicit-def: $sgpr15
	s_and_saveexec_b64 s[48:49], vcc
	s_xor_b64 s[48:49], exec, s[48:49]
	s_cbranch_execz .LBB55_1222
; %bb.1202:
	s_movk_i32 s15, 0x80
	v_cmp_eq_u16_e32 vcc, s15, v5
	s_mov_b64 s[46:47], -1
                                        ; implicit-def: $sgpr15
	s_and_saveexec_b64 s[50:51], vcc
; %bb.1203:
	s_mov_b32 s15, 0x7f800001
	s_xor_b64 s[46:47], exec, -1
; %bb.1204:
	s_or_b64 exec, exec, s[50:51]
	s_and_b64 s[46:47], s[46:47], exec
	s_or_saveexec_b64 s[48:49], s[48:49]
	v_mov_b32_e32 v6, s15
	s_xor_b64 exec, exec, s[48:49]
	s_cbranch_execnz .LBB55_1223
.LBB55_1205:
	s_or_b64 exec, exec, s[48:49]
	s_and_saveexec_b64 s[48:49], s[46:47]
	s_cbranch_execz .LBB55_1207
.LBB55_1206:
	v_lshlrev_b32_e32 v6, 24, v5
	v_and_b32_e32 v5, 0xffff, v5
	v_and_b32_e32 v8, 7, v5
	v_ffbh_u32_e32 v10, v8
	v_min_u32_e32 v10, 32, v10
	v_subrev_u32_e32 v11, 28, v10
	v_bfe_u32 v9, v5, 3, 4
	v_lshlrev_b32_e32 v5, v11, v5
	v_sub_u32_e32 v10, 29, v10
	v_and_b32_e32 v5, 7, v5
	v_cmp_eq_u32_e32 vcc, 0, v9
	v_cndmask_b32_e32 v9, v9, v10, vcc
	v_cndmask_b32_e32 v5, v8, v5, vcc
	v_mov_b32_e32 v8, 0x3b800000
	v_lshlrev_b32_e32 v5, 20, v5
	v_and_b32_e32 v6, 0x80000000, v6
	v_lshl_add_u32 v8, v9, 23, v8
	v_or3_b32 v6, v6, v8, v5
.LBB55_1207:
	s_or_b64 exec, exec, s[48:49]
	v_bfe_u32 v5, v6, 16, 1
	s_movk_i32 s15, 0x7fff
	v_add3_u32 v5, v6, v5, s15
	v_lshrrev_b32_e32 v5, 16, v5
	v_mov_b32_e32 v8, 0x7fc0
	v_cmp_o_f32_e32 vcc, v6, v6
	v_cndmask_b32_e32 v6, v8, v5, vcc
.LBB55_1208:
	s_mov_b64 s[46:47], -1
.LBB55_1209:
	s_mov_b64 s[48:49], 0
.LBB55_1210:
	s_and_b64 vcc, exec, s[48:49]
	s_cbranch_vccz .LBB55_1243
; %bb.1211:
	v_cmp_lt_i16_e32 vcc, 22, v7
	s_cbranch_vccz .LBB55_1221
; %bb.1212:
	v_cmp_gt_i16_e32 vcc, 24, v7
	s_cbranch_vccnz .LBB55_1224
; %bb.1213:
	v_cmp_lt_i16_e32 vcc, 24, v7
	s_cbranch_vccz .LBB55_1225
; %bb.1214:
	global_load_ubyte v5, v[0:1], off
	s_movk_i32 s15, 0x7f
	s_waitcnt vmcnt(0)
	v_cmp_lt_i16_e32 vcc, s15, v5
                                        ; implicit-def: $sgpr15
	s_and_saveexec_b64 s[46:47], vcc
	s_xor_b64 s[46:47], exec, s[46:47]
	s_cbranch_execz .LBB55_1237
; %bb.1215:
	s_movk_i32 s15, 0x80
	v_cmp_eq_u16_e32 vcc, s15, v5
	s_mov_b64 s[44:45], -1
                                        ; implicit-def: $sgpr15
	s_and_saveexec_b64 s[48:49], vcc
; %bb.1216:
	s_mov_b32 s15, 0x7f800001
	s_xor_b64 s[44:45], exec, -1
; %bb.1217:
	s_or_b64 exec, exec, s[48:49]
	s_and_b64 s[44:45], s[44:45], exec
	s_or_saveexec_b64 s[46:47], s[46:47]
	v_mov_b32_e32 v6, s15
	s_xor_b64 exec, exec, s[46:47]
	s_cbranch_execnz .LBB55_1238
.LBB55_1218:
	s_or_b64 exec, exec, s[46:47]
	s_and_saveexec_b64 s[46:47], s[44:45]
	s_cbranch_execz .LBB55_1220
.LBB55_1219:
	v_lshlrev_b32_e32 v6, 24, v5
	v_and_b32_e32 v5, 0xffff, v5
	v_and_b32_e32 v8, 3, v5
	v_ffbh_u32_e32 v10, v8
	v_min_u32_e32 v10, 32, v10
	v_subrev_u32_e32 v11, 29, v10
	v_bfe_u32 v9, v5, 2, 5
	v_lshlrev_b32_e32 v5, v11, v5
	v_sub_u32_e32 v10, 30, v10
	v_and_b32_e32 v5, 3, v5
	v_cmp_eq_u32_e32 vcc, 0, v9
	v_cndmask_b32_e32 v9, v9, v10, vcc
	v_cndmask_b32_e32 v5, v8, v5, vcc
	v_mov_b32_e32 v8, 0x37800000
	v_lshlrev_b32_e32 v5, 21, v5
	v_and_b32_e32 v6, 0x80000000, v6
	v_lshl_add_u32 v8, v9, 23, v8
	v_or3_b32 v6, v6, v8, v5
.LBB55_1220:
	s_or_b64 exec, exec, s[46:47]
	v_bfe_u32 v5, v6, 16, 1
	s_movk_i32 s15, 0x7fff
	v_add3_u32 v5, v6, v5, s15
	v_lshrrev_b32_e32 v5, 16, v5
	v_mov_b32_e32 v8, 0x7fc0
	v_cmp_o_f32_e32 vcc, v6, v6
	v_cndmask_b32_e32 v6, v8, v5, vcc
	s_mov_b64 s[44:45], 0
	s_branch .LBB55_1226
.LBB55_1221:
	s_mov_b64 s[44:45], -1
                                        ; implicit-def: $vgpr6
	s_branch .LBB55_1232
.LBB55_1222:
	s_or_saveexec_b64 s[48:49], s[48:49]
	v_mov_b32_e32 v6, s15
	s_xor_b64 exec, exec, s[48:49]
	s_cbranch_execz .LBB55_1205
.LBB55_1223:
	v_cmp_ne_u16_e32 vcc, 0, v5
	s_andn2_b64 s[46:47], s[46:47], exec
	s_and_b64 s[50:51], vcc, exec
	v_mov_b32_e32 v6, 0
	s_or_b64 s[46:47], s[46:47], s[50:51]
	s_or_b64 exec, exec, s[48:49]
	s_and_saveexec_b64 s[48:49], s[46:47]
	s_cbranch_execnz .LBB55_1206
	s_branch .LBB55_1207
.LBB55_1224:
	s_mov_b64 s[44:45], -1
                                        ; implicit-def: $vgpr6
	s_branch .LBB55_1229
.LBB55_1225:
	s_mov_b64 s[44:45], -1
                                        ; implicit-def: $vgpr6
.LBB55_1226:
	s_and_b64 vcc, exec, s[44:45]
	s_cbranch_vccz .LBB55_1228
; %bb.1227:
	global_load_ubyte v5, v[0:1], off
	s_mov_b32 s15, 0x7f800000
	s_brev_b32 s33, 1
	s_movk_i32 s44, 0x7fff
	s_waitcnt vmcnt(1)
	v_mov_b32_e32 v6, 0x7fc0
	s_waitcnt vmcnt(0)
	v_lshlrev_b32_e32 v5, 24, v5
	v_and_b32_e32 v8, 0x7f000000, v5
	v_ffbh_u32_e32 v9, v8
	v_min_u32_e32 v9, 32, v9
	v_sub_u32_e64 v9, v9, 4 clamp
	v_lshlrev_b32_e32 v11, v9, v8
	v_lshlrev_b32_e32 v9, 23, v9
	v_lshrrev_b32_e32 v11, 4, v11
	v_add_u32_e32 v10, 0x1000000, v8
	v_sub_u32_e32 v9, v11, v9
	v_ashrrev_i32_e32 v10, 8, v10
	v_add_u32_e32 v9, 0x3c000000, v9
	v_and_or_b32 v9, v10, s15, v9
	v_cmp_ne_u32_e32 vcc, 0, v8
	v_cndmask_b32_e32 v8, 0, v9, vcc
	v_and_or_b32 v5, v5, s33, v8
	v_bfe_u32 v8, v8, 16, 1
	v_add3_u32 v8, v5, v8, s44
	v_lshrrev_b32_e32 v8, 16, v8
	v_cmp_o_f32_e32 vcc, v5, v5
	v_cndmask_b32_e32 v6, v6, v8, vcc
.LBB55_1228:
	s_mov_b64 s[44:45], 0
.LBB55_1229:
	s_andn2_b64 vcc, exec, s[44:45]
	s_cbranch_vccnz .LBB55_1231
; %bb.1230:
	global_load_ubyte v5, v[0:1], off
	s_movk_i32 s15, 0x7f00
	s_brev_b32 s33, 16
	s_brev_b32 s44, 1
	s_movk_i32 s45, 0x7fff
	s_waitcnt vmcnt(1)
	v_mov_b32_e32 v6, 0x7fc0
	s_waitcnt vmcnt(0)
	v_lshlrev_b16_e32 v8, 8, v5
	v_lshlrev_b32_e32 v5, 25, v5
	v_lshrrev_b32_e32 v9, 4, v5
	v_and_or_b32 v10, v8, s15, 0.5
	v_or_b32_e32 v9, 0x70000000, v9
	v_add_f32_e32 v10, -0.5, v10
	v_mul_f32_e32 v9, 0x7800000, v9
	v_cmp_gt_u32_e32 vcc, s33, v5
	v_bfe_i32 v8, v8, 0, 16
	v_cndmask_b32_e32 v5, v9, v10, vcc
	v_and_or_b32 v8, v8, s44, v5
	v_bfe_u32 v5, v5, 16, 1
	v_add3_u32 v5, v8, v5, s45
	v_lshrrev_b32_e32 v5, 16, v5
	v_cmp_o_f32_e32 vcc, v8, v8
	v_cndmask_b32_e32 v6, v6, v5, vcc
.LBB55_1231:
	s_mov_b64 s[44:45], 0
	s_mov_b64 s[46:47], -1
.LBB55_1232:
	s_andn2_b64 vcc, exec, s[44:45]
	s_mov_b64 s[44:45], 0
	s_cbranch_vccnz .LBB55_1243
; %bb.1233:
	v_cmp_lt_i16_e32 vcc, 14, v7
	s_cbranch_vccz .LBB55_1236
; %bb.1234:
	v_cmp_eq_u16_e32 vcc, 15, v7
	s_cbranch_vccz .LBB55_1239
; %bb.1235:
	global_load_ushort v6, v[0:1], off
	s_mov_b64 s[42:43], 0
	s_mov_b64 s[46:47], -1
	s_branch .LBB55_1240
.LBB55_1236:
	s_mov_b64 s[48:49], -1
                                        ; implicit-def: $vgpr6
	s_branch .LBB55_1241
.LBB55_1237:
	s_or_saveexec_b64 s[46:47], s[46:47]
	v_mov_b32_e32 v6, s15
	s_xor_b64 exec, exec, s[46:47]
	s_cbranch_execz .LBB55_1218
.LBB55_1238:
	v_cmp_ne_u16_e32 vcc, 0, v5
	s_andn2_b64 s[44:45], s[44:45], exec
	s_and_b64 s[48:49], vcc, exec
	v_mov_b32_e32 v6, 0
	s_or_b64 s[44:45], s[44:45], s[48:49]
	s_or_b64 exec, exec, s[46:47]
	s_and_saveexec_b64 s[46:47], s[44:45]
	s_cbranch_execnz .LBB55_1219
	s_branch .LBB55_1220
.LBB55_1239:
	s_mov_b64 s[42:43], -1
                                        ; implicit-def: $vgpr6
.LBB55_1240:
	s_mov_b64 s[48:49], 0
.LBB55_1241:
	s_and_b64 vcc, exec, s[48:49]
	s_cbranch_vccz .LBB55_1243
; %bb.1242:
	v_cmp_ne_u16_e32 vcc, 11, v7
	s_andn2_b64 s[42:43], s[42:43], exec
	s_and_b64 s[48:49], vcc, exec
	s_mov_b64 s[44:45], -1
	s_or_b64 s[42:43], s[42:43], s[48:49]
                                        ; implicit-def: $vgpr6
.LBB55_1243:
	s_mov_b64 s[48:49], 0
.LBB55_1244:
	s_and_b64 s[52:53], s[46:47], exec
	s_and_b64 s[46:47], s[44:45], exec
	s_andn2_b64 s[44:45], s[0:1], exec
	s_and_b64 s[42:43], s[42:43], exec
	s_and_b64 s[50:51], s[48:49], exec
	s_or_b64 s[48:49], s[44:45], s[42:43]
.LBB55_1245:
	s_or_b64 exec, exec, s[36:37]
	s_and_b64 s[42:43], s[46:47], exec
	s_andn2_b64 s[0:1], s[0:1], exec
	s_and_b64 s[46:47], s[48:49], exec
	s_and_b64 s[44:45], s[52:53], exec
	s_and_b64 s[36:37], s[50:51], exec
	s_or_b64 s[0:1], s[0:1], s[46:47]
.LBB55_1246:
	s_or_b64 exec, exec, s[34:35]
	s_andn2_b64 s[28:29], s[28:29], exec
	s_and_b64 s[34:35], s[40:41], exec
	s_or_b64 s[28:29], s[28:29], s[34:35]
	s_andn2_b64 s[26:27], s[26:27], exec
	s_and_b64 s[34:35], s[38:39], exec
	s_andn2_b64 s[24:25], s[24:25], exec
	s_and_b64 s[0:1], s[0:1], exec
	s_or_b64 s[26:27], s[26:27], s[34:35]
	s_and_b64 s[38:39], s[44:45], exec
	s_and_b64 s[36:37], s[36:37], exec
	;; [unrolled: 1-line block ×3, first 2 shown]
	s_or_b64 s[24:25], s[24:25], s[0:1]
.LBB55_1247:
	s_or_b64 exec, exec, s[30:31]
	s_andn2_b64 s[0:1], s[6:7], exec
	s_and_b64 s[6:7], s[28:29], exec
	s_or_b64 s[6:7], s[0:1], s[6:7]
	s_andn2_b64 s[0:1], s[18:19], exec
	s_and_b64 s[18:19], s[26:27], exec
	s_or_b64 s[18:19], s[0:1], s[18:19]
	s_andn2_b64 s[0:1], s[20:21], exec
	s_and_b64 s[20:21], s[24:25], exec
	s_and_b64 s[28:29], s[38:39], exec
	;; [unrolled: 1-line block ×4, first 2 shown]
	s_or_b64 s[20:21], s[0:1], s[20:21]
	s_or_b64 exec, exec, s[22:23]
	s_mov_b64 s[22:23], 0
	s_and_saveexec_b64 s[0:1], s[20:21]
	s_cbranch_execz .LBB55_393
.LBB55_1248:
	s_mov_b64 s[22:23], exec
	s_andn2_b64 s[26:27], s[26:27], exec
	s_trap 2
                                        ; implicit-def: $vgpr6
	s_or_b64 exec, exec, s[0:1]
	s_and_saveexec_b64 s[0:1], s[26:27]
	s_xor_b64 s[0:1], exec, s[0:1]
	s_cbranch_execnz .LBB55_394
.LBB55_1249:
	s_or_b64 exec, exec, s[0:1]
	s_and_saveexec_b64 s[0:1], s[30:31]
	s_cbranch_execz .LBB55_1295
.LBB55_1250:
	s_waitcnt vmcnt(0)
	v_cmp_gt_i16_e32 vcc, 5, v7
	s_cbranch_vccnz .LBB55_1255
; %bb.1251:
	v_cmp_gt_i16_e32 vcc, 8, v7
	s_cbranch_vccnz .LBB55_1256
; %bb.1252:
	;; [unrolled: 3-line block ×3, first 2 shown]
	v_cmp_lt_i16_e32 vcc, 9, v7
	s_cbranch_vccz .LBB55_1258
; %bb.1254:
	global_load_dwordx2 v[8:9], v[0:1], off
	s_movk_i32 s15, 0x7fff
	v_mov_b32_e32 v5, 0x7fc0
	s_mov_b64 s[20:21], 0
	s_waitcnt vmcnt(0)
	v_cvt_f32_f64_e32 v6, v[8:9]
	v_bfe_u32 v8, v6, 16, 1
	v_add3_u32 v8, v6, v8, s15
	v_lshrrev_b32_e32 v8, 16, v8
	v_cmp_o_f32_e32 vcc, v6, v6
	v_cndmask_b32_e32 v6, v5, v8, vcc
	s_branch .LBB55_1259
.LBB55_1255:
                                        ; implicit-def: $vgpr6
	s_branch .LBB55_1276
.LBB55_1256:
                                        ; implicit-def: $vgpr6
	s_branch .LBB55_1265
.LBB55_1257:
	s_mov_b64 s[20:21], -1
                                        ; implicit-def: $vgpr6
	s_branch .LBB55_1262
.LBB55_1258:
	s_mov_b64 s[20:21], -1
                                        ; implicit-def: $vgpr6
.LBB55_1259:
	s_andn2_b64 vcc, exec, s[20:21]
	s_cbranch_vccnz .LBB55_1261
; %bb.1260:
	global_load_dword v5, v[0:1], off
	s_movk_i32 s15, 0x7fff
	v_mov_b32_e32 v6, 0x7fc0
	s_waitcnt vmcnt(0)
	v_bfe_u32 v8, v5, 16, 1
	v_add3_u32 v8, v5, v8, s15
	v_lshrrev_b32_e32 v8, 16, v8
	v_cmp_o_f32_e32 vcc, v5, v5
	v_cndmask_b32_e32 v6, v6, v8, vcc
.LBB55_1261:
	s_mov_b64 s[20:21], 0
.LBB55_1262:
	s_andn2_b64 vcc, exec, s[20:21]
	s_cbranch_vccnz .LBB55_1264
; %bb.1263:
	global_load_dword v5, v[0:1], off
	s_movk_i32 s15, 0x7fff
	v_mov_b32_e32 v8, 0x7fc0
	s_waitcnt vmcnt(0)
	v_cvt_f32_f16_e32 v6, v5
	v_cmp_o_f16_e32 vcc, v5, v5
	v_bfe_u32 v9, v6, 16, 1
	v_add3_u32 v6, v6, v9, s15
	v_lshrrev_b32_e32 v6, 16, v6
	v_cndmask_b32_e32 v6, v8, v6, vcc
.LBB55_1264:
	s_cbranch_execnz .LBB55_1275
.LBB55_1265:
	v_cmp_gt_i16_e32 vcc, 6, v7
	s_cbranch_vccnz .LBB55_1268
; %bb.1266:
	v_cmp_lt_i16_e32 vcc, 6, v7
	s_cbranch_vccz .LBB55_1269
; %bb.1267:
	global_load_dwordx2 v[8:9], v[0:1], off
	s_movk_i32 s15, 0x7fff
	v_mov_b32_e32 v5, 0x7fc0
	s_mov_b64 s[20:21], 0
	s_waitcnt vmcnt(0)
	v_cvt_f32_f64_e32 v6, v[8:9]
	v_bfe_u32 v8, v6, 16, 1
	v_add3_u32 v8, v6, v8, s15
	v_lshrrev_b32_e32 v8, 16, v8
	v_cmp_o_f32_e32 vcc, v6, v6
	v_cndmask_b32_e32 v6, v5, v8, vcc
	s_branch .LBB55_1270
.LBB55_1268:
	s_mov_b64 s[20:21], -1
                                        ; implicit-def: $vgpr6
	s_branch .LBB55_1273
.LBB55_1269:
	s_mov_b64 s[20:21], -1
                                        ; implicit-def: $vgpr6
.LBB55_1270:
	s_andn2_b64 vcc, exec, s[20:21]
	s_cbranch_vccnz .LBB55_1272
; %bb.1271:
	global_load_dword v5, v[0:1], off
	s_movk_i32 s15, 0x7fff
	v_mov_b32_e32 v6, 0x7fc0
	s_waitcnt vmcnt(0)
	v_bfe_u32 v8, v5, 16, 1
	v_add3_u32 v8, v5, v8, s15
	v_lshrrev_b32_e32 v8, 16, v8
	v_cmp_o_f32_e32 vcc, v5, v5
	v_cndmask_b32_e32 v6, v6, v8, vcc
.LBB55_1272:
	s_mov_b64 s[20:21], 0
.LBB55_1273:
	s_andn2_b64 vcc, exec, s[20:21]
	s_cbranch_vccnz .LBB55_1275
; %bb.1274:
	global_load_ushort v5, v[0:1], off
	s_movk_i32 s15, 0x7fff
	v_mov_b32_e32 v8, 0x7fc0
	s_waitcnt vmcnt(0)
	v_cvt_f32_f16_e32 v6, v5
	v_cmp_o_f16_e32 vcc, v5, v5
	v_bfe_u32 v9, v6, 16, 1
	v_add3_u32 v6, v6, v9, s15
	v_lshrrev_b32_e32 v6, 16, v6
	v_cndmask_b32_e32 v6, v8, v6, vcc
.LBB55_1275:
	s_cbranch_execnz .LBB55_1294
.LBB55_1276:
	v_cmp_gt_i16_e32 vcc, 2, v7
	s_cbranch_vccnz .LBB55_1280
; %bb.1277:
	v_cmp_gt_i16_e32 vcc, 3, v7
	s_cbranch_vccnz .LBB55_1281
; %bb.1278:
	v_cmp_lt_i16_e32 vcc, 3, v7
	s_cbranch_vccz .LBB55_1282
; %bb.1279:
	global_load_dwordx2 v[8:9], v[0:1], off
	s_movk_i32 s15, 0x7fff
	s_mov_b64 s[20:21], 0
	s_waitcnt vmcnt(0)
	v_xor_b32_e32 v6, v8, v9
	v_ffbh_i32_e32 v5, v9
	v_ashrrev_i32_e32 v6, 31, v6
	v_add_u32_e32 v5, -1, v5
	v_add_u32_e32 v6, 32, v6
	v_min_u32_e32 v5, v5, v6
	v_lshlrev_b64 v[8:9], v5, v[8:9]
	v_min_u32_e32 v6, 1, v8
	v_or_b32_e32 v6, v9, v6
	v_cvt_f32_i32_e32 v6, v6
	v_sub_u32_e32 v5, 32, v5
	v_ldexp_f32 v5, v6, v5
	v_bfe_u32 v6, v5, 16, 1
	v_add3_u32 v5, v5, v6, s15
	v_lshrrev_b32_e32 v6, 16, v5
	s_branch .LBB55_1283
.LBB55_1280:
                                        ; implicit-def: $vgpr6
	s_branch .LBB55_1289
.LBB55_1281:
	s_mov_b64 s[20:21], -1
                                        ; implicit-def: $vgpr6
	s_branch .LBB55_1286
.LBB55_1282:
	s_mov_b64 s[20:21], -1
                                        ; implicit-def: $vgpr6
.LBB55_1283:
	s_andn2_b64 vcc, exec, s[20:21]
	s_cbranch_vccnz .LBB55_1285
; %bb.1284:
	global_load_dword v5, v[0:1], off
	s_movk_i32 s15, 0x7fff
	s_waitcnt vmcnt(0)
	v_cvt_f32_i32_e32 v5, v5
	v_bfe_u32 v6, v5, 16, 1
	v_add3_u32 v5, v5, v6, s15
	v_lshrrev_b32_e32 v6, 16, v5
.LBB55_1285:
	s_mov_b64 s[20:21], 0
.LBB55_1286:
	s_andn2_b64 vcc, exec, s[20:21]
	s_cbranch_vccnz .LBB55_1288
; %bb.1287:
	global_load_sshort v5, v[0:1], off
	s_movk_i32 s15, 0x7fff
	s_waitcnt vmcnt(0)
	v_cvt_f32_i32_e32 v5, v5
	v_bfe_u32 v6, v5, 16, 1
	v_add3_u32 v5, v5, v6, s15
	v_lshrrev_b32_e32 v6, 16, v5
.LBB55_1288:
	s_cbranch_execnz .LBB55_1294
.LBB55_1289:
	v_cmp_lt_i16_e32 vcc, 0, v7
	s_cbranch_vccz .LBB55_1291
; %bb.1290:
	global_load_sbyte v5, v[0:1], off
	s_movk_i32 s15, 0x7fff
	s_mov_b64 s[20:21], 0
	s_waitcnt vmcnt(0)
	v_cvt_f32_i32_e32 v5, v5
	v_bfe_u32 v6, v5, 16, 1
	v_add3_u32 v5, v5, v6, s15
	v_lshrrev_b32_e32 v6, 16, v5
	s_branch .LBB55_1292
.LBB55_1291:
	s_mov_b64 s[20:21], -1
                                        ; implicit-def: $vgpr6
.LBB55_1292:
	s_andn2_b64 vcc, exec, s[20:21]
	s_cbranch_vccnz .LBB55_1294
; %bb.1293:
	global_load_ubyte v0, v[0:1], off
	s_movk_i32 s15, 0x7fff
	s_waitcnt vmcnt(0)
	v_cvt_f32_ubyte0_e32 v0, v0
	v_bfe_u32 v1, v0, 16, 1
	v_add3_u32 v0, v0, v1, s15
	v_lshrrev_b32_e32 v6, 16, v0
.LBB55_1294:
	s_or_b64 s[28:29], s[28:29], exec
.LBB55_1295:
	s_or_b64 exec, exec, s[0:1]
	s_mov_b64 s[26:27], 0
	s_mov_b64 s[30:31], 0
	;; [unrolled: 1-line block ×3, first 2 shown]
                                        ; implicit-def: $vgpr5
                                        ; implicit-def: $vgpr0_vgpr1
                                        ; implicit-def: $vgpr7
	s_and_saveexec_b64 s[0:1], s[28:29]
	s_cbranch_execz .LBB55_1303
; %bb.1296:
	v_mul_lo_u32 v0, v3, s14
	v_ashrrev_i32_e32 v1, 31, v0
	v_mov_b32_e32 v5, s3
	v_add_co_u32_e32 v0, vcc, s2, v0
	v_addc_co_u32_e32 v1, vcc, v5, v1, vcc
	s_waitcnt vmcnt(0)
	v_and_b32_e32 v5, 0xff, v4
	v_cmp_gt_i16_e32 vcc, 11, v5
	s_cbranch_vccnz .LBB55_1306
; %bb.1297:
	v_cmp_lt_i16_e32 vcc, 25, v5
	s_cbranch_vccz .LBB55_1307
; %bb.1298:
	v_cmp_lt_i16_e32 vcc, 28, v5
	s_cbranch_vccz .LBB55_1308
	;; [unrolled: 3-line block ×4, first 2 shown]
; %bb.1301:
	v_cmp_eq_u16_e32 vcc, 46, v5
	s_mov_b64 s[28:29], 0
	s_cbranch_vccz .LBB55_1311
; %bb.1302:
	global_load_dword v7, v[0:1], off
	s_mov_b64 s[20:21], 0
	s_mov_b64 s[24:25], -1
	s_branch .LBB55_1313
.LBB55_1303:
	s_or_b64 exec, exec, s[0:1]
	s_and_saveexec_b64 s[0:1], s[18:19]
	s_cbranch_execnz .LBB55_1376
.LBB55_1304:
	s_or_b64 exec, exec, s[0:1]
	s_and_saveexec_b64 s[0:1], s[26:27]
	s_xor_b64 s[0:1], exec, s[0:1]
	s_cbranch_execz .LBB55_1377
.LBB55_1305:
	global_load_ubyte v4, v[0:1], off
	s_or_b64 s[24:25], s[24:25], exec
	s_waitcnt vmcnt(0)
	v_cmp_ne_u16_e32 vcc, 0, v4
	v_cndmask_b32_e64 v4, 0, 1.0, vcc
	v_lshrrev_b32_e32 v7, 16, v4
	s_or_b64 exec, exec, s[0:1]
	s_and_saveexec_b64 s[0:1], s[30:31]
	s_cbranch_execz .LBB55_1423
	s_branch .LBB55_1378
.LBB55_1306:
	s_mov_b64 s[28:29], -1
                                        ; implicit-def: $vgpr7
	s_mov_b64 s[20:21], s[18:19]
	s_branch .LBB55_1375
.LBB55_1307:
	s_mov_b64 s[20:21], s[18:19]
                                        ; implicit-def: $vgpr7
	s_cbranch_execnz .LBB55_1342
	s_branch .LBB55_1374
.LBB55_1308:
	s_mov_b64 s[28:29], -1
	s_mov_b64 s[20:21], s[18:19]
                                        ; implicit-def: $vgpr7
	s_branch .LBB55_1323
.LBB55_1309:
	s_mov_b64 s[28:29], -1
	s_mov_b64 s[20:21], s[18:19]
                                        ; implicit-def: $vgpr7
	s_branch .LBB55_1318
.LBB55_1310:
	s_mov_b64 s[28:29], -1
	s_mov_b64 s[20:21], s[18:19]
	s_branch .LBB55_1312
.LBB55_1311:
	s_mov_b64 s[20:21], -1
.LBB55_1312:
                                        ; implicit-def: $vgpr7
.LBB55_1313:
	s_and_b64 vcc, exec, s[28:29]
	s_cbranch_vccz .LBB55_1317
; %bb.1314:
	v_cmp_eq_u16_e32 vcc, 44, v5
	s_cbranch_vccz .LBB55_1316
; %bb.1315:
	global_load_ubyte v4, v[0:1], off
	s_movk_i32 s15, 0xff
	s_waitcnt vmcnt(1)
	v_mov_b32_e32 v7, 0x7f800001
	v_mov_b32_e32 v8, 0x400000
	;; [unrolled: 1-line block ×3, first 2 shown]
	s_mov_b64 s[20:21], 0
	s_mov_b64 s[24:25], -1
	s_waitcnt vmcnt(0)
	v_lshlrev_b32_e32 v10, 23, v4
	v_cmp_ne_u32_e32 vcc, s15, v4
	v_cndmask_b32_e32 v7, v7, v10, vcc
	v_cmp_ne_u32_e32 vcc, 0, v4
	v_cndmask_b32_e32 v4, v8, v7, vcc
	v_add_u32_e32 v7, 0x7fff, v4
	v_lshrrev_b32_e32 v7, 16, v7
	v_cmp_o_f32_e32 vcc, v4, v4
	v_cndmask_b32_e32 v7, v9, v7, vcc
	s_branch .LBB55_1317
.LBB55_1316:
	s_mov_b64 s[20:21], -1
                                        ; implicit-def: $vgpr7
.LBB55_1317:
	s_mov_b64 s[28:29], 0
.LBB55_1318:
	s_and_b64 vcc, exec, s[28:29]
	s_cbranch_vccz .LBB55_1322
; %bb.1319:
	v_cmp_eq_u16_e32 vcc, 29, v5
	s_cbranch_vccz .LBB55_1321
; %bb.1320:
	global_load_dwordx2 v[8:9], v[0:1], off
	s_movk_i32 s15, 0x7fff
	s_mov_b64 s[20:21], 0
	s_mov_b64 s[24:25], -1
	s_mov_b64 s[28:29], 0
	s_waitcnt vmcnt(0)
	v_ffbh_u32_e32 v4, v9
	v_min_u32_e32 v4, 32, v4
	v_lshlrev_b64 v[8:9], v4, v[8:9]
	v_min_u32_e32 v7, 1, v8
	v_or_b32_e32 v7, v9, v7
	v_cvt_f32_u32_e32 v7, v7
	v_sub_u32_e32 v4, 32, v4
	v_ldexp_f32 v4, v7, v4
	v_bfe_u32 v7, v4, 16, 1
	v_add3_u32 v4, v4, v7, s15
	v_lshrrev_b32_e32 v7, 16, v4
	s_branch .LBB55_1323
.LBB55_1321:
	s_mov_b64 s[20:21], -1
                                        ; implicit-def: $vgpr7
.LBB55_1322:
	s_mov_b64 s[28:29], 0
.LBB55_1323:
	s_and_b64 vcc, exec, s[28:29]
	s_cbranch_vccz .LBB55_1341
; %bb.1324:
	v_cmp_gt_i16_e32 vcc, 27, v5
	s_cbranch_vccnz .LBB55_1327
; %bb.1325:
	v_cmp_lt_i16_e32 vcc, 27, v5
	s_cbranch_vccz .LBB55_1328
; %bb.1326:
	global_load_dword v4, v[0:1], off
	s_movk_i32 s15, 0x7fff
	s_mov_b64 s[24:25], 0
	s_waitcnt vmcnt(0)
	v_cvt_f32_u32_e32 v4, v4
	v_bfe_u32 v7, v4, 16, 1
	v_add3_u32 v4, v4, v7, s15
	v_lshrrev_b32_e32 v7, 16, v4
	s_branch .LBB55_1329
.LBB55_1327:
	s_mov_b64 s[24:25], -1
                                        ; implicit-def: $vgpr7
	s_branch .LBB55_1332
.LBB55_1328:
	s_mov_b64 s[24:25], -1
                                        ; implicit-def: $vgpr7
.LBB55_1329:
	s_andn2_b64 vcc, exec, s[24:25]
	s_cbranch_vccnz .LBB55_1331
; %bb.1330:
	global_load_ushort v4, v[0:1], off
	s_movk_i32 s15, 0x7fff
	s_waitcnt vmcnt(0)
	v_cvt_f32_u32_e32 v4, v4
	v_bfe_u32 v7, v4, 16, 1
	v_add3_u32 v4, v4, v7, s15
	v_lshrrev_b32_e32 v7, 16, v4
.LBB55_1331:
	s_mov_b64 s[24:25], 0
.LBB55_1332:
	s_andn2_b64 vcc, exec, s[24:25]
	s_cbranch_vccnz .LBB55_1340
; %bb.1333:
	global_load_ubyte v4, v[0:1], off
	s_movk_i32 s15, 0x7f
	s_mov_b64 s[24:25], 0
	s_waitcnt vmcnt(0)
	v_cmp_lt_i16_e32 vcc, s15, v4
                                        ; implicit-def: $sgpr15
	s_and_saveexec_b64 s[28:29], vcc
	s_xor_b64 s[28:29], exec, s[28:29]
	s_cbranch_execz .LBB55_1353
; %bb.1334:
	s_movk_i32 s15, 0x80
	v_cmp_eq_u16_e32 vcc, s15, v4
	s_mov_b64 s[24:25], -1
                                        ; implicit-def: $sgpr15
	s_and_saveexec_b64 s[30:31], vcc
; %bb.1335:
	s_mov_b32 s15, 0x7f800001
	s_xor_b64 s[24:25], exec, -1
; %bb.1336:
	s_or_b64 exec, exec, s[30:31]
	s_and_b64 s[24:25], s[24:25], exec
	s_or_saveexec_b64 s[28:29], s[28:29]
	v_mov_b32_e32 v7, s15
	s_xor_b64 exec, exec, s[28:29]
	s_cbranch_execnz .LBB55_1354
.LBB55_1337:
	s_or_b64 exec, exec, s[28:29]
	s_and_saveexec_b64 s[28:29], s[24:25]
	s_cbranch_execz .LBB55_1339
.LBB55_1338:
	v_lshlrev_b32_e32 v7, 24, v4
	v_and_b32_e32 v4, 0xffff, v4
	v_and_b32_e32 v8, 7, v4
	v_ffbh_u32_e32 v10, v8
	v_min_u32_e32 v10, 32, v10
	v_subrev_u32_e32 v11, 28, v10
	v_bfe_u32 v9, v4, 3, 4
	v_lshlrev_b32_e32 v4, v11, v4
	v_sub_u32_e32 v10, 29, v10
	v_and_b32_e32 v4, 7, v4
	v_cmp_eq_u32_e32 vcc, 0, v9
	v_cndmask_b32_e32 v9, v9, v10, vcc
	v_cndmask_b32_e32 v4, v8, v4, vcc
	v_mov_b32_e32 v8, 0x3b800000
	v_lshlrev_b32_e32 v4, 20, v4
	v_and_b32_e32 v7, 0x80000000, v7
	v_lshl_add_u32 v8, v9, 23, v8
	v_or3_b32 v7, v7, v8, v4
.LBB55_1339:
	s_or_b64 exec, exec, s[28:29]
	v_bfe_u32 v4, v7, 16, 1
	s_movk_i32 s15, 0x7fff
	v_add3_u32 v4, v7, v4, s15
	v_lshrrev_b32_e32 v4, 16, v4
	v_mov_b32_e32 v8, 0x7fc0
	v_cmp_o_f32_e32 vcc, v7, v7
	v_cndmask_b32_e32 v7, v8, v4, vcc
.LBB55_1340:
	s_mov_b64 s[24:25], -1
.LBB55_1341:
	s_branch .LBB55_1374
.LBB55_1342:
	v_cmp_lt_i16_e32 vcc, 22, v5
	s_cbranch_vccz .LBB55_1352
; %bb.1343:
	v_cmp_gt_i16_e32 vcc, 24, v5
	s_cbranch_vccnz .LBB55_1355
; %bb.1344:
	v_cmp_lt_i16_e32 vcc, 24, v5
	s_cbranch_vccz .LBB55_1356
; %bb.1345:
	global_load_ubyte v4, v[0:1], off
	s_movk_i32 s15, 0x7f
	s_mov_b64 s[24:25], 0
	s_waitcnt vmcnt(0)
	v_cmp_lt_i16_e32 vcc, s15, v4
                                        ; implicit-def: $sgpr15
	s_and_saveexec_b64 s[26:27], vcc
	s_xor_b64 s[26:27], exec, s[26:27]
	s_cbranch_execz .LBB55_1368
; %bb.1346:
	s_movk_i32 s15, 0x80
	v_cmp_eq_u16_e32 vcc, s15, v4
	s_mov_b64 s[24:25], -1
                                        ; implicit-def: $sgpr15
	s_and_saveexec_b64 s[28:29], vcc
; %bb.1347:
	s_mov_b32 s15, 0x7f800001
	s_xor_b64 s[24:25], exec, -1
; %bb.1348:
	s_or_b64 exec, exec, s[28:29]
	s_and_b64 s[24:25], s[24:25], exec
	s_or_saveexec_b64 s[26:27], s[26:27]
	v_mov_b32_e32 v7, s15
	s_xor_b64 exec, exec, s[26:27]
	s_cbranch_execnz .LBB55_1369
.LBB55_1349:
	s_or_b64 exec, exec, s[26:27]
	s_and_saveexec_b64 s[26:27], s[24:25]
	s_cbranch_execz .LBB55_1351
.LBB55_1350:
	v_lshlrev_b32_e32 v7, 24, v4
	v_and_b32_e32 v4, 0xffff, v4
	v_and_b32_e32 v8, 3, v4
	v_ffbh_u32_e32 v10, v8
	v_min_u32_e32 v10, 32, v10
	v_subrev_u32_e32 v11, 29, v10
	v_bfe_u32 v9, v4, 2, 5
	v_lshlrev_b32_e32 v4, v11, v4
	v_sub_u32_e32 v10, 30, v10
	v_and_b32_e32 v4, 3, v4
	v_cmp_eq_u32_e32 vcc, 0, v9
	v_cndmask_b32_e32 v9, v9, v10, vcc
	v_cndmask_b32_e32 v4, v8, v4, vcc
	v_mov_b32_e32 v8, 0x37800000
	v_lshlrev_b32_e32 v4, 21, v4
	v_and_b32_e32 v7, 0x80000000, v7
	v_lshl_add_u32 v8, v9, 23, v8
	v_or3_b32 v7, v7, v8, v4
.LBB55_1351:
	s_or_b64 exec, exec, s[26:27]
	v_bfe_u32 v4, v7, 16, 1
	s_movk_i32 s15, 0x7fff
	v_add3_u32 v4, v7, v4, s15
	v_lshrrev_b32_e32 v4, 16, v4
	v_mov_b32_e32 v8, 0x7fc0
	v_cmp_o_f32_e32 vcc, v7, v7
	v_cndmask_b32_e32 v7, v8, v4, vcc
	s_mov_b64 s[24:25], 0
	s_branch .LBB55_1357
.LBB55_1352:
	s_mov_b64 s[26:27], -1
                                        ; implicit-def: $vgpr7
	s_branch .LBB55_1363
.LBB55_1353:
	s_or_saveexec_b64 s[28:29], s[28:29]
	v_mov_b32_e32 v7, s15
	s_xor_b64 exec, exec, s[28:29]
	s_cbranch_execz .LBB55_1337
.LBB55_1354:
	v_cmp_ne_u16_e32 vcc, 0, v4
	s_andn2_b64 s[24:25], s[24:25], exec
	s_and_b64 s[30:31], vcc, exec
	v_mov_b32_e32 v7, 0
	s_or_b64 s[24:25], s[24:25], s[30:31]
	s_or_b64 exec, exec, s[28:29]
	s_and_saveexec_b64 s[28:29], s[24:25]
	s_cbranch_execnz .LBB55_1338
	s_branch .LBB55_1339
.LBB55_1355:
	s_mov_b64 s[24:25], -1
                                        ; implicit-def: $vgpr7
	s_branch .LBB55_1360
.LBB55_1356:
	s_mov_b64 s[24:25], -1
                                        ; implicit-def: $vgpr7
.LBB55_1357:
	s_and_b64 vcc, exec, s[24:25]
	s_cbranch_vccz .LBB55_1359
; %bb.1358:
	global_load_ubyte v4, v[0:1], off
	s_mov_b32 s15, 0x7f800000
	s_brev_b32 s24, 1
	s_movk_i32 s25, 0x7fff
	s_waitcnt vmcnt(1)
	v_mov_b32_e32 v7, 0x7fc0
	s_waitcnt vmcnt(0)
	v_lshlrev_b32_e32 v4, 24, v4
	v_and_b32_e32 v8, 0x7f000000, v4
	v_ffbh_u32_e32 v9, v8
	v_min_u32_e32 v9, 32, v9
	v_sub_u32_e64 v9, v9, 4 clamp
	v_lshlrev_b32_e32 v11, v9, v8
	v_lshlrev_b32_e32 v9, 23, v9
	v_lshrrev_b32_e32 v11, 4, v11
	v_add_u32_e32 v10, 0x1000000, v8
	v_sub_u32_e32 v9, v11, v9
	v_ashrrev_i32_e32 v10, 8, v10
	v_add_u32_e32 v9, 0x3c000000, v9
	v_and_or_b32 v9, v10, s15, v9
	v_cmp_ne_u32_e32 vcc, 0, v8
	v_cndmask_b32_e32 v8, 0, v9, vcc
	v_and_or_b32 v4, v4, s24, v8
	v_bfe_u32 v8, v8, 16, 1
	v_add3_u32 v8, v4, v8, s25
	v_lshrrev_b32_e32 v8, 16, v8
	v_cmp_o_f32_e32 vcc, v4, v4
	v_cndmask_b32_e32 v7, v7, v8, vcc
.LBB55_1359:
	s_mov_b64 s[24:25], 0
.LBB55_1360:
	s_andn2_b64 vcc, exec, s[24:25]
	s_cbranch_vccnz .LBB55_1362
; %bb.1361:
	global_load_ubyte v4, v[0:1], off
	s_movk_i32 s15, 0x7f00
	s_brev_b32 s24, 16
	s_brev_b32 s25, 1
	s_movk_i32 s26, 0x7fff
	s_waitcnt vmcnt(1)
	v_mov_b32_e32 v7, 0x7fc0
	s_waitcnt vmcnt(0)
	v_lshlrev_b16_e32 v8, 8, v4
	v_lshlrev_b32_e32 v4, 25, v4
	v_lshrrev_b32_e32 v9, 4, v4
	v_and_or_b32 v10, v8, s15, 0.5
	v_or_b32_e32 v9, 0x70000000, v9
	v_add_f32_e32 v10, -0.5, v10
	v_mul_f32_e32 v9, 0x7800000, v9
	v_cmp_gt_u32_e32 vcc, s24, v4
	v_bfe_i32 v8, v8, 0, 16
	v_cndmask_b32_e32 v4, v9, v10, vcc
	v_and_or_b32 v8, v8, s25, v4
	v_bfe_u32 v4, v4, 16, 1
	v_add3_u32 v4, v8, v4, s26
	v_lshrrev_b32_e32 v4, 16, v4
	v_cmp_o_f32_e32 vcc, v8, v8
	v_cndmask_b32_e32 v7, v7, v4, vcc
.LBB55_1362:
	s_mov_b64 s[26:27], 0
	s_mov_b64 s[24:25], -1
.LBB55_1363:
	s_andn2_b64 vcc, exec, s[26:27]
	s_mov_b64 s[26:27], 0
	s_cbranch_vccnz .LBB55_1374
; %bb.1364:
	v_cmp_lt_i16_e32 vcc, 14, v5
	s_cbranch_vccz .LBB55_1367
; %bb.1365:
	v_cmp_eq_u16_e32 vcc, 15, v5
	s_cbranch_vccz .LBB55_1370
; %bb.1366:
	global_load_ushort v7, v[0:1], off
	s_mov_b64 s[20:21], 0
	s_mov_b64 s[24:25], -1
	s_branch .LBB55_1371
.LBB55_1367:
	s_mov_b64 s[28:29], -1
                                        ; implicit-def: $vgpr7
	s_branch .LBB55_1372
.LBB55_1368:
	s_or_saveexec_b64 s[26:27], s[26:27]
	v_mov_b32_e32 v7, s15
	s_xor_b64 exec, exec, s[26:27]
	s_cbranch_execz .LBB55_1349
.LBB55_1369:
	v_cmp_ne_u16_e32 vcc, 0, v4
	s_andn2_b64 s[24:25], s[24:25], exec
	s_and_b64 s[28:29], vcc, exec
	v_mov_b32_e32 v7, 0
	s_or_b64 s[24:25], s[24:25], s[28:29]
	s_or_b64 exec, exec, s[26:27]
	s_and_saveexec_b64 s[26:27], s[24:25]
	s_cbranch_execnz .LBB55_1350
	s_branch .LBB55_1351
.LBB55_1370:
	s_mov_b64 s[20:21], -1
                                        ; implicit-def: $vgpr7
.LBB55_1371:
	s_mov_b64 s[28:29], 0
.LBB55_1372:
	s_and_b64 vcc, exec, s[28:29]
	s_cbranch_vccz .LBB55_1374
; %bb.1373:
	v_cmp_ne_u16_e32 vcc, 11, v5
	s_andn2_b64 s[20:21], s[20:21], exec
	s_and_b64 s[28:29], vcc, exec
	s_mov_b64 s[26:27], -1
	s_or_b64 s[20:21], s[20:21], s[28:29]
                                        ; implicit-def: $vgpr7
.LBB55_1374:
	s_mov_b64 s[28:29], 0
.LBB55_1375:
	s_andn2_b64 s[18:19], s[18:19], exec
	s_and_b64 s[20:21], s[20:21], exec
	s_and_b64 s[24:25], s[24:25], exec
	s_and_b64 s[30:31], s[28:29], exec
	s_and_b64 s[26:27], s[26:27], exec
	s_or_b64 s[18:19], s[18:19], s[20:21]
	s_or_b64 exec, exec, s[0:1]
	s_and_saveexec_b64 s[0:1], s[18:19]
	s_cbranch_execz .LBB55_1304
.LBB55_1376:
	s_or_b64 s[22:23], s[22:23], exec
	s_andn2_b64 s[26:27], s[26:27], exec
	s_trap 2
                                        ; implicit-def: $vgpr7
	s_or_b64 exec, exec, s[0:1]
	s_and_saveexec_b64 s[0:1], s[26:27]
	s_xor_b64 s[0:1], exec, s[0:1]
	s_cbranch_execnz .LBB55_1305
.LBB55_1377:
	s_or_b64 exec, exec, s[0:1]
	s_and_saveexec_b64 s[0:1], s[30:31]
	s_cbranch_execz .LBB55_1423
.LBB55_1378:
	v_cmp_gt_i16_e32 vcc, 5, v5
	s_cbranch_vccnz .LBB55_1383
; %bb.1379:
	v_cmp_gt_i16_e32 vcc, 8, v5
	s_cbranch_vccnz .LBB55_1384
; %bb.1380:
	;; [unrolled: 3-line block ×3, first 2 shown]
	v_cmp_lt_i16_e32 vcc, 9, v5
	s_cbranch_vccz .LBB55_1386
; %bb.1382:
	global_load_dwordx2 v[8:9], v[0:1], off
	s_movk_i32 s15, 0x7fff
	s_waitcnt vmcnt(1)
	v_mov_b32_e32 v4, 0x7fc0
	s_mov_b64 s[18:19], 0
	s_waitcnt vmcnt(0)
	v_cvt_f32_f64_e32 v7, v[8:9]
	v_bfe_u32 v8, v7, 16, 1
	v_add3_u32 v8, v7, v8, s15
	v_lshrrev_b32_e32 v8, 16, v8
	v_cmp_o_f32_e32 vcc, v7, v7
	v_cndmask_b32_e32 v7, v4, v8, vcc
	s_branch .LBB55_1387
.LBB55_1383:
                                        ; implicit-def: $vgpr7
	s_branch .LBB55_1404
.LBB55_1384:
                                        ; implicit-def: $vgpr7
	s_branch .LBB55_1393
.LBB55_1385:
	s_mov_b64 s[18:19], -1
                                        ; implicit-def: $vgpr7
	s_branch .LBB55_1390
.LBB55_1386:
	s_mov_b64 s[18:19], -1
                                        ; implicit-def: $vgpr7
.LBB55_1387:
	s_andn2_b64 vcc, exec, s[18:19]
	s_cbranch_vccnz .LBB55_1389
; %bb.1388:
	global_load_dword v4, v[0:1], off
	s_movk_i32 s15, 0x7fff
	s_waitcnt vmcnt(1)
	v_mov_b32_e32 v7, 0x7fc0
	s_waitcnt vmcnt(0)
	v_bfe_u32 v8, v4, 16, 1
	v_add3_u32 v8, v4, v8, s15
	v_lshrrev_b32_e32 v8, 16, v8
	v_cmp_o_f32_e32 vcc, v4, v4
	v_cndmask_b32_e32 v7, v7, v8, vcc
.LBB55_1389:
	s_mov_b64 s[18:19], 0
.LBB55_1390:
	s_andn2_b64 vcc, exec, s[18:19]
	s_cbranch_vccnz .LBB55_1392
; %bb.1391:
	global_load_dword v4, v[0:1], off
	s_movk_i32 s15, 0x7fff
	v_mov_b32_e32 v8, 0x7fc0
	s_waitcnt vmcnt(0)
	v_cvt_f32_f16_e32 v7, v4
	v_cmp_o_f16_e32 vcc, v4, v4
	v_bfe_u32 v9, v7, 16, 1
	v_add3_u32 v7, v7, v9, s15
	v_lshrrev_b32_e32 v7, 16, v7
	v_cndmask_b32_e32 v7, v8, v7, vcc
.LBB55_1392:
	s_cbranch_execnz .LBB55_1403
.LBB55_1393:
	v_cmp_gt_i16_e32 vcc, 6, v5
	s_cbranch_vccnz .LBB55_1396
; %bb.1394:
	v_cmp_lt_i16_e32 vcc, 6, v5
	s_cbranch_vccz .LBB55_1397
; %bb.1395:
	global_load_dwordx2 v[8:9], v[0:1], off
	s_movk_i32 s15, 0x7fff
	s_waitcnt vmcnt(1)
	v_mov_b32_e32 v4, 0x7fc0
	s_mov_b64 s[18:19], 0
	s_waitcnt vmcnt(0)
	v_cvt_f32_f64_e32 v7, v[8:9]
	v_bfe_u32 v8, v7, 16, 1
	v_add3_u32 v8, v7, v8, s15
	v_lshrrev_b32_e32 v8, 16, v8
	v_cmp_o_f32_e32 vcc, v7, v7
	v_cndmask_b32_e32 v7, v4, v8, vcc
	s_branch .LBB55_1398
.LBB55_1396:
	s_mov_b64 s[18:19], -1
                                        ; implicit-def: $vgpr7
	s_branch .LBB55_1401
.LBB55_1397:
	s_mov_b64 s[18:19], -1
                                        ; implicit-def: $vgpr7
.LBB55_1398:
	s_andn2_b64 vcc, exec, s[18:19]
	s_cbranch_vccnz .LBB55_1400
; %bb.1399:
	global_load_dword v4, v[0:1], off
	s_movk_i32 s15, 0x7fff
	s_waitcnt vmcnt(1)
	v_mov_b32_e32 v7, 0x7fc0
	s_waitcnt vmcnt(0)
	v_bfe_u32 v8, v4, 16, 1
	v_add3_u32 v8, v4, v8, s15
	v_lshrrev_b32_e32 v8, 16, v8
	v_cmp_o_f32_e32 vcc, v4, v4
	v_cndmask_b32_e32 v7, v7, v8, vcc
.LBB55_1400:
	s_mov_b64 s[18:19], 0
.LBB55_1401:
	s_andn2_b64 vcc, exec, s[18:19]
	s_cbranch_vccnz .LBB55_1403
; %bb.1402:
	global_load_ushort v4, v[0:1], off
	s_movk_i32 s15, 0x7fff
	v_mov_b32_e32 v8, 0x7fc0
	s_waitcnt vmcnt(0)
	v_cvt_f32_f16_e32 v7, v4
	v_cmp_o_f16_e32 vcc, v4, v4
	v_bfe_u32 v9, v7, 16, 1
	v_add3_u32 v7, v7, v9, s15
	v_lshrrev_b32_e32 v7, 16, v7
	v_cndmask_b32_e32 v7, v8, v7, vcc
.LBB55_1403:
	s_cbranch_execnz .LBB55_1422
.LBB55_1404:
	v_cmp_gt_i16_e32 vcc, 2, v5
	s_cbranch_vccnz .LBB55_1408
; %bb.1405:
	v_cmp_gt_i16_e32 vcc, 3, v5
	s_cbranch_vccnz .LBB55_1409
; %bb.1406:
	v_cmp_lt_i16_e32 vcc, 3, v5
	s_cbranch_vccz .LBB55_1410
; %bb.1407:
	global_load_dwordx2 v[8:9], v[0:1], off
	s_movk_i32 s15, 0x7fff
	s_mov_b64 s[18:19], 0
	s_waitcnt vmcnt(0)
	v_xor_b32_e32 v7, v8, v9
	v_ffbh_i32_e32 v4, v9
	v_ashrrev_i32_e32 v7, 31, v7
	v_add_u32_e32 v4, -1, v4
	v_add_u32_e32 v7, 32, v7
	v_min_u32_e32 v4, v4, v7
	v_lshlrev_b64 v[8:9], v4, v[8:9]
	v_min_u32_e32 v7, 1, v8
	v_or_b32_e32 v7, v9, v7
	v_cvt_f32_i32_e32 v7, v7
	v_sub_u32_e32 v4, 32, v4
	v_ldexp_f32 v4, v7, v4
	v_bfe_u32 v7, v4, 16, 1
	v_add3_u32 v4, v4, v7, s15
	v_lshrrev_b32_e32 v7, 16, v4
	s_branch .LBB55_1411
.LBB55_1408:
                                        ; implicit-def: $vgpr7
	s_branch .LBB55_1417
.LBB55_1409:
	s_mov_b64 s[18:19], -1
                                        ; implicit-def: $vgpr7
	s_branch .LBB55_1414
.LBB55_1410:
	s_mov_b64 s[18:19], -1
                                        ; implicit-def: $vgpr7
.LBB55_1411:
	s_andn2_b64 vcc, exec, s[18:19]
	s_cbranch_vccnz .LBB55_1413
; %bb.1412:
	global_load_dword v4, v[0:1], off
	s_movk_i32 s15, 0x7fff
	s_waitcnt vmcnt(0)
	v_cvt_f32_i32_e32 v4, v4
	v_bfe_u32 v7, v4, 16, 1
	v_add3_u32 v4, v4, v7, s15
	v_lshrrev_b32_e32 v7, 16, v4
.LBB55_1413:
	s_mov_b64 s[18:19], 0
.LBB55_1414:
	s_andn2_b64 vcc, exec, s[18:19]
	s_cbranch_vccnz .LBB55_1416
; %bb.1415:
	global_load_sshort v4, v[0:1], off
	s_movk_i32 s15, 0x7fff
	s_waitcnt vmcnt(0)
	v_cvt_f32_i32_e32 v4, v4
	v_bfe_u32 v7, v4, 16, 1
	v_add3_u32 v4, v4, v7, s15
	v_lshrrev_b32_e32 v7, 16, v4
.LBB55_1416:
	s_cbranch_execnz .LBB55_1422
.LBB55_1417:
	v_cmp_lt_i16_e32 vcc, 0, v5
	s_cbranch_vccz .LBB55_1419
; %bb.1418:
	global_load_sbyte v4, v[0:1], off
	s_movk_i32 s15, 0x7fff
	s_mov_b64 s[18:19], 0
	s_waitcnt vmcnt(0)
	v_cvt_f32_i32_e32 v4, v4
	v_bfe_u32 v5, v4, 16, 1
	v_add3_u32 v4, v4, v5, s15
	v_lshrrev_b32_e32 v7, 16, v4
	s_branch .LBB55_1420
.LBB55_1419:
	s_mov_b64 s[18:19], -1
                                        ; implicit-def: $vgpr7
.LBB55_1420:
	s_andn2_b64 vcc, exec, s[18:19]
	s_cbranch_vccnz .LBB55_1422
; %bb.1421:
	global_load_ubyte v0, v[0:1], off
	s_movk_i32 s15, 0x7fff
	s_waitcnt vmcnt(0)
	v_cvt_f32_ubyte0_e32 v0, v0
	v_bfe_u32 v1, v0, 16, 1
	v_add3_u32 v0, v0, v1, s15
	v_lshrrev_b32_e32 v7, 16, v0
.LBB55_1422:
	s_or_b64 s[24:25], s[24:25], exec
.LBB55_1423:
	s_or_b64 exec, exec, s[0:1]
	s_mov_b64 s[26:27], 0
	s_mov_b64 s[20:21], 0
                                        ; implicit-def: $vgpr5
                                        ; implicit-def: $vgpr0_vgpr1
                                        ; implicit-def: $vgpr4
	s_and_saveexec_b64 s[18:19], s[24:25]
	s_cbranch_execz .LBB55_1441
; %bb.1424:
	s_waitcnt vmcnt(0)
	v_lshlrev_b32_e32 v0, 16, v6
	v_lshlrev_b32_e32 v1, 16, v7
	v_div_scale_f32 v4, s[0:1], v1, v1, v0
	v_rcp_f32_e32 v5, v4
	s_movk_i32 s0, 0x7fff
	v_fma_f32 v6, -v4, v5, 1.0
	v_fmac_f32_e32 v5, v6, v5
	v_div_scale_f32 v6, vcc, v0, v1, v0
	v_mul_f32_e32 v7, v6, v5
	v_fma_f32 v8, -v4, v7, v6
	v_fmac_f32_e32 v7, v8, v5
	v_fma_f32 v4, -v4, v7, v6
	v_div_fmas_f32 v4, v4, v5, v7
	v_div_fixup_f32 v0, v4, v1, v0
	v_bfe_u32 v1, v0, 16, 1
	v_add3_u32 v1, v0, v1, s0
	v_lshrrev_b32_e32 v1, 16, v1
	v_mov_b32_e32 v4, 0x7fc0
	v_cmp_o_f32_e32 vcc, v0, v0
	v_cndmask_b32_e32 v0, v4, v1, vcc
	v_lshlrev_b32_e32 v1, 16, v0
	s_mov_b32 s0, 0x800000
	v_mov_b32_e32 v4, 0x80
	v_cmp_ngt_f32_e32 vcc, s0, v1
	v_cndmask_b32_e32 v0, v4, v0, vcc
	v_lshlrev_b32_e32 v1, 16, v0
	s_mov_b32 s0, 0x3f7e0000
	v_mov_b32_e32 v4, 0x3f7e
	v_cmp_nlt_f32_e32 vcc, s0, v1
	v_cndmask_b32_e32 v4, v4, v0, vcc
	v_mul_lo_u32 v0, v3, s12
	v_ashrrev_i32_e32 v1, 31, v0
	v_mov_b32_e32 v3, s9
	v_add_co_u32_e32 v0, vcc, s8, v0
	v_addc_co_u32_e32 v1, vcc, v3, v1, vcc
	v_and_b32_e32 v5, 0xff, v2
	v_cmp_gt_i16_e32 vcc, 11, v5
	s_cbranch_vccnz .LBB55_1444
; %bb.1425:
	v_cmp_lt_i16_e32 vcc, 25, v5
	s_mov_b64 s[24:25], -1
	s_mov_b64 s[0:1], s[6:7]
	s_cbranch_vccz .LBB55_1462
; %bb.1426:
	v_cmp_lt_i16_e32 vcc, 28, v5
	s_mov_b64 s[20:21], -1
	s_mov_b64 s[0:1], s[6:7]
	s_cbranch_vccz .LBB55_1446
; %bb.1427:
	v_cmp_lt_i16_e32 vcc, 43, v5
	s_mov_b64 s[0:1], s[6:7]
	s_cbranch_vccz .LBB55_1438
; %bb.1428:
	v_cmp_lt_i16_e32 vcc, 45, v5
	s_mov_b64 s[0:1], s[6:7]
	s_cbranch_vccz .LBB55_1432
; %bb.1429:
	v_cmp_eq_u16_e32 vcc, 46, v5
	s_mov_b64 s[0:1], -1
	s_cbranch_vccz .LBB55_1431
; %bb.1430:
	v_and_b32_e32 v2, 0xffff, v4
	global_store_dword v[0:1], v2, off
	s_mov_b64 s[0:1], 0
.LBB55_1431:
	s_mov_b64 s[20:21], 0
.LBB55_1432:
	s_and_b64 vcc, exec, s[20:21]
	s_cbranch_vccz .LBB55_1437
; %bb.1433:
	v_cmp_eq_u16_e32 vcc, 44, v5
	s_mov_b64 s[0:1], -1
	s_cbranch_vccz .LBB55_1437
; %bb.1434:
	v_and_b32_e32 v3, 0xffff, v4
	v_bfe_u32 v2, v3, 7, 8
	s_movk_i32 s0, 0xff
	v_cmp_ne_u32_e32 vcc, s0, v2
	v_mov_b32_e32 v6, 0xff
	s_and_saveexec_b64 s[20:21], vcc
; %bb.1435:
	v_lshlrev_b32_e32 v7, 16, v3
	s_mov_b32 s0, 0x3f0000
	v_lshrrev_b32_e32 v6, 7, v3
	v_and_b32_e32 v3, 64, v3
	v_and_or_b32 v2, v7, s0, v2
	v_cmp_ne_u32_e32 vcc, 0, v3
	v_cmp_ne_u32_e64 s[0:1], 0, v2
	s_and_b64 s[0:1], vcc, s[0:1]
	v_cndmask_b32_e64 v2, 0, 1, s[0:1]
	v_add_u32_e32 v6, v6, v2
; %bb.1436:
	s_or_b64 exec, exec, s[20:21]
	s_mov_b64 s[0:1], 0
	global_store_byte v[0:1], v6, off
.LBB55_1437:
	s_mov_b64 s[20:21], 0
.LBB55_1438:
	s_and_b64 vcc, exec, s[20:21]
	s_cbranch_vccz .LBB55_1445
; %bb.1439:
	v_cmp_eq_u16_e32 vcc, 29, v5
	s_mov_b64 s[0:1], -1
	s_cbranch_vccz .LBB55_1445
; %bb.1440:
	v_lshlrev_b32_e32 v2, 16, v4
	v_trunc_f32_e32 v2, v2
	v_mul_f32_e32 v3, 0x2f800000, v2
	v_floor_f32_e32 v6, v3
	v_fmac_f32_e32 v2, 0xcf800000, v6
	v_cvt_u32_f32_e32 v3, v6
	v_cvt_u32_f32_e32 v2, v2
	s_mov_b64 s[0:1], 0
	s_mov_b64 s[20:21], 0
	global_store_dwordx2 v[0:1], v[2:3], off
	s_branch .LBB55_1446
.LBB55_1441:
	s_or_b64 exec, exec, s[18:19]
	s_and_saveexec_b64 s[0:1], s[6:7]
	s_cbranch_execnz .LBB55_1504
.LBB55_1442:
	s_or_b64 exec, exec, s[0:1]
	s_and_saveexec_b64 s[0:1], s[26:27]
	s_xor_b64 s[0:1], exec, s[0:1]
	s_cbranch_execz .LBB55_1505
.LBB55_1443:
	s_waitcnt vmcnt(0)
	v_and_b32_e32 v2, 0x7fff, v4
	v_cmp_ne_u16_e32 vcc, 0, v2
	v_cndmask_b32_e64 v2, 0, 1, vcc
	global_store_byte v[0:1], v2, off
	s_or_b64 exec, exec, s[0:1]
	s_and_saveexec_b64 s[0:1], s[20:21]
	s_xor_b64 s[0:1], exec, s[0:1]
	s_cbranch_execz .LBB55_1543
	s_branch .LBB55_1506
.LBB55_1444:
	s_mov_b64 s[24:25], 0
	s_mov_b64 s[20:21], -1
	s_mov_b64 s[0:1], s[6:7]
	s_branch .LBB55_1503
.LBB55_1445:
	s_mov_b64 s[20:21], 0
.LBB55_1446:
	s_and_b64 vcc, exec, s[20:21]
	s_cbranch_vccz .LBB55_1461
; %bb.1447:
	v_cmp_gt_i16_e32 vcc, 27, v5
	s_mov_b64 s[20:21], -1
	s_cbranch_vccnz .LBB55_1453
; %bb.1448:
	v_cmp_lt_i16_e32 vcc, 27, v5
	s_cbranch_vccz .LBB55_1450
; %bb.1449:
	v_lshlrev_b32_e32 v2, 16, v4
	v_cvt_u32_f32_e32 v2, v2
	s_mov_b64 s[20:21], 0
	global_store_dword v[0:1], v2, off
.LBB55_1450:
	s_andn2_b64 vcc, exec, s[20:21]
	s_cbranch_vccnz .LBB55_1452
; %bb.1451:
	v_lshlrev_b32_e32 v2, 16, v4
	v_cvt_u32_f32_e32 v2, v2
	global_store_short v[0:1], v2, off
.LBB55_1452:
	s_mov_b64 s[20:21], 0
.LBB55_1453:
	s_andn2_b64 vcc, exec, s[20:21]
	s_cbranch_vccnz .LBB55_1461
; %bb.1454:
	v_lshlrev_b32_e32 v6, 16, v4
	v_and_b32_e32 v3, 0x7fffffff, v6
	s_mov_b32 s15, 0x43800000
	v_cmp_gt_u32_e32 vcc, s15, v3
	v_mov_b32_e32 v7, 0x80
	s_and_saveexec_b64 s[20:21], vcc
	s_cbranch_execz .LBB55_1460
; %bb.1455:
	s_mov_b32 s15, 0x3bffffff
	v_and_b32_e32 v2, 0xffff, v4
	v_cmp_lt_u32_e32 vcc, s15, v3
	s_mov_b64 s[24:25], 0
                                        ; implicit-def: $vgpr3
	s_and_saveexec_b64 s[26:27], vcc
	s_xor_b64 s[26:27], exec, s[26:27]
	s_cbranch_execz .LBB55_1558
; %bb.1456:
	v_bfe_u32 v3, v2, 4, 1
	s_mov_b32 s15, 0x487ffff
	v_add3_u32 v3, v6, v3, s15
	s_mov_b64 s[24:25], exec
	v_lshrrev_b32_e32 v3, 20, v3
                                        ; implicit-def: $vgpr6
	s_or_saveexec_b64 s[26:27], s[26:27]
                                        ; implicit-def: $sgpr15
	s_xor_b64 exec, exec, s[26:27]
	s_cbranch_execnz .LBB55_1559
.LBB55_1457:
	s_or_b64 exec, exec, s[26:27]
	v_mov_b32_e32 v7, s15
	s_and_saveexec_b64 s[26:27], s[24:25]
.LBB55_1458:
	v_lshrrev_b32_e32 v2, 8, v2
	s_movk_i32 s15, 0x80
	v_and_or_b32 v7, v2, s15, v3
.LBB55_1459:
	s_or_b64 exec, exec, s[26:27]
.LBB55_1460:
	s_or_b64 exec, exec, s[20:21]
	global_store_byte v[0:1], v7, off
.LBB55_1461:
	s_mov_b64 s[24:25], 0
.LBB55_1462:
	s_mov_b64 s[20:21], 0
	s_and_b64 vcc, exec, s[24:25]
	s_cbranch_vccz .LBB55_1502
; %bb.1463:
	v_cmp_lt_i16_e32 vcc, 22, v5
	s_mov_b64 s[24:25], -1
	s_cbranch_vccz .LBB55_1495
; %bb.1464:
	v_cmp_gt_i16_e32 vcc, 24, v5
	s_cbranch_vccnz .LBB55_1484
; %bb.1465:
	v_cmp_lt_i16_e32 vcc, 24, v5
	s_cbranch_vccz .LBB55_1473
; %bb.1466:
	v_lshlrev_b32_e32 v6, 16, v4
	v_and_b32_e32 v3, 0x7fffffff, v6
	s_mov_b32 s15, 0x47800000
	v_cmp_gt_u32_e32 vcc, s15, v3
	v_mov_b32_e32 v7, 0x80
	s_and_saveexec_b64 s[24:25], vcc
	s_cbranch_execz .LBB55_1472
; %bb.1467:
	s_mov_b32 s15, 0x37ffffff
	v_and_b32_e32 v2, 0xffff, v4
	v_cmp_lt_u32_e32 vcc, s15, v3
	s_mov_b64 s[26:27], 0
                                        ; implicit-def: $vgpr3
	s_and_saveexec_b64 s[28:29], vcc
	s_xor_b64 s[28:29], exec, s[28:29]
	s_cbranch_execz .LBB55_1683
; %bb.1468:
	v_bfe_u32 v3, v2, 5, 1
	s_mov_b32 s15, 0x88fffff
	v_add3_u32 v3, v6, v3, s15
	s_mov_b64 s[26:27], exec
	v_lshrrev_b32_e32 v3, 21, v3
                                        ; implicit-def: $vgpr6
	s_or_saveexec_b64 s[28:29], s[28:29]
                                        ; implicit-def: $sgpr15
	s_xor_b64 exec, exec, s[28:29]
	s_cbranch_execnz .LBB55_1684
.LBB55_1469:
	s_or_b64 exec, exec, s[28:29]
	v_mov_b32_e32 v7, s15
	s_and_saveexec_b64 s[28:29], s[26:27]
.LBB55_1470:
	v_lshrrev_b32_e32 v2, 8, v2
	s_movk_i32 s15, 0x80
	v_and_or_b32 v7, v2, s15, v3
.LBB55_1471:
	s_or_b64 exec, exec, s[28:29]
.LBB55_1472:
	s_or_b64 exec, exec, s[24:25]
	s_mov_b64 s[24:25], 0
	global_store_byte v[0:1], v7, off
.LBB55_1473:
	s_and_b64 vcc, exec, s[24:25]
	s_cbranch_vccz .LBB55_1483
; %bb.1474:
	v_lshlrev_b32_e32 v6, 16, v4
	v_and_b32_e32 v7, 0x7fffffff, v6
	s_mov_b32 s15, 0x43f00000
	v_and_b32_e32 v2, 0xffff, v4
	v_cmp_gt_u32_e32 vcc, s15, v7
                                        ; implicit-def: $vgpr3
	s_and_saveexec_b64 s[24:25], vcc
	s_xor_b64 s[24:25], exec, s[24:25]
	s_cbranch_execz .LBB55_1480
; %bb.1475:
	s_mov_b32 s15, 0x3c7fffff
	v_cmp_lt_u32_e32 vcc, s15, v7
                                        ; implicit-def: $vgpr3
	s_and_saveexec_b64 s[26:27], vcc
	s_xor_b64 s[26:27], exec, s[26:27]
; %bb.1476:
	v_bfe_u32 v3, v2, 4, 1
	s_mov_b32 s15, 0x407ffff
	v_add3_u32 v3, v6, v3, s15
	v_lshrrev_b32_e32 v6, 20, v3
	v_and_b32_e32 v3, 0xff00000, v3
	s_mov_b32 s15, 0x7f00000
	v_mov_b32_e32 v7, 0x7e
	v_cmp_ne_u32_e32 vcc, s15, v3
	v_cndmask_b32_e32 v3, v7, v6, vcc
                                        ; implicit-def: $vgpr6
; %bb.1477:
	s_andn2_saveexec_b64 s[26:27], s[26:27]
; %bb.1478:
	s_mov_b32 s15, 0x46800000
	v_add_f32_e64 v3, |v6|, s15
; %bb.1479:
	s_or_b64 exec, exec, s[26:27]
                                        ; implicit-def: $vgpr7
.LBB55_1480:
	s_andn2_saveexec_b64 s[24:25], s[24:25]
; %bb.1481:
	s_mov_b32 s15, 0x7f800000
	v_mov_b32_e32 v3, 0x7e
	v_mov_b32_e32 v6, 0x7f
	v_cmp_lt_u32_e32 vcc, s15, v7
	v_cndmask_b32_e32 v3, v3, v6, vcc
; %bb.1482:
	s_or_b64 exec, exec, s[24:25]
	v_lshrrev_b32_e32 v2, 8, v2
	s_movk_i32 s15, 0x80
	v_and_or_b32 v2, v2, s15, v3
	global_store_byte v[0:1], v2, off
.LBB55_1483:
	s_mov_b64 s[24:25], 0
.LBB55_1484:
	s_andn2_b64 vcc, exec, s[24:25]
	s_cbranch_vccnz .LBB55_1494
; %bb.1485:
	v_lshlrev_b32_e32 v6, 16, v4
	v_and_b32_e32 v7, 0x7fffffff, v6
	s_mov_b32 s15, 0x47800000
	v_and_b32_e32 v2, 0xffff, v4
	v_cmp_gt_u32_e32 vcc, s15, v7
                                        ; implicit-def: $vgpr3
	s_and_saveexec_b64 s[24:25], vcc
	s_xor_b64 s[24:25], exec, s[24:25]
	s_cbranch_execz .LBB55_1491
; %bb.1486:
	s_mov_b32 s15, 0x387fffff
	v_cmp_lt_u32_e32 vcc, s15, v7
                                        ; implicit-def: $vgpr3
	s_and_saveexec_b64 s[26:27], vcc
	s_xor_b64 s[26:27], exec, s[26:27]
; %bb.1487:
	v_bfe_u32 v3, v2, 5, 1
	s_mov_b32 s15, 0x80fffff
	v_add3_u32 v3, v6, v3, s15
	v_lshrrev_b32_e32 v3, 21, v3
                                        ; implicit-def: $vgpr6
; %bb.1488:
	s_andn2_saveexec_b64 s[26:27], s[26:27]
; %bb.1489:
	s_mov_b32 s15, 0x43000000
	v_add_f32_e64 v3, |v6|, s15
; %bb.1490:
	s_or_b64 exec, exec, s[26:27]
                                        ; implicit-def: $vgpr7
.LBB55_1491:
	s_andn2_saveexec_b64 s[24:25], s[24:25]
; %bb.1492:
	s_mov_b32 s15, 0x7f800000
	v_mov_b32_e32 v3, 0x7c
	v_mov_b32_e32 v6, 0x7f
	v_cmp_lt_u32_e32 vcc, s15, v7
	v_cndmask_b32_e32 v3, v3, v6, vcc
; %bb.1493:
	s_or_b64 exec, exec, s[24:25]
	v_lshrrev_b32_e32 v2, 8, v2
	s_movk_i32 s15, 0x80
	v_and_or_b32 v2, v2, s15, v3
	global_store_byte v[0:1], v2, off
.LBB55_1494:
	s_mov_b64 s[24:25], 0
.LBB55_1495:
	s_andn2_b64 vcc, exec, s[24:25]
	s_mov_b64 s[24:25], 0
	s_cbranch_vccnz .LBB55_1503
; %bb.1496:
	v_cmp_lt_i16_e32 vcc, 14, v5
	s_mov_b64 s[26:27], -1
	s_cbranch_vccz .LBB55_1500
; %bb.1497:
	v_cmp_eq_u16_e32 vcc, 15, v5
	s_mov_b64 s[0:1], -1
	s_cbranch_vccz .LBB55_1499
; %bb.1498:
	global_store_short v[0:1], v4, off
	s_mov_b64 s[0:1], 0
.LBB55_1499:
	s_mov_b64 s[26:27], 0
.LBB55_1500:
	s_and_b64 vcc, exec, s[26:27]
	s_cbranch_vccz .LBB55_1503
; %bb.1501:
	v_cmp_ne_u16_e32 vcc, 11, v5
	s_andn2_b64 s[0:1], s[0:1], exec
	s_and_b64 s[26:27], vcc, exec
	s_mov_b64 s[24:25], -1
	s_or_b64 s[0:1], s[0:1], s[26:27]
	s_branch .LBB55_1503
.LBB55_1502:
	s_mov_b64 s[24:25], 0
.LBB55_1503:
	s_andn2_b64 s[6:7], s[6:7], exec
	s_and_b64 s[0:1], s[0:1], exec
	s_and_b64 s[20:21], s[20:21], exec
	;; [unrolled: 1-line block ×3, first 2 shown]
	s_or_b64 s[6:7], s[6:7], s[0:1]
	s_or_b64 exec, exec, s[18:19]
	s_and_saveexec_b64 s[0:1], s[6:7]
	s_cbranch_execz .LBB55_1442
.LBB55_1504:
	s_or_b64 s[22:23], s[22:23], exec
	s_andn2_b64 s[26:27], s[26:27], exec
	s_trap 2
	s_or_b64 exec, exec, s[0:1]
	s_and_saveexec_b64 s[0:1], s[26:27]
	s_xor_b64 s[0:1], exec, s[0:1]
	s_cbranch_execnz .LBB55_1443
.LBB55_1505:
	s_or_b64 exec, exec, s[0:1]
	s_and_saveexec_b64 s[0:1], s[20:21]
	s_xor_b64 s[0:1], exec, s[0:1]
	s_cbranch_execz .LBB55_1543
.LBB55_1506:
	v_cmp_gt_i16_e32 vcc, 5, v5
	s_mov_b64 s[6:7], -1
	s_cbranch_vccnz .LBB55_1527
; %bb.1507:
	v_cmp_gt_i16_e32 vcc, 8, v5
	s_cbranch_vccnz .LBB55_1517
; %bb.1508:
	v_cmp_gt_i16_e32 vcc, 9, v5
	s_cbranch_vccnz .LBB55_1514
; %bb.1509:
	v_cmp_lt_i16_e32 vcc, 9, v5
	s_cbranch_vccz .LBB55_1511
; %bb.1510:
	s_waitcnt vmcnt(0)
	v_lshlrev_b32_e32 v2, 16, v4
	v_mov_b32_e32 v8, 0
	v_cvt_f64_f32_e32 v[6:7], v2
	v_mov_b32_e32 v9, v8
	s_mov_b64 s[6:7], 0
	global_store_dwordx4 v[0:1], v[6:9], off
.LBB55_1511:
	s_andn2_b64 vcc, exec, s[6:7]
	s_cbranch_vccnz .LBB55_1513
; %bb.1512:
	s_waitcnt vmcnt(0)
	v_lshlrev_b32_e32 v2, 16, v4
	v_mov_b32_e32 v3, 0
	global_store_dwordx2 v[0:1], v[2:3], off
.LBB55_1513:
	s_mov_b64 s[6:7], 0
.LBB55_1514:
	s_andn2_b64 vcc, exec, s[6:7]
	s_cbranch_vccnz .LBB55_1516
; %bb.1515:
	s_waitcnt vmcnt(0)
	v_lshlrev_b32_e32 v2, 16, v4
	v_cvt_f16_f32_e32 v2, v2
	global_store_dword v[0:1], v2, off
.LBB55_1516:
	s_mov_b64 s[6:7], 0
.LBB55_1517:
	s_andn2_b64 vcc, exec, s[6:7]
	s_cbranch_vccnz .LBB55_1526
; %bb.1518:
	v_cmp_gt_i16_e32 vcc, 6, v5
	s_mov_b64 s[6:7], -1
	s_cbranch_vccnz .LBB55_1524
; %bb.1519:
	v_cmp_lt_i16_e32 vcc, 6, v5
	s_cbranch_vccz .LBB55_1521
; %bb.1520:
	s_waitcnt vmcnt(0)
	v_lshlrev_b32_e32 v2, 16, v4
	v_cvt_f64_f32_e32 v[2:3], v2
	s_mov_b64 s[6:7], 0
	global_store_dwordx2 v[0:1], v[2:3], off
.LBB55_1521:
	s_andn2_b64 vcc, exec, s[6:7]
	s_cbranch_vccnz .LBB55_1523
; %bb.1522:
	s_waitcnt vmcnt(0)
	v_lshlrev_b32_e32 v2, 16, v4
	global_store_dword v[0:1], v2, off
.LBB55_1523:
	s_mov_b64 s[6:7], 0
.LBB55_1524:
	s_andn2_b64 vcc, exec, s[6:7]
	s_cbranch_vccnz .LBB55_1526
; %bb.1525:
	s_waitcnt vmcnt(0)
	v_lshlrev_b32_e32 v2, 16, v4
	v_cvt_f16_f32_e32 v2, v2
	global_store_short v[0:1], v2, off
.LBB55_1526:
	s_mov_b64 s[6:7], 0
.LBB55_1527:
	s_andn2_b64 vcc, exec, s[6:7]
	s_cbranch_vccnz .LBB55_1543
; %bb.1528:
	v_cmp_gt_i16_e32 vcc, 2, v5
	s_mov_b64 s[6:7], -1
	s_cbranch_vccnz .LBB55_1538
; %bb.1529:
	v_cmp_gt_i16_e32 vcc, 3, v5
	s_cbranch_vccnz .LBB55_1535
; %bb.1530:
	v_cmp_lt_i16_e32 vcc, 3, v5
	s_cbranch_vccz .LBB55_1532
; %bb.1531:
	s_waitcnt vmcnt(0)
	v_lshlrev_b32_e32 v2, 16, v4
	v_trunc_f32_e32 v2, v2
	s_mov_b32 s6, 0x2f800000
	v_mul_f32_e64 v3, |v2|, s6
	v_floor_f32_e32 v3, v3
	s_mov_b32 s6, 0xcf800000
	v_cvt_u32_f32_e32 v6, v3
	v_fma_f32 v3, v3, s6, |v2|
	v_cvt_u32_f32_e32 v3, v3
	v_ashrrev_i32_e32 v7, 31, v2
	v_xor_b32_e32 v6, v6, v7
	s_mov_b64 s[6:7], 0
	v_xor_b32_e32 v2, v3, v7
	v_sub_co_u32_e32 v2, vcc, v2, v7
	v_subb_co_u32_e32 v3, vcc, v6, v7, vcc
	global_store_dwordx2 v[0:1], v[2:3], off
.LBB55_1532:
	s_andn2_b64 vcc, exec, s[6:7]
	s_cbranch_vccnz .LBB55_1534
; %bb.1533:
	s_waitcnt vmcnt(0)
	v_lshlrev_b32_e32 v2, 16, v4
	v_cvt_i32_f32_e32 v2, v2
	global_store_dword v[0:1], v2, off
.LBB55_1534:
	s_mov_b64 s[6:7], 0
.LBB55_1535:
	s_andn2_b64 vcc, exec, s[6:7]
	s_cbranch_vccnz .LBB55_1537
; %bb.1536:
	s_waitcnt vmcnt(0)
	v_lshlrev_b32_e32 v2, 16, v4
	v_cvt_i32_f32_e32 v2, v2
	global_store_short v[0:1], v2, off
.LBB55_1537:
	s_mov_b64 s[6:7], 0
.LBB55_1538:
	s_andn2_b64 vcc, exec, s[6:7]
	s_cbranch_vccnz .LBB55_1543
; %bb.1539:
	v_cmp_lt_i16_e32 vcc, 0, v5
	s_mov_b64 s[6:7], -1
	s_waitcnt vmcnt(0)
	v_lshlrev_b32_e32 v2, 16, v4
	s_cbranch_vccz .LBB55_1541
; %bb.1540:
	v_cvt_i32_f32_e32 v3, v2
	s_mov_b64 s[6:7], 0
	global_store_byte v[0:1], v3, off
.LBB55_1541:
	s_andn2_b64 vcc, exec, s[6:7]
	s_cbranch_vccnz .LBB55_1543
; %bb.1542:
	v_trunc_f32_e32 v2, v2
	s_mov_b32 s6, 0x2f800000
	v_mul_f32_e64 v3, |v2|, s6
	v_floor_f32_e32 v3, v3
	s_mov_b32 s6, 0xcf800000
	v_fma_f32 v3, v3, s6, |v2|
	v_cvt_u32_f32_e32 v3, v3
	v_ashrrev_i32_e32 v2, 31, v2
	v_xor_b32_e32 v3, v3, v2
	v_sub_u32_e32 v2, v3, v2
	global_store_byte v[0:1], v2, off
.LBB55_1543:
	s_or_b64 exec, exec, s[0:1]
	s_and_b64 s[6:7], s[22:23], exec
                                        ; implicit-def: $vgpr3
                                        ; implicit-def: $vgpr5
                                        ; implicit-def: $vgpr4
                                        ; implicit-def: $vgpr2
.LBB55_1544:
	s_or_saveexec_b64 s[4:5], s[4:5]
	s_mov_b64 s[0:1], 0
                                        ; implicit-def: $vgpr6
                                        ; implicit-def: $vgpr0_vgpr1
                                        ; implicit-def: $vgpr7
	s_xor_b64 exec, exec, s[4:5]
	s_cbranch_execz .LBB55_3034
; %bb.1545:
	v_mul_lo_u32 v8, s13, v3
	v_ashrrev_i32_e32 v1, 31, v8
	s_waitcnt vmcnt(0)
	v_mov_b32_e32 v6, s11
	v_add_co_u32_e32 v0, vcc, s10, v8
	v_addc_co_u32_e32 v1, vcc, v6, v1, vcc
	v_mov_b32_e32 v6, 11
	v_cmp_lt_i16_sdwa s[0:1], v5, v6 src0_sel:BYTE_0 src1_sel:DWORD
	s_and_b64 vcc, exec, s[0:1]
	s_cbranch_vccnz .LBB55_1552
; %bb.1546:
	v_mov_b32_e32 v6, 25
	v_cmp_gt_i16_sdwa s[0:1], v5, v6 src0_sel:BYTE_0 src1_sel:DWORD
	s_and_b64 vcc, exec, s[0:1]
	s_cbranch_vccz .LBB55_1554
; %bb.1547:
	v_mov_b32_e32 v6, 28
	v_cmp_gt_i16_sdwa s[0:1], v5, v6 src0_sel:BYTE_0 src1_sel:DWORD
	s_and_b64 vcc, exec, s[0:1]
	s_cbranch_vccz .LBB55_1555
	;; [unrolled: 5-line block ×4, first 2 shown]
; %bb.1550:
	v_mov_b32_e32 v6, 46
	v_cmp_eq_u16_sdwa s[0:1], v5, v6 src0_sel:BYTE_0 src1_sel:DWORD
	s_mov_b64 s[18:19], 0
	s_and_b64 vcc, exec, s[0:1]
	s_cbranch_vccz .LBB55_1560
; %bb.1551:
	global_load_dword v6, v[0:1], off
	s_mov_b64 s[0:1], 0
	s_mov_b64 s[20:21], -1
	s_branch .LBB55_1561
.LBB55_1552:
	s_mov_b64 s[20:21], 0
                                        ; implicit-def: $vgpr6
	s_mov_b64 s[18:19], s[6:7]
	s_cbranch_execnz .LBB55_1624
.LBB55_1553:
	s_andn2_b64 vcc, exec, s[20:21]
	s_cbranch_vccz .LBB55_1669
	s_branch .LBB55_3032
.LBB55_1554:
	s_mov_b64 s[20:21], 0
	s_mov_b64 s[0:1], 0
                                        ; implicit-def: $vgpr6
	s_cbranch_execnz .LBB55_1589
	s_branch .LBB55_1620
.LBB55_1555:
	s_mov_b64 s[18:19], -1
	s_mov_b64 s[20:21], 0
	s_mov_b64 s[0:1], 0
                                        ; implicit-def: $vgpr6
	s_branch .LBB55_1570
.LBB55_1556:
	s_mov_b64 s[20:21], 0
	s_mov_b64 s[0:1], 0
                                        ; implicit-def: $vgpr6
	s_cbranch_execnz .LBB55_1566
	s_branch .LBB55_1569
.LBB55_1557:
	s_mov_b64 s[18:19], -1
	s_mov_b64 s[20:21], 0
	s_mov_b64 s[0:1], 0
                                        ; implicit-def: $vgpr6
	s_branch .LBB55_1561
.LBB55_1558:
	s_or_saveexec_b64 s[26:27], s[26:27]
                                        ; implicit-def: $sgpr15
	s_xor_b64 exec, exec, s[26:27]
	s_cbranch_execz .LBB55_1457
.LBB55_1559:
	s_mov_b32 s15, 0x46000000
	v_add_f32_e64 v3, |v6|, s15
	v_and_b32_e32 v3, 0xff, v3
	v_cmp_ne_u32_e32 vcc, 0, v3
	s_andn2_b64 s[24:25], s[24:25], exec
	s_and_b64 s[28:29], vcc, exec
	s_mov_b32 s15, 0
	s_or_b64 s[24:25], s[24:25], s[28:29]
	s_or_b64 exec, exec, s[26:27]
	v_mov_b32_e32 v7, s15
	s_and_saveexec_b64 s[26:27], s[24:25]
	s_cbranch_execnz .LBB55_1458
	s_branch .LBB55_1459
.LBB55_1560:
	s_mov_b64 s[0:1], -1
                                        ; implicit-def: $vgpr6
	s_mov_b64 s[20:21], 0
.LBB55_1561:
	s_and_b64 vcc, exec, s[18:19]
	s_cbranch_vccz .LBB55_1564
; %bb.1562:
	s_waitcnt vmcnt(0)
	v_mov_b32_e32 v6, 44
	v_cmp_eq_u16_sdwa s[0:1], v5, v6 src0_sel:BYTE_0 src1_sel:DWORD
	s_and_b64 vcc, exec, s[0:1]
	s_cbranch_vccz .LBB55_1565
; %bb.1563:
	global_load_ubyte v6, v[0:1], off
	s_movk_i32 s15, 0xff
	v_mov_b32_e32 v7, 0x7f800001
	v_mov_b32_e32 v9, 0x400000
	;; [unrolled: 1-line block ×3, first 2 shown]
	s_mov_b64 s[0:1], 0
	s_mov_b64 s[20:21], -1
	s_waitcnt vmcnt(0)
	v_lshlrev_b32_e32 v11, 23, v6
	v_cmp_ne_u32_e32 vcc, s15, v6
	v_cndmask_b32_e32 v7, v7, v11, vcc
	v_cmp_ne_u32_e32 vcc, 0, v6
	v_cndmask_b32_e32 v6, v9, v7, vcc
	v_add_u32_e32 v7, 0x7fff, v6
	v_lshrrev_b32_e32 v7, 16, v7
	v_cmp_o_f32_e32 vcc, v6, v6
	v_cndmask_b32_e32 v6, v10, v7, vcc
.LBB55_1564:
	s_branch .LBB55_1569
.LBB55_1565:
	s_mov_b64 s[0:1], -1
                                        ; implicit-def: $vgpr6
	s_branch .LBB55_1569
.LBB55_1566:
	s_waitcnt vmcnt(0)
	v_mov_b32_e32 v6, 29
	v_cmp_eq_u16_sdwa s[0:1], v5, v6 src0_sel:BYTE_0 src1_sel:DWORD
	s_and_b64 vcc, exec, s[0:1]
	s_cbranch_vccz .LBB55_1568
; %bb.1567:
	global_load_dwordx2 v[6:7], v[0:1], off
	s_movk_i32 s15, 0x7fff
	s_mov_b64 s[0:1], 0
	s_mov_b64 s[20:21], -1
	s_mov_b64 s[18:19], 0
	s_waitcnt vmcnt(0)
	v_ffbh_u32_e32 v9, v7
	v_min_u32_e32 v9, 32, v9
	v_lshlrev_b64 v[6:7], v9, v[6:7]
	v_min_u32_e32 v6, 1, v6
	v_or_b32_e32 v6, v7, v6
	v_cvt_f32_u32_e32 v6, v6
	v_sub_u32_e32 v7, 32, v9
	v_ldexp_f32 v6, v6, v7
	v_bfe_u32 v7, v6, 16, 1
	v_add3_u32 v6, v6, v7, s15
	v_lshrrev_b32_e32 v6, 16, v6
	s_branch .LBB55_1570
.LBB55_1568:
	s_mov_b64 s[0:1], -1
                                        ; implicit-def: $vgpr6
.LBB55_1569:
	s_mov_b64 s[18:19], 0
.LBB55_1570:
	s_and_b64 vcc, exec, s[18:19]
	s_cbranch_vccz .LBB55_1588
; %bb.1571:
	s_waitcnt vmcnt(0)
	v_mov_b32_e32 v6, 27
	v_cmp_lt_i16_sdwa s[18:19], v5, v6 src0_sel:BYTE_0 src1_sel:DWORD
	s_and_b64 vcc, exec, s[18:19]
	s_cbranch_vccnz .LBB55_1574
; %bb.1572:
	v_cmp_gt_i16_sdwa s[18:19], v5, v6 src0_sel:BYTE_0 src1_sel:DWORD
	s_and_b64 vcc, exec, s[18:19]
	s_cbranch_vccz .LBB55_1575
; %bb.1573:
	global_load_dword v6, v[0:1], off
	s_movk_i32 s15, 0x7fff
	s_mov_b64 s[18:19], 0
	s_waitcnt vmcnt(0)
	v_cvt_f32_u32_e32 v6, v6
	v_bfe_u32 v7, v6, 16, 1
	v_add3_u32 v6, v6, v7, s15
	v_lshrrev_b32_e32 v6, 16, v6
	s_branch .LBB55_1576
.LBB55_1574:
	s_mov_b64 s[18:19], -1
                                        ; implicit-def: $vgpr6
	s_branch .LBB55_1579
.LBB55_1575:
	s_mov_b64 s[18:19], -1
                                        ; implicit-def: $vgpr6
.LBB55_1576:
	s_andn2_b64 vcc, exec, s[18:19]
	s_cbranch_vccnz .LBB55_1578
; %bb.1577:
	global_load_ushort v6, v[0:1], off
	s_movk_i32 s15, 0x7fff
	s_waitcnt vmcnt(0)
	v_cvt_f32_u32_e32 v6, v6
	v_bfe_u32 v7, v6, 16, 1
	v_add3_u32 v6, v6, v7, s15
	v_lshrrev_b32_e32 v6, 16, v6
.LBB55_1578:
	s_mov_b64 s[18:19], 0
.LBB55_1579:
	s_andn2_b64 vcc, exec, s[18:19]
	s_cbranch_vccnz .LBB55_1587
; %bb.1580:
	global_load_ubyte v6, v[0:1], off
	s_movk_i32 s15, 0x7f
	s_mov_b64 s[18:19], 0
	s_waitcnt vmcnt(0)
	v_cmp_lt_i16_e32 vcc, s15, v6
                                        ; implicit-def: $sgpr15
	s_and_saveexec_b64 s[20:21], vcc
	s_xor_b64 s[20:21], exec, s[20:21]
	s_cbranch_execz .LBB55_1600
; %bb.1581:
	s_movk_i32 s15, 0x80
	v_cmp_eq_u16_e32 vcc, s15, v6
	s_mov_b64 s[18:19], -1
                                        ; implicit-def: $sgpr15
	s_and_saveexec_b64 s[22:23], vcc
; %bb.1582:
	s_mov_b32 s15, 0x7f800001
	s_xor_b64 s[18:19], exec, -1
; %bb.1583:
	s_or_b64 exec, exec, s[22:23]
	s_and_b64 s[18:19], s[18:19], exec
	s_or_saveexec_b64 s[20:21], s[20:21]
	v_mov_b32_e32 v7, s15
	s_xor_b64 exec, exec, s[20:21]
	s_cbranch_execnz .LBB55_1601
.LBB55_1584:
	s_or_b64 exec, exec, s[20:21]
	s_and_saveexec_b64 s[20:21], s[18:19]
	s_cbranch_execz .LBB55_1586
.LBB55_1585:
	v_lshlrev_b32_e32 v7, 24, v6
	v_and_b32_e32 v6, 0xffff, v6
	v_and_b32_e32 v9, 7, v6
	v_ffbh_u32_e32 v11, v9
	v_min_u32_e32 v11, 32, v11
	v_subrev_u32_e32 v12, 28, v11
	v_bfe_u32 v10, v6, 3, 4
	v_lshlrev_b32_e32 v6, v12, v6
	v_sub_u32_e32 v11, 29, v11
	v_and_b32_e32 v6, 7, v6
	v_cmp_eq_u32_e32 vcc, 0, v10
	v_cndmask_b32_e32 v10, v10, v11, vcc
	v_cndmask_b32_e32 v6, v9, v6, vcc
	v_mov_b32_e32 v9, 0x3b800000
	v_lshlrev_b32_e32 v6, 20, v6
	v_and_b32_e32 v7, 0x80000000, v7
	v_lshl_add_u32 v9, v10, 23, v9
	v_or3_b32 v7, v7, v9, v6
.LBB55_1586:
	s_or_b64 exec, exec, s[20:21]
	v_bfe_u32 v6, v7, 16, 1
	s_movk_i32 s15, 0x7fff
	v_add3_u32 v6, v7, v6, s15
	v_lshrrev_b32_e32 v6, 16, v6
	v_mov_b32_e32 v9, 0x7fc0
	v_cmp_o_f32_e32 vcc, v7, v7
	v_cndmask_b32_e32 v6, v9, v6, vcc
.LBB55_1587:
	s_mov_b64 s[20:21], -1
.LBB55_1588:
	s_branch .LBB55_1620
.LBB55_1589:
	s_waitcnt vmcnt(0)
	v_mov_b32_e32 v6, 22
	v_cmp_gt_i16_sdwa s[16:17], v5, v6 src0_sel:BYTE_0 src1_sel:DWORD
	s_and_b64 vcc, exec, s[16:17]
	s_cbranch_vccz .LBB55_1599
; %bb.1590:
	v_mov_b32_e32 v6, 24
	v_cmp_lt_i16_sdwa s[16:17], v5, v6 src0_sel:BYTE_0 src1_sel:DWORD
	s_and_b64 vcc, exec, s[16:17]
	s_cbranch_vccnz .LBB55_1602
; %bb.1591:
	v_cmp_gt_i16_sdwa s[16:17], v5, v6 src0_sel:BYTE_0 src1_sel:DWORD
	s_and_b64 vcc, exec, s[16:17]
	s_cbranch_vccz .LBB55_1603
; %bb.1592:
	global_load_ubyte v6, v[0:1], off
	s_movk_i32 s15, 0x7f
	s_mov_b64 s[16:17], 0
	s_waitcnt vmcnt(0)
	v_cmp_lt_i16_e32 vcc, s15, v6
                                        ; implicit-def: $sgpr15
	s_and_saveexec_b64 s[18:19], vcc
	s_xor_b64 s[18:19], exec, s[18:19]
	s_cbranch_execz .LBB55_1614
; %bb.1593:
	s_movk_i32 s15, 0x80
	v_cmp_eq_u16_e32 vcc, s15, v6
	s_mov_b64 s[16:17], -1
                                        ; implicit-def: $sgpr15
	s_and_saveexec_b64 s[20:21], vcc
; %bb.1594:
	s_mov_b32 s15, 0x7f800001
	s_xor_b64 s[16:17], exec, -1
; %bb.1595:
	s_or_b64 exec, exec, s[20:21]
	s_and_b64 s[16:17], s[16:17], exec
	s_or_saveexec_b64 s[18:19], s[18:19]
	v_mov_b32_e32 v7, s15
	s_xor_b64 exec, exec, s[18:19]
	s_cbranch_execnz .LBB55_1615
.LBB55_1596:
	s_or_b64 exec, exec, s[18:19]
	s_and_saveexec_b64 s[18:19], s[16:17]
	s_cbranch_execz .LBB55_1598
.LBB55_1597:
	v_lshlrev_b32_e32 v7, 24, v6
	v_and_b32_e32 v6, 0xffff, v6
	v_and_b32_e32 v9, 3, v6
	v_ffbh_u32_e32 v11, v9
	v_min_u32_e32 v11, 32, v11
	v_subrev_u32_e32 v12, 29, v11
	v_bfe_u32 v10, v6, 2, 5
	v_lshlrev_b32_e32 v6, v12, v6
	v_sub_u32_e32 v11, 30, v11
	v_and_b32_e32 v6, 3, v6
	v_cmp_eq_u32_e32 vcc, 0, v10
	v_cndmask_b32_e32 v10, v10, v11, vcc
	v_cndmask_b32_e32 v6, v9, v6, vcc
	v_mov_b32_e32 v9, 0x37800000
	v_lshlrev_b32_e32 v6, 21, v6
	v_and_b32_e32 v7, 0x80000000, v7
	v_lshl_add_u32 v9, v10, 23, v9
	v_or3_b32 v7, v7, v9, v6
.LBB55_1598:
	s_or_b64 exec, exec, s[18:19]
	v_bfe_u32 v6, v7, 16, 1
	s_movk_i32 s15, 0x7fff
	v_add3_u32 v6, v7, v6, s15
	v_lshrrev_b32_e32 v6, 16, v6
	v_mov_b32_e32 v9, 0x7fc0
	v_cmp_o_f32_e32 vcc, v7, v7
	v_cndmask_b32_e32 v6, v9, v6, vcc
	s_mov_b64 s[16:17], 0
	s_branch .LBB55_1604
.LBB55_1599:
                                        ; implicit-def: $vgpr6
	s_mov_b64 s[16:17], 0
	s_branch .LBB55_1610
.LBB55_1600:
	s_or_saveexec_b64 s[20:21], s[20:21]
	v_mov_b32_e32 v7, s15
	s_xor_b64 exec, exec, s[20:21]
	s_cbranch_execz .LBB55_1584
.LBB55_1601:
	v_cmp_ne_u16_e32 vcc, 0, v6
	s_andn2_b64 s[18:19], s[18:19], exec
	s_and_b64 s[22:23], vcc, exec
	v_mov_b32_e32 v7, 0
	s_or_b64 s[18:19], s[18:19], s[22:23]
	s_or_b64 exec, exec, s[20:21]
	s_and_saveexec_b64 s[20:21], s[18:19]
	s_cbranch_execnz .LBB55_1585
	s_branch .LBB55_1586
.LBB55_1602:
	s_mov_b64 s[16:17], -1
                                        ; implicit-def: $vgpr6
	s_branch .LBB55_1607
.LBB55_1603:
	s_mov_b64 s[16:17], -1
                                        ; implicit-def: $vgpr6
.LBB55_1604:
	s_and_b64 vcc, exec, s[16:17]
	s_cbranch_vccz .LBB55_1606
; %bb.1605:
	global_load_ubyte v6, v[0:1], off
	s_mov_b32 s15, 0x7f800000
	s_brev_b32 s16, 1
	s_movk_i32 s17, 0x7fff
	v_mov_b32_e32 v7, 0x7fc0
	s_waitcnt vmcnt(0)
	v_lshlrev_b32_e32 v6, 24, v6
	v_and_b32_e32 v9, 0x7f000000, v6
	v_ffbh_u32_e32 v10, v9
	v_min_u32_e32 v10, 32, v10
	v_sub_u32_e64 v10, v10, 4 clamp
	v_lshlrev_b32_e32 v12, v10, v9
	v_lshlrev_b32_e32 v10, 23, v10
	v_lshrrev_b32_e32 v12, 4, v12
	v_add_u32_e32 v11, 0x1000000, v9
	v_sub_u32_e32 v10, v12, v10
	v_ashrrev_i32_e32 v11, 8, v11
	v_add_u32_e32 v10, 0x3c000000, v10
	v_and_or_b32 v10, v11, s15, v10
	v_cmp_ne_u32_e32 vcc, 0, v9
	v_cndmask_b32_e32 v9, 0, v10, vcc
	v_and_or_b32 v6, v6, s16, v9
	v_bfe_u32 v9, v9, 16, 1
	v_add3_u32 v9, v6, v9, s17
	v_lshrrev_b32_e32 v9, 16, v9
	v_cmp_o_f32_e32 vcc, v6, v6
	v_cndmask_b32_e32 v6, v7, v9, vcc
.LBB55_1606:
	s_mov_b64 s[16:17], 0
.LBB55_1607:
	s_andn2_b64 vcc, exec, s[16:17]
	s_cbranch_vccnz .LBB55_1609
; %bb.1608:
	global_load_ubyte v6, v[0:1], off
	s_movk_i32 s15, 0x7f00
	s_brev_b32 s16, 16
	s_brev_b32 s17, 1
	s_movk_i32 s18, 0x7fff
	v_mov_b32_e32 v7, 0x7fc0
	s_waitcnt vmcnt(0)
	v_lshlrev_b16_e32 v9, 8, v6
	v_lshlrev_b32_e32 v6, 25, v6
	v_lshrrev_b32_e32 v10, 4, v6
	v_and_or_b32 v11, v9, s15, 0.5
	v_or_b32_e32 v10, 0x70000000, v10
	v_add_f32_e32 v11, -0.5, v11
	v_mul_f32_e32 v10, 0x7800000, v10
	v_cmp_gt_u32_e32 vcc, s16, v6
	v_bfe_i32 v9, v9, 0, 16
	v_cndmask_b32_e32 v6, v10, v11, vcc
	v_and_or_b32 v9, v9, s17, v6
	v_bfe_u32 v6, v6, 16, 1
	v_add3_u32 v6, v9, v6, s18
	v_lshrrev_b32_e32 v6, 16, v6
	v_cmp_o_f32_e32 vcc, v9, v9
	v_cndmask_b32_e32 v6, v7, v6, vcc
.LBB55_1609:
	s_mov_b64 s[20:21], -1
	s_mov_b64 s[16:17], 0
	s_cbranch_execnz .LBB55_1620
.LBB55_1610:
	v_mov_b32_e32 v6, 14
	v_cmp_gt_i16_sdwa s[16:17], v5, v6 src0_sel:BYTE_0 src1_sel:DWORD
	s_and_b64 vcc, exec, s[16:17]
	s_cbranch_vccz .LBB55_1613
; %bb.1611:
	v_mov_b32_e32 v6, 15
	v_cmp_eq_u16_sdwa s[0:1], v5, v6 src0_sel:BYTE_0 src1_sel:DWORD
	s_and_b64 vcc, exec, s[0:1]
	s_cbranch_vccz .LBB55_1616
; %bb.1612:
	global_load_ushort v6, v[0:1], off
	s_mov_b64 s[0:1], 0
	s_mov_b64 s[20:21], -1
	s_branch .LBB55_1617
.LBB55_1613:
	s_mov_b64 s[18:19], -1
                                        ; implicit-def: $vgpr6
	s_branch .LBB55_1618
.LBB55_1614:
	s_or_saveexec_b64 s[18:19], s[18:19]
	v_mov_b32_e32 v7, s15
	s_xor_b64 exec, exec, s[18:19]
	s_cbranch_execz .LBB55_1596
.LBB55_1615:
	v_cmp_ne_u16_e32 vcc, 0, v6
	s_andn2_b64 s[16:17], s[16:17], exec
	s_and_b64 s[20:21], vcc, exec
	v_mov_b32_e32 v7, 0
	s_or_b64 s[16:17], s[16:17], s[20:21]
	s_or_b64 exec, exec, s[18:19]
	s_and_saveexec_b64 s[18:19], s[16:17]
	s_cbranch_execnz .LBB55_1597
	s_branch .LBB55_1598
.LBB55_1616:
	s_mov_b64 s[0:1], -1
                                        ; implicit-def: $vgpr6
.LBB55_1617:
	s_mov_b64 s[18:19], 0
.LBB55_1618:
	s_mov_b64 s[16:17], 0
	s_and_b64 vcc, exec, s[18:19]
	s_cbranch_vccz .LBB55_1620
; %bb.1619:
	s_waitcnt vmcnt(0)
	v_mov_b32_e32 v6, 11
	v_cmp_ne_u16_sdwa s[0:1], v5, v6 src0_sel:BYTE_0 src1_sel:DWORD
	s_mov_b64 s[16:17], -1
                                        ; implicit-def: $vgpr6
.LBB55_1620:
	s_and_b64 vcc, exec, s[0:1]
	s_mov_b64 s[18:19], s[6:7]
	s_cbranch_vccnz .LBB55_1681
; %bb.1621:
	s_andn2_b64 vcc, exec, s[16:17]
	s_cbranch_vccnz .LBB55_1623
.LBB55_1622:
	global_load_ubyte v6, v[0:1], off
	s_mov_b64 s[20:21], -1
	s_waitcnt vmcnt(0)
	v_cmp_ne_u16_e32 vcc, 0, v6
	v_cndmask_b32_e64 v6, 0, 1.0, vcc
	v_lshrrev_b32_e32 v6, 16, v6
.LBB55_1623:
	s_branch .LBB55_1553
.LBB55_1624:
	s_waitcnt vmcnt(0)
	v_mov_b32_e32 v6, 5
	v_cmp_lt_i16_sdwa s[0:1], v5, v6 src0_sel:BYTE_0 src1_sel:DWORD
	s_and_b64 vcc, exec, s[0:1]
	s_cbranch_vccnz .LBB55_1629
; %bb.1625:
	v_mov_b32_e32 v6, 8
	v_cmp_lt_i16_sdwa s[0:1], v5, v6 src0_sel:BYTE_0 src1_sel:DWORD
	s_and_b64 vcc, exec, s[0:1]
	s_cbranch_vccnz .LBB55_1630
; %bb.1626:
	;; [unrolled: 5-line block ×3, first 2 shown]
	v_cmp_gt_i16_sdwa s[0:1], v5, v6 src0_sel:BYTE_0 src1_sel:DWORD
	s_and_b64 vcc, exec, s[0:1]
	s_cbranch_vccz .LBB55_1632
; %bb.1628:
	global_load_dwordx2 v[6:7], v[0:1], off
	s_movk_i32 s0, 0x7fff
	v_mov_b32_e32 v9, 0x7fc0
	s_waitcnt vmcnt(0)
	v_cvt_f32_f64_e32 v6, v[6:7]
	v_bfe_u32 v7, v6, 16, 1
	v_add3_u32 v7, v6, v7, s0
	v_lshrrev_b32_e32 v7, 16, v7
	v_cmp_o_f32_e32 vcc, v6, v6
	v_cndmask_b32_e32 v6, v9, v7, vcc
	s_mov_b64 s[0:1], 0
	s_branch .LBB55_1633
.LBB55_1629:
                                        ; implicit-def: $vgpr6
	s_branch .LBB55_1650
.LBB55_1630:
                                        ; implicit-def: $vgpr6
	s_branch .LBB55_1639
.LBB55_1631:
	s_mov_b64 s[0:1], -1
                                        ; implicit-def: $vgpr6
	s_branch .LBB55_1636
.LBB55_1632:
	s_mov_b64 s[0:1], -1
                                        ; implicit-def: $vgpr6
.LBB55_1633:
	s_andn2_b64 vcc, exec, s[0:1]
	s_cbranch_vccnz .LBB55_1635
; %bb.1634:
	global_load_dword v6, v[0:1], off
	s_movk_i32 s0, 0x7fff
	v_mov_b32_e32 v7, 0x7fc0
	s_waitcnt vmcnt(0)
	v_bfe_u32 v9, v6, 16, 1
	v_add3_u32 v9, v6, v9, s0
	v_lshrrev_b32_e32 v9, 16, v9
	v_cmp_o_f32_e32 vcc, v6, v6
	v_cndmask_b32_e32 v6, v7, v9, vcc
.LBB55_1635:
	s_mov_b64 s[0:1], 0
.LBB55_1636:
	s_andn2_b64 vcc, exec, s[0:1]
	s_cbranch_vccnz .LBB55_1638
; %bb.1637:
	global_load_dword v6, v[0:1], off
	s_movk_i32 s0, 0x7fff
	v_mov_b32_e32 v9, 0x7fc0
	s_waitcnt vmcnt(0)
	v_cvt_f32_f16_e32 v7, v6
	v_cmp_o_f16_e32 vcc, v6, v6
	v_bfe_u32 v10, v7, 16, 1
	v_add3_u32 v7, v7, v10, s0
	v_lshrrev_b32_e32 v7, 16, v7
	v_cndmask_b32_e32 v6, v9, v7, vcc
.LBB55_1638:
	s_cbranch_execnz .LBB55_1649
.LBB55_1639:
	v_mov_b32_e32 v6, 6
	v_cmp_lt_i16_sdwa s[0:1], v5, v6 src0_sel:BYTE_0 src1_sel:DWORD
	s_and_b64 vcc, exec, s[0:1]
	s_cbranch_vccnz .LBB55_1642
; %bb.1640:
	v_cmp_gt_i16_sdwa s[0:1], v5, v6 src0_sel:BYTE_0 src1_sel:DWORD
	s_and_b64 vcc, exec, s[0:1]
	s_cbranch_vccz .LBB55_1643
; %bb.1641:
	global_load_dwordx2 v[6:7], v[0:1], off
	s_movk_i32 s0, 0x7fff
	v_mov_b32_e32 v9, 0x7fc0
	s_waitcnt vmcnt(0)
	v_cvt_f32_f64_e32 v6, v[6:7]
	v_bfe_u32 v7, v6, 16, 1
	v_add3_u32 v7, v6, v7, s0
	v_lshrrev_b32_e32 v7, 16, v7
	v_cmp_o_f32_e32 vcc, v6, v6
	v_cndmask_b32_e32 v6, v9, v7, vcc
	s_mov_b64 s[0:1], 0
	s_branch .LBB55_1644
.LBB55_1642:
	s_mov_b64 s[0:1], -1
                                        ; implicit-def: $vgpr6
	s_branch .LBB55_1647
.LBB55_1643:
	s_mov_b64 s[0:1], -1
                                        ; implicit-def: $vgpr6
.LBB55_1644:
	s_andn2_b64 vcc, exec, s[0:1]
	s_cbranch_vccnz .LBB55_1646
; %bb.1645:
	global_load_dword v6, v[0:1], off
	s_movk_i32 s0, 0x7fff
	v_mov_b32_e32 v7, 0x7fc0
	s_waitcnt vmcnt(0)
	v_bfe_u32 v9, v6, 16, 1
	v_add3_u32 v9, v6, v9, s0
	v_lshrrev_b32_e32 v9, 16, v9
	v_cmp_o_f32_e32 vcc, v6, v6
	v_cndmask_b32_e32 v6, v7, v9, vcc
.LBB55_1646:
	s_mov_b64 s[0:1], 0
.LBB55_1647:
	s_andn2_b64 vcc, exec, s[0:1]
	s_cbranch_vccnz .LBB55_1649
; %bb.1648:
	global_load_ushort v6, v[0:1], off
	s_movk_i32 s0, 0x7fff
	v_mov_b32_e32 v9, 0x7fc0
	s_waitcnt vmcnt(0)
	v_cvt_f32_f16_e32 v7, v6
	v_cmp_o_f16_e32 vcc, v6, v6
	v_bfe_u32 v10, v7, 16, 1
	v_add3_u32 v7, v7, v10, s0
	v_lshrrev_b32_e32 v7, 16, v7
	v_cndmask_b32_e32 v6, v9, v7, vcc
.LBB55_1649:
	s_cbranch_execnz .LBB55_1668
.LBB55_1650:
	v_mov_b32_e32 v6, 2
	v_cmp_lt_i16_sdwa s[0:1], v5, v6 src0_sel:BYTE_0 src1_sel:DWORD
	s_and_b64 vcc, exec, s[0:1]
	s_cbranch_vccnz .LBB55_1654
; %bb.1651:
	v_mov_b32_e32 v6, 3
	v_cmp_lt_i16_sdwa s[0:1], v5, v6 src0_sel:BYTE_0 src1_sel:DWORD
	s_and_b64 vcc, exec, s[0:1]
	s_cbranch_vccnz .LBB55_1655
; %bb.1652:
	v_cmp_gt_i16_sdwa s[0:1], v5, v6 src0_sel:BYTE_0 src1_sel:DWORD
	s_and_b64 vcc, exec, s[0:1]
	s_cbranch_vccz .LBB55_1656
; %bb.1653:
	global_load_dwordx2 v[6:7], v[0:1], off
	s_movk_i32 s0, 0x7fff
	s_waitcnt vmcnt(0)
	v_xor_b32_e32 v10, v6, v7
	v_ffbh_i32_e32 v9, v7
	v_ashrrev_i32_e32 v10, 31, v10
	v_add_u32_e32 v9, -1, v9
	v_add_u32_e32 v10, 32, v10
	v_min_u32_e32 v9, v9, v10
	v_lshlrev_b64 v[6:7], v9, v[6:7]
	v_min_u32_e32 v6, 1, v6
	v_or_b32_e32 v6, v7, v6
	v_cvt_f32_i32_e32 v6, v6
	v_sub_u32_e32 v7, 32, v9
	v_ldexp_f32 v6, v6, v7
	v_bfe_u32 v7, v6, 16, 1
	v_add3_u32 v6, v6, v7, s0
	v_lshrrev_b32_e32 v6, 16, v6
	s_mov_b64 s[0:1], 0
	s_branch .LBB55_1657
.LBB55_1654:
                                        ; implicit-def: $vgpr6
	s_branch .LBB55_1663
.LBB55_1655:
	s_mov_b64 s[0:1], -1
                                        ; implicit-def: $vgpr6
	s_branch .LBB55_1660
.LBB55_1656:
	s_mov_b64 s[0:1], -1
                                        ; implicit-def: $vgpr6
.LBB55_1657:
	s_andn2_b64 vcc, exec, s[0:1]
	s_cbranch_vccnz .LBB55_1659
; %bb.1658:
	global_load_dword v6, v[0:1], off
	s_movk_i32 s0, 0x7fff
	s_waitcnt vmcnt(0)
	v_cvt_f32_i32_e32 v6, v6
	v_bfe_u32 v7, v6, 16, 1
	v_add3_u32 v6, v6, v7, s0
	v_lshrrev_b32_e32 v6, 16, v6
.LBB55_1659:
	s_mov_b64 s[0:1], 0
.LBB55_1660:
	s_andn2_b64 vcc, exec, s[0:1]
	s_cbranch_vccnz .LBB55_1662
; %bb.1661:
	global_load_sshort v6, v[0:1], off
	s_movk_i32 s0, 0x7fff
	s_waitcnt vmcnt(0)
	v_cvt_f32_i32_e32 v6, v6
	v_bfe_u32 v7, v6, 16, 1
	v_add3_u32 v6, v6, v7, s0
	v_lshrrev_b32_e32 v6, 16, v6
.LBB55_1662:
	s_cbranch_execnz .LBB55_1668
.LBB55_1663:
	v_mov_b32_e32 v6, 0
	v_cmp_gt_i16_sdwa s[0:1], v5, v6 src0_sel:BYTE_0 src1_sel:DWORD
	s_and_b64 vcc, exec, s[0:1]
	s_cbranch_vccz .LBB55_1665
; %bb.1664:
	global_load_sbyte v6, v[0:1], off
	s_movk_i32 s0, 0x7fff
	s_waitcnt vmcnt(0)
	v_cvt_f32_i32_e32 v6, v6
	v_bfe_u32 v7, v6, 16, 1
	v_add3_u32 v6, v6, v7, s0
	v_lshrrev_b32_e32 v6, 16, v6
	s_mov_b64 s[0:1], 0
	s_branch .LBB55_1666
.LBB55_1665:
	s_mov_b64 s[0:1], -1
                                        ; implicit-def: $vgpr6
.LBB55_1666:
	s_andn2_b64 vcc, exec, s[0:1]
	s_cbranch_vccnz .LBB55_1668
; %bb.1667:
	global_load_ubyte v0, v[0:1], off
	s_movk_i32 s0, 0x7fff
	s_waitcnt vmcnt(0)
	v_cvt_f32_ubyte0_e32 v0, v0
	v_bfe_u32 v1, v0, 16, 1
	v_add3_u32 v0, v0, v1, s0
	v_lshrrev_b32_e32 v6, 16, v0
.LBB55_1668:
.LBB55_1669:
	v_mul_lo_u32 v9, s14, v3
	v_ashrrev_i32_e32 v1, 31, v9
	v_mov_b32_e32 v7, s3
	v_add_co_u32_e32 v0, vcc, s2, v9
	v_addc_co_u32_e32 v1, vcc, v7, v1, vcc
	v_mov_b32_e32 v7, 11
	v_cmp_lt_i16_sdwa s[0:1], v4, v7 src0_sel:BYTE_0 src1_sel:DWORD
	s_and_b64 vcc, exec, s[0:1]
	s_cbranch_vccnz .LBB55_1676
; %bb.1670:
	v_mov_b32_e32 v7, 25
	v_cmp_gt_i16_sdwa s[0:1], v4, v7 src0_sel:BYTE_0 src1_sel:DWORD
	s_mov_b64 s[16:17], 0
	s_and_b64 vcc, exec, s[0:1]
	s_cbranch_vccz .LBB55_1678
; %bb.1671:
	v_mov_b32_e32 v7, 28
	v_cmp_gt_i16_sdwa s[0:1], v4, v7 src0_sel:BYTE_0 src1_sel:DWORD
	s_and_b64 vcc, exec, s[0:1]
	s_cbranch_vccz .LBB55_1679
; %bb.1672:
	v_mov_b32_e32 v7, 43
	v_cmp_gt_i16_sdwa s[0:1], v4, v7 src0_sel:BYTE_0 src1_sel:DWORD
	;; [unrolled: 5-line block ×3, first 2 shown]
	s_and_b64 vcc, exec, s[0:1]
	s_cbranch_vccz .LBB55_1682
; %bb.1674:
	v_mov_b32_e32 v7, 46
	v_cmp_eq_u16_sdwa s[0:1], v4, v7 src0_sel:BYTE_0 src1_sel:DWORD
	s_mov_b64 s[22:23], 0
	s_and_b64 vcc, exec, s[0:1]
	s_cbranch_vccz .LBB55_1685
; %bb.1675:
	global_load_dword v7, v[0:1], off
	s_mov_b64 s[0:1], 0
	s_mov_b64 s[20:21], -1
	s_branch .LBB55_1686
.LBB55_1676:
	s_mov_b64 s[20:21], 0
                                        ; implicit-def: $vgpr7
	s_cbranch_execnz .LBB55_1751
.LBB55_1677:
	s_andn2_b64 vcc, exec, s[20:21]
	s_cbranch_vccnz .LBB55_3032
	s_branch .LBB55_1798
.LBB55_1678:
	s_mov_b64 s[20:21], 0
	s_mov_b64 s[0:1], 0
                                        ; implicit-def: $vgpr7
	s_cbranch_execnz .LBB55_1715
	s_branch .LBB55_1747
.LBB55_1679:
	s_mov_b64 s[22:23], -1
	s_mov_b64 s[20:21], 0
	s_mov_b64 s[0:1], 0
                                        ; implicit-def: $vgpr7
	s_branch .LBB55_1696
.LBB55_1680:
	s_mov_b64 s[22:23], -1
	s_mov_b64 s[20:21], 0
	s_mov_b64 s[0:1], 0
                                        ; implicit-def: $vgpr7
	s_branch .LBB55_1691
.LBB55_1681:
	s_or_b64 s[18:19], s[6:7], exec
	s_trap 2
                                        ; implicit-def: $vgpr6
	s_cbranch_execz .LBB55_1622
	s_branch .LBB55_1623
.LBB55_1682:
	s_mov_b64 s[22:23], -1
	s_mov_b64 s[20:21], 0
	s_mov_b64 s[0:1], 0
                                        ; implicit-def: $vgpr7
	s_branch .LBB55_1686
.LBB55_1683:
	s_or_saveexec_b64 s[28:29], s[28:29]
                                        ; implicit-def: $sgpr15
	s_xor_b64 exec, exec, s[28:29]
	s_cbranch_execz .LBB55_1469
.LBB55_1684:
	s_mov_b32 s15, 0x42800000
	v_add_f32_e64 v3, |v6|, s15
	v_and_b32_e32 v3, 0xff, v3
	v_cmp_ne_u32_e32 vcc, 0, v3
	s_andn2_b64 s[26:27], s[26:27], exec
	s_and_b64 s[30:31], vcc, exec
	s_mov_b32 s15, 0
	s_or_b64 s[26:27], s[26:27], s[30:31]
	s_or_b64 exec, exec, s[28:29]
	v_mov_b32_e32 v7, s15
	s_and_saveexec_b64 s[28:29], s[26:27]
	s_cbranch_execnz .LBB55_1470
	s_branch .LBB55_1471
.LBB55_1685:
	s_mov_b64 s[0:1], -1
                                        ; implicit-def: $vgpr7
	s_mov_b64 s[20:21], 0
.LBB55_1686:
	s_and_b64 vcc, exec, s[22:23]
	s_cbranch_vccz .LBB55_1690
; %bb.1687:
	s_waitcnt vmcnt(0)
	v_mov_b32_e32 v7, 44
	v_cmp_eq_u16_sdwa s[0:1], v4, v7 src0_sel:BYTE_0 src1_sel:DWORD
	s_and_b64 vcc, exec, s[0:1]
	s_cbranch_vccz .LBB55_1689
; %bb.1688:
	global_load_ubyte v7, v[0:1], off
	s_movk_i32 s15, 0xff
	v_mov_b32_e32 v10, 0x7f800001
	v_mov_b32_e32 v11, 0x400000
	v_mov_b32_e32 v12, 0x7fc0
	s_mov_b64 s[0:1], 0
	s_mov_b64 s[20:21], -1
	s_waitcnt vmcnt(0)
	v_lshlrev_b32_e32 v13, 23, v7
	v_cmp_ne_u32_e32 vcc, s15, v7
	v_cndmask_b32_e32 v10, v10, v13, vcc
	v_cmp_ne_u32_e32 vcc, 0, v7
	v_cndmask_b32_e32 v7, v11, v10, vcc
	v_add_u32_e32 v10, 0x7fff, v7
	v_lshrrev_b32_e32 v10, 16, v10
	v_cmp_o_f32_e32 vcc, v7, v7
	v_cndmask_b32_e32 v7, v12, v10, vcc
	s_branch .LBB55_1690
.LBB55_1689:
	s_mov_b64 s[0:1], -1
                                        ; implicit-def: $vgpr7
.LBB55_1690:
	s_mov_b64 s[22:23], 0
.LBB55_1691:
	s_and_b64 vcc, exec, s[22:23]
	s_cbranch_vccz .LBB55_1695
; %bb.1692:
	s_waitcnt vmcnt(0)
	v_mov_b32_e32 v7, 29
	v_cmp_eq_u16_sdwa s[0:1], v4, v7 src0_sel:BYTE_0 src1_sel:DWORD
	s_and_b64 vcc, exec, s[0:1]
	s_cbranch_vccz .LBB55_1694
; %bb.1693:
	global_load_dwordx2 v[10:11], v[0:1], off
	s_movk_i32 s15, 0x7fff
	s_mov_b64 s[0:1], 0
	s_mov_b64 s[20:21], -1
	s_mov_b64 s[22:23], 0
	s_waitcnt vmcnt(0)
	v_ffbh_u32_e32 v7, v11
	v_min_u32_e32 v7, 32, v7
	v_lshlrev_b64 v[10:11], v7, v[10:11]
	v_min_u32_e32 v10, 1, v10
	v_or_b32_e32 v10, v11, v10
	v_cvt_f32_u32_e32 v10, v10
	v_sub_u32_e32 v7, 32, v7
	v_ldexp_f32 v7, v10, v7
	v_bfe_u32 v10, v7, 16, 1
	v_add3_u32 v7, v7, v10, s15
	v_lshrrev_b32_e32 v7, 16, v7
	s_branch .LBB55_1696
.LBB55_1694:
	s_mov_b64 s[0:1], -1
                                        ; implicit-def: $vgpr7
.LBB55_1695:
	s_mov_b64 s[22:23], 0
.LBB55_1696:
	s_and_b64 vcc, exec, s[22:23]
	s_cbranch_vccz .LBB55_1714
; %bb.1697:
	s_waitcnt vmcnt(0)
	v_mov_b32_e32 v7, 27
	v_cmp_lt_i16_sdwa s[20:21], v4, v7 src0_sel:BYTE_0 src1_sel:DWORD
	s_and_b64 vcc, exec, s[20:21]
	s_cbranch_vccnz .LBB55_1700
; %bb.1698:
	v_cmp_gt_i16_sdwa s[20:21], v4, v7 src0_sel:BYTE_0 src1_sel:DWORD
	s_and_b64 vcc, exec, s[20:21]
	s_cbranch_vccz .LBB55_1701
; %bb.1699:
	global_load_dword v7, v[0:1], off
	s_movk_i32 s15, 0x7fff
	s_mov_b64 s[20:21], 0
	s_waitcnt vmcnt(0)
	v_cvt_f32_u32_e32 v7, v7
	v_bfe_u32 v10, v7, 16, 1
	v_add3_u32 v7, v7, v10, s15
	v_lshrrev_b32_e32 v7, 16, v7
	s_branch .LBB55_1702
.LBB55_1700:
	s_mov_b64 s[20:21], -1
                                        ; implicit-def: $vgpr7
	s_branch .LBB55_1705
.LBB55_1701:
	s_mov_b64 s[20:21], -1
                                        ; implicit-def: $vgpr7
.LBB55_1702:
	s_andn2_b64 vcc, exec, s[20:21]
	s_cbranch_vccnz .LBB55_1704
; %bb.1703:
	global_load_ushort v7, v[0:1], off
	s_movk_i32 s15, 0x7fff
	s_waitcnt vmcnt(0)
	v_cvt_f32_u32_e32 v7, v7
	v_bfe_u32 v10, v7, 16, 1
	v_add3_u32 v7, v7, v10, s15
	v_lshrrev_b32_e32 v7, 16, v7
.LBB55_1704:
	s_mov_b64 s[20:21], 0
.LBB55_1705:
	s_andn2_b64 vcc, exec, s[20:21]
	s_cbranch_vccnz .LBB55_1713
; %bb.1706:
	global_load_ubyte v7, v[0:1], off
	s_movk_i32 s15, 0x7f
	s_mov_b64 s[20:21], 0
	s_waitcnt vmcnt(0)
	v_cmp_lt_i16_e32 vcc, s15, v7
                                        ; implicit-def: $sgpr15
	s_and_saveexec_b64 s[22:23], vcc
	s_xor_b64 s[22:23], exec, s[22:23]
	s_cbranch_execz .LBB55_1726
; %bb.1707:
	s_movk_i32 s15, 0x80
	v_cmp_eq_u16_e32 vcc, s15, v7
	s_mov_b64 s[20:21], -1
                                        ; implicit-def: $sgpr15
	s_and_saveexec_b64 s[24:25], vcc
; %bb.1708:
	s_mov_b32 s15, 0x7f800001
	s_xor_b64 s[20:21], exec, -1
; %bb.1709:
	s_or_b64 exec, exec, s[24:25]
	s_and_b64 s[20:21], s[20:21], exec
	s_or_saveexec_b64 s[22:23], s[22:23]
	v_mov_b32_e32 v10, s15
	s_xor_b64 exec, exec, s[22:23]
	s_cbranch_execnz .LBB55_1727
.LBB55_1710:
	s_or_b64 exec, exec, s[22:23]
	s_and_saveexec_b64 s[22:23], s[20:21]
	s_cbranch_execz .LBB55_1712
.LBB55_1711:
	v_lshlrev_b32_e32 v10, 24, v7
	v_and_b32_e32 v7, 0xffff, v7
	v_and_b32_e32 v11, 7, v7
	v_ffbh_u32_e32 v13, v11
	v_min_u32_e32 v13, 32, v13
	v_subrev_u32_e32 v14, 28, v13
	v_bfe_u32 v12, v7, 3, 4
	v_lshlrev_b32_e32 v7, v14, v7
	v_sub_u32_e32 v13, 29, v13
	v_and_b32_e32 v7, 7, v7
	v_cmp_eq_u32_e32 vcc, 0, v12
	v_cndmask_b32_e32 v12, v12, v13, vcc
	v_cndmask_b32_e32 v7, v11, v7, vcc
	v_mov_b32_e32 v11, 0x3b800000
	v_lshlrev_b32_e32 v7, 20, v7
	v_and_b32_e32 v10, 0x80000000, v10
	v_lshl_add_u32 v11, v12, 23, v11
	v_or3_b32 v10, v10, v11, v7
.LBB55_1712:
	s_or_b64 exec, exec, s[22:23]
	v_bfe_u32 v7, v10, 16, 1
	s_movk_i32 s15, 0x7fff
	v_add3_u32 v7, v10, v7, s15
	v_lshrrev_b32_e32 v7, 16, v7
	v_mov_b32_e32 v11, 0x7fc0
	v_cmp_o_f32_e32 vcc, v10, v10
	v_cndmask_b32_e32 v7, v11, v7, vcc
.LBB55_1713:
	s_mov_b64 s[20:21], -1
.LBB55_1714:
	s_branch .LBB55_1747
.LBB55_1715:
	s_waitcnt vmcnt(0)
	v_mov_b32_e32 v7, 22
	v_cmp_gt_i16_sdwa s[16:17], v4, v7 src0_sel:BYTE_0 src1_sel:DWORD
	s_and_b64 vcc, exec, s[16:17]
	s_cbranch_vccz .LBB55_1725
; %bb.1716:
	v_mov_b32_e32 v7, 24
	v_cmp_lt_i16_sdwa s[16:17], v4, v7 src0_sel:BYTE_0 src1_sel:DWORD
	s_and_b64 vcc, exec, s[16:17]
	s_cbranch_vccnz .LBB55_1728
; %bb.1717:
	v_cmp_gt_i16_sdwa s[16:17], v4, v7 src0_sel:BYTE_0 src1_sel:DWORD
	s_and_b64 vcc, exec, s[16:17]
	s_cbranch_vccz .LBB55_1729
; %bb.1718:
	global_load_ubyte v7, v[0:1], off
	s_movk_i32 s15, 0x7f
	s_mov_b64 s[16:17], 0
	s_waitcnt vmcnt(0)
	v_cmp_lt_i16_e32 vcc, s15, v7
                                        ; implicit-def: $sgpr15
	s_and_saveexec_b64 s[20:21], vcc
	s_xor_b64 s[20:21], exec, s[20:21]
	s_cbranch_execz .LBB55_1741
; %bb.1719:
	s_movk_i32 s15, 0x80
	v_cmp_eq_u16_e32 vcc, s15, v7
	s_mov_b64 s[16:17], -1
                                        ; implicit-def: $sgpr15
	s_and_saveexec_b64 s[22:23], vcc
; %bb.1720:
	s_mov_b32 s15, 0x7f800001
	s_xor_b64 s[16:17], exec, -1
; %bb.1721:
	s_or_b64 exec, exec, s[22:23]
	s_and_b64 s[16:17], s[16:17], exec
	s_or_saveexec_b64 s[20:21], s[20:21]
	v_mov_b32_e32 v10, s15
	s_xor_b64 exec, exec, s[20:21]
	s_cbranch_execnz .LBB55_1742
.LBB55_1722:
	s_or_b64 exec, exec, s[20:21]
	s_and_saveexec_b64 s[20:21], s[16:17]
	s_cbranch_execz .LBB55_1724
.LBB55_1723:
	v_lshlrev_b32_e32 v10, 24, v7
	v_and_b32_e32 v7, 0xffff, v7
	v_and_b32_e32 v11, 3, v7
	v_ffbh_u32_e32 v13, v11
	v_min_u32_e32 v13, 32, v13
	v_subrev_u32_e32 v14, 29, v13
	v_bfe_u32 v12, v7, 2, 5
	v_lshlrev_b32_e32 v7, v14, v7
	v_sub_u32_e32 v13, 30, v13
	v_and_b32_e32 v7, 3, v7
	v_cmp_eq_u32_e32 vcc, 0, v12
	v_cndmask_b32_e32 v12, v12, v13, vcc
	v_cndmask_b32_e32 v7, v11, v7, vcc
	v_mov_b32_e32 v11, 0x37800000
	v_lshlrev_b32_e32 v7, 21, v7
	v_and_b32_e32 v10, 0x80000000, v10
	v_lshl_add_u32 v11, v12, 23, v11
	v_or3_b32 v10, v10, v11, v7
.LBB55_1724:
	s_or_b64 exec, exec, s[20:21]
	v_bfe_u32 v7, v10, 16, 1
	s_movk_i32 s15, 0x7fff
	v_add3_u32 v7, v10, v7, s15
	v_lshrrev_b32_e32 v7, 16, v7
	v_mov_b32_e32 v11, 0x7fc0
	v_cmp_o_f32_e32 vcc, v10, v10
	v_cndmask_b32_e32 v7, v11, v7, vcc
	s_mov_b64 s[16:17], 0
	s_branch .LBB55_1730
.LBB55_1725:
	s_mov_b64 s[16:17], -1
                                        ; implicit-def: $vgpr7
	s_branch .LBB55_1736
.LBB55_1726:
	s_or_saveexec_b64 s[22:23], s[22:23]
	v_mov_b32_e32 v10, s15
	s_xor_b64 exec, exec, s[22:23]
	s_cbranch_execz .LBB55_1710
.LBB55_1727:
	v_cmp_ne_u16_e32 vcc, 0, v7
	s_andn2_b64 s[20:21], s[20:21], exec
	s_and_b64 s[24:25], vcc, exec
	v_mov_b32_e32 v10, 0
	s_or_b64 s[20:21], s[20:21], s[24:25]
	s_or_b64 exec, exec, s[22:23]
	s_and_saveexec_b64 s[22:23], s[20:21]
	s_cbranch_execnz .LBB55_1711
	s_branch .LBB55_1712
.LBB55_1728:
	s_mov_b64 s[16:17], -1
                                        ; implicit-def: $vgpr7
	s_branch .LBB55_1733
.LBB55_1729:
	s_mov_b64 s[16:17], -1
                                        ; implicit-def: $vgpr7
.LBB55_1730:
	s_and_b64 vcc, exec, s[16:17]
	s_cbranch_vccz .LBB55_1732
; %bb.1731:
	global_load_ubyte v7, v[0:1], off
	s_mov_b32 s15, 0x7f800000
	s_brev_b32 s16, 1
	s_movk_i32 s17, 0x7fff
	v_mov_b32_e32 v10, 0x7fc0
	s_waitcnt vmcnt(0)
	v_lshlrev_b32_e32 v7, 24, v7
	v_and_b32_e32 v11, 0x7f000000, v7
	v_ffbh_u32_e32 v12, v11
	v_min_u32_e32 v12, 32, v12
	v_sub_u32_e64 v12, v12, 4 clamp
	v_lshlrev_b32_e32 v14, v12, v11
	v_lshlrev_b32_e32 v12, 23, v12
	v_lshrrev_b32_e32 v14, 4, v14
	v_add_u32_e32 v13, 0x1000000, v11
	v_sub_u32_e32 v12, v14, v12
	v_ashrrev_i32_e32 v13, 8, v13
	v_add_u32_e32 v12, 0x3c000000, v12
	v_and_or_b32 v12, v13, s15, v12
	v_cmp_ne_u32_e32 vcc, 0, v11
	v_cndmask_b32_e32 v11, 0, v12, vcc
	v_and_or_b32 v7, v7, s16, v11
	v_bfe_u32 v11, v11, 16, 1
	v_add3_u32 v11, v7, v11, s17
	v_lshrrev_b32_e32 v11, 16, v11
	v_cmp_o_f32_e32 vcc, v7, v7
	v_cndmask_b32_e32 v7, v10, v11, vcc
.LBB55_1732:
	s_mov_b64 s[16:17], 0
.LBB55_1733:
	s_andn2_b64 vcc, exec, s[16:17]
	s_cbranch_vccnz .LBB55_1735
; %bb.1734:
	global_load_ubyte v7, v[0:1], off
	s_movk_i32 s15, 0x7f00
	s_brev_b32 s16, 16
	s_brev_b32 s17, 1
	s_movk_i32 s20, 0x7fff
	v_mov_b32_e32 v10, 0x7fc0
	s_waitcnt vmcnt(0)
	v_lshlrev_b16_e32 v11, 8, v7
	v_lshlrev_b32_e32 v7, 25, v7
	v_lshrrev_b32_e32 v12, 4, v7
	v_and_or_b32 v13, v11, s15, 0.5
	v_or_b32_e32 v12, 0x70000000, v12
	v_add_f32_e32 v13, -0.5, v13
	v_mul_f32_e32 v12, 0x7800000, v12
	v_cmp_gt_u32_e32 vcc, s16, v7
	v_bfe_i32 v11, v11, 0, 16
	v_cndmask_b32_e32 v7, v12, v13, vcc
	v_and_or_b32 v11, v11, s17, v7
	v_bfe_u32 v7, v7, 16, 1
	v_add3_u32 v7, v11, v7, s20
	v_lshrrev_b32_e32 v7, 16, v7
	v_cmp_o_f32_e32 vcc, v11, v11
	v_cndmask_b32_e32 v7, v10, v7, vcc
.LBB55_1735:
	s_mov_b64 s[16:17], 0
	s_mov_b64 s[20:21], -1
.LBB55_1736:
	s_andn2_b64 vcc, exec, s[16:17]
	s_mov_b64 s[16:17], 0
	s_cbranch_vccnz .LBB55_1747
; %bb.1737:
	v_mov_b32_e32 v7, 14
	v_cmp_gt_i16_sdwa s[16:17], v4, v7 src0_sel:BYTE_0 src1_sel:DWORD
	s_and_b64 vcc, exec, s[16:17]
	s_cbranch_vccz .LBB55_1740
; %bb.1738:
	v_mov_b32_e32 v7, 15
	v_cmp_eq_u16_sdwa s[0:1], v4, v7 src0_sel:BYTE_0 src1_sel:DWORD
	s_and_b64 vcc, exec, s[0:1]
	s_cbranch_vccz .LBB55_1743
; %bb.1739:
	global_load_ushort v7, v[0:1], off
	s_mov_b64 s[0:1], 0
	s_mov_b64 s[20:21], -1
	s_branch .LBB55_1744
.LBB55_1740:
	s_mov_b64 s[22:23], -1
                                        ; implicit-def: $vgpr7
	s_branch .LBB55_1745
.LBB55_1741:
	s_or_saveexec_b64 s[20:21], s[20:21]
	v_mov_b32_e32 v10, s15
	s_xor_b64 exec, exec, s[20:21]
	s_cbranch_execz .LBB55_1722
.LBB55_1742:
	v_cmp_ne_u16_e32 vcc, 0, v7
	s_andn2_b64 s[16:17], s[16:17], exec
	s_and_b64 s[22:23], vcc, exec
	v_mov_b32_e32 v10, 0
	s_or_b64 s[16:17], s[16:17], s[22:23]
	s_or_b64 exec, exec, s[20:21]
	s_and_saveexec_b64 s[20:21], s[16:17]
	s_cbranch_execnz .LBB55_1723
	s_branch .LBB55_1724
.LBB55_1743:
	s_mov_b64 s[0:1], -1
                                        ; implicit-def: $vgpr7
.LBB55_1744:
	s_mov_b64 s[22:23], 0
.LBB55_1745:
	s_mov_b64 s[16:17], 0
	s_and_b64 vcc, exec, s[22:23]
	s_cbranch_vccz .LBB55_1747
; %bb.1746:
	s_waitcnt vmcnt(0)
	v_mov_b32_e32 v7, 11
	v_cmp_ne_u16_sdwa s[0:1], v4, v7 src0_sel:BYTE_0 src1_sel:DWORD
	s_mov_b64 s[16:17], -1
                                        ; implicit-def: $vgpr7
.LBB55_1747:
	s_and_b64 vcc, exec, s[0:1]
	s_cbranch_vccnz .LBB55_1810
; %bb.1748:
	s_andn2_b64 vcc, exec, s[16:17]
	s_cbranch_vccnz .LBB55_1750
.LBB55_1749:
	global_load_ubyte v7, v[0:1], off
	s_mov_b64 s[20:21], -1
	s_waitcnt vmcnt(0)
	v_cmp_ne_u16_e32 vcc, 0, v7
	v_cndmask_b32_e64 v7, 0, 1.0, vcc
	v_lshrrev_b32_e32 v7, 16, v7
.LBB55_1750:
	s_branch .LBB55_1677
.LBB55_1751:
	s_waitcnt vmcnt(0)
	v_mov_b32_e32 v7, 5
	v_cmp_lt_i16_sdwa s[0:1], v4, v7 src0_sel:BYTE_0 src1_sel:DWORD
	s_and_b64 vcc, exec, s[0:1]
	s_cbranch_vccnz .LBB55_1756
; %bb.1752:
	v_mov_b32_e32 v7, 8
	v_cmp_lt_i16_sdwa s[0:1], v4, v7 src0_sel:BYTE_0 src1_sel:DWORD
	s_and_b64 vcc, exec, s[0:1]
	s_cbranch_vccnz .LBB55_1757
; %bb.1753:
	;; [unrolled: 5-line block ×3, first 2 shown]
	v_cmp_gt_i16_sdwa s[0:1], v4, v7 src0_sel:BYTE_0 src1_sel:DWORD
	s_and_b64 vcc, exec, s[0:1]
	s_cbranch_vccz .LBB55_1759
; %bb.1755:
	global_load_dwordx2 v[10:11], v[0:1], off
	s_movk_i32 s0, 0x7fff
	v_mov_b32_e32 v7, 0x7fc0
	s_waitcnt vmcnt(0)
	v_cvt_f32_f64_e32 v10, v[10:11]
	v_bfe_u32 v11, v10, 16, 1
	v_add3_u32 v11, v10, v11, s0
	v_lshrrev_b32_e32 v11, 16, v11
	v_cmp_o_f32_e32 vcc, v10, v10
	v_cndmask_b32_e32 v7, v7, v11, vcc
	s_mov_b64 s[0:1], 0
	s_branch .LBB55_1760
.LBB55_1756:
                                        ; implicit-def: $vgpr7
	s_branch .LBB55_1778
.LBB55_1757:
	s_mov_b64 s[0:1], -1
                                        ; implicit-def: $vgpr7
	s_branch .LBB55_1766
.LBB55_1758:
	s_mov_b64 s[0:1], -1
                                        ; implicit-def: $vgpr7
	s_branch .LBB55_1763
.LBB55_1759:
	s_mov_b64 s[0:1], -1
                                        ; implicit-def: $vgpr7
.LBB55_1760:
	s_andn2_b64 vcc, exec, s[0:1]
	s_cbranch_vccnz .LBB55_1762
; %bb.1761:
	global_load_dword v7, v[0:1], off
	s_movk_i32 s0, 0x7fff
	v_mov_b32_e32 v10, 0x7fc0
	s_waitcnt vmcnt(0)
	v_bfe_u32 v11, v7, 16, 1
	v_add3_u32 v11, v7, v11, s0
	v_lshrrev_b32_e32 v11, 16, v11
	v_cmp_o_f32_e32 vcc, v7, v7
	v_cndmask_b32_e32 v7, v10, v11, vcc
.LBB55_1762:
	s_mov_b64 s[0:1], 0
.LBB55_1763:
	s_andn2_b64 vcc, exec, s[0:1]
	s_cbranch_vccnz .LBB55_1765
; %bb.1764:
	global_load_dword v7, v[0:1], off
	s_movk_i32 s0, 0x7fff
	v_mov_b32_e32 v11, 0x7fc0
	s_waitcnt vmcnt(0)
	v_cvt_f32_f16_e32 v10, v7
	v_cmp_o_f16_e32 vcc, v7, v7
	v_bfe_u32 v12, v10, 16, 1
	v_add3_u32 v10, v10, v12, s0
	v_lshrrev_b32_e32 v10, 16, v10
	v_cndmask_b32_e32 v7, v11, v10, vcc
.LBB55_1765:
	s_mov_b64 s[0:1], 0
.LBB55_1766:
	s_andn2_b64 vcc, exec, s[0:1]
	s_cbranch_vccnz .LBB55_1777
; %bb.1767:
	v_mov_b32_e32 v7, 6
	v_cmp_lt_i16_sdwa s[0:1], v4, v7 src0_sel:BYTE_0 src1_sel:DWORD
	s_and_b64 vcc, exec, s[0:1]
	s_cbranch_vccnz .LBB55_1770
; %bb.1768:
	v_cmp_gt_i16_sdwa s[0:1], v4, v7 src0_sel:BYTE_0 src1_sel:DWORD
	s_and_b64 vcc, exec, s[0:1]
	s_cbranch_vccz .LBB55_1771
; %bb.1769:
	global_load_dwordx2 v[10:11], v[0:1], off
	s_movk_i32 s0, 0x7fff
	v_mov_b32_e32 v7, 0x7fc0
	s_waitcnt vmcnt(0)
	v_cvt_f32_f64_e32 v10, v[10:11]
	v_bfe_u32 v11, v10, 16, 1
	v_add3_u32 v11, v10, v11, s0
	v_lshrrev_b32_e32 v11, 16, v11
	v_cmp_o_f32_e32 vcc, v10, v10
	v_cndmask_b32_e32 v7, v7, v11, vcc
	s_mov_b64 s[0:1], 0
	s_branch .LBB55_1772
.LBB55_1770:
	s_mov_b64 s[0:1], -1
                                        ; implicit-def: $vgpr7
	s_branch .LBB55_1775
.LBB55_1771:
	s_mov_b64 s[0:1], -1
                                        ; implicit-def: $vgpr7
.LBB55_1772:
	s_andn2_b64 vcc, exec, s[0:1]
	s_cbranch_vccnz .LBB55_1774
; %bb.1773:
	global_load_dword v7, v[0:1], off
	s_movk_i32 s0, 0x7fff
	v_mov_b32_e32 v10, 0x7fc0
	s_waitcnt vmcnt(0)
	v_bfe_u32 v11, v7, 16, 1
	v_add3_u32 v11, v7, v11, s0
	v_lshrrev_b32_e32 v11, 16, v11
	v_cmp_o_f32_e32 vcc, v7, v7
	v_cndmask_b32_e32 v7, v10, v11, vcc
.LBB55_1774:
	s_mov_b64 s[0:1], 0
.LBB55_1775:
	s_andn2_b64 vcc, exec, s[0:1]
	s_cbranch_vccnz .LBB55_1777
; %bb.1776:
	global_load_ushort v7, v[0:1], off
	s_movk_i32 s0, 0x7fff
	v_mov_b32_e32 v11, 0x7fc0
	s_waitcnt vmcnt(0)
	v_cvt_f32_f16_e32 v10, v7
	v_cmp_o_f16_e32 vcc, v7, v7
	v_bfe_u32 v12, v10, 16, 1
	v_add3_u32 v10, v10, v12, s0
	v_lshrrev_b32_e32 v10, 16, v10
	v_cndmask_b32_e32 v7, v11, v10, vcc
.LBB55_1777:
	s_cbranch_execnz .LBB55_1797
.LBB55_1778:
	v_mov_b32_e32 v7, 2
	v_cmp_lt_i16_sdwa s[0:1], v4, v7 src0_sel:BYTE_0 src1_sel:DWORD
	s_and_b64 vcc, exec, s[0:1]
	s_cbranch_vccnz .LBB55_1782
; %bb.1779:
	v_mov_b32_e32 v7, 3
	v_cmp_lt_i16_sdwa s[0:1], v4, v7 src0_sel:BYTE_0 src1_sel:DWORD
	s_and_b64 vcc, exec, s[0:1]
	s_cbranch_vccnz .LBB55_1783
; %bb.1780:
	v_cmp_gt_i16_sdwa s[0:1], v4, v7 src0_sel:BYTE_0 src1_sel:DWORD
	s_and_b64 vcc, exec, s[0:1]
	s_cbranch_vccz .LBB55_1784
; %bb.1781:
	global_load_dwordx2 v[10:11], v[0:1], off
	s_movk_i32 s0, 0x7fff
	s_waitcnt vmcnt(0)
	v_xor_b32_e32 v12, v10, v11
	v_ffbh_i32_e32 v7, v11
	v_ashrrev_i32_e32 v12, 31, v12
	v_add_u32_e32 v7, -1, v7
	v_add_u32_e32 v12, 32, v12
	v_min_u32_e32 v7, v7, v12
	v_lshlrev_b64 v[10:11], v7, v[10:11]
	v_min_u32_e32 v10, 1, v10
	v_or_b32_e32 v10, v11, v10
	v_cvt_f32_i32_e32 v10, v10
	v_sub_u32_e32 v7, 32, v7
	v_ldexp_f32 v7, v10, v7
	v_bfe_u32 v10, v7, 16, 1
	v_add3_u32 v7, v7, v10, s0
	v_lshrrev_b32_e32 v7, 16, v7
	s_mov_b64 s[0:1], 0
	s_branch .LBB55_1785
.LBB55_1782:
	s_mov_b64 s[0:1], -1
                                        ; implicit-def: $vgpr7
	s_branch .LBB55_1791
.LBB55_1783:
	s_mov_b64 s[0:1], -1
                                        ; implicit-def: $vgpr7
	s_branch .LBB55_1788
.LBB55_1784:
	s_mov_b64 s[0:1], -1
                                        ; implicit-def: $vgpr7
.LBB55_1785:
	s_andn2_b64 vcc, exec, s[0:1]
	s_cbranch_vccnz .LBB55_1787
; %bb.1786:
	global_load_dword v7, v[0:1], off
	s_movk_i32 s0, 0x7fff
	s_waitcnt vmcnt(0)
	v_cvt_f32_i32_e32 v7, v7
	v_bfe_u32 v10, v7, 16, 1
	v_add3_u32 v7, v7, v10, s0
	v_lshrrev_b32_e32 v7, 16, v7
.LBB55_1787:
	s_mov_b64 s[0:1], 0
.LBB55_1788:
	s_andn2_b64 vcc, exec, s[0:1]
	s_cbranch_vccnz .LBB55_1790
; %bb.1789:
	global_load_sshort v7, v[0:1], off
	s_movk_i32 s0, 0x7fff
	s_waitcnt vmcnt(0)
	v_cvt_f32_i32_e32 v7, v7
	v_bfe_u32 v10, v7, 16, 1
	v_add3_u32 v7, v7, v10, s0
	v_lshrrev_b32_e32 v7, 16, v7
.LBB55_1790:
	s_mov_b64 s[0:1], 0
.LBB55_1791:
	s_andn2_b64 vcc, exec, s[0:1]
	s_cbranch_vccnz .LBB55_1797
; %bb.1792:
	v_mov_b32_e32 v7, 0
	v_cmp_gt_i16_sdwa s[0:1], v4, v7 src0_sel:BYTE_0 src1_sel:DWORD
	s_and_b64 vcc, exec, s[0:1]
	s_cbranch_vccz .LBB55_1794
; %bb.1793:
	global_load_sbyte v7, v[0:1], off
	s_movk_i32 s0, 0x7fff
	s_waitcnt vmcnt(0)
	v_cvt_f32_i32_e32 v7, v7
	v_bfe_u32 v10, v7, 16, 1
	v_add3_u32 v7, v7, v10, s0
	v_lshrrev_b32_e32 v7, 16, v7
	s_mov_b64 s[0:1], 0
	s_branch .LBB55_1795
.LBB55_1794:
	s_mov_b64 s[0:1], -1
                                        ; implicit-def: $vgpr7
.LBB55_1795:
	s_andn2_b64 vcc, exec, s[0:1]
	s_cbranch_vccnz .LBB55_1797
; %bb.1796:
	global_load_ubyte v0, v[0:1], off
	s_movk_i32 s0, 0x7fff
	s_waitcnt vmcnt(0)
	v_cvt_f32_ubyte0_e32 v0, v0
	v_bfe_u32 v1, v0, 16, 1
	v_add3_u32 v0, v0, v1, s0
	v_lshrrev_b32_e32 v7, 16, v0
.LBB55_1797:
.LBB55_1798:
	s_lshl_b32 s13, s13, 7
	v_add_u32_e32 v10, s13, v8
	v_ashrrev_i32_e32 v1, 31, v10
	v_mov_b32_e32 v8, s11
	v_add_co_u32_e32 v0, vcc, s10, v10
	v_addc_co_u32_e32 v1, vcc, v8, v1, vcc
	v_mov_b32_e32 v8, 11
	v_cmp_lt_i16_sdwa s[0:1], v5, v8 src0_sel:BYTE_0 src1_sel:DWORD
	s_and_b64 vcc, exec, s[0:1]
	s_cbranch_vccnz .LBB55_1805
; %bb.1799:
	v_mov_b32_e32 v8, 25
	v_cmp_gt_i16_sdwa s[0:1], v5, v8 src0_sel:BYTE_0 src1_sel:DWORD
	s_mov_b64 s[16:17], 0
	s_and_b64 vcc, exec, s[0:1]
	s_cbranch_vccz .LBB55_1807
; %bb.1800:
	v_mov_b32_e32 v8, 28
	v_cmp_gt_i16_sdwa s[0:1], v5, v8 src0_sel:BYTE_0 src1_sel:DWORD
	s_and_b64 vcc, exec, s[0:1]
	s_cbranch_vccz .LBB55_1808
; %bb.1801:
	v_mov_b32_e32 v8, 43
	v_cmp_gt_i16_sdwa s[0:1], v5, v8 src0_sel:BYTE_0 src1_sel:DWORD
	;; [unrolled: 5-line block ×3, first 2 shown]
	s_and_b64 vcc, exec, s[0:1]
	s_cbranch_vccz .LBB55_1811
; %bb.1803:
	v_mov_b32_e32 v8, 46
	v_cmp_eq_u16_sdwa s[0:1], v5, v8 src0_sel:BYTE_0 src1_sel:DWORD
	s_mov_b64 s[22:23], 0
	s_and_b64 vcc, exec, s[0:1]
	s_cbranch_vccz .LBB55_1812
; %bb.1804:
	global_load_dword v8, v[0:1], off
	s_mov_b64 s[0:1], 0
	s_mov_b64 s[20:21], -1
	s_branch .LBB55_1813
.LBB55_1805:
	s_mov_b64 s[20:21], 0
                                        ; implicit-def: $vgpr8
	s_cbranch_execnz .LBB55_1879
.LBB55_1806:
	s_andn2_b64 vcc, exec, s[20:21]
	s_cbranch_vccnz .LBB55_3032
	s_branch .LBB55_1927
.LBB55_1807:
	s_mov_b64 s[22:23], -1
	s_mov_b64 s[20:21], 0
	s_mov_b64 s[0:1], 0
                                        ; implicit-def: $vgpr8
	s_branch .LBB55_1842
.LBB55_1808:
	s_mov_b64 s[22:23], -1
	s_mov_b64 s[20:21], 0
	s_mov_b64 s[0:1], 0
                                        ; implicit-def: $vgpr8
	s_branch .LBB55_1823
.LBB55_1809:
	s_mov_b64 s[22:23], -1
	s_mov_b64 s[20:21], 0
	s_mov_b64 s[0:1], 0
                                        ; implicit-def: $vgpr8
	s_branch .LBB55_1818
.LBB55_1810:
	s_trap 2
	s_or_b64 s[18:19], s[18:19], exec
                                        ; implicit-def: $vgpr7
	s_cbranch_execz .LBB55_1749
	s_branch .LBB55_1750
.LBB55_1811:
	s_mov_b64 s[22:23], -1
	s_mov_b64 s[20:21], 0
	s_mov_b64 s[0:1], 0
                                        ; implicit-def: $vgpr8
	s_branch .LBB55_1813
.LBB55_1812:
	s_mov_b64 s[0:1], -1
                                        ; implicit-def: $vgpr8
	s_mov_b64 s[20:21], 0
.LBB55_1813:
	s_and_b64 vcc, exec, s[22:23]
	s_cbranch_vccz .LBB55_1817
; %bb.1814:
	s_waitcnt vmcnt(0)
	v_mov_b32_e32 v8, 44
	v_cmp_eq_u16_sdwa s[0:1], v5, v8 src0_sel:BYTE_0 src1_sel:DWORD
	s_and_b64 vcc, exec, s[0:1]
	s_cbranch_vccz .LBB55_1816
; %bb.1815:
	global_load_ubyte v8, v[0:1], off
	s_movk_i32 s15, 0xff
	v_mov_b32_e32 v11, 0x7f800001
	v_mov_b32_e32 v12, 0x400000
	;; [unrolled: 1-line block ×3, first 2 shown]
	s_mov_b64 s[0:1], 0
	s_mov_b64 s[20:21], -1
	s_waitcnt vmcnt(0)
	v_lshlrev_b32_e32 v14, 23, v8
	v_cmp_ne_u32_e32 vcc, s15, v8
	v_cndmask_b32_e32 v11, v11, v14, vcc
	v_cmp_ne_u32_e32 vcc, 0, v8
	v_cndmask_b32_e32 v8, v12, v11, vcc
	v_add_u32_e32 v11, 0x7fff, v8
	v_lshrrev_b32_e32 v11, 16, v11
	v_cmp_o_f32_e32 vcc, v8, v8
	v_cndmask_b32_e32 v8, v13, v11, vcc
	s_branch .LBB55_1817
.LBB55_1816:
	s_mov_b64 s[0:1], -1
                                        ; implicit-def: $vgpr8
.LBB55_1817:
	s_mov_b64 s[22:23], 0
.LBB55_1818:
	s_and_b64 vcc, exec, s[22:23]
	s_cbranch_vccz .LBB55_1822
; %bb.1819:
	s_waitcnt vmcnt(0)
	v_mov_b32_e32 v8, 29
	v_cmp_eq_u16_sdwa s[0:1], v5, v8 src0_sel:BYTE_0 src1_sel:DWORD
	s_and_b64 vcc, exec, s[0:1]
	s_cbranch_vccz .LBB55_1821
; %bb.1820:
	global_load_dwordx2 v[12:13], v[0:1], off
	s_movk_i32 s15, 0x7fff
	s_mov_b64 s[0:1], 0
	s_mov_b64 s[20:21], -1
	s_mov_b64 s[22:23], 0
	s_waitcnt vmcnt(0)
	v_ffbh_u32_e32 v8, v13
	v_min_u32_e32 v8, 32, v8
	v_lshlrev_b64 v[12:13], v8, v[12:13]
	v_min_u32_e32 v11, 1, v12
	v_or_b32_e32 v11, v13, v11
	v_cvt_f32_u32_e32 v11, v11
	v_sub_u32_e32 v8, 32, v8
	v_ldexp_f32 v8, v11, v8
	v_bfe_u32 v11, v8, 16, 1
	v_add3_u32 v8, v8, v11, s15
	v_lshrrev_b32_e32 v8, 16, v8
	s_branch .LBB55_1823
.LBB55_1821:
	s_mov_b64 s[0:1], -1
                                        ; implicit-def: $vgpr8
.LBB55_1822:
	s_mov_b64 s[22:23], 0
.LBB55_1823:
	s_and_b64 vcc, exec, s[22:23]
	s_cbranch_vccz .LBB55_1841
; %bb.1824:
	s_waitcnt vmcnt(0)
	v_mov_b32_e32 v8, 27
	v_cmp_lt_i16_sdwa s[20:21], v5, v8 src0_sel:BYTE_0 src1_sel:DWORD
	s_and_b64 vcc, exec, s[20:21]
	s_cbranch_vccnz .LBB55_1827
; %bb.1825:
	v_cmp_gt_i16_sdwa s[20:21], v5, v8 src0_sel:BYTE_0 src1_sel:DWORD
	s_and_b64 vcc, exec, s[20:21]
	s_cbranch_vccz .LBB55_1828
; %bb.1826:
	global_load_dword v8, v[0:1], off
	s_movk_i32 s15, 0x7fff
	s_mov_b64 s[20:21], 0
	s_waitcnt vmcnt(0)
	v_cvt_f32_u32_e32 v8, v8
	v_bfe_u32 v11, v8, 16, 1
	v_add3_u32 v8, v8, v11, s15
	v_lshrrev_b32_e32 v8, 16, v8
	s_branch .LBB55_1829
.LBB55_1827:
	s_mov_b64 s[20:21], -1
                                        ; implicit-def: $vgpr8
	s_branch .LBB55_1832
.LBB55_1828:
	s_mov_b64 s[20:21], -1
                                        ; implicit-def: $vgpr8
.LBB55_1829:
	s_andn2_b64 vcc, exec, s[20:21]
	s_cbranch_vccnz .LBB55_1831
; %bb.1830:
	global_load_ushort v8, v[0:1], off
	s_movk_i32 s15, 0x7fff
	s_waitcnt vmcnt(0)
	v_cvt_f32_u32_e32 v8, v8
	v_bfe_u32 v11, v8, 16, 1
	v_add3_u32 v8, v8, v11, s15
	v_lshrrev_b32_e32 v8, 16, v8
.LBB55_1831:
	s_mov_b64 s[20:21], 0
.LBB55_1832:
	s_andn2_b64 vcc, exec, s[20:21]
	s_cbranch_vccnz .LBB55_1840
; %bb.1833:
	global_load_ubyte v8, v[0:1], off
	s_movk_i32 s15, 0x7f
	s_mov_b64 s[20:21], 0
	s_waitcnt vmcnt(0)
	v_cmp_lt_i16_e32 vcc, s15, v8
                                        ; implicit-def: $sgpr15
	s_and_saveexec_b64 s[22:23], vcc
	s_xor_b64 s[22:23], exec, s[22:23]
	s_cbranch_execz .LBB55_1854
; %bb.1834:
	s_movk_i32 s15, 0x80
	v_cmp_eq_u16_e32 vcc, s15, v8
	s_mov_b64 s[20:21], -1
                                        ; implicit-def: $sgpr15
	s_and_saveexec_b64 s[24:25], vcc
; %bb.1835:
	s_mov_b32 s15, 0x7f800001
	s_xor_b64 s[20:21], exec, -1
; %bb.1836:
	s_or_b64 exec, exec, s[24:25]
	s_and_b64 s[20:21], s[20:21], exec
	s_or_saveexec_b64 s[22:23], s[22:23]
	v_mov_b32_e32 v11, s15
	s_xor_b64 exec, exec, s[22:23]
	s_cbranch_execnz .LBB55_1855
.LBB55_1837:
	s_or_b64 exec, exec, s[22:23]
	s_and_saveexec_b64 s[22:23], s[20:21]
	s_cbranch_execz .LBB55_1839
.LBB55_1838:
	v_lshlrev_b32_e32 v11, 24, v8
	v_and_b32_e32 v8, 0xffff, v8
	v_and_b32_e32 v12, 7, v8
	v_ffbh_u32_e32 v14, v12
	v_min_u32_e32 v14, 32, v14
	v_subrev_u32_e32 v15, 28, v14
	v_bfe_u32 v13, v8, 3, 4
	v_lshlrev_b32_e32 v8, v15, v8
	v_sub_u32_e32 v14, 29, v14
	v_and_b32_e32 v8, 7, v8
	v_cmp_eq_u32_e32 vcc, 0, v13
	v_cndmask_b32_e32 v13, v13, v14, vcc
	v_cndmask_b32_e32 v8, v12, v8, vcc
	v_mov_b32_e32 v12, 0x3b800000
	v_lshlrev_b32_e32 v8, 20, v8
	v_and_b32_e32 v11, 0x80000000, v11
	v_lshl_add_u32 v12, v13, 23, v12
	v_or3_b32 v11, v11, v12, v8
.LBB55_1839:
	s_or_b64 exec, exec, s[22:23]
	v_bfe_u32 v8, v11, 16, 1
	s_movk_i32 s15, 0x7fff
	v_add3_u32 v8, v11, v8, s15
	v_lshrrev_b32_e32 v8, 16, v8
	v_mov_b32_e32 v12, 0x7fc0
	v_cmp_o_f32_e32 vcc, v11, v11
	v_cndmask_b32_e32 v8, v12, v8, vcc
.LBB55_1840:
	s_mov_b64 s[20:21], -1
.LBB55_1841:
	s_mov_b64 s[22:23], 0
.LBB55_1842:
	s_and_b64 vcc, exec, s[22:23]
	s_cbranch_vccz .LBB55_1875
; %bb.1843:
	s_waitcnt vmcnt(0)
	v_mov_b32_e32 v8, 22
	v_cmp_gt_i16_sdwa s[16:17], v5, v8 src0_sel:BYTE_0 src1_sel:DWORD
	s_and_b64 vcc, exec, s[16:17]
	s_cbranch_vccz .LBB55_1853
; %bb.1844:
	v_mov_b32_e32 v8, 24
	v_cmp_lt_i16_sdwa s[16:17], v5, v8 src0_sel:BYTE_0 src1_sel:DWORD
	s_and_b64 vcc, exec, s[16:17]
	s_cbranch_vccnz .LBB55_1856
; %bb.1845:
	v_cmp_gt_i16_sdwa s[16:17], v5, v8 src0_sel:BYTE_0 src1_sel:DWORD
	s_and_b64 vcc, exec, s[16:17]
	s_cbranch_vccz .LBB55_1857
; %bb.1846:
	global_load_ubyte v8, v[0:1], off
	s_movk_i32 s15, 0x7f
	s_mov_b64 s[16:17], 0
	s_waitcnt vmcnt(0)
	v_cmp_lt_i16_e32 vcc, s15, v8
                                        ; implicit-def: $sgpr15
	s_and_saveexec_b64 s[20:21], vcc
	s_xor_b64 s[20:21], exec, s[20:21]
	s_cbranch_execz .LBB55_1869
; %bb.1847:
	s_movk_i32 s15, 0x80
	v_cmp_eq_u16_e32 vcc, s15, v8
	s_mov_b64 s[16:17], -1
                                        ; implicit-def: $sgpr15
	s_and_saveexec_b64 s[22:23], vcc
; %bb.1848:
	s_mov_b32 s15, 0x7f800001
	s_xor_b64 s[16:17], exec, -1
; %bb.1849:
	s_or_b64 exec, exec, s[22:23]
	s_and_b64 s[16:17], s[16:17], exec
	s_or_saveexec_b64 s[20:21], s[20:21]
	v_mov_b32_e32 v11, s15
	s_xor_b64 exec, exec, s[20:21]
	s_cbranch_execnz .LBB55_1870
.LBB55_1850:
	s_or_b64 exec, exec, s[20:21]
	s_and_saveexec_b64 s[20:21], s[16:17]
	s_cbranch_execz .LBB55_1852
.LBB55_1851:
	v_lshlrev_b32_e32 v11, 24, v8
	v_and_b32_e32 v8, 0xffff, v8
	v_and_b32_e32 v12, 3, v8
	v_ffbh_u32_e32 v14, v12
	v_min_u32_e32 v14, 32, v14
	v_subrev_u32_e32 v15, 29, v14
	v_bfe_u32 v13, v8, 2, 5
	v_lshlrev_b32_e32 v8, v15, v8
	v_sub_u32_e32 v14, 30, v14
	v_and_b32_e32 v8, 3, v8
	v_cmp_eq_u32_e32 vcc, 0, v13
	v_cndmask_b32_e32 v13, v13, v14, vcc
	v_cndmask_b32_e32 v8, v12, v8, vcc
	v_mov_b32_e32 v12, 0x37800000
	v_lshlrev_b32_e32 v8, 21, v8
	v_and_b32_e32 v11, 0x80000000, v11
	v_lshl_add_u32 v12, v13, 23, v12
	v_or3_b32 v11, v11, v12, v8
.LBB55_1852:
	s_or_b64 exec, exec, s[20:21]
	v_bfe_u32 v8, v11, 16, 1
	s_movk_i32 s15, 0x7fff
	v_add3_u32 v8, v11, v8, s15
	v_lshrrev_b32_e32 v8, 16, v8
	v_mov_b32_e32 v12, 0x7fc0
	v_cmp_o_f32_e32 vcc, v11, v11
	v_cndmask_b32_e32 v8, v12, v8, vcc
	s_mov_b64 s[16:17], 0
	s_branch .LBB55_1858
.LBB55_1853:
	s_mov_b64 s[16:17], -1
                                        ; implicit-def: $vgpr8
	s_branch .LBB55_1864
.LBB55_1854:
	s_or_saveexec_b64 s[22:23], s[22:23]
	v_mov_b32_e32 v11, s15
	s_xor_b64 exec, exec, s[22:23]
	s_cbranch_execz .LBB55_1837
.LBB55_1855:
	v_cmp_ne_u16_e32 vcc, 0, v8
	s_andn2_b64 s[20:21], s[20:21], exec
	s_and_b64 s[24:25], vcc, exec
	v_mov_b32_e32 v11, 0
	s_or_b64 s[20:21], s[20:21], s[24:25]
	s_or_b64 exec, exec, s[22:23]
	s_and_saveexec_b64 s[22:23], s[20:21]
	s_cbranch_execnz .LBB55_1838
	s_branch .LBB55_1839
.LBB55_1856:
	s_mov_b64 s[16:17], -1
                                        ; implicit-def: $vgpr8
	s_branch .LBB55_1861
.LBB55_1857:
	s_mov_b64 s[16:17], -1
                                        ; implicit-def: $vgpr8
.LBB55_1858:
	s_and_b64 vcc, exec, s[16:17]
	s_cbranch_vccz .LBB55_1860
; %bb.1859:
	global_load_ubyte v8, v[0:1], off
	s_mov_b32 s15, 0x7f800000
	s_brev_b32 s16, 1
	s_movk_i32 s17, 0x7fff
	v_mov_b32_e32 v11, 0x7fc0
	s_waitcnt vmcnt(0)
	v_lshlrev_b32_e32 v8, 24, v8
	v_and_b32_e32 v12, 0x7f000000, v8
	v_ffbh_u32_e32 v13, v12
	v_min_u32_e32 v13, 32, v13
	v_sub_u32_e64 v13, v13, 4 clamp
	v_lshlrev_b32_e32 v15, v13, v12
	v_lshlrev_b32_e32 v13, 23, v13
	v_lshrrev_b32_e32 v15, 4, v15
	v_add_u32_e32 v14, 0x1000000, v12
	v_sub_u32_e32 v13, v15, v13
	v_ashrrev_i32_e32 v14, 8, v14
	v_add_u32_e32 v13, 0x3c000000, v13
	v_and_or_b32 v13, v14, s15, v13
	v_cmp_ne_u32_e32 vcc, 0, v12
	v_cndmask_b32_e32 v12, 0, v13, vcc
	v_and_or_b32 v8, v8, s16, v12
	v_bfe_u32 v12, v12, 16, 1
	v_add3_u32 v12, v8, v12, s17
	v_lshrrev_b32_e32 v12, 16, v12
	v_cmp_o_f32_e32 vcc, v8, v8
	v_cndmask_b32_e32 v8, v11, v12, vcc
.LBB55_1860:
	s_mov_b64 s[16:17], 0
.LBB55_1861:
	s_andn2_b64 vcc, exec, s[16:17]
	s_cbranch_vccnz .LBB55_1863
; %bb.1862:
	global_load_ubyte v8, v[0:1], off
	s_movk_i32 s15, 0x7f00
	s_brev_b32 s16, 16
	s_brev_b32 s17, 1
	s_movk_i32 s20, 0x7fff
	v_mov_b32_e32 v11, 0x7fc0
	s_waitcnt vmcnt(0)
	v_lshlrev_b16_e32 v12, 8, v8
	v_lshlrev_b32_e32 v8, 25, v8
	v_lshrrev_b32_e32 v13, 4, v8
	v_and_or_b32 v14, v12, s15, 0.5
	v_or_b32_e32 v13, 0x70000000, v13
	v_add_f32_e32 v14, -0.5, v14
	v_mul_f32_e32 v13, 0x7800000, v13
	v_cmp_gt_u32_e32 vcc, s16, v8
	v_bfe_i32 v12, v12, 0, 16
	v_cndmask_b32_e32 v8, v13, v14, vcc
	v_and_or_b32 v12, v12, s17, v8
	v_bfe_u32 v8, v8, 16, 1
	v_add3_u32 v8, v12, v8, s20
	v_lshrrev_b32_e32 v8, 16, v8
	v_cmp_o_f32_e32 vcc, v12, v12
	v_cndmask_b32_e32 v8, v11, v8, vcc
.LBB55_1863:
	s_mov_b64 s[16:17], 0
	s_mov_b64 s[20:21], -1
.LBB55_1864:
	s_andn2_b64 vcc, exec, s[16:17]
	s_mov_b64 s[16:17], 0
	s_cbranch_vccnz .LBB55_1875
; %bb.1865:
	v_mov_b32_e32 v8, 14
	v_cmp_gt_i16_sdwa s[16:17], v5, v8 src0_sel:BYTE_0 src1_sel:DWORD
	s_and_b64 vcc, exec, s[16:17]
	s_cbranch_vccz .LBB55_1868
; %bb.1866:
	v_mov_b32_e32 v8, 15
	v_cmp_eq_u16_sdwa s[0:1], v5, v8 src0_sel:BYTE_0 src1_sel:DWORD
	s_and_b64 vcc, exec, s[0:1]
	s_cbranch_vccz .LBB55_1871
; %bb.1867:
	global_load_ushort v8, v[0:1], off
	s_mov_b64 s[0:1], 0
	s_mov_b64 s[20:21], -1
	s_branch .LBB55_1872
.LBB55_1868:
	s_mov_b64 s[22:23], -1
                                        ; implicit-def: $vgpr8
	s_branch .LBB55_1873
.LBB55_1869:
	s_or_saveexec_b64 s[20:21], s[20:21]
	v_mov_b32_e32 v11, s15
	s_xor_b64 exec, exec, s[20:21]
	s_cbranch_execz .LBB55_1850
.LBB55_1870:
	v_cmp_ne_u16_e32 vcc, 0, v8
	s_andn2_b64 s[16:17], s[16:17], exec
	s_and_b64 s[22:23], vcc, exec
	v_mov_b32_e32 v11, 0
	s_or_b64 s[16:17], s[16:17], s[22:23]
	s_or_b64 exec, exec, s[20:21]
	s_and_saveexec_b64 s[20:21], s[16:17]
	s_cbranch_execnz .LBB55_1851
	s_branch .LBB55_1852
.LBB55_1871:
	s_mov_b64 s[0:1], -1
                                        ; implicit-def: $vgpr8
.LBB55_1872:
	s_mov_b64 s[22:23], 0
.LBB55_1873:
	s_mov_b64 s[16:17], 0
	s_and_b64 vcc, exec, s[22:23]
	s_cbranch_vccz .LBB55_1875
; %bb.1874:
	s_waitcnt vmcnt(0)
	v_mov_b32_e32 v8, 11
	v_cmp_ne_u16_sdwa s[0:1], v5, v8 src0_sel:BYTE_0 src1_sel:DWORD
	s_mov_b64 s[16:17], -1
                                        ; implicit-def: $vgpr8
.LBB55_1875:
	s_and_b64 vcc, exec, s[0:1]
	s_cbranch_vccnz .LBB55_1938
; %bb.1876:
	s_andn2_b64 vcc, exec, s[16:17]
	s_cbranch_vccnz .LBB55_1878
.LBB55_1877:
	global_load_ubyte v8, v[0:1], off
	s_mov_b64 s[20:21], -1
	s_waitcnt vmcnt(0)
	v_cmp_ne_u16_e32 vcc, 0, v8
	v_cndmask_b32_e64 v8, 0, 1.0, vcc
	v_lshrrev_b32_e32 v8, 16, v8
.LBB55_1878:
	s_branch .LBB55_1806
.LBB55_1879:
	s_waitcnt vmcnt(0)
	v_mov_b32_e32 v8, 5
	v_cmp_lt_i16_sdwa s[0:1], v5, v8 src0_sel:BYTE_0 src1_sel:DWORD
	s_and_b64 vcc, exec, s[0:1]
	s_cbranch_vccnz .LBB55_1884
; %bb.1880:
	v_mov_b32_e32 v8, 8
	v_cmp_lt_i16_sdwa s[0:1], v5, v8 src0_sel:BYTE_0 src1_sel:DWORD
	s_and_b64 vcc, exec, s[0:1]
	s_cbranch_vccnz .LBB55_1885
; %bb.1881:
	;; [unrolled: 5-line block ×3, first 2 shown]
	v_cmp_gt_i16_sdwa s[0:1], v5, v8 src0_sel:BYTE_0 src1_sel:DWORD
	s_and_b64 vcc, exec, s[0:1]
	s_cbranch_vccz .LBB55_1887
; %bb.1883:
	global_load_dwordx2 v[12:13], v[0:1], off
	s_movk_i32 s0, 0x7fff
	v_mov_b32_e32 v8, 0x7fc0
	s_waitcnt vmcnt(0)
	v_cvt_f32_f64_e32 v11, v[12:13]
	v_bfe_u32 v12, v11, 16, 1
	v_add3_u32 v12, v11, v12, s0
	v_lshrrev_b32_e32 v12, 16, v12
	v_cmp_o_f32_e32 vcc, v11, v11
	v_cndmask_b32_e32 v8, v8, v12, vcc
	s_mov_b64 s[0:1], 0
	s_branch .LBB55_1888
.LBB55_1884:
	s_mov_b64 s[0:1], -1
                                        ; implicit-def: $vgpr8
	s_branch .LBB55_1906
.LBB55_1885:
	s_mov_b64 s[0:1], -1
                                        ; implicit-def: $vgpr8
	s_branch .LBB55_1894
.LBB55_1886:
	s_mov_b64 s[0:1], -1
                                        ; implicit-def: $vgpr8
	s_branch .LBB55_1891
.LBB55_1887:
	s_mov_b64 s[0:1], -1
                                        ; implicit-def: $vgpr8
.LBB55_1888:
	s_andn2_b64 vcc, exec, s[0:1]
	s_cbranch_vccnz .LBB55_1890
; %bb.1889:
	global_load_dword v8, v[0:1], off
	s_movk_i32 s0, 0x7fff
	v_mov_b32_e32 v11, 0x7fc0
	s_waitcnt vmcnt(0)
	v_bfe_u32 v12, v8, 16, 1
	v_add3_u32 v12, v8, v12, s0
	v_lshrrev_b32_e32 v12, 16, v12
	v_cmp_o_f32_e32 vcc, v8, v8
	v_cndmask_b32_e32 v8, v11, v12, vcc
.LBB55_1890:
	s_mov_b64 s[0:1], 0
.LBB55_1891:
	s_andn2_b64 vcc, exec, s[0:1]
	s_cbranch_vccnz .LBB55_1893
; %bb.1892:
	global_load_dword v8, v[0:1], off
	s_movk_i32 s0, 0x7fff
	v_mov_b32_e32 v12, 0x7fc0
	s_waitcnt vmcnt(0)
	v_cvt_f32_f16_e32 v11, v8
	v_cmp_o_f16_e32 vcc, v8, v8
	v_bfe_u32 v13, v11, 16, 1
	v_add3_u32 v11, v11, v13, s0
	v_lshrrev_b32_e32 v11, 16, v11
	v_cndmask_b32_e32 v8, v12, v11, vcc
.LBB55_1893:
	s_mov_b64 s[0:1], 0
.LBB55_1894:
	s_andn2_b64 vcc, exec, s[0:1]
	s_cbranch_vccnz .LBB55_1905
; %bb.1895:
	v_mov_b32_e32 v8, 6
	v_cmp_lt_i16_sdwa s[0:1], v5, v8 src0_sel:BYTE_0 src1_sel:DWORD
	s_and_b64 vcc, exec, s[0:1]
	s_cbranch_vccnz .LBB55_1898
; %bb.1896:
	v_cmp_gt_i16_sdwa s[0:1], v5, v8 src0_sel:BYTE_0 src1_sel:DWORD
	s_and_b64 vcc, exec, s[0:1]
	s_cbranch_vccz .LBB55_1899
; %bb.1897:
	global_load_dwordx2 v[12:13], v[0:1], off
	s_movk_i32 s0, 0x7fff
	v_mov_b32_e32 v8, 0x7fc0
	s_waitcnt vmcnt(0)
	v_cvt_f32_f64_e32 v11, v[12:13]
	v_bfe_u32 v12, v11, 16, 1
	v_add3_u32 v12, v11, v12, s0
	v_lshrrev_b32_e32 v12, 16, v12
	v_cmp_o_f32_e32 vcc, v11, v11
	v_cndmask_b32_e32 v8, v8, v12, vcc
	s_mov_b64 s[0:1], 0
	s_branch .LBB55_1900
.LBB55_1898:
	s_mov_b64 s[0:1], -1
                                        ; implicit-def: $vgpr8
	s_branch .LBB55_1903
.LBB55_1899:
	s_mov_b64 s[0:1], -1
                                        ; implicit-def: $vgpr8
.LBB55_1900:
	s_andn2_b64 vcc, exec, s[0:1]
	s_cbranch_vccnz .LBB55_1902
; %bb.1901:
	global_load_dword v8, v[0:1], off
	s_movk_i32 s0, 0x7fff
	v_mov_b32_e32 v11, 0x7fc0
	s_waitcnt vmcnt(0)
	v_bfe_u32 v12, v8, 16, 1
	v_add3_u32 v12, v8, v12, s0
	v_lshrrev_b32_e32 v12, 16, v12
	v_cmp_o_f32_e32 vcc, v8, v8
	v_cndmask_b32_e32 v8, v11, v12, vcc
.LBB55_1902:
	s_mov_b64 s[0:1], 0
.LBB55_1903:
	s_andn2_b64 vcc, exec, s[0:1]
	s_cbranch_vccnz .LBB55_1905
; %bb.1904:
	global_load_ushort v8, v[0:1], off
	s_movk_i32 s0, 0x7fff
	v_mov_b32_e32 v12, 0x7fc0
	s_waitcnt vmcnt(0)
	v_cvt_f32_f16_e32 v11, v8
	v_cmp_o_f16_e32 vcc, v8, v8
	v_bfe_u32 v13, v11, 16, 1
	v_add3_u32 v11, v11, v13, s0
	v_lshrrev_b32_e32 v11, 16, v11
	v_cndmask_b32_e32 v8, v12, v11, vcc
.LBB55_1905:
	s_mov_b64 s[0:1], 0
.LBB55_1906:
	s_andn2_b64 vcc, exec, s[0:1]
	s_cbranch_vccnz .LBB55_1926
; %bb.1907:
	v_mov_b32_e32 v8, 2
	v_cmp_lt_i16_sdwa s[0:1], v5, v8 src0_sel:BYTE_0 src1_sel:DWORD
	s_and_b64 vcc, exec, s[0:1]
	s_cbranch_vccnz .LBB55_1911
; %bb.1908:
	v_mov_b32_e32 v8, 3
	v_cmp_lt_i16_sdwa s[0:1], v5, v8 src0_sel:BYTE_0 src1_sel:DWORD
	s_and_b64 vcc, exec, s[0:1]
	s_cbranch_vccnz .LBB55_1912
; %bb.1909:
	v_cmp_gt_i16_sdwa s[0:1], v5, v8 src0_sel:BYTE_0 src1_sel:DWORD
	s_and_b64 vcc, exec, s[0:1]
	s_cbranch_vccz .LBB55_1913
; %bb.1910:
	global_load_dwordx2 v[12:13], v[0:1], off
	s_movk_i32 s0, 0x7fff
	s_waitcnt vmcnt(0)
	v_xor_b32_e32 v11, v12, v13
	v_ffbh_i32_e32 v8, v13
	v_ashrrev_i32_e32 v11, 31, v11
	v_add_u32_e32 v8, -1, v8
	v_add_u32_e32 v11, 32, v11
	v_min_u32_e32 v8, v8, v11
	v_lshlrev_b64 v[12:13], v8, v[12:13]
	v_min_u32_e32 v11, 1, v12
	v_or_b32_e32 v11, v13, v11
	v_cvt_f32_i32_e32 v11, v11
	v_sub_u32_e32 v8, 32, v8
	v_ldexp_f32 v8, v11, v8
	v_bfe_u32 v11, v8, 16, 1
	v_add3_u32 v8, v8, v11, s0
	v_lshrrev_b32_e32 v8, 16, v8
	s_mov_b64 s[0:1], 0
	s_branch .LBB55_1914
.LBB55_1911:
	s_mov_b64 s[0:1], -1
                                        ; implicit-def: $vgpr8
	s_branch .LBB55_1920
.LBB55_1912:
	s_mov_b64 s[0:1], -1
                                        ; implicit-def: $vgpr8
	s_branch .LBB55_1917
.LBB55_1913:
	s_mov_b64 s[0:1], -1
                                        ; implicit-def: $vgpr8
.LBB55_1914:
	s_andn2_b64 vcc, exec, s[0:1]
	s_cbranch_vccnz .LBB55_1916
; %bb.1915:
	global_load_dword v8, v[0:1], off
	s_movk_i32 s0, 0x7fff
	s_waitcnt vmcnt(0)
	v_cvt_f32_i32_e32 v8, v8
	v_bfe_u32 v11, v8, 16, 1
	v_add3_u32 v8, v8, v11, s0
	v_lshrrev_b32_e32 v8, 16, v8
.LBB55_1916:
	s_mov_b64 s[0:1], 0
.LBB55_1917:
	s_andn2_b64 vcc, exec, s[0:1]
	s_cbranch_vccnz .LBB55_1919
; %bb.1918:
	global_load_sshort v8, v[0:1], off
	s_movk_i32 s0, 0x7fff
	s_waitcnt vmcnt(0)
	v_cvt_f32_i32_e32 v8, v8
	v_bfe_u32 v11, v8, 16, 1
	v_add3_u32 v8, v8, v11, s0
	v_lshrrev_b32_e32 v8, 16, v8
.LBB55_1919:
	s_mov_b64 s[0:1], 0
.LBB55_1920:
	s_andn2_b64 vcc, exec, s[0:1]
	s_cbranch_vccnz .LBB55_1926
; %bb.1921:
	v_mov_b32_e32 v8, 0
	v_cmp_gt_i16_sdwa s[0:1], v5, v8 src0_sel:BYTE_0 src1_sel:DWORD
	s_and_b64 vcc, exec, s[0:1]
	s_cbranch_vccz .LBB55_1923
; %bb.1922:
	global_load_sbyte v8, v[0:1], off
	s_movk_i32 s0, 0x7fff
	s_waitcnt vmcnt(0)
	v_cvt_f32_i32_e32 v8, v8
	v_bfe_u32 v11, v8, 16, 1
	v_add3_u32 v8, v8, v11, s0
	v_lshrrev_b32_e32 v8, 16, v8
	s_mov_b64 s[0:1], 0
	s_branch .LBB55_1924
.LBB55_1923:
	s_mov_b64 s[0:1], -1
                                        ; implicit-def: $vgpr8
.LBB55_1924:
	s_andn2_b64 vcc, exec, s[0:1]
	s_cbranch_vccnz .LBB55_1926
; %bb.1925:
	global_load_ubyte v0, v[0:1], off
	s_movk_i32 s0, 0x7fff
	s_waitcnt vmcnt(0)
	v_cvt_f32_ubyte0_e32 v0, v0
	v_bfe_u32 v1, v0, 16, 1
	v_add3_u32 v0, v0, v1, s0
	v_lshrrev_b32_e32 v8, 16, v0
.LBB55_1926:
.LBB55_1927:
	s_lshl_b32 s24, s14, 7
	v_add_u32_e32 v11, s24, v9
	v_ashrrev_i32_e32 v1, 31, v11
	v_mov_b32_e32 v9, s3
	v_add_co_u32_e32 v0, vcc, s2, v11
	v_addc_co_u32_e32 v1, vcc, v9, v1, vcc
	v_mov_b32_e32 v9, 11
	v_cmp_lt_i16_sdwa s[0:1], v4, v9 src0_sel:BYTE_0 src1_sel:DWORD
	s_and_b64 vcc, exec, s[0:1]
	s_cbranch_vccnz .LBB55_1934
; %bb.1928:
	v_mov_b32_e32 v9, 25
	v_cmp_gt_i16_sdwa s[0:1], v4, v9 src0_sel:BYTE_0 src1_sel:DWORD
	s_mov_b64 s[14:15], 0
	s_and_b64 vcc, exec, s[0:1]
	s_cbranch_vccz .LBB55_1935
; %bb.1929:
	v_mov_b32_e32 v9, 28
	v_cmp_gt_i16_sdwa s[0:1], v4, v9 src0_sel:BYTE_0 src1_sel:DWORD
	s_and_b64 vcc, exec, s[0:1]
	s_cbranch_vccz .LBB55_1936
; %bb.1930:
	v_mov_b32_e32 v9, 43
	v_cmp_gt_i16_sdwa s[0:1], v4, v9 src0_sel:BYTE_0 src1_sel:DWORD
	;; [unrolled: 5-line block ×3, first 2 shown]
	s_and_b64 vcc, exec, s[0:1]
	s_cbranch_vccz .LBB55_1939
; %bb.1932:
	v_mov_b32_e32 v9, 46
	v_cmp_eq_u16_sdwa s[0:1], v4, v9 src0_sel:BYTE_0 src1_sel:DWORD
	s_mov_b64 s[20:21], 0
	s_and_b64 vcc, exec, s[0:1]
	s_cbranch_vccz .LBB55_1940
; %bb.1933:
	global_load_dword v9, v[0:1], off
	s_mov_b64 s[0:1], 0
	s_mov_b64 s[16:17], -1
	s_branch .LBB55_1941
.LBB55_1934:
	s_mov_b64 s[0:1], -1
	s_mov_b64 s[16:17], 0
                                        ; implicit-def: $vgpr9
	s_branch .LBB55_2007
.LBB55_1935:
	s_mov_b64 s[20:21], -1
	s_mov_b64 s[16:17], 0
	s_mov_b64 s[0:1], 0
                                        ; implicit-def: $vgpr9
	s_branch .LBB55_1970
.LBB55_1936:
	s_mov_b64 s[20:21], -1
	s_mov_b64 s[16:17], 0
	s_mov_b64 s[0:1], 0
                                        ; implicit-def: $vgpr9
	s_branch .LBB55_1951
.LBB55_1937:
	s_mov_b64 s[20:21], -1
	s_mov_b64 s[16:17], 0
	s_mov_b64 s[0:1], 0
                                        ; implicit-def: $vgpr9
	s_branch .LBB55_1946
.LBB55_1938:
	s_trap 2
	s_or_b64 s[18:19], s[18:19], exec
                                        ; implicit-def: $vgpr8
	s_cbranch_execz .LBB55_1877
	s_branch .LBB55_1878
.LBB55_1939:
	s_mov_b64 s[20:21], -1
	s_mov_b64 s[16:17], 0
	s_mov_b64 s[0:1], 0
                                        ; implicit-def: $vgpr9
	s_branch .LBB55_1941
.LBB55_1940:
	s_mov_b64 s[0:1], -1
                                        ; implicit-def: $vgpr9
	s_mov_b64 s[16:17], 0
.LBB55_1941:
	s_and_b64 vcc, exec, s[20:21]
	s_cbranch_vccz .LBB55_1945
; %bb.1942:
	s_waitcnt vmcnt(0)
	v_mov_b32_e32 v9, 44
	v_cmp_eq_u16_sdwa s[0:1], v4, v9 src0_sel:BYTE_0 src1_sel:DWORD
	s_and_b64 vcc, exec, s[0:1]
	s_cbranch_vccz .LBB55_1944
; %bb.1943:
	global_load_ubyte v9, v[0:1], off
	s_movk_i32 s16, 0xff
	v_mov_b32_e32 v12, 0x7f800001
	v_mov_b32_e32 v13, 0x400000
	;; [unrolled: 1-line block ×3, first 2 shown]
	s_mov_b64 s[0:1], 0
	s_waitcnt vmcnt(0)
	v_lshlrev_b32_e32 v15, 23, v9
	v_cmp_ne_u32_e32 vcc, s16, v9
	v_cndmask_b32_e32 v12, v12, v15, vcc
	v_cmp_ne_u32_e32 vcc, 0, v9
	v_cndmask_b32_e32 v9, v13, v12, vcc
	v_add_u32_e32 v12, 0x7fff, v9
	v_lshrrev_b32_e32 v12, 16, v12
	v_cmp_o_f32_e32 vcc, v9, v9
	v_cndmask_b32_e32 v9, v14, v12, vcc
	s_mov_b64 s[16:17], -1
	s_branch .LBB55_1945
.LBB55_1944:
	s_mov_b64 s[0:1], -1
                                        ; implicit-def: $vgpr9
.LBB55_1945:
	s_mov_b64 s[20:21], 0
.LBB55_1946:
	s_and_b64 vcc, exec, s[20:21]
	s_cbranch_vccz .LBB55_1950
; %bb.1947:
	s_waitcnt vmcnt(0)
	v_mov_b32_e32 v9, 29
	v_cmp_eq_u16_sdwa s[0:1], v4, v9 src0_sel:BYTE_0 src1_sel:DWORD
	s_and_b64 vcc, exec, s[0:1]
	s_cbranch_vccz .LBB55_1949
; %bb.1948:
	global_load_dwordx2 v[12:13], v[0:1], off
	s_movk_i32 s16, 0x7fff
	s_mov_b64 s[0:1], 0
	s_mov_b64 s[20:21], 0
	s_waitcnt vmcnt(0)
	v_ffbh_u32_e32 v9, v13
	v_min_u32_e32 v9, 32, v9
	v_lshlrev_b64 v[12:13], v9, v[12:13]
	v_min_u32_e32 v12, 1, v12
	v_or_b32_e32 v12, v13, v12
	v_cvt_f32_u32_e32 v12, v12
	v_sub_u32_e32 v9, 32, v9
	v_ldexp_f32 v9, v12, v9
	v_bfe_u32 v12, v9, 16, 1
	v_add3_u32 v9, v9, v12, s16
	v_lshrrev_b32_e32 v9, 16, v9
	s_mov_b64 s[16:17], -1
	s_branch .LBB55_1951
.LBB55_1949:
	s_mov_b64 s[0:1], -1
                                        ; implicit-def: $vgpr9
.LBB55_1950:
	s_mov_b64 s[20:21], 0
.LBB55_1951:
	s_and_b64 vcc, exec, s[20:21]
	s_cbranch_vccz .LBB55_1969
; %bb.1952:
	s_waitcnt vmcnt(0)
	v_mov_b32_e32 v9, 27
	v_cmp_lt_i16_sdwa s[16:17], v4, v9 src0_sel:BYTE_0 src1_sel:DWORD
	s_and_b64 vcc, exec, s[16:17]
	s_cbranch_vccnz .LBB55_1955
; %bb.1953:
	v_cmp_gt_i16_sdwa s[16:17], v4, v9 src0_sel:BYTE_0 src1_sel:DWORD
	s_and_b64 vcc, exec, s[16:17]
	s_cbranch_vccz .LBB55_1956
; %bb.1954:
	global_load_dword v9, v[0:1], off
	s_movk_i32 s16, 0x7fff
	s_waitcnt vmcnt(0)
	v_cvt_f32_u32_e32 v9, v9
	v_bfe_u32 v12, v9, 16, 1
	v_add3_u32 v9, v9, v12, s16
	v_lshrrev_b32_e32 v9, 16, v9
	s_mov_b64 s[16:17], 0
	s_branch .LBB55_1957
.LBB55_1955:
	s_mov_b64 s[16:17], -1
                                        ; implicit-def: $vgpr9
	s_branch .LBB55_1960
.LBB55_1956:
	s_mov_b64 s[16:17], -1
                                        ; implicit-def: $vgpr9
.LBB55_1957:
	s_andn2_b64 vcc, exec, s[16:17]
	s_cbranch_vccnz .LBB55_1959
; %bb.1958:
	global_load_ushort v9, v[0:1], off
	s_movk_i32 s16, 0x7fff
	s_waitcnt vmcnt(0)
	v_cvt_f32_u32_e32 v9, v9
	v_bfe_u32 v12, v9, 16, 1
	v_add3_u32 v9, v9, v12, s16
	v_lshrrev_b32_e32 v9, 16, v9
.LBB55_1959:
	s_mov_b64 s[16:17], 0
.LBB55_1960:
	s_andn2_b64 vcc, exec, s[16:17]
	s_cbranch_vccnz .LBB55_1968
; %bb.1961:
	global_load_ubyte v9, v[0:1], off
	s_movk_i32 s16, 0x7f
                                        ; implicit-def: $sgpr25
	s_waitcnt vmcnt(0)
	v_cmp_lt_i16_e32 vcc, s16, v9
	s_mov_b64 s[16:17], 0
	s_and_saveexec_b64 s[20:21], vcc
	s_xor_b64 s[20:21], exec, s[20:21]
	s_cbranch_execz .LBB55_1982
; %bb.1962:
	s_movk_i32 s16, 0x80
	v_cmp_eq_u16_e32 vcc, s16, v9
	s_mov_b64 s[16:17], -1
                                        ; implicit-def: $sgpr25
	s_and_saveexec_b64 s[22:23], vcc
; %bb.1963:
	s_mov_b32 s25, 0x7f800001
	s_xor_b64 s[16:17], exec, -1
; %bb.1964:
	s_or_b64 exec, exec, s[22:23]
	s_and_b64 s[16:17], s[16:17], exec
	s_or_saveexec_b64 s[20:21], s[20:21]
	v_mov_b32_e32 v12, s25
	s_xor_b64 exec, exec, s[20:21]
	s_cbranch_execnz .LBB55_1983
.LBB55_1965:
	s_or_b64 exec, exec, s[20:21]
	s_and_saveexec_b64 s[20:21], s[16:17]
	s_cbranch_execz .LBB55_1967
.LBB55_1966:
	v_lshlrev_b32_e32 v12, 24, v9
	v_and_b32_e32 v9, 0xffff, v9
	v_and_b32_e32 v13, 7, v9
	v_ffbh_u32_e32 v15, v13
	v_min_u32_e32 v15, 32, v15
	v_subrev_u32_e32 v16, 28, v15
	v_bfe_u32 v14, v9, 3, 4
	v_lshlrev_b32_e32 v9, v16, v9
	v_sub_u32_e32 v15, 29, v15
	v_and_b32_e32 v9, 7, v9
	v_cmp_eq_u32_e32 vcc, 0, v14
	v_cndmask_b32_e32 v14, v14, v15, vcc
	v_cndmask_b32_e32 v9, v13, v9, vcc
	v_mov_b32_e32 v13, 0x3b800000
	v_lshlrev_b32_e32 v9, 20, v9
	v_and_b32_e32 v12, 0x80000000, v12
	v_lshl_add_u32 v13, v14, 23, v13
	v_or3_b32 v12, v12, v13, v9
.LBB55_1967:
	s_or_b64 exec, exec, s[20:21]
	v_bfe_u32 v9, v12, 16, 1
	s_movk_i32 s16, 0x7fff
	v_add3_u32 v9, v12, v9, s16
	v_lshrrev_b32_e32 v9, 16, v9
	v_mov_b32_e32 v13, 0x7fc0
	v_cmp_o_f32_e32 vcc, v12, v12
	v_cndmask_b32_e32 v9, v13, v9, vcc
.LBB55_1968:
	s_mov_b64 s[16:17], -1
.LBB55_1969:
	s_mov_b64 s[20:21], 0
.LBB55_1970:
	s_and_b64 vcc, exec, s[20:21]
	s_cbranch_vccz .LBB55_2003
; %bb.1971:
	s_waitcnt vmcnt(0)
	v_mov_b32_e32 v9, 22
	v_cmp_gt_i16_sdwa s[14:15], v4, v9 src0_sel:BYTE_0 src1_sel:DWORD
	s_and_b64 vcc, exec, s[14:15]
	s_cbranch_vccz .LBB55_1981
; %bb.1972:
	v_mov_b32_e32 v9, 24
	v_cmp_lt_i16_sdwa s[14:15], v4, v9 src0_sel:BYTE_0 src1_sel:DWORD
	s_and_b64 vcc, exec, s[14:15]
	s_cbranch_vccnz .LBB55_1984
; %bb.1973:
	v_cmp_gt_i16_sdwa s[14:15], v4, v9 src0_sel:BYTE_0 src1_sel:DWORD
	s_and_b64 vcc, exec, s[14:15]
	s_cbranch_vccz .LBB55_1985
; %bb.1974:
	global_load_ubyte v9, v[0:1], off
	s_movk_i32 s14, 0x7f
                                        ; implicit-def: $sgpr22
	s_waitcnt vmcnt(0)
	v_cmp_lt_i16_e32 vcc, s14, v9
	s_mov_b64 s[14:15], 0
	s_and_saveexec_b64 s[16:17], vcc
	s_xor_b64 s[16:17], exec, s[16:17]
	s_cbranch_execz .LBB55_1997
; %bb.1975:
	s_movk_i32 s14, 0x80
	v_cmp_eq_u16_e32 vcc, s14, v9
	s_mov_b64 s[14:15], -1
                                        ; implicit-def: $sgpr22
	s_and_saveexec_b64 s[20:21], vcc
; %bb.1976:
	s_mov_b32 s22, 0x7f800001
	s_xor_b64 s[14:15], exec, -1
; %bb.1977:
	s_or_b64 exec, exec, s[20:21]
	s_and_b64 s[14:15], s[14:15], exec
	s_or_saveexec_b64 s[16:17], s[16:17]
	v_mov_b32_e32 v12, s22
	s_xor_b64 exec, exec, s[16:17]
	s_cbranch_execnz .LBB55_1998
.LBB55_1978:
	s_or_b64 exec, exec, s[16:17]
	s_and_saveexec_b64 s[16:17], s[14:15]
	s_cbranch_execz .LBB55_1980
.LBB55_1979:
	v_lshlrev_b32_e32 v12, 24, v9
	v_and_b32_e32 v9, 0xffff, v9
	v_and_b32_e32 v13, 3, v9
	v_ffbh_u32_e32 v15, v13
	v_min_u32_e32 v15, 32, v15
	v_subrev_u32_e32 v16, 29, v15
	v_bfe_u32 v14, v9, 2, 5
	v_lshlrev_b32_e32 v9, v16, v9
	v_sub_u32_e32 v15, 30, v15
	v_and_b32_e32 v9, 3, v9
	v_cmp_eq_u32_e32 vcc, 0, v14
	v_cndmask_b32_e32 v14, v14, v15, vcc
	v_cndmask_b32_e32 v9, v13, v9, vcc
	v_mov_b32_e32 v13, 0x37800000
	v_lshlrev_b32_e32 v9, 21, v9
	v_and_b32_e32 v12, 0x80000000, v12
	v_lshl_add_u32 v13, v14, 23, v13
	v_or3_b32 v12, v12, v13, v9
.LBB55_1980:
	s_or_b64 exec, exec, s[16:17]
	v_bfe_u32 v9, v12, 16, 1
	s_movk_i32 s14, 0x7fff
	v_add3_u32 v9, v12, v9, s14
	v_lshrrev_b32_e32 v9, 16, v9
	v_mov_b32_e32 v13, 0x7fc0
	v_cmp_o_f32_e32 vcc, v12, v12
	v_cndmask_b32_e32 v9, v13, v9, vcc
	s_mov_b64 s[14:15], 0
	s_branch .LBB55_1986
.LBB55_1981:
	s_mov_b64 s[14:15], -1
                                        ; implicit-def: $vgpr9
	s_branch .LBB55_1992
.LBB55_1982:
	s_or_saveexec_b64 s[20:21], s[20:21]
	v_mov_b32_e32 v12, s25
	s_xor_b64 exec, exec, s[20:21]
	s_cbranch_execz .LBB55_1965
.LBB55_1983:
	v_cmp_ne_u16_e32 vcc, 0, v9
	s_andn2_b64 s[16:17], s[16:17], exec
	s_and_b64 s[22:23], vcc, exec
	v_mov_b32_e32 v12, 0
	s_or_b64 s[16:17], s[16:17], s[22:23]
	s_or_b64 exec, exec, s[20:21]
	s_and_saveexec_b64 s[20:21], s[16:17]
	s_cbranch_execnz .LBB55_1966
	s_branch .LBB55_1967
.LBB55_1984:
	s_mov_b64 s[14:15], -1
                                        ; implicit-def: $vgpr9
	s_branch .LBB55_1989
.LBB55_1985:
	s_mov_b64 s[14:15], -1
                                        ; implicit-def: $vgpr9
.LBB55_1986:
	s_and_b64 vcc, exec, s[14:15]
	s_cbranch_vccz .LBB55_1988
; %bb.1987:
	global_load_ubyte v9, v[0:1], off
	s_mov_b32 s14, 0x7f800000
	s_brev_b32 s15, 1
	s_movk_i32 s16, 0x7fff
	v_mov_b32_e32 v12, 0x7fc0
	s_waitcnt vmcnt(0)
	v_lshlrev_b32_e32 v9, 24, v9
	v_and_b32_e32 v13, 0x7f000000, v9
	v_ffbh_u32_e32 v14, v13
	v_min_u32_e32 v14, 32, v14
	v_sub_u32_e64 v14, v14, 4 clamp
	v_lshlrev_b32_e32 v16, v14, v13
	v_lshlrev_b32_e32 v14, 23, v14
	v_lshrrev_b32_e32 v16, 4, v16
	v_add_u32_e32 v15, 0x1000000, v13
	v_sub_u32_e32 v14, v16, v14
	v_ashrrev_i32_e32 v15, 8, v15
	v_add_u32_e32 v14, 0x3c000000, v14
	v_and_or_b32 v14, v15, s14, v14
	v_cmp_ne_u32_e32 vcc, 0, v13
	v_cndmask_b32_e32 v13, 0, v14, vcc
	v_and_or_b32 v9, v9, s15, v13
	v_bfe_u32 v13, v13, 16, 1
	v_add3_u32 v13, v9, v13, s16
	v_lshrrev_b32_e32 v13, 16, v13
	v_cmp_o_f32_e32 vcc, v9, v9
	v_cndmask_b32_e32 v9, v12, v13, vcc
.LBB55_1988:
	s_mov_b64 s[14:15], 0
.LBB55_1989:
	s_andn2_b64 vcc, exec, s[14:15]
	s_cbranch_vccnz .LBB55_1991
; %bb.1990:
	global_load_ubyte v9, v[0:1], off
	s_movk_i32 s14, 0x7f00
	s_brev_b32 s15, 16
	s_brev_b32 s16, 1
	s_movk_i32 s17, 0x7fff
	v_mov_b32_e32 v12, 0x7fc0
	s_waitcnt vmcnt(0)
	v_lshlrev_b16_e32 v13, 8, v9
	v_lshlrev_b32_e32 v9, 25, v9
	v_lshrrev_b32_e32 v14, 4, v9
	v_and_or_b32 v15, v13, s14, 0.5
	v_or_b32_e32 v14, 0x70000000, v14
	v_add_f32_e32 v15, -0.5, v15
	v_mul_f32_e32 v14, 0x7800000, v14
	v_cmp_gt_u32_e32 vcc, s15, v9
	v_bfe_i32 v13, v13, 0, 16
	v_cndmask_b32_e32 v9, v14, v15, vcc
	v_and_or_b32 v13, v13, s16, v9
	v_bfe_u32 v9, v9, 16, 1
	v_add3_u32 v9, v13, v9, s17
	v_lshrrev_b32_e32 v9, 16, v9
	v_cmp_o_f32_e32 vcc, v13, v13
	v_cndmask_b32_e32 v9, v12, v9, vcc
.LBB55_1991:
	s_mov_b64 s[14:15], 0
	s_mov_b64 s[16:17], -1
.LBB55_1992:
	s_andn2_b64 vcc, exec, s[14:15]
	s_mov_b64 s[14:15], 0
	s_cbranch_vccnz .LBB55_2003
; %bb.1993:
	v_mov_b32_e32 v9, 14
	v_cmp_gt_i16_sdwa s[14:15], v4, v9 src0_sel:BYTE_0 src1_sel:DWORD
	s_and_b64 vcc, exec, s[14:15]
	s_cbranch_vccz .LBB55_1996
; %bb.1994:
	v_mov_b32_e32 v9, 15
	v_cmp_eq_u16_sdwa s[0:1], v4, v9 src0_sel:BYTE_0 src1_sel:DWORD
	s_and_b64 vcc, exec, s[0:1]
	s_cbranch_vccz .LBB55_1999
; %bb.1995:
	global_load_ushort v9, v[0:1], off
	s_mov_b64 s[0:1], 0
	s_mov_b64 s[16:17], -1
	s_branch .LBB55_2000
.LBB55_1996:
	s_mov_b64 s[20:21], -1
                                        ; implicit-def: $vgpr9
	s_branch .LBB55_2001
.LBB55_1997:
	s_or_saveexec_b64 s[16:17], s[16:17]
	v_mov_b32_e32 v12, s22
	s_xor_b64 exec, exec, s[16:17]
	s_cbranch_execz .LBB55_1978
.LBB55_1998:
	v_cmp_ne_u16_e32 vcc, 0, v9
	s_andn2_b64 s[14:15], s[14:15], exec
	s_and_b64 s[20:21], vcc, exec
	v_mov_b32_e32 v12, 0
	s_or_b64 s[14:15], s[14:15], s[20:21]
	s_or_b64 exec, exec, s[16:17]
	s_and_saveexec_b64 s[16:17], s[14:15]
	s_cbranch_execnz .LBB55_1979
	s_branch .LBB55_1980
.LBB55_1999:
	s_mov_b64 s[0:1], -1
                                        ; implicit-def: $vgpr9
.LBB55_2000:
	s_mov_b64 s[20:21], 0
.LBB55_2001:
	s_mov_b64 s[14:15], 0
	s_and_b64 vcc, exec, s[20:21]
	s_cbranch_vccz .LBB55_2003
; %bb.2002:
	s_waitcnt vmcnt(0)
	v_mov_b32_e32 v9, 11
	v_cmp_ne_u16_sdwa s[0:1], v4, v9 src0_sel:BYTE_0 src1_sel:DWORD
	s_mov_b64 s[14:15], -1
                                        ; implicit-def: $vgpr9
.LBB55_2003:
	s_and_b64 vcc, exec, s[0:1]
	s_cbranch_vccnz .LBB55_2068
; %bb.2004:
	s_andn2_b64 vcc, exec, s[14:15]
	s_cbranch_vccnz .LBB55_2006
.LBB55_2005:
	global_load_ubyte v9, v[0:1], off
	s_mov_b64 s[16:17], -1
	s_waitcnt vmcnt(0)
	v_cmp_ne_u16_e32 vcc, 0, v9
	v_cndmask_b32_e64 v9, 0, 1.0, vcc
	v_lshrrev_b32_e32 v9, 16, v9
.LBB55_2006:
	s_mov_b64 s[0:1], 0
.LBB55_2007:
	s_and_b64 vcc, exec, s[0:1]
	s_cbranch_vccz .LBB55_2056
; %bb.2008:
	s_waitcnt vmcnt(0)
	v_mov_b32_e32 v9, 5
	v_cmp_lt_i16_sdwa s[0:1], v4, v9 src0_sel:BYTE_0 src1_sel:DWORD
	s_and_b64 vcc, exec, s[0:1]
	s_cbranch_vccnz .LBB55_2013
; %bb.2009:
	v_mov_b32_e32 v9, 8
	v_cmp_lt_i16_sdwa s[0:1], v4, v9 src0_sel:BYTE_0 src1_sel:DWORD
	s_and_b64 vcc, exec, s[0:1]
	s_cbranch_vccnz .LBB55_2014
; %bb.2010:
	;; [unrolled: 5-line block ×3, first 2 shown]
	v_cmp_gt_i16_sdwa s[0:1], v4, v9 src0_sel:BYTE_0 src1_sel:DWORD
	s_and_b64 vcc, exec, s[0:1]
	s_cbranch_vccz .LBB55_2016
; %bb.2012:
	global_load_dwordx2 v[12:13], v[0:1], off
	s_movk_i32 s0, 0x7fff
	v_mov_b32_e32 v9, 0x7fc0
	s_waitcnt vmcnt(0)
	v_cvt_f32_f64_e32 v12, v[12:13]
	v_bfe_u32 v13, v12, 16, 1
	v_add3_u32 v13, v12, v13, s0
	v_lshrrev_b32_e32 v13, 16, v13
	v_cmp_o_f32_e32 vcc, v12, v12
	v_cndmask_b32_e32 v9, v9, v13, vcc
	s_mov_b64 s[0:1], 0
	s_branch .LBB55_2017
.LBB55_2013:
	s_mov_b64 s[0:1], -1
                                        ; implicit-def: $vgpr9
	s_branch .LBB55_2035
.LBB55_2014:
	s_mov_b64 s[0:1], -1
                                        ; implicit-def: $vgpr9
	s_branch .LBB55_2023
.LBB55_2015:
	s_mov_b64 s[0:1], -1
                                        ; implicit-def: $vgpr9
	s_branch .LBB55_2020
.LBB55_2016:
	s_mov_b64 s[0:1], -1
                                        ; implicit-def: $vgpr9
.LBB55_2017:
	s_andn2_b64 vcc, exec, s[0:1]
	s_cbranch_vccnz .LBB55_2019
; %bb.2018:
	global_load_dword v9, v[0:1], off
	s_movk_i32 s0, 0x7fff
	v_mov_b32_e32 v12, 0x7fc0
	s_waitcnt vmcnt(0)
	v_bfe_u32 v13, v9, 16, 1
	v_add3_u32 v13, v9, v13, s0
	v_lshrrev_b32_e32 v13, 16, v13
	v_cmp_o_f32_e32 vcc, v9, v9
	v_cndmask_b32_e32 v9, v12, v13, vcc
.LBB55_2019:
	s_mov_b64 s[0:1], 0
.LBB55_2020:
	s_andn2_b64 vcc, exec, s[0:1]
	s_cbranch_vccnz .LBB55_2022
; %bb.2021:
	global_load_dword v9, v[0:1], off
	s_movk_i32 s0, 0x7fff
	v_mov_b32_e32 v13, 0x7fc0
	s_waitcnt vmcnt(0)
	v_cvt_f32_f16_e32 v12, v9
	v_cmp_o_f16_e32 vcc, v9, v9
	v_bfe_u32 v14, v12, 16, 1
	v_add3_u32 v12, v12, v14, s0
	v_lshrrev_b32_e32 v12, 16, v12
	v_cndmask_b32_e32 v9, v13, v12, vcc
.LBB55_2022:
	s_mov_b64 s[0:1], 0
.LBB55_2023:
	s_andn2_b64 vcc, exec, s[0:1]
	s_cbranch_vccnz .LBB55_2034
; %bb.2024:
	v_mov_b32_e32 v9, 6
	v_cmp_lt_i16_sdwa s[0:1], v4, v9 src0_sel:BYTE_0 src1_sel:DWORD
	s_and_b64 vcc, exec, s[0:1]
	s_cbranch_vccnz .LBB55_2027
; %bb.2025:
	v_cmp_gt_i16_sdwa s[0:1], v4, v9 src0_sel:BYTE_0 src1_sel:DWORD
	s_and_b64 vcc, exec, s[0:1]
	s_cbranch_vccz .LBB55_2028
; %bb.2026:
	global_load_dwordx2 v[12:13], v[0:1], off
	s_movk_i32 s0, 0x7fff
	v_mov_b32_e32 v9, 0x7fc0
	s_waitcnt vmcnt(0)
	v_cvt_f32_f64_e32 v12, v[12:13]
	v_bfe_u32 v13, v12, 16, 1
	v_add3_u32 v13, v12, v13, s0
	v_lshrrev_b32_e32 v13, 16, v13
	v_cmp_o_f32_e32 vcc, v12, v12
	v_cndmask_b32_e32 v9, v9, v13, vcc
	s_mov_b64 s[0:1], 0
	s_branch .LBB55_2029
.LBB55_2027:
	s_mov_b64 s[0:1], -1
                                        ; implicit-def: $vgpr9
	s_branch .LBB55_2032
.LBB55_2028:
	s_mov_b64 s[0:1], -1
                                        ; implicit-def: $vgpr9
.LBB55_2029:
	s_andn2_b64 vcc, exec, s[0:1]
	s_cbranch_vccnz .LBB55_2031
; %bb.2030:
	global_load_dword v9, v[0:1], off
	s_movk_i32 s0, 0x7fff
	v_mov_b32_e32 v12, 0x7fc0
	s_waitcnt vmcnt(0)
	v_bfe_u32 v13, v9, 16, 1
	v_add3_u32 v13, v9, v13, s0
	v_lshrrev_b32_e32 v13, 16, v13
	v_cmp_o_f32_e32 vcc, v9, v9
	v_cndmask_b32_e32 v9, v12, v13, vcc
.LBB55_2031:
	s_mov_b64 s[0:1], 0
.LBB55_2032:
	s_andn2_b64 vcc, exec, s[0:1]
	s_cbranch_vccnz .LBB55_2034
; %bb.2033:
	global_load_ushort v9, v[0:1], off
	s_movk_i32 s0, 0x7fff
	v_mov_b32_e32 v13, 0x7fc0
	s_waitcnt vmcnt(0)
	v_cvt_f32_f16_e32 v12, v9
	v_cmp_o_f16_e32 vcc, v9, v9
	v_bfe_u32 v14, v12, 16, 1
	v_add3_u32 v12, v12, v14, s0
	v_lshrrev_b32_e32 v12, 16, v12
	v_cndmask_b32_e32 v9, v13, v12, vcc
.LBB55_2034:
	s_mov_b64 s[0:1], 0
.LBB55_2035:
	s_andn2_b64 vcc, exec, s[0:1]
	s_cbranch_vccnz .LBB55_2055
; %bb.2036:
	v_mov_b32_e32 v9, 2
	v_cmp_lt_i16_sdwa s[0:1], v4, v9 src0_sel:BYTE_0 src1_sel:DWORD
	s_and_b64 vcc, exec, s[0:1]
	s_cbranch_vccnz .LBB55_2040
; %bb.2037:
	v_mov_b32_e32 v9, 3
	v_cmp_lt_i16_sdwa s[0:1], v4, v9 src0_sel:BYTE_0 src1_sel:DWORD
	s_and_b64 vcc, exec, s[0:1]
	s_cbranch_vccnz .LBB55_2041
; %bb.2038:
	v_cmp_gt_i16_sdwa s[0:1], v4, v9 src0_sel:BYTE_0 src1_sel:DWORD
	s_and_b64 vcc, exec, s[0:1]
	s_cbranch_vccz .LBB55_2042
; %bb.2039:
	global_load_dwordx2 v[12:13], v[0:1], off
	s_movk_i32 s0, 0x7fff
	s_waitcnt vmcnt(0)
	v_xor_b32_e32 v14, v12, v13
	v_ffbh_i32_e32 v9, v13
	v_ashrrev_i32_e32 v14, 31, v14
	v_add_u32_e32 v9, -1, v9
	v_add_u32_e32 v14, 32, v14
	v_min_u32_e32 v9, v9, v14
	v_lshlrev_b64 v[12:13], v9, v[12:13]
	v_min_u32_e32 v12, 1, v12
	v_or_b32_e32 v12, v13, v12
	v_cvt_f32_i32_e32 v12, v12
	v_sub_u32_e32 v9, 32, v9
	v_ldexp_f32 v9, v12, v9
	v_bfe_u32 v12, v9, 16, 1
	v_add3_u32 v9, v9, v12, s0
	v_lshrrev_b32_e32 v9, 16, v9
	s_mov_b64 s[0:1], 0
	s_branch .LBB55_2043
.LBB55_2040:
	s_mov_b64 s[0:1], -1
                                        ; implicit-def: $vgpr9
	s_branch .LBB55_2049
.LBB55_2041:
	s_mov_b64 s[0:1], -1
                                        ; implicit-def: $vgpr9
	s_branch .LBB55_2046
.LBB55_2042:
	s_mov_b64 s[0:1], -1
                                        ; implicit-def: $vgpr9
.LBB55_2043:
	s_andn2_b64 vcc, exec, s[0:1]
	s_cbranch_vccnz .LBB55_2045
; %bb.2044:
	global_load_dword v9, v[0:1], off
	s_movk_i32 s0, 0x7fff
	s_waitcnt vmcnt(0)
	v_cvt_f32_i32_e32 v9, v9
	v_bfe_u32 v12, v9, 16, 1
	v_add3_u32 v9, v9, v12, s0
	v_lshrrev_b32_e32 v9, 16, v9
.LBB55_2045:
	s_mov_b64 s[0:1], 0
.LBB55_2046:
	s_andn2_b64 vcc, exec, s[0:1]
	s_cbranch_vccnz .LBB55_2048
; %bb.2047:
	global_load_sshort v9, v[0:1], off
	s_movk_i32 s0, 0x7fff
	s_waitcnt vmcnt(0)
	v_cvt_f32_i32_e32 v9, v9
	v_bfe_u32 v12, v9, 16, 1
	v_add3_u32 v9, v9, v12, s0
	v_lshrrev_b32_e32 v9, 16, v9
.LBB55_2048:
	s_mov_b64 s[0:1], 0
.LBB55_2049:
	s_andn2_b64 vcc, exec, s[0:1]
	s_cbranch_vccnz .LBB55_2055
; %bb.2050:
	v_mov_b32_e32 v9, 0
	v_cmp_gt_i16_sdwa s[0:1], v4, v9 src0_sel:BYTE_0 src1_sel:DWORD
	s_and_b64 vcc, exec, s[0:1]
	s_cbranch_vccz .LBB55_2052
; %bb.2051:
	global_load_sbyte v9, v[0:1], off
	s_movk_i32 s0, 0x7fff
	s_waitcnt vmcnt(0)
	v_cvt_f32_i32_e32 v9, v9
	v_bfe_u32 v12, v9, 16, 1
	v_add3_u32 v9, v9, v12, s0
	v_lshrrev_b32_e32 v9, 16, v9
	s_mov_b64 s[0:1], 0
	s_branch .LBB55_2053
.LBB55_2052:
	s_mov_b64 s[0:1], -1
                                        ; implicit-def: $vgpr9
.LBB55_2053:
	s_andn2_b64 vcc, exec, s[0:1]
	s_cbranch_vccnz .LBB55_2055
; %bb.2054:
	global_load_ubyte v0, v[0:1], off
	s_movk_i32 s0, 0x7fff
	s_waitcnt vmcnt(0)
	v_cvt_f32_ubyte0_e32 v0, v0
	v_bfe_u32 v1, v0, 16, 1
	v_add3_u32 v0, v0, v1, s0
	v_lshrrev_b32_e32 v9, 16, v0
.LBB55_2055:
	s_mov_b64 s[16:17], -1
.LBB55_2056:
	s_andn2_b64 vcc, exec, s[16:17]
	s_cbranch_vccnz .LBB55_3032
; %bb.2057:
	v_add_u32_e32 v12, s13, v10
	v_ashrrev_i32_e32 v1, 31, v12
	v_mov_b32_e32 v10, s11
	v_add_co_u32_e32 v0, vcc, s10, v12
	v_addc_co_u32_e32 v1, vcc, v10, v1, vcc
	v_mov_b32_e32 v10, 11
	v_cmp_lt_i16_sdwa s[0:1], v5, v10 src0_sel:BYTE_0 src1_sel:DWORD
	s_and_b64 vcc, exec, s[0:1]
	s_cbranch_vccnz .LBB55_2064
; %bb.2058:
	v_mov_b32_e32 v10, 25
	v_cmp_gt_i16_sdwa s[0:1], v5, v10 src0_sel:BYTE_0 src1_sel:DWORD
	s_mov_b64 s[14:15], 0
	s_and_b64 vcc, exec, s[0:1]
	s_cbranch_vccz .LBB55_2065
; %bb.2059:
	v_mov_b32_e32 v10, 28
	v_cmp_gt_i16_sdwa s[0:1], v5, v10 src0_sel:BYTE_0 src1_sel:DWORD
	s_and_b64 vcc, exec, s[0:1]
	s_cbranch_vccz .LBB55_2066
; %bb.2060:
	v_mov_b32_e32 v10, 43
	v_cmp_gt_i16_sdwa s[0:1], v5, v10 src0_sel:BYTE_0 src1_sel:DWORD
	;; [unrolled: 5-line block ×3, first 2 shown]
	s_and_b64 vcc, exec, s[0:1]
	s_cbranch_vccz .LBB55_2069
; %bb.2062:
	v_mov_b32_e32 v10, 46
	v_cmp_eq_u16_sdwa s[0:1], v5, v10 src0_sel:BYTE_0 src1_sel:DWORD
	s_mov_b64 s[20:21], 0
	s_and_b64 vcc, exec, s[0:1]
	s_cbranch_vccz .LBB55_2070
; %bb.2063:
	global_load_dword v10, v[0:1], off
	s_mov_b64 s[0:1], 0
	s_mov_b64 s[16:17], -1
	s_branch .LBB55_2071
.LBB55_2064:
	s_mov_b64 s[0:1], -1
	s_mov_b64 s[16:17], 0
                                        ; implicit-def: $vgpr10
	s_branch .LBB55_2137
.LBB55_2065:
	s_mov_b64 s[20:21], -1
	s_mov_b64 s[16:17], 0
	s_mov_b64 s[0:1], 0
                                        ; implicit-def: $vgpr10
	s_branch .LBB55_2100
.LBB55_2066:
	s_mov_b64 s[20:21], -1
	s_mov_b64 s[16:17], 0
	s_mov_b64 s[0:1], 0
                                        ; implicit-def: $vgpr10
	s_branch .LBB55_2081
.LBB55_2067:
	s_mov_b64 s[20:21], -1
	s_mov_b64 s[16:17], 0
	s_mov_b64 s[0:1], 0
                                        ; implicit-def: $vgpr10
	s_branch .LBB55_2076
.LBB55_2068:
	s_trap 2
	s_or_b64 s[18:19], s[18:19], exec
                                        ; implicit-def: $vgpr9
	s_cbranch_execz .LBB55_2005
	s_branch .LBB55_2006
.LBB55_2069:
	s_mov_b64 s[20:21], -1
	s_mov_b64 s[16:17], 0
	s_mov_b64 s[0:1], 0
                                        ; implicit-def: $vgpr10
	s_branch .LBB55_2071
.LBB55_2070:
	s_mov_b64 s[0:1], -1
                                        ; implicit-def: $vgpr10
	s_mov_b64 s[16:17], 0
.LBB55_2071:
	s_and_b64 vcc, exec, s[20:21]
	s_cbranch_vccz .LBB55_2075
; %bb.2072:
	s_waitcnt vmcnt(0)
	v_mov_b32_e32 v10, 44
	v_cmp_eq_u16_sdwa s[0:1], v5, v10 src0_sel:BYTE_0 src1_sel:DWORD
	s_and_b64 vcc, exec, s[0:1]
	s_cbranch_vccz .LBB55_2074
; %bb.2073:
	global_load_ubyte v10, v[0:1], off
	s_movk_i32 s16, 0xff
	v_mov_b32_e32 v13, 0x7f800001
	v_mov_b32_e32 v14, 0x400000
	;; [unrolled: 1-line block ×3, first 2 shown]
	s_mov_b64 s[0:1], 0
	s_waitcnt vmcnt(0)
	v_lshlrev_b32_e32 v16, 23, v10
	v_cmp_ne_u32_e32 vcc, s16, v10
	v_cndmask_b32_e32 v13, v13, v16, vcc
	v_cmp_ne_u32_e32 vcc, 0, v10
	v_cndmask_b32_e32 v10, v14, v13, vcc
	v_add_u32_e32 v13, 0x7fff, v10
	v_lshrrev_b32_e32 v13, 16, v13
	v_cmp_o_f32_e32 vcc, v10, v10
	v_cndmask_b32_e32 v10, v15, v13, vcc
	s_mov_b64 s[16:17], -1
	s_branch .LBB55_2075
.LBB55_2074:
	s_mov_b64 s[0:1], -1
                                        ; implicit-def: $vgpr10
.LBB55_2075:
	s_mov_b64 s[20:21], 0
.LBB55_2076:
	s_and_b64 vcc, exec, s[20:21]
	s_cbranch_vccz .LBB55_2080
; %bb.2077:
	s_waitcnt vmcnt(0)
	v_mov_b32_e32 v10, 29
	v_cmp_eq_u16_sdwa s[0:1], v5, v10 src0_sel:BYTE_0 src1_sel:DWORD
	s_and_b64 vcc, exec, s[0:1]
	s_cbranch_vccz .LBB55_2079
; %bb.2078:
	global_load_dwordx2 v[14:15], v[0:1], off
	s_movk_i32 s16, 0x7fff
	s_mov_b64 s[0:1], 0
	s_mov_b64 s[20:21], 0
	s_waitcnt vmcnt(0)
	v_ffbh_u32_e32 v10, v15
	v_min_u32_e32 v10, 32, v10
	v_lshlrev_b64 v[14:15], v10, v[14:15]
	v_min_u32_e32 v13, 1, v14
	v_or_b32_e32 v13, v15, v13
	v_cvt_f32_u32_e32 v13, v13
	v_sub_u32_e32 v10, 32, v10
	v_ldexp_f32 v10, v13, v10
	v_bfe_u32 v13, v10, 16, 1
	v_add3_u32 v10, v10, v13, s16
	v_lshrrev_b32_e32 v10, 16, v10
	s_mov_b64 s[16:17], -1
	s_branch .LBB55_2081
.LBB55_2079:
	s_mov_b64 s[0:1], -1
                                        ; implicit-def: $vgpr10
.LBB55_2080:
	s_mov_b64 s[20:21], 0
.LBB55_2081:
	s_and_b64 vcc, exec, s[20:21]
	s_cbranch_vccz .LBB55_2099
; %bb.2082:
	s_waitcnt vmcnt(0)
	v_mov_b32_e32 v10, 27
	v_cmp_lt_i16_sdwa s[16:17], v5, v10 src0_sel:BYTE_0 src1_sel:DWORD
	s_and_b64 vcc, exec, s[16:17]
	s_cbranch_vccnz .LBB55_2085
; %bb.2083:
	v_cmp_gt_i16_sdwa s[16:17], v5, v10 src0_sel:BYTE_0 src1_sel:DWORD
	s_and_b64 vcc, exec, s[16:17]
	s_cbranch_vccz .LBB55_2086
; %bb.2084:
	global_load_dword v10, v[0:1], off
	s_movk_i32 s16, 0x7fff
	s_waitcnt vmcnt(0)
	v_cvt_f32_u32_e32 v10, v10
	v_bfe_u32 v13, v10, 16, 1
	v_add3_u32 v10, v10, v13, s16
	v_lshrrev_b32_e32 v10, 16, v10
	s_mov_b64 s[16:17], 0
	s_branch .LBB55_2087
.LBB55_2085:
	s_mov_b64 s[16:17], -1
                                        ; implicit-def: $vgpr10
	s_branch .LBB55_2090
.LBB55_2086:
	s_mov_b64 s[16:17], -1
                                        ; implicit-def: $vgpr10
.LBB55_2087:
	s_andn2_b64 vcc, exec, s[16:17]
	s_cbranch_vccnz .LBB55_2089
; %bb.2088:
	global_load_ushort v10, v[0:1], off
	s_movk_i32 s16, 0x7fff
	s_waitcnt vmcnt(0)
	v_cvt_f32_u32_e32 v10, v10
	v_bfe_u32 v13, v10, 16, 1
	v_add3_u32 v10, v10, v13, s16
	v_lshrrev_b32_e32 v10, 16, v10
.LBB55_2089:
	s_mov_b64 s[16:17], 0
.LBB55_2090:
	s_andn2_b64 vcc, exec, s[16:17]
	s_cbranch_vccnz .LBB55_2098
; %bb.2091:
	global_load_ubyte v10, v[0:1], off
	s_movk_i32 s16, 0x7f
                                        ; implicit-def: $sgpr25
	s_waitcnt vmcnt(0)
	v_cmp_lt_i16_e32 vcc, s16, v10
	s_mov_b64 s[16:17], 0
	s_and_saveexec_b64 s[20:21], vcc
	s_xor_b64 s[20:21], exec, s[20:21]
	s_cbranch_execz .LBB55_2112
; %bb.2092:
	s_movk_i32 s16, 0x80
	v_cmp_eq_u16_e32 vcc, s16, v10
	s_mov_b64 s[16:17], -1
                                        ; implicit-def: $sgpr25
	s_and_saveexec_b64 s[22:23], vcc
; %bb.2093:
	s_mov_b32 s25, 0x7f800001
	s_xor_b64 s[16:17], exec, -1
; %bb.2094:
	s_or_b64 exec, exec, s[22:23]
	s_and_b64 s[16:17], s[16:17], exec
	s_or_saveexec_b64 s[20:21], s[20:21]
	v_mov_b32_e32 v13, s25
	s_xor_b64 exec, exec, s[20:21]
	s_cbranch_execnz .LBB55_2113
.LBB55_2095:
	s_or_b64 exec, exec, s[20:21]
	s_and_saveexec_b64 s[20:21], s[16:17]
	s_cbranch_execz .LBB55_2097
.LBB55_2096:
	v_lshlrev_b32_e32 v13, 24, v10
	v_and_b32_e32 v10, 0xffff, v10
	v_and_b32_e32 v14, 7, v10
	v_ffbh_u32_e32 v16, v14
	v_min_u32_e32 v16, 32, v16
	v_subrev_u32_e32 v17, 28, v16
	v_bfe_u32 v15, v10, 3, 4
	v_lshlrev_b32_e32 v10, v17, v10
	v_sub_u32_e32 v16, 29, v16
	v_and_b32_e32 v10, 7, v10
	v_cmp_eq_u32_e32 vcc, 0, v15
	v_cndmask_b32_e32 v15, v15, v16, vcc
	v_cndmask_b32_e32 v10, v14, v10, vcc
	v_mov_b32_e32 v14, 0x3b800000
	v_lshlrev_b32_e32 v10, 20, v10
	v_and_b32_e32 v13, 0x80000000, v13
	v_lshl_add_u32 v14, v15, 23, v14
	v_or3_b32 v13, v13, v14, v10
.LBB55_2097:
	s_or_b64 exec, exec, s[20:21]
	v_bfe_u32 v10, v13, 16, 1
	s_movk_i32 s16, 0x7fff
	v_add3_u32 v10, v13, v10, s16
	v_lshrrev_b32_e32 v10, 16, v10
	v_mov_b32_e32 v14, 0x7fc0
	v_cmp_o_f32_e32 vcc, v13, v13
	v_cndmask_b32_e32 v10, v14, v10, vcc
.LBB55_2098:
	s_mov_b64 s[16:17], -1
.LBB55_2099:
	s_mov_b64 s[20:21], 0
.LBB55_2100:
	s_and_b64 vcc, exec, s[20:21]
	s_cbranch_vccz .LBB55_2133
; %bb.2101:
	s_waitcnt vmcnt(0)
	v_mov_b32_e32 v10, 22
	v_cmp_gt_i16_sdwa s[14:15], v5, v10 src0_sel:BYTE_0 src1_sel:DWORD
	s_and_b64 vcc, exec, s[14:15]
	s_cbranch_vccz .LBB55_2111
; %bb.2102:
	v_mov_b32_e32 v10, 24
	v_cmp_lt_i16_sdwa s[14:15], v5, v10 src0_sel:BYTE_0 src1_sel:DWORD
	s_and_b64 vcc, exec, s[14:15]
	s_cbranch_vccnz .LBB55_2114
; %bb.2103:
	v_cmp_gt_i16_sdwa s[14:15], v5, v10 src0_sel:BYTE_0 src1_sel:DWORD
	s_and_b64 vcc, exec, s[14:15]
	s_cbranch_vccz .LBB55_2115
; %bb.2104:
	global_load_ubyte v10, v[0:1], off
	s_movk_i32 s14, 0x7f
                                        ; implicit-def: $sgpr22
	s_waitcnt vmcnt(0)
	v_cmp_lt_i16_e32 vcc, s14, v10
	s_mov_b64 s[14:15], 0
	s_and_saveexec_b64 s[16:17], vcc
	s_xor_b64 s[16:17], exec, s[16:17]
	s_cbranch_execz .LBB55_2127
; %bb.2105:
	s_movk_i32 s14, 0x80
	v_cmp_eq_u16_e32 vcc, s14, v10
	s_mov_b64 s[14:15], -1
                                        ; implicit-def: $sgpr22
	s_and_saveexec_b64 s[20:21], vcc
; %bb.2106:
	s_mov_b32 s22, 0x7f800001
	s_xor_b64 s[14:15], exec, -1
; %bb.2107:
	s_or_b64 exec, exec, s[20:21]
	s_and_b64 s[14:15], s[14:15], exec
	s_or_saveexec_b64 s[16:17], s[16:17]
	v_mov_b32_e32 v13, s22
	s_xor_b64 exec, exec, s[16:17]
	s_cbranch_execnz .LBB55_2128
.LBB55_2108:
	s_or_b64 exec, exec, s[16:17]
	s_and_saveexec_b64 s[16:17], s[14:15]
	s_cbranch_execz .LBB55_2110
.LBB55_2109:
	v_lshlrev_b32_e32 v13, 24, v10
	v_and_b32_e32 v10, 0xffff, v10
	v_and_b32_e32 v14, 3, v10
	v_ffbh_u32_e32 v16, v14
	v_min_u32_e32 v16, 32, v16
	v_subrev_u32_e32 v17, 29, v16
	v_bfe_u32 v15, v10, 2, 5
	v_lshlrev_b32_e32 v10, v17, v10
	v_sub_u32_e32 v16, 30, v16
	v_and_b32_e32 v10, 3, v10
	v_cmp_eq_u32_e32 vcc, 0, v15
	v_cndmask_b32_e32 v15, v15, v16, vcc
	v_cndmask_b32_e32 v10, v14, v10, vcc
	v_mov_b32_e32 v14, 0x37800000
	v_lshlrev_b32_e32 v10, 21, v10
	v_and_b32_e32 v13, 0x80000000, v13
	v_lshl_add_u32 v14, v15, 23, v14
	v_or3_b32 v13, v13, v14, v10
.LBB55_2110:
	s_or_b64 exec, exec, s[16:17]
	v_bfe_u32 v10, v13, 16, 1
	s_movk_i32 s14, 0x7fff
	v_add3_u32 v10, v13, v10, s14
	v_lshrrev_b32_e32 v10, 16, v10
	v_mov_b32_e32 v14, 0x7fc0
	v_cmp_o_f32_e32 vcc, v13, v13
	v_cndmask_b32_e32 v10, v14, v10, vcc
	s_mov_b64 s[14:15], 0
	s_branch .LBB55_2116
.LBB55_2111:
	s_mov_b64 s[14:15], -1
                                        ; implicit-def: $vgpr10
	s_branch .LBB55_2122
.LBB55_2112:
	s_or_saveexec_b64 s[20:21], s[20:21]
	v_mov_b32_e32 v13, s25
	s_xor_b64 exec, exec, s[20:21]
	s_cbranch_execz .LBB55_2095
.LBB55_2113:
	v_cmp_ne_u16_e32 vcc, 0, v10
	s_andn2_b64 s[16:17], s[16:17], exec
	s_and_b64 s[22:23], vcc, exec
	v_mov_b32_e32 v13, 0
	s_or_b64 s[16:17], s[16:17], s[22:23]
	s_or_b64 exec, exec, s[20:21]
	s_and_saveexec_b64 s[20:21], s[16:17]
	s_cbranch_execnz .LBB55_2096
	s_branch .LBB55_2097
.LBB55_2114:
	s_mov_b64 s[14:15], -1
                                        ; implicit-def: $vgpr10
	s_branch .LBB55_2119
.LBB55_2115:
	s_mov_b64 s[14:15], -1
                                        ; implicit-def: $vgpr10
.LBB55_2116:
	s_and_b64 vcc, exec, s[14:15]
	s_cbranch_vccz .LBB55_2118
; %bb.2117:
	global_load_ubyte v10, v[0:1], off
	s_mov_b32 s14, 0x7f800000
	s_brev_b32 s15, 1
	s_movk_i32 s16, 0x7fff
	v_mov_b32_e32 v13, 0x7fc0
	s_waitcnt vmcnt(0)
	v_lshlrev_b32_e32 v10, 24, v10
	v_and_b32_e32 v14, 0x7f000000, v10
	v_ffbh_u32_e32 v15, v14
	v_min_u32_e32 v15, 32, v15
	v_sub_u32_e64 v15, v15, 4 clamp
	v_lshlrev_b32_e32 v17, v15, v14
	v_lshlrev_b32_e32 v15, 23, v15
	v_lshrrev_b32_e32 v17, 4, v17
	v_add_u32_e32 v16, 0x1000000, v14
	v_sub_u32_e32 v15, v17, v15
	v_ashrrev_i32_e32 v16, 8, v16
	v_add_u32_e32 v15, 0x3c000000, v15
	v_and_or_b32 v15, v16, s14, v15
	v_cmp_ne_u32_e32 vcc, 0, v14
	v_cndmask_b32_e32 v14, 0, v15, vcc
	v_and_or_b32 v10, v10, s15, v14
	v_bfe_u32 v14, v14, 16, 1
	v_add3_u32 v14, v10, v14, s16
	v_lshrrev_b32_e32 v14, 16, v14
	v_cmp_o_f32_e32 vcc, v10, v10
	v_cndmask_b32_e32 v10, v13, v14, vcc
.LBB55_2118:
	s_mov_b64 s[14:15], 0
.LBB55_2119:
	s_andn2_b64 vcc, exec, s[14:15]
	s_cbranch_vccnz .LBB55_2121
; %bb.2120:
	global_load_ubyte v10, v[0:1], off
	s_movk_i32 s14, 0x7f00
	s_brev_b32 s15, 16
	s_brev_b32 s16, 1
	s_movk_i32 s17, 0x7fff
	v_mov_b32_e32 v13, 0x7fc0
	s_waitcnt vmcnt(0)
	v_lshlrev_b16_e32 v14, 8, v10
	v_lshlrev_b32_e32 v10, 25, v10
	v_lshrrev_b32_e32 v15, 4, v10
	v_and_or_b32 v16, v14, s14, 0.5
	v_or_b32_e32 v15, 0x70000000, v15
	v_add_f32_e32 v16, -0.5, v16
	v_mul_f32_e32 v15, 0x7800000, v15
	v_cmp_gt_u32_e32 vcc, s15, v10
	v_bfe_i32 v14, v14, 0, 16
	v_cndmask_b32_e32 v10, v15, v16, vcc
	v_and_or_b32 v14, v14, s16, v10
	v_bfe_u32 v10, v10, 16, 1
	v_add3_u32 v10, v14, v10, s17
	v_lshrrev_b32_e32 v10, 16, v10
	v_cmp_o_f32_e32 vcc, v14, v14
	v_cndmask_b32_e32 v10, v13, v10, vcc
.LBB55_2121:
	s_mov_b64 s[14:15], 0
	s_mov_b64 s[16:17], -1
.LBB55_2122:
	s_andn2_b64 vcc, exec, s[14:15]
	s_mov_b64 s[14:15], 0
	s_cbranch_vccnz .LBB55_2133
; %bb.2123:
	v_mov_b32_e32 v10, 14
	v_cmp_gt_i16_sdwa s[14:15], v5, v10 src0_sel:BYTE_0 src1_sel:DWORD
	s_and_b64 vcc, exec, s[14:15]
	s_cbranch_vccz .LBB55_2126
; %bb.2124:
	v_mov_b32_e32 v10, 15
	v_cmp_eq_u16_sdwa s[0:1], v5, v10 src0_sel:BYTE_0 src1_sel:DWORD
	s_and_b64 vcc, exec, s[0:1]
	s_cbranch_vccz .LBB55_2129
; %bb.2125:
	global_load_ushort v10, v[0:1], off
	s_mov_b64 s[0:1], 0
	s_mov_b64 s[16:17], -1
	s_branch .LBB55_2130
.LBB55_2126:
	s_mov_b64 s[20:21], -1
                                        ; implicit-def: $vgpr10
	s_branch .LBB55_2131
.LBB55_2127:
	s_or_saveexec_b64 s[16:17], s[16:17]
	v_mov_b32_e32 v13, s22
	s_xor_b64 exec, exec, s[16:17]
	s_cbranch_execz .LBB55_2108
.LBB55_2128:
	v_cmp_ne_u16_e32 vcc, 0, v10
	s_andn2_b64 s[14:15], s[14:15], exec
	s_and_b64 s[20:21], vcc, exec
	v_mov_b32_e32 v13, 0
	s_or_b64 s[14:15], s[14:15], s[20:21]
	s_or_b64 exec, exec, s[16:17]
	s_and_saveexec_b64 s[16:17], s[14:15]
	s_cbranch_execnz .LBB55_2109
	s_branch .LBB55_2110
.LBB55_2129:
	s_mov_b64 s[0:1], -1
                                        ; implicit-def: $vgpr10
.LBB55_2130:
	s_mov_b64 s[20:21], 0
.LBB55_2131:
	s_mov_b64 s[14:15], 0
	s_and_b64 vcc, exec, s[20:21]
	s_cbranch_vccz .LBB55_2133
; %bb.2132:
	s_waitcnt vmcnt(0)
	v_mov_b32_e32 v10, 11
	v_cmp_ne_u16_sdwa s[0:1], v5, v10 src0_sel:BYTE_0 src1_sel:DWORD
	s_mov_b64 s[14:15], -1
                                        ; implicit-def: $vgpr10
.LBB55_2133:
	s_and_b64 vcc, exec, s[0:1]
	s_cbranch_vccnz .LBB55_2198
; %bb.2134:
	s_andn2_b64 vcc, exec, s[14:15]
	s_cbranch_vccnz .LBB55_2136
.LBB55_2135:
	global_load_ubyte v10, v[0:1], off
	s_mov_b64 s[16:17], -1
	s_waitcnt vmcnt(0)
	v_cmp_ne_u16_e32 vcc, 0, v10
	v_cndmask_b32_e64 v10, 0, 1.0, vcc
	v_lshrrev_b32_e32 v10, 16, v10
.LBB55_2136:
	s_mov_b64 s[0:1], 0
.LBB55_2137:
	s_and_b64 vcc, exec, s[0:1]
	s_cbranch_vccz .LBB55_2186
; %bb.2138:
	s_waitcnt vmcnt(0)
	v_mov_b32_e32 v10, 5
	v_cmp_lt_i16_sdwa s[0:1], v5, v10 src0_sel:BYTE_0 src1_sel:DWORD
	s_and_b64 vcc, exec, s[0:1]
	s_cbranch_vccnz .LBB55_2143
; %bb.2139:
	v_mov_b32_e32 v10, 8
	v_cmp_lt_i16_sdwa s[0:1], v5, v10 src0_sel:BYTE_0 src1_sel:DWORD
	s_and_b64 vcc, exec, s[0:1]
	s_cbranch_vccnz .LBB55_2144
; %bb.2140:
	;; [unrolled: 5-line block ×3, first 2 shown]
	v_cmp_gt_i16_sdwa s[0:1], v5, v10 src0_sel:BYTE_0 src1_sel:DWORD
	s_and_b64 vcc, exec, s[0:1]
	s_cbranch_vccz .LBB55_2146
; %bb.2142:
	global_load_dwordx2 v[14:15], v[0:1], off
	s_movk_i32 s0, 0x7fff
	v_mov_b32_e32 v10, 0x7fc0
	s_waitcnt vmcnt(0)
	v_cvt_f32_f64_e32 v13, v[14:15]
	v_bfe_u32 v14, v13, 16, 1
	v_add3_u32 v14, v13, v14, s0
	v_lshrrev_b32_e32 v14, 16, v14
	v_cmp_o_f32_e32 vcc, v13, v13
	v_cndmask_b32_e32 v10, v10, v14, vcc
	s_mov_b64 s[0:1], 0
	s_branch .LBB55_2147
.LBB55_2143:
	s_mov_b64 s[0:1], -1
                                        ; implicit-def: $vgpr10
	s_branch .LBB55_2165
.LBB55_2144:
	s_mov_b64 s[0:1], -1
                                        ; implicit-def: $vgpr10
	s_branch .LBB55_2153
.LBB55_2145:
	s_mov_b64 s[0:1], -1
                                        ; implicit-def: $vgpr10
	s_branch .LBB55_2150
.LBB55_2146:
	s_mov_b64 s[0:1], -1
                                        ; implicit-def: $vgpr10
.LBB55_2147:
	s_andn2_b64 vcc, exec, s[0:1]
	s_cbranch_vccnz .LBB55_2149
; %bb.2148:
	global_load_dword v10, v[0:1], off
	s_movk_i32 s0, 0x7fff
	v_mov_b32_e32 v13, 0x7fc0
	s_waitcnt vmcnt(0)
	v_bfe_u32 v14, v10, 16, 1
	v_add3_u32 v14, v10, v14, s0
	v_lshrrev_b32_e32 v14, 16, v14
	v_cmp_o_f32_e32 vcc, v10, v10
	v_cndmask_b32_e32 v10, v13, v14, vcc
.LBB55_2149:
	s_mov_b64 s[0:1], 0
.LBB55_2150:
	s_andn2_b64 vcc, exec, s[0:1]
	s_cbranch_vccnz .LBB55_2152
; %bb.2151:
	global_load_dword v10, v[0:1], off
	s_movk_i32 s0, 0x7fff
	v_mov_b32_e32 v14, 0x7fc0
	s_waitcnt vmcnt(0)
	v_cvt_f32_f16_e32 v13, v10
	v_cmp_o_f16_e32 vcc, v10, v10
	v_bfe_u32 v15, v13, 16, 1
	v_add3_u32 v13, v13, v15, s0
	v_lshrrev_b32_e32 v13, 16, v13
	v_cndmask_b32_e32 v10, v14, v13, vcc
.LBB55_2152:
	s_mov_b64 s[0:1], 0
.LBB55_2153:
	s_andn2_b64 vcc, exec, s[0:1]
	s_cbranch_vccnz .LBB55_2164
; %bb.2154:
	v_mov_b32_e32 v10, 6
	v_cmp_lt_i16_sdwa s[0:1], v5, v10 src0_sel:BYTE_0 src1_sel:DWORD
	s_and_b64 vcc, exec, s[0:1]
	s_cbranch_vccnz .LBB55_2157
; %bb.2155:
	v_cmp_gt_i16_sdwa s[0:1], v5, v10 src0_sel:BYTE_0 src1_sel:DWORD
	s_and_b64 vcc, exec, s[0:1]
	s_cbranch_vccz .LBB55_2158
; %bb.2156:
	global_load_dwordx2 v[14:15], v[0:1], off
	s_movk_i32 s0, 0x7fff
	v_mov_b32_e32 v10, 0x7fc0
	s_waitcnt vmcnt(0)
	v_cvt_f32_f64_e32 v13, v[14:15]
	v_bfe_u32 v14, v13, 16, 1
	v_add3_u32 v14, v13, v14, s0
	v_lshrrev_b32_e32 v14, 16, v14
	v_cmp_o_f32_e32 vcc, v13, v13
	v_cndmask_b32_e32 v10, v10, v14, vcc
	s_mov_b64 s[0:1], 0
	s_branch .LBB55_2159
.LBB55_2157:
	s_mov_b64 s[0:1], -1
                                        ; implicit-def: $vgpr10
	s_branch .LBB55_2162
.LBB55_2158:
	s_mov_b64 s[0:1], -1
                                        ; implicit-def: $vgpr10
.LBB55_2159:
	s_andn2_b64 vcc, exec, s[0:1]
	s_cbranch_vccnz .LBB55_2161
; %bb.2160:
	global_load_dword v10, v[0:1], off
	s_movk_i32 s0, 0x7fff
	v_mov_b32_e32 v13, 0x7fc0
	s_waitcnt vmcnt(0)
	v_bfe_u32 v14, v10, 16, 1
	v_add3_u32 v14, v10, v14, s0
	v_lshrrev_b32_e32 v14, 16, v14
	v_cmp_o_f32_e32 vcc, v10, v10
	v_cndmask_b32_e32 v10, v13, v14, vcc
.LBB55_2161:
	s_mov_b64 s[0:1], 0
.LBB55_2162:
	s_andn2_b64 vcc, exec, s[0:1]
	s_cbranch_vccnz .LBB55_2164
; %bb.2163:
	global_load_ushort v10, v[0:1], off
	s_movk_i32 s0, 0x7fff
	v_mov_b32_e32 v14, 0x7fc0
	s_waitcnt vmcnt(0)
	v_cvt_f32_f16_e32 v13, v10
	v_cmp_o_f16_e32 vcc, v10, v10
	v_bfe_u32 v15, v13, 16, 1
	v_add3_u32 v13, v13, v15, s0
	v_lshrrev_b32_e32 v13, 16, v13
	v_cndmask_b32_e32 v10, v14, v13, vcc
.LBB55_2164:
	s_mov_b64 s[0:1], 0
.LBB55_2165:
	s_andn2_b64 vcc, exec, s[0:1]
	s_cbranch_vccnz .LBB55_2185
; %bb.2166:
	v_mov_b32_e32 v10, 2
	v_cmp_lt_i16_sdwa s[0:1], v5, v10 src0_sel:BYTE_0 src1_sel:DWORD
	s_and_b64 vcc, exec, s[0:1]
	s_cbranch_vccnz .LBB55_2170
; %bb.2167:
	v_mov_b32_e32 v10, 3
	v_cmp_lt_i16_sdwa s[0:1], v5, v10 src0_sel:BYTE_0 src1_sel:DWORD
	s_and_b64 vcc, exec, s[0:1]
	s_cbranch_vccnz .LBB55_2171
; %bb.2168:
	v_cmp_gt_i16_sdwa s[0:1], v5, v10 src0_sel:BYTE_0 src1_sel:DWORD
	s_and_b64 vcc, exec, s[0:1]
	s_cbranch_vccz .LBB55_2172
; %bb.2169:
	global_load_dwordx2 v[14:15], v[0:1], off
	s_movk_i32 s0, 0x7fff
	s_waitcnt vmcnt(0)
	v_xor_b32_e32 v13, v14, v15
	v_ffbh_i32_e32 v10, v15
	v_ashrrev_i32_e32 v13, 31, v13
	v_add_u32_e32 v10, -1, v10
	v_add_u32_e32 v13, 32, v13
	v_min_u32_e32 v10, v10, v13
	v_lshlrev_b64 v[14:15], v10, v[14:15]
	v_min_u32_e32 v13, 1, v14
	v_or_b32_e32 v13, v15, v13
	v_cvt_f32_i32_e32 v13, v13
	v_sub_u32_e32 v10, 32, v10
	v_ldexp_f32 v10, v13, v10
	v_bfe_u32 v13, v10, 16, 1
	v_add3_u32 v10, v10, v13, s0
	v_lshrrev_b32_e32 v10, 16, v10
	s_mov_b64 s[0:1], 0
	s_branch .LBB55_2173
.LBB55_2170:
	s_mov_b64 s[0:1], -1
                                        ; implicit-def: $vgpr10
	s_branch .LBB55_2179
.LBB55_2171:
	s_mov_b64 s[0:1], -1
                                        ; implicit-def: $vgpr10
	s_branch .LBB55_2176
.LBB55_2172:
	s_mov_b64 s[0:1], -1
                                        ; implicit-def: $vgpr10
.LBB55_2173:
	s_andn2_b64 vcc, exec, s[0:1]
	s_cbranch_vccnz .LBB55_2175
; %bb.2174:
	global_load_dword v10, v[0:1], off
	s_movk_i32 s0, 0x7fff
	s_waitcnt vmcnt(0)
	v_cvt_f32_i32_e32 v10, v10
	v_bfe_u32 v13, v10, 16, 1
	v_add3_u32 v10, v10, v13, s0
	v_lshrrev_b32_e32 v10, 16, v10
.LBB55_2175:
	s_mov_b64 s[0:1], 0
.LBB55_2176:
	s_andn2_b64 vcc, exec, s[0:1]
	s_cbranch_vccnz .LBB55_2178
; %bb.2177:
	global_load_sshort v10, v[0:1], off
	s_movk_i32 s0, 0x7fff
	s_waitcnt vmcnt(0)
	v_cvt_f32_i32_e32 v10, v10
	v_bfe_u32 v13, v10, 16, 1
	v_add3_u32 v10, v10, v13, s0
	v_lshrrev_b32_e32 v10, 16, v10
.LBB55_2178:
	s_mov_b64 s[0:1], 0
.LBB55_2179:
	s_andn2_b64 vcc, exec, s[0:1]
	s_cbranch_vccnz .LBB55_2185
; %bb.2180:
	v_mov_b32_e32 v10, 0
	v_cmp_gt_i16_sdwa s[0:1], v5, v10 src0_sel:BYTE_0 src1_sel:DWORD
	s_and_b64 vcc, exec, s[0:1]
	s_cbranch_vccz .LBB55_2182
; %bb.2181:
	global_load_sbyte v10, v[0:1], off
	s_movk_i32 s0, 0x7fff
	s_waitcnt vmcnt(0)
	v_cvt_f32_i32_e32 v10, v10
	v_bfe_u32 v13, v10, 16, 1
	v_add3_u32 v10, v10, v13, s0
	v_lshrrev_b32_e32 v10, 16, v10
	s_mov_b64 s[0:1], 0
	s_branch .LBB55_2183
.LBB55_2182:
	s_mov_b64 s[0:1], -1
                                        ; implicit-def: $vgpr10
.LBB55_2183:
	s_andn2_b64 vcc, exec, s[0:1]
	s_cbranch_vccnz .LBB55_2185
; %bb.2184:
	global_load_ubyte v0, v[0:1], off
	s_movk_i32 s0, 0x7fff
	s_waitcnt vmcnt(0)
	v_cvt_f32_ubyte0_e32 v0, v0
	v_bfe_u32 v1, v0, 16, 1
	v_add3_u32 v0, v0, v1, s0
	v_lshrrev_b32_e32 v10, 16, v0
.LBB55_2185:
	s_mov_b64 s[16:17], -1
.LBB55_2186:
	s_andn2_b64 vcc, exec, s[16:17]
	s_cbranch_vccnz .LBB55_3032
; %bb.2187:
	v_add_u32_e32 v13, s24, v11
	v_ashrrev_i32_e32 v1, 31, v13
	v_mov_b32_e32 v11, s3
	v_add_co_u32_e32 v0, vcc, s2, v13
	v_addc_co_u32_e32 v1, vcc, v11, v1, vcc
	v_mov_b32_e32 v11, 11
	v_cmp_lt_i16_sdwa s[0:1], v4, v11 src0_sel:BYTE_0 src1_sel:DWORD
	s_and_b64 vcc, exec, s[0:1]
	s_cbranch_vccnz .LBB55_2194
; %bb.2188:
	v_mov_b32_e32 v11, 25
	v_cmp_gt_i16_sdwa s[0:1], v4, v11 src0_sel:BYTE_0 src1_sel:DWORD
	s_mov_b64 s[14:15], 0
	s_and_b64 vcc, exec, s[0:1]
	s_cbranch_vccz .LBB55_2195
; %bb.2189:
	v_mov_b32_e32 v11, 28
	v_cmp_gt_i16_sdwa s[0:1], v4, v11 src0_sel:BYTE_0 src1_sel:DWORD
	s_and_b64 vcc, exec, s[0:1]
	s_cbranch_vccz .LBB55_2196
; %bb.2190:
	v_mov_b32_e32 v11, 43
	v_cmp_gt_i16_sdwa s[0:1], v4, v11 src0_sel:BYTE_0 src1_sel:DWORD
	;; [unrolled: 5-line block ×3, first 2 shown]
	s_and_b64 vcc, exec, s[0:1]
	s_cbranch_vccz .LBB55_2199
; %bb.2192:
	v_mov_b32_e32 v11, 46
	v_cmp_eq_u16_sdwa s[0:1], v4, v11 src0_sel:BYTE_0 src1_sel:DWORD
	s_mov_b64 s[20:21], 0
	s_and_b64 vcc, exec, s[0:1]
	s_cbranch_vccz .LBB55_2202
; %bb.2193:
	global_load_dword v11, v[0:1], off
	s_mov_b64 s[0:1], 0
	s_mov_b64 s[16:17], -1
	s_branch .LBB55_2203
.LBB55_2194:
	s_mov_b64 s[0:1], -1
	s_mov_b64 s[16:17], 0
                                        ; implicit-def: $vgpr11
	s_branch .LBB55_2269
.LBB55_2195:
	s_mov_b64 s[20:21], -1
	s_mov_b64 s[16:17], 0
	s_mov_b64 s[0:1], 0
                                        ; implicit-def: $vgpr11
	s_branch .LBB55_2232
.LBB55_2196:
	s_mov_b64 s[20:21], -1
	s_mov_b64 s[16:17], 0
	s_mov_b64 s[0:1], 0
                                        ; implicit-def: $vgpr11
	s_branch .LBB55_2213
.LBB55_2197:
	s_mov_b64 s[20:21], -1
	s_mov_b64 s[16:17], 0
	s_mov_b64 s[0:1], 0
                                        ; implicit-def: $vgpr11
	s_branch .LBB55_2208
.LBB55_2198:
	s_trap 2
	s_or_b64 s[18:19], s[18:19], exec
                                        ; implicit-def: $vgpr10
	s_cbranch_execz .LBB55_2135
	s_branch .LBB55_2136
.LBB55_2199:
	s_mov_b64 s[20:21], -1
	s_mov_b64 s[16:17], 0
	s_mov_b64 s[0:1], 0
                                        ; implicit-def: $vgpr11
	s_branch .LBB55_2203
.LBB55_2200:
	s_or_saveexec_b64 s[44:45], s[44:45]
                                        ; implicit-def: $sgpr15
	s_xor_b64 exec, exec, s[44:45]
	s_cbranch_execz .LBB55_1085
.LBB55_2201:
	s_mov_b32 s15, 0x42800000
	v_add_f32_e64 v8, |v9|, s15
	v_and_b32_e32 v8, 0xff, v8
	v_cmp_ne_u32_e32 vcc, 0, v8
	s_andn2_b64 s[42:43], s[42:43], exec
	s_and_b64 s[46:47], vcc, exec
	s_mov_b32 s15, 0
	s_or_b64 s[42:43], s[42:43], s[46:47]
	s_or_b64 exec, exec, s[44:45]
	v_mov_b32_e32 v10, s15
	s_and_saveexec_b64 s[44:45], s[42:43]
	s_cbranch_execnz .LBB55_1086
	s_branch .LBB55_1087
.LBB55_2202:
	s_mov_b64 s[0:1], -1
                                        ; implicit-def: $vgpr11
	s_mov_b64 s[16:17], 0
.LBB55_2203:
	s_and_b64 vcc, exec, s[20:21]
	s_cbranch_vccz .LBB55_2207
; %bb.2204:
	s_waitcnt vmcnt(0)
	v_mov_b32_e32 v11, 44
	v_cmp_eq_u16_sdwa s[0:1], v4, v11 src0_sel:BYTE_0 src1_sel:DWORD
	s_and_b64 vcc, exec, s[0:1]
	s_cbranch_vccz .LBB55_2206
; %bb.2205:
	global_load_ubyte v11, v[0:1], off
	s_movk_i32 s16, 0xff
	v_mov_b32_e32 v14, 0x7f800001
	v_mov_b32_e32 v15, 0x400000
	;; [unrolled: 1-line block ×3, first 2 shown]
	s_mov_b64 s[0:1], 0
	s_waitcnt vmcnt(0)
	v_lshlrev_b32_e32 v17, 23, v11
	v_cmp_ne_u32_e32 vcc, s16, v11
	v_cndmask_b32_e32 v14, v14, v17, vcc
	v_cmp_ne_u32_e32 vcc, 0, v11
	v_cndmask_b32_e32 v11, v15, v14, vcc
	v_add_u32_e32 v14, 0x7fff, v11
	v_lshrrev_b32_e32 v14, 16, v14
	v_cmp_o_f32_e32 vcc, v11, v11
	v_cndmask_b32_e32 v11, v16, v14, vcc
	s_mov_b64 s[16:17], -1
	s_branch .LBB55_2207
.LBB55_2206:
	s_mov_b64 s[0:1], -1
                                        ; implicit-def: $vgpr11
.LBB55_2207:
	s_mov_b64 s[20:21], 0
.LBB55_2208:
	s_and_b64 vcc, exec, s[20:21]
	s_cbranch_vccz .LBB55_2212
; %bb.2209:
	s_waitcnt vmcnt(0)
	v_mov_b32_e32 v11, 29
	v_cmp_eq_u16_sdwa s[0:1], v4, v11 src0_sel:BYTE_0 src1_sel:DWORD
	s_and_b64 vcc, exec, s[0:1]
	s_cbranch_vccz .LBB55_2211
; %bb.2210:
	global_load_dwordx2 v[14:15], v[0:1], off
	s_movk_i32 s16, 0x7fff
	s_mov_b64 s[0:1], 0
	s_mov_b64 s[20:21], 0
	s_waitcnt vmcnt(0)
	v_ffbh_u32_e32 v11, v15
	v_min_u32_e32 v11, 32, v11
	v_lshlrev_b64 v[14:15], v11, v[14:15]
	v_min_u32_e32 v14, 1, v14
	v_or_b32_e32 v14, v15, v14
	v_cvt_f32_u32_e32 v14, v14
	v_sub_u32_e32 v11, 32, v11
	v_ldexp_f32 v11, v14, v11
	v_bfe_u32 v14, v11, 16, 1
	v_add3_u32 v11, v11, v14, s16
	v_lshrrev_b32_e32 v11, 16, v11
	s_mov_b64 s[16:17], -1
	s_branch .LBB55_2213
.LBB55_2211:
	s_mov_b64 s[0:1], -1
                                        ; implicit-def: $vgpr11
.LBB55_2212:
	s_mov_b64 s[20:21], 0
.LBB55_2213:
	s_and_b64 vcc, exec, s[20:21]
	s_cbranch_vccz .LBB55_2231
; %bb.2214:
	s_waitcnt vmcnt(0)
	v_mov_b32_e32 v11, 27
	v_cmp_lt_i16_sdwa s[16:17], v4, v11 src0_sel:BYTE_0 src1_sel:DWORD
	s_and_b64 vcc, exec, s[16:17]
	s_cbranch_vccnz .LBB55_2217
; %bb.2215:
	v_cmp_gt_i16_sdwa s[16:17], v4, v11 src0_sel:BYTE_0 src1_sel:DWORD
	s_and_b64 vcc, exec, s[16:17]
	s_cbranch_vccz .LBB55_2218
; %bb.2216:
	global_load_dword v11, v[0:1], off
	s_movk_i32 s16, 0x7fff
	s_waitcnt vmcnt(0)
	v_cvt_f32_u32_e32 v11, v11
	v_bfe_u32 v14, v11, 16, 1
	v_add3_u32 v11, v11, v14, s16
	v_lshrrev_b32_e32 v11, 16, v11
	s_mov_b64 s[16:17], 0
	s_branch .LBB55_2219
.LBB55_2217:
	s_mov_b64 s[16:17], -1
                                        ; implicit-def: $vgpr11
	s_branch .LBB55_2222
.LBB55_2218:
	s_mov_b64 s[16:17], -1
                                        ; implicit-def: $vgpr11
.LBB55_2219:
	s_andn2_b64 vcc, exec, s[16:17]
	s_cbranch_vccnz .LBB55_2221
; %bb.2220:
	global_load_ushort v11, v[0:1], off
	s_movk_i32 s16, 0x7fff
	s_waitcnt vmcnt(0)
	v_cvt_f32_u32_e32 v11, v11
	v_bfe_u32 v14, v11, 16, 1
	v_add3_u32 v11, v11, v14, s16
	v_lshrrev_b32_e32 v11, 16, v11
.LBB55_2221:
	s_mov_b64 s[16:17], 0
.LBB55_2222:
	s_andn2_b64 vcc, exec, s[16:17]
	s_cbranch_vccnz .LBB55_2230
; %bb.2223:
	global_load_ubyte v11, v[0:1], off
	s_movk_i32 s16, 0x7f
                                        ; implicit-def: $sgpr25
	s_waitcnt vmcnt(0)
	v_cmp_lt_i16_e32 vcc, s16, v11
	s_mov_b64 s[16:17], 0
	s_and_saveexec_b64 s[20:21], vcc
	s_xor_b64 s[20:21], exec, s[20:21]
	s_cbranch_execz .LBB55_2244
; %bb.2224:
	s_movk_i32 s16, 0x80
	v_cmp_eq_u16_e32 vcc, s16, v11
	s_mov_b64 s[16:17], -1
                                        ; implicit-def: $sgpr25
	s_and_saveexec_b64 s[22:23], vcc
; %bb.2225:
	s_mov_b32 s25, 0x7f800001
	s_xor_b64 s[16:17], exec, -1
; %bb.2226:
	s_or_b64 exec, exec, s[22:23]
	s_and_b64 s[16:17], s[16:17], exec
	s_or_saveexec_b64 s[20:21], s[20:21]
	v_mov_b32_e32 v14, s25
	s_xor_b64 exec, exec, s[20:21]
	s_cbranch_execnz .LBB55_2245
.LBB55_2227:
	s_or_b64 exec, exec, s[20:21]
	s_and_saveexec_b64 s[20:21], s[16:17]
	s_cbranch_execz .LBB55_2229
.LBB55_2228:
	v_lshlrev_b32_e32 v14, 24, v11
	v_and_b32_e32 v11, 0xffff, v11
	v_and_b32_e32 v15, 7, v11
	v_ffbh_u32_e32 v17, v15
	v_min_u32_e32 v17, 32, v17
	v_subrev_u32_e32 v18, 28, v17
	v_bfe_u32 v16, v11, 3, 4
	v_lshlrev_b32_e32 v11, v18, v11
	v_sub_u32_e32 v17, 29, v17
	v_and_b32_e32 v11, 7, v11
	v_cmp_eq_u32_e32 vcc, 0, v16
	v_cndmask_b32_e32 v16, v16, v17, vcc
	v_cndmask_b32_e32 v11, v15, v11, vcc
	v_mov_b32_e32 v15, 0x3b800000
	v_lshlrev_b32_e32 v11, 20, v11
	v_and_b32_e32 v14, 0x80000000, v14
	v_lshl_add_u32 v15, v16, 23, v15
	v_or3_b32 v14, v14, v15, v11
.LBB55_2229:
	s_or_b64 exec, exec, s[20:21]
	v_bfe_u32 v11, v14, 16, 1
	s_movk_i32 s16, 0x7fff
	v_add3_u32 v11, v14, v11, s16
	v_lshrrev_b32_e32 v11, 16, v11
	v_mov_b32_e32 v15, 0x7fc0
	v_cmp_o_f32_e32 vcc, v14, v14
	v_cndmask_b32_e32 v11, v15, v11, vcc
.LBB55_2230:
	s_mov_b64 s[16:17], -1
.LBB55_2231:
	s_mov_b64 s[20:21], 0
.LBB55_2232:
	s_and_b64 vcc, exec, s[20:21]
	s_cbranch_vccz .LBB55_2265
; %bb.2233:
	s_waitcnt vmcnt(0)
	v_mov_b32_e32 v11, 22
	v_cmp_gt_i16_sdwa s[14:15], v4, v11 src0_sel:BYTE_0 src1_sel:DWORD
	s_and_b64 vcc, exec, s[14:15]
	s_cbranch_vccz .LBB55_2243
; %bb.2234:
	v_mov_b32_e32 v11, 24
	v_cmp_lt_i16_sdwa s[14:15], v4, v11 src0_sel:BYTE_0 src1_sel:DWORD
	s_and_b64 vcc, exec, s[14:15]
	s_cbranch_vccnz .LBB55_2246
; %bb.2235:
	v_cmp_gt_i16_sdwa s[14:15], v4, v11 src0_sel:BYTE_0 src1_sel:DWORD
	s_and_b64 vcc, exec, s[14:15]
	s_cbranch_vccz .LBB55_2247
; %bb.2236:
	global_load_ubyte v11, v[0:1], off
	s_movk_i32 s14, 0x7f
                                        ; implicit-def: $sgpr22
	s_waitcnt vmcnt(0)
	v_cmp_lt_i16_e32 vcc, s14, v11
	s_mov_b64 s[14:15], 0
	s_and_saveexec_b64 s[16:17], vcc
	s_xor_b64 s[16:17], exec, s[16:17]
	s_cbranch_execz .LBB55_2259
; %bb.2237:
	s_movk_i32 s14, 0x80
	v_cmp_eq_u16_e32 vcc, s14, v11
	s_mov_b64 s[14:15], -1
                                        ; implicit-def: $sgpr22
	s_and_saveexec_b64 s[20:21], vcc
; %bb.2238:
	s_mov_b32 s22, 0x7f800001
	s_xor_b64 s[14:15], exec, -1
; %bb.2239:
	s_or_b64 exec, exec, s[20:21]
	s_and_b64 s[14:15], s[14:15], exec
	s_or_saveexec_b64 s[16:17], s[16:17]
	v_mov_b32_e32 v14, s22
	s_xor_b64 exec, exec, s[16:17]
	s_cbranch_execnz .LBB55_2260
.LBB55_2240:
	s_or_b64 exec, exec, s[16:17]
	s_and_saveexec_b64 s[16:17], s[14:15]
	s_cbranch_execz .LBB55_2242
.LBB55_2241:
	v_lshlrev_b32_e32 v14, 24, v11
	v_and_b32_e32 v11, 0xffff, v11
	v_and_b32_e32 v15, 3, v11
	v_ffbh_u32_e32 v17, v15
	v_min_u32_e32 v17, 32, v17
	v_subrev_u32_e32 v18, 29, v17
	v_bfe_u32 v16, v11, 2, 5
	v_lshlrev_b32_e32 v11, v18, v11
	v_sub_u32_e32 v17, 30, v17
	v_and_b32_e32 v11, 3, v11
	v_cmp_eq_u32_e32 vcc, 0, v16
	v_cndmask_b32_e32 v16, v16, v17, vcc
	v_cndmask_b32_e32 v11, v15, v11, vcc
	v_mov_b32_e32 v15, 0x37800000
	v_lshlrev_b32_e32 v11, 21, v11
	v_and_b32_e32 v14, 0x80000000, v14
	v_lshl_add_u32 v15, v16, 23, v15
	v_or3_b32 v14, v14, v15, v11
.LBB55_2242:
	s_or_b64 exec, exec, s[16:17]
	v_bfe_u32 v11, v14, 16, 1
	s_movk_i32 s14, 0x7fff
	v_add3_u32 v11, v14, v11, s14
	v_lshrrev_b32_e32 v11, 16, v11
	v_mov_b32_e32 v15, 0x7fc0
	v_cmp_o_f32_e32 vcc, v14, v14
	v_cndmask_b32_e32 v11, v15, v11, vcc
	s_mov_b64 s[14:15], 0
	s_branch .LBB55_2248
.LBB55_2243:
	s_mov_b64 s[14:15], -1
                                        ; implicit-def: $vgpr11
	s_branch .LBB55_2254
.LBB55_2244:
	s_or_saveexec_b64 s[20:21], s[20:21]
	v_mov_b32_e32 v14, s25
	s_xor_b64 exec, exec, s[20:21]
	s_cbranch_execz .LBB55_2227
.LBB55_2245:
	v_cmp_ne_u16_e32 vcc, 0, v11
	s_andn2_b64 s[16:17], s[16:17], exec
	s_and_b64 s[22:23], vcc, exec
	v_mov_b32_e32 v14, 0
	s_or_b64 s[16:17], s[16:17], s[22:23]
	s_or_b64 exec, exec, s[20:21]
	s_and_saveexec_b64 s[20:21], s[16:17]
	s_cbranch_execnz .LBB55_2228
	s_branch .LBB55_2229
.LBB55_2246:
	s_mov_b64 s[14:15], -1
                                        ; implicit-def: $vgpr11
	s_branch .LBB55_2251
.LBB55_2247:
	s_mov_b64 s[14:15], -1
                                        ; implicit-def: $vgpr11
.LBB55_2248:
	s_and_b64 vcc, exec, s[14:15]
	s_cbranch_vccz .LBB55_2250
; %bb.2249:
	global_load_ubyte v11, v[0:1], off
	s_mov_b32 s14, 0x7f800000
	s_brev_b32 s15, 1
	s_movk_i32 s16, 0x7fff
	v_mov_b32_e32 v14, 0x7fc0
	s_waitcnt vmcnt(0)
	v_lshlrev_b32_e32 v11, 24, v11
	v_and_b32_e32 v15, 0x7f000000, v11
	v_ffbh_u32_e32 v16, v15
	v_min_u32_e32 v16, 32, v16
	v_sub_u32_e64 v16, v16, 4 clamp
	v_lshlrev_b32_e32 v18, v16, v15
	v_lshlrev_b32_e32 v16, 23, v16
	v_lshrrev_b32_e32 v18, 4, v18
	v_add_u32_e32 v17, 0x1000000, v15
	v_sub_u32_e32 v16, v18, v16
	v_ashrrev_i32_e32 v17, 8, v17
	v_add_u32_e32 v16, 0x3c000000, v16
	v_and_or_b32 v16, v17, s14, v16
	v_cmp_ne_u32_e32 vcc, 0, v15
	v_cndmask_b32_e32 v15, 0, v16, vcc
	v_and_or_b32 v11, v11, s15, v15
	v_bfe_u32 v15, v15, 16, 1
	v_add3_u32 v15, v11, v15, s16
	v_lshrrev_b32_e32 v15, 16, v15
	v_cmp_o_f32_e32 vcc, v11, v11
	v_cndmask_b32_e32 v11, v14, v15, vcc
.LBB55_2250:
	s_mov_b64 s[14:15], 0
.LBB55_2251:
	s_andn2_b64 vcc, exec, s[14:15]
	s_cbranch_vccnz .LBB55_2253
; %bb.2252:
	global_load_ubyte v11, v[0:1], off
	s_movk_i32 s14, 0x7f00
	s_brev_b32 s15, 16
	s_brev_b32 s16, 1
	s_movk_i32 s17, 0x7fff
	v_mov_b32_e32 v14, 0x7fc0
	s_waitcnt vmcnt(0)
	v_lshlrev_b16_e32 v15, 8, v11
	v_lshlrev_b32_e32 v11, 25, v11
	v_lshrrev_b32_e32 v16, 4, v11
	v_and_or_b32 v17, v15, s14, 0.5
	v_or_b32_e32 v16, 0x70000000, v16
	v_add_f32_e32 v17, -0.5, v17
	v_mul_f32_e32 v16, 0x7800000, v16
	v_cmp_gt_u32_e32 vcc, s15, v11
	v_bfe_i32 v15, v15, 0, 16
	v_cndmask_b32_e32 v11, v16, v17, vcc
	v_and_or_b32 v15, v15, s16, v11
	v_bfe_u32 v11, v11, 16, 1
	v_add3_u32 v11, v15, v11, s17
	v_lshrrev_b32_e32 v11, 16, v11
	v_cmp_o_f32_e32 vcc, v15, v15
	v_cndmask_b32_e32 v11, v14, v11, vcc
.LBB55_2253:
	s_mov_b64 s[14:15], 0
	s_mov_b64 s[16:17], -1
.LBB55_2254:
	s_andn2_b64 vcc, exec, s[14:15]
	s_mov_b64 s[14:15], 0
	s_cbranch_vccnz .LBB55_2265
; %bb.2255:
	v_mov_b32_e32 v11, 14
	v_cmp_gt_i16_sdwa s[14:15], v4, v11 src0_sel:BYTE_0 src1_sel:DWORD
	s_and_b64 vcc, exec, s[14:15]
	s_cbranch_vccz .LBB55_2258
; %bb.2256:
	v_mov_b32_e32 v11, 15
	v_cmp_eq_u16_sdwa s[0:1], v4, v11 src0_sel:BYTE_0 src1_sel:DWORD
	s_and_b64 vcc, exec, s[0:1]
	s_cbranch_vccz .LBB55_2261
; %bb.2257:
	global_load_ushort v11, v[0:1], off
	s_mov_b64 s[0:1], 0
	s_mov_b64 s[16:17], -1
	s_branch .LBB55_2262
.LBB55_2258:
	s_mov_b64 s[20:21], -1
                                        ; implicit-def: $vgpr11
	s_branch .LBB55_2263
.LBB55_2259:
	s_or_saveexec_b64 s[16:17], s[16:17]
	v_mov_b32_e32 v14, s22
	s_xor_b64 exec, exec, s[16:17]
	s_cbranch_execz .LBB55_2240
.LBB55_2260:
	v_cmp_ne_u16_e32 vcc, 0, v11
	s_andn2_b64 s[14:15], s[14:15], exec
	s_and_b64 s[20:21], vcc, exec
	v_mov_b32_e32 v14, 0
	s_or_b64 s[14:15], s[14:15], s[20:21]
	s_or_b64 exec, exec, s[16:17]
	s_and_saveexec_b64 s[16:17], s[14:15]
	s_cbranch_execnz .LBB55_2241
	s_branch .LBB55_2242
.LBB55_2261:
	s_mov_b64 s[0:1], -1
                                        ; implicit-def: $vgpr11
.LBB55_2262:
	s_mov_b64 s[20:21], 0
.LBB55_2263:
	s_mov_b64 s[14:15], 0
	s_and_b64 vcc, exec, s[20:21]
	s_cbranch_vccz .LBB55_2265
; %bb.2264:
	s_waitcnt vmcnt(0)
	v_mov_b32_e32 v11, 11
	v_cmp_ne_u16_sdwa s[0:1], v4, v11 src0_sel:BYTE_0 src1_sel:DWORD
	s_mov_b64 s[14:15], -1
                                        ; implicit-def: $vgpr11
.LBB55_2265:
	s_and_b64 vcc, exec, s[0:1]
	s_cbranch_vccnz .LBB55_2330
; %bb.2266:
	s_andn2_b64 vcc, exec, s[14:15]
	s_cbranch_vccnz .LBB55_2268
.LBB55_2267:
	global_load_ubyte v11, v[0:1], off
	s_mov_b64 s[16:17], -1
	s_waitcnt vmcnt(0)
	v_cmp_ne_u16_e32 vcc, 0, v11
	v_cndmask_b32_e64 v11, 0, 1.0, vcc
	v_lshrrev_b32_e32 v11, 16, v11
.LBB55_2268:
	s_mov_b64 s[0:1], 0
.LBB55_2269:
	s_and_b64 vcc, exec, s[0:1]
	s_cbranch_vccz .LBB55_2318
; %bb.2270:
	s_waitcnt vmcnt(0)
	v_mov_b32_e32 v11, 5
	v_cmp_lt_i16_sdwa s[0:1], v4, v11 src0_sel:BYTE_0 src1_sel:DWORD
	s_and_b64 vcc, exec, s[0:1]
	s_cbranch_vccnz .LBB55_2275
; %bb.2271:
	v_mov_b32_e32 v11, 8
	v_cmp_lt_i16_sdwa s[0:1], v4, v11 src0_sel:BYTE_0 src1_sel:DWORD
	s_and_b64 vcc, exec, s[0:1]
	s_cbranch_vccnz .LBB55_2276
; %bb.2272:
	;; [unrolled: 5-line block ×3, first 2 shown]
	v_cmp_gt_i16_sdwa s[0:1], v4, v11 src0_sel:BYTE_0 src1_sel:DWORD
	s_and_b64 vcc, exec, s[0:1]
	s_cbranch_vccz .LBB55_2278
; %bb.2274:
	global_load_dwordx2 v[14:15], v[0:1], off
	s_movk_i32 s0, 0x7fff
	v_mov_b32_e32 v11, 0x7fc0
	s_waitcnt vmcnt(0)
	v_cvt_f32_f64_e32 v14, v[14:15]
	v_bfe_u32 v15, v14, 16, 1
	v_add3_u32 v15, v14, v15, s0
	v_lshrrev_b32_e32 v15, 16, v15
	v_cmp_o_f32_e32 vcc, v14, v14
	v_cndmask_b32_e32 v11, v11, v15, vcc
	s_mov_b64 s[0:1], 0
	s_branch .LBB55_2279
.LBB55_2275:
	s_mov_b64 s[0:1], -1
                                        ; implicit-def: $vgpr11
	s_branch .LBB55_2297
.LBB55_2276:
	s_mov_b64 s[0:1], -1
                                        ; implicit-def: $vgpr11
	s_branch .LBB55_2285
.LBB55_2277:
	s_mov_b64 s[0:1], -1
                                        ; implicit-def: $vgpr11
	s_branch .LBB55_2282
.LBB55_2278:
	s_mov_b64 s[0:1], -1
                                        ; implicit-def: $vgpr11
.LBB55_2279:
	s_andn2_b64 vcc, exec, s[0:1]
	s_cbranch_vccnz .LBB55_2281
; %bb.2280:
	global_load_dword v11, v[0:1], off
	s_movk_i32 s0, 0x7fff
	v_mov_b32_e32 v14, 0x7fc0
	s_waitcnt vmcnt(0)
	v_bfe_u32 v15, v11, 16, 1
	v_add3_u32 v15, v11, v15, s0
	v_lshrrev_b32_e32 v15, 16, v15
	v_cmp_o_f32_e32 vcc, v11, v11
	v_cndmask_b32_e32 v11, v14, v15, vcc
.LBB55_2281:
	s_mov_b64 s[0:1], 0
.LBB55_2282:
	s_andn2_b64 vcc, exec, s[0:1]
	s_cbranch_vccnz .LBB55_2284
; %bb.2283:
	global_load_dword v11, v[0:1], off
	s_movk_i32 s0, 0x7fff
	v_mov_b32_e32 v15, 0x7fc0
	s_waitcnt vmcnt(0)
	v_cvt_f32_f16_e32 v14, v11
	v_cmp_o_f16_e32 vcc, v11, v11
	v_bfe_u32 v16, v14, 16, 1
	v_add3_u32 v14, v14, v16, s0
	v_lshrrev_b32_e32 v14, 16, v14
	v_cndmask_b32_e32 v11, v15, v14, vcc
.LBB55_2284:
	s_mov_b64 s[0:1], 0
.LBB55_2285:
	s_andn2_b64 vcc, exec, s[0:1]
	s_cbranch_vccnz .LBB55_2296
; %bb.2286:
	v_mov_b32_e32 v11, 6
	v_cmp_lt_i16_sdwa s[0:1], v4, v11 src0_sel:BYTE_0 src1_sel:DWORD
	s_and_b64 vcc, exec, s[0:1]
	s_cbranch_vccnz .LBB55_2289
; %bb.2287:
	v_cmp_gt_i16_sdwa s[0:1], v4, v11 src0_sel:BYTE_0 src1_sel:DWORD
	s_and_b64 vcc, exec, s[0:1]
	s_cbranch_vccz .LBB55_2290
; %bb.2288:
	global_load_dwordx2 v[14:15], v[0:1], off
	s_movk_i32 s0, 0x7fff
	v_mov_b32_e32 v11, 0x7fc0
	s_waitcnt vmcnt(0)
	v_cvt_f32_f64_e32 v14, v[14:15]
	v_bfe_u32 v15, v14, 16, 1
	v_add3_u32 v15, v14, v15, s0
	v_lshrrev_b32_e32 v15, 16, v15
	v_cmp_o_f32_e32 vcc, v14, v14
	v_cndmask_b32_e32 v11, v11, v15, vcc
	s_mov_b64 s[0:1], 0
	s_branch .LBB55_2291
.LBB55_2289:
	s_mov_b64 s[0:1], -1
                                        ; implicit-def: $vgpr11
	s_branch .LBB55_2294
.LBB55_2290:
	s_mov_b64 s[0:1], -1
                                        ; implicit-def: $vgpr11
.LBB55_2291:
	s_andn2_b64 vcc, exec, s[0:1]
	s_cbranch_vccnz .LBB55_2293
; %bb.2292:
	global_load_dword v11, v[0:1], off
	s_movk_i32 s0, 0x7fff
	v_mov_b32_e32 v14, 0x7fc0
	s_waitcnt vmcnt(0)
	v_bfe_u32 v15, v11, 16, 1
	v_add3_u32 v15, v11, v15, s0
	v_lshrrev_b32_e32 v15, 16, v15
	v_cmp_o_f32_e32 vcc, v11, v11
	v_cndmask_b32_e32 v11, v14, v15, vcc
.LBB55_2293:
	s_mov_b64 s[0:1], 0
.LBB55_2294:
	s_andn2_b64 vcc, exec, s[0:1]
	s_cbranch_vccnz .LBB55_2296
; %bb.2295:
	global_load_ushort v11, v[0:1], off
	s_movk_i32 s0, 0x7fff
	v_mov_b32_e32 v15, 0x7fc0
	s_waitcnt vmcnt(0)
	v_cvt_f32_f16_e32 v14, v11
	v_cmp_o_f16_e32 vcc, v11, v11
	v_bfe_u32 v16, v14, 16, 1
	v_add3_u32 v14, v14, v16, s0
	v_lshrrev_b32_e32 v14, 16, v14
	v_cndmask_b32_e32 v11, v15, v14, vcc
.LBB55_2296:
	s_mov_b64 s[0:1], 0
.LBB55_2297:
	s_andn2_b64 vcc, exec, s[0:1]
	s_cbranch_vccnz .LBB55_2317
; %bb.2298:
	v_mov_b32_e32 v11, 2
	v_cmp_lt_i16_sdwa s[0:1], v4, v11 src0_sel:BYTE_0 src1_sel:DWORD
	s_and_b64 vcc, exec, s[0:1]
	s_cbranch_vccnz .LBB55_2302
; %bb.2299:
	v_mov_b32_e32 v11, 3
	v_cmp_lt_i16_sdwa s[0:1], v4, v11 src0_sel:BYTE_0 src1_sel:DWORD
	s_and_b64 vcc, exec, s[0:1]
	s_cbranch_vccnz .LBB55_2303
; %bb.2300:
	v_cmp_gt_i16_sdwa s[0:1], v4, v11 src0_sel:BYTE_0 src1_sel:DWORD
	s_and_b64 vcc, exec, s[0:1]
	s_cbranch_vccz .LBB55_2304
; %bb.2301:
	global_load_dwordx2 v[14:15], v[0:1], off
	s_movk_i32 s0, 0x7fff
	s_waitcnt vmcnt(0)
	v_xor_b32_e32 v16, v14, v15
	v_ffbh_i32_e32 v11, v15
	v_ashrrev_i32_e32 v16, 31, v16
	v_add_u32_e32 v11, -1, v11
	v_add_u32_e32 v16, 32, v16
	v_min_u32_e32 v11, v11, v16
	v_lshlrev_b64 v[14:15], v11, v[14:15]
	v_min_u32_e32 v14, 1, v14
	v_or_b32_e32 v14, v15, v14
	v_cvt_f32_i32_e32 v14, v14
	v_sub_u32_e32 v11, 32, v11
	v_ldexp_f32 v11, v14, v11
	v_bfe_u32 v14, v11, 16, 1
	v_add3_u32 v11, v11, v14, s0
	v_lshrrev_b32_e32 v11, 16, v11
	s_mov_b64 s[0:1], 0
	s_branch .LBB55_2305
.LBB55_2302:
	s_mov_b64 s[0:1], -1
                                        ; implicit-def: $vgpr11
	s_branch .LBB55_2311
.LBB55_2303:
	s_mov_b64 s[0:1], -1
                                        ; implicit-def: $vgpr11
	s_branch .LBB55_2308
.LBB55_2304:
	s_mov_b64 s[0:1], -1
                                        ; implicit-def: $vgpr11
.LBB55_2305:
	s_andn2_b64 vcc, exec, s[0:1]
	s_cbranch_vccnz .LBB55_2307
; %bb.2306:
	global_load_dword v11, v[0:1], off
	s_movk_i32 s0, 0x7fff
	s_waitcnt vmcnt(0)
	v_cvt_f32_i32_e32 v11, v11
	v_bfe_u32 v14, v11, 16, 1
	v_add3_u32 v11, v11, v14, s0
	v_lshrrev_b32_e32 v11, 16, v11
.LBB55_2307:
	s_mov_b64 s[0:1], 0
.LBB55_2308:
	s_andn2_b64 vcc, exec, s[0:1]
	s_cbranch_vccnz .LBB55_2310
; %bb.2309:
	global_load_sshort v11, v[0:1], off
	s_movk_i32 s0, 0x7fff
	s_waitcnt vmcnt(0)
	v_cvt_f32_i32_e32 v11, v11
	v_bfe_u32 v14, v11, 16, 1
	v_add3_u32 v11, v11, v14, s0
	v_lshrrev_b32_e32 v11, 16, v11
.LBB55_2310:
	s_mov_b64 s[0:1], 0
.LBB55_2311:
	s_andn2_b64 vcc, exec, s[0:1]
	s_cbranch_vccnz .LBB55_2317
; %bb.2312:
	v_mov_b32_e32 v11, 0
	v_cmp_gt_i16_sdwa s[0:1], v4, v11 src0_sel:BYTE_0 src1_sel:DWORD
	s_and_b64 vcc, exec, s[0:1]
	s_cbranch_vccz .LBB55_2314
; %bb.2313:
	global_load_sbyte v11, v[0:1], off
	s_movk_i32 s0, 0x7fff
	s_waitcnt vmcnt(0)
	v_cvt_f32_i32_e32 v11, v11
	v_bfe_u32 v14, v11, 16, 1
	v_add3_u32 v11, v11, v14, s0
	v_lshrrev_b32_e32 v11, 16, v11
	s_mov_b64 s[0:1], 0
	s_branch .LBB55_2315
.LBB55_2314:
	s_mov_b64 s[0:1], -1
                                        ; implicit-def: $vgpr11
.LBB55_2315:
	s_andn2_b64 vcc, exec, s[0:1]
	s_cbranch_vccnz .LBB55_2317
; %bb.2316:
	global_load_ubyte v0, v[0:1], off
	s_movk_i32 s0, 0x7fff
	s_waitcnt vmcnt(0)
	v_cvt_f32_ubyte0_e32 v0, v0
	v_bfe_u32 v1, v0, 16, 1
	v_add3_u32 v0, v0, v1, s0
	v_lshrrev_b32_e32 v11, 16, v0
.LBB55_2317:
	s_mov_b64 s[16:17], -1
.LBB55_2318:
	s_andn2_b64 vcc, exec, s[16:17]
	s_cbranch_vccnz .LBB55_3032
; %bb.2319:
	v_add_u32_e32 v0, s13, v12
	v_ashrrev_i32_e32 v1, 31, v0
	v_mov_b32_e32 v12, s11
	v_add_co_u32_e32 v0, vcc, s10, v0
	v_addc_co_u32_e32 v1, vcc, v12, v1, vcc
	v_mov_b32_e32 v12, 11
	v_cmp_lt_i16_sdwa s[0:1], v5, v12 src0_sel:BYTE_0 src1_sel:DWORD
	s_and_b64 vcc, exec, s[0:1]
	s_cbranch_vccnz .LBB55_2326
; %bb.2320:
	v_mov_b32_e32 v12, 25
	v_cmp_gt_i16_sdwa s[0:1], v5, v12 src0_sel:BYTE_0 src1_sel:DWORD
	s_mov_b64 s[10:11], 0
	s_and_b64 vcc, exec, s[0:1]
	s_cbranch_vccz .LBB55_2327
; %bb.2321:
	v_mov_b32_e32 v12, 28
	v_cmp_gt_i16_sdwa s[0:1], v5, v12 src0_sel:BYTE_0 src1_sel:DWORD
	s_and_b64 vcc, exec, s[0:1]
	s_cbranch_vccz .LBB55_2328
; %bb.2322:
	v_mov_b32_e32 v12, 43
	v_cmp_gt_i16_sdwa s[0:1], v5, v12 src0_sel:BYTE_0 src1_sel:DWORD
	;; [unrolled: 5-line block ×3, first 2 shown]
	s_and_b64 vcc, exec, s[0:1]
	s_cbranch_vccz .LBB55_2331
; %bb.2324:
	v_mov_b32_e32 v12, 46
	v_cmp_eq_u16_sdwa s[0:1], v5, v12 src0_sel:BYTE_0 src1_sel:DWORD
	s_mov_b64 s[16:17], 0
	s_and_b64 vcc, exec, s[0:1]
	s_cbranch_vccz .LBB55_2332
; %bb.2325:
	global_load_dword v12, v[0:1], off
	s_mov_b64 s[0:1], 0
	s_mov_b64 s[14:15], -1
	s_branch .LBB55_2333
.LBB55_2326:
	s_mov_b64 s[0:1], -1
	s_mov_b64 s[14:15], 0
                                        ; implicit-def: $vgpr12
	s_branch .LBB55_2399
.LBB55_2327:
	s_mov_b64 s[16:17], -1
	s_mov_b64 s[14:15], 0
	s_mov_b64 s[0:1], 0
                                        ; implicit-def: $vgpr12
	s_branch .LBB55_2362
.LBB55_2328:
	s_mov_b64 s[16:17], -1
	s_mov_b64 s[14:15], 0
	s_mov_b64 s[0:1], 0
                                        ; implicit-def: $vgpr12
	s_branch .LBB55_2343
.LBB55_2329:
	s_mov_b64 s[16:17], -1
	s_mov_b64 s[14:15], 0
	s_mov_b64 s[0:1], 0
                                        ; implicit-def: $vgpr12
	s_branch .LBB55_2338
.LBB55_2330:
	s_trap 2
	s_or_b64 s[18:19], s[18:19], exec
                                        ; implicit-def: $vgpr11
	s_cbranch_execz .LBB55_2267
	s_branch .LBB55_2268
.LBB55_2331:
	s_mov_b64 s[16:17], -1
	s_mov_b64 s[14:15], 0
	s_mov_b64 s[0:1], 0
                                        ; implicit-def: $vgpr12
	s_branch .LBB55_2333
.LBB55_2332:
	s_mov_b64 s[0:1], -1
                                        ; implicit-def: $vgpr12
	s_mov_b64 s[14:15], 0
.LBB55_2333:
	s_and_b64 vcc, exec, s[16:17]
	s_cbranch_vccz .LBB55_2337
; %bb.2334:
	s_waitcnt vmcnt(0)
	v_mov_b32_e32 v12, 44
	v_cmp_eq_u16_sdwa s[0:1], v5, v12 src0_sel:BYTE_0 src1_sel:DWORD
	s_and_b64 vcc, exec, s[0:1]
	s_cbranch_vccz .LBB55_2336
; %bb.2335:
	global_load_ubyte v12, v[0:1], off
	s_movk_i32 s13, 0xff
	v_mov_b32_e32 v14, 0x7f800001
	v_mov_b32_e32 v15, 0x400000
	;; [unrolled: 1-line block ×3, first 2 shown]
	s_mov_b64 s[0:1], 0
	s_mov_b64 s[14:15], -1
	s_waitcnt vmcnt(0)
	v_lshlrev_b32_e32 v17, 23, v12
	v_cmp_ne_u32_e32 vcc, s13, v12
	v_cndmask_b32_e32 v14, v14, v17, vcc
	v_cmp_ne_u32_e32 vcc, 0, v12
	v_cndmask_b32_e32 v12, v15, v14, vcc
	v_add_u32_e32 v14, 0x7fff, v12
	v_lshrrev_b32_e32 v14, 16, v14
	v_cmp_o_f32_e32 vcc, v12, v12
	v_cndmask_b32_e32 v12, v16, v14, vcc
	s_branch .LBB55_2337
.LBB55_2336:
	s_mov_b64 s[0:1], -1
                                        ; implicit-def: $vgpr12
.LBB55_2337:
	s_mov_b64 s[16:17], 0
.LBB55_2338:
	s_and_b64 vcc, exec, s[16:17]
	s_cbranch_vccz .LBB55_2342
; %bb.2339:
	s_waitcnt vmcnt(0)
	v_mov_b32_e32 v12, 29
	v_cmp_eq_u16_sdwa s[0:1], v5, v12 src0_sel:BYTE_0 src1_sel:DWORD
	s_and_b64 vcc, exec, s[0:1]
	s_cbranch_vccz .LBB55_2341
; %bb.2340:
	global_load_dwordx2 v[14:15], v[0:1], off
	s_movk_i32 s13, 0x7fff
	s_mov_b64 s[0:1], 0
	s_mov_b64 s[14:15], -1
	s_mov_b64 s[16:17], 0
	s_waitcnt vmcnt(0)
	v_ffbh_u32_e32 v12, v15
	v_min_u32_e32 v12, 32, v12
	v_lshlrev_b64 v[14:15], v12, v[14:15]
	v_min_u32_e32 v14, 1, v14
	v_or_b32_e32 v14, v15, v14
	v_cvt_f32_u32_e32 v14, v14
	v_sub_u32_e32 v12, 32, v12
	v_ldexp_f32 v12, v14, v12
	v_bfe_u32 v14, v12, 16, 1
	v_add3_u32 v12, v12, v14, s13
	v_lshrrev_b32_e32 v12, 16, v12
	s_branch .LBB55_2343
.LBB55_2341:
	s_mov_b64 s[0:1], -1
                                        ; implicit-def: $vgpr12
.LBB55_2342:
	s_mov_b64 s[16:17], 0
.LBB55_2343:
	s_and_b64 vcc, exec, s[16:17]
	s_cbranch_vccz .LBB55_2361
; %bb.2344:
	s_waitcnt vmcnt(0)
	v_mov_b32_e32 v12, 27
	v_cmp_lt_i16_sdwa s[14:15], v5, v12 src0_sel:BYTE_0 src1_sel:DWORD
	s_and_b64 vcc, exec, s[14:15]
	s_cbranch_vccnz .LBB55_2347
; %bb.2345:
	v_cmp_gt_i16_sdwa s[14:15], v5, v12 src0_sel:BYTE_0 src1_sel:DWORD
	s_and_b64 vcc, exec, s[14:15]
	s_cbranch_vccz .LBB55_2348
; %bb.2346:
	global_load_dword v12, v[0:1], off
	s_movk_i32 s13, 0x7fff
	s_mov_b64 s[14:15], 0
	s_waitcnt vmcnt(0)
	v_cvt_f32_u32_e32 v12, v12
	v_bfe_u32 v14, v12, 16, 1
	v_add3_u32 v12, v12, v14, s13
	v_lshrrev_b32_e32 v12, 16, v12
	s_branch .LBB55_2349
.LBB55_2347:
	s_mov_b64 s[14:15], -1
                                        ; implicit-def: $vgpr12
	s_branch .LBB55_2352
.LBB55_2348:
	s_mov_b64 s[14:15], -1
                                        ; implicit-def: $vgpr12
.LBB55_2349:
	s_andn2_b64 vcc, exec, s[14:15]
	s_cbranch_vccnz .LBB55_2351
; %bb.2350:
	global_load_ushort v12, v[0:1], off
	s_movk_i32 s13, 0x7fff
	s_waitcnt vmcnt(0)
	v_cvt_f32_u32_e32 v12, v12
	v_bfe_u32 v14, v12, 16, 1
	v_add3_u32 v12, v12, v14, s13
	v_lshrrev_b32_e32 v12, 16, v12
.LBB55_2351:
	s_mov_b64 s[14:15], 0
.LBB55_2352:
	s_andn2_b64 vcc, exec, s[14:15]
	s_cbranch_vccnz .LBB55_2360
; %bb.2353:
	global_load_ubyte v12, v[0:1], off
	s_movk_i32 s13, 0x7f
	s_mov_b64 s[14:15], 0
	s_waitcnt vmcnt(0)
	v_cmp_lt_i16_e32 vcc, s13, v12
                                        ; implicit-def: $sgpr13
	s_and_saveexec_b64 s[16:17], vcc
	s_xor_b64 s[16:17], exec, s[16:17]
	s_cbranch_execz .LBB55_2374
; %bb.2354:
	s_movk_i32 s13, 0x80
	v_cmp_eq_u16_e32 vcc, s13, v12
	s_mov_b64 s[14:15], -1
                                        ; implicit-def: $sgpr13
	s_and_saveexec_b64 s[20:21], vcc
; %bb.2355:
	s_mov_b32 s13, 0x7f800001
	s_xor_b64 s[14:15], exec, -1
; %bb.2356:
	s_or_b64 exec, exec, s[20:21]
	s_and_b64 s[14:15], s[14:15], exec
	s_or_saveexec_b64 s[16:17], s[16:17]
	v_mov_b32_e32 v14, s13
	s_xor_b64 exec, exec, s[16:17]
	s_cbranch_execnz .LBB55_2375
.LBB55_2357:
	s_or_b64 exec, exec, s[16:17]
	s_and_saveexec_b64 s[16:17], s[14:15]
	s_cbranch_execz .LBB55_2359
.LBB55_2358:
	v_lshlrev_b32_e32 v14, 24, v12
	v_and_b32_e32 v12, 0xffff, v12
	v_and_b32_e32 v15, 7, v12
	v_ffbh_u32_e32 v17, v15
	v_min_u32_e32 v17, 32, v17
	v_subrev_u32_e32 v18, 28, v17
	v_bfe_u32 v16, v12, 3, 4
	v_lshlrev_b32_e32 v12, v18, v12
	v_sub_u32_e32 v17, 29, v17
	v_and_b32_e32 v12, 7, v12
	v_cmp_eq_u32_e32 vcc, 0, v16
	v_cndmask_b32_e32 v16, v16, v17, vcc
	v_cndmask_b32_e32 v12, v15, v12, vcc
	v_mov_b32_e32 v15, 0x3b800000
	v_lshlrev_b32_e32 v12, 20, v12
	v_and_b32_e32 v14, 0x80000000, v14
	v_lshl_add_u32 v15, v16, 23, v15
	v_or3_b32 v14, v14, v15, v12
.LBB55_2359:
	s_or_b64 exec, exec, s[16:17]
	v_bfe_u32 v12, v14, 16, 1
	s_movk_i32 s13, 0x7fff
	v_add3_u32 v12, v14, v12, s13
	v_lshrrev_b32_e32 v12, 16, v12
	v_mov_b32_e32 v15, 0x7fc0
	v_cmp_o_f32_e32 vcc, v14, v14
	v_cndmask_b32_e32 v12, v15, v12, vcc
.LBB55_2360:
	s_mov_b64 s[14:15], -1
.LBB55_2361:
	s_mov_b64 s[16:17], 0
.LBB55_2362:
	s_and_b64 vcc, exec, s[16:17]
	s_cbranch_vccz .LBB55_2395
; %bb.2363:
	s_waitcnt vmcnt(0)
	v_mov_b32_e32 v12, 22
	v_cmp_gt_i16_sdwa s[10:11], v5, v12 src0_sel:BYTE_0 src1_sel:DWORD
	s_and_b64 vcc, exec, s[10:11]
	s_cbranch_vccz .LBB55_2373
; %bb.2364:
	v_mov_b32_e32 v12, 24
	v_cmp_lt_i16_sdwa s[10:11], v5, v12 src0_sel:BYTE_0 src1_sel:DWORD
	s_and_b64 vcc, exec, s[10:11]
	s_cbranch_vccnz .LBB55_2376
; %bb.2365:
	v_cmp_gt_i16_sdwa s[10:11], v5, v12 src0_sel:BYTE_0 src1_sel:DWORD
	s_and_b64 vcc, exec, s[10:11]
	s_cbranch_vccz .LBB55_2377
; %bb.2366:
	global_load_ubyte v12, v[0:1], off
	s_movk_i32 s10, 0x7f
                                        ; implicit-def: $sgpr13
	s_waitcnt vmcnt(0)
	v_cmp_lt_i16_e32 vcc, s10, v12
	s_mov_b64 s[10:11], 0
	s_and_saveexec_b64 s[14:15], vcc
	s_xor_b64 s[14:15], exec, s[14:15]
	s_cbranch_execz .LBB55_2389
; %bb.2367:
	s_movk_i32 s10, 0x80
	v_cmp_eq_u16_e32 vcc, s10, v12
	s_mov_b64 s[10:11], -1
                                        ; implicit-def: $sgpr13
	s_and_saveexec_b64 s[16:17], vcc
; %bb.2368:
	s_mov_b32 s13, 0x7f800001
	s_xor_b64 s[10:11], exec, -1
; %bb.2369:
	s_or_b64 exec, exec, s[16:17]
	s_and_b64 s[10:11], s[10:11], exec
	s_or_saveexec_b64 s[14:15], s[14:15]
	v_mov_b32_e32 v14, s13
	s_xor_b64 exec, exec, s[14:15]
	s_cbranch_execnz .LBB55_2390
.LBB55_2370:
	s_or_b64 exec, exec, s[14:15]
	s_and_saveexec_b64 s[14:15], s[10:11]
	s_cbranch_execz .LBB55_2372
.LBB55_2371:
	v_lshlrev_b32_e32 v14, 24, v12
	v_and_b32_e32 v12, 0xffff, v12
	v_and_b32_e32 v15, 3, v12
	v_ffbh_u32_e32 v17, v15
	v_min_u32_e32 v17, 32, v17
	v_subrev_u32_e32 v18, 29, v17
	v_bfe_u32 v16, v12, 2, 5
	v_lshlrev_b32_e32 v12, v18, v12
	v_sub_u32_e32 v17, 30, v17
	v_and_b32_e32 v12, 3, v12
	v_cmp_eq_u32_e32 vcc, 0, v16
	v_cndmask_b32_e32 v16, v16, v17, vcc
	v_cndmask_b32_e32 v12, v15, v12, vcc
	v_mov_b32_e32 v15, 0x37800000
	v_lshlrev_b32_e32 v12, 21, v12
	v_and_b32_e32 v14, 0x80000000, v14
	v_lshl_add_u32 v15, v16, 23, v15
	v_or3_b32 v14, v14, v15, v12
.LBB55_2372:
	s_or_b64 exec, exec, s[14:15]
	v_bfe_u32 v12, v14, 16, 1
	s_movk_i32 s10, 0x7fff
	v_add3_u32 v12, v14, v12, s10
	v_lshrrev_b32_e32 v12, 16, v12
	v_mov_b32_e32 v15, 0x7fc0
	v_cmp_o_f32_e32 vcc, v14, v14
	v_cndmask_b32_e32 v12, v15, v12, vcc
	s_mov_b64 s[10:11], 0
	s_branch .LBB55_2378
.LBB55_2373:
	s_mov_b64 s[10:11], -1
                                        ; implicit-def: $vgpr12
	s_branch .LBB55_2384
.LBB55_2374:
	s_or_saveexec_b64 s[16:17], s[16:17]
	v_mov_b32_e32 v14, s13
	s_xor_b64 exec, exec, s[16:17]
	s_cbranch_execz .LBB55_2357
.LBB55_2375:
	v_cmp_ne_u16_e32 vcc, 0, v12
	s_andn2_b64 s[14:15], s[14:15], exec
	s_and_b64 s[20:21], vcc, exec
	v_mov_b32_e32 v14, 0
	s_or_b64 s[14:15], s[14:15], s[20:21]
	s_or_b64 exec, exec, s[16:17]
	s_and_saveexec_b64 s[16:17], s[14:15]
	s_cbranch_execnz .LBB55_2358
	s_branch .LBB55_2359
.LBB55_2376:
	s_mov_b64 s[10:11], -1
                                        ; implicit-def: $vgpr12
	s_branch .LBB55_2381
.LBB55_2377:
	s_mov_b64 s[10:11], -1
                                        ; implicit-def: $vgpr12
.LBB55_2378:
	s_and_b64 vcc, exec, s[10:11]
	s_cbranch_vccz .LBB55_2380
; %bb.2379:
	global_load_ubyte v12, v[0:1], off
	s_mov_b32 s10, 0x7f800000
	s_brev_b32 s11, 1
	s_movk_i32 s13, 0x7fff
	v_mov_b32_e32 v14, 0x7fc0
	s_waitcnt vmcnt(0)
	v_lshlrev_b32_e32 v12, 24, v12
	v_and_b32_e32 v15, 0x7f000000, v12
	v_ffbh_u32_e32 v16, v15
	v_min_u32_e32 v16, 32, v16
	v_sub_u32_e64 v16, v16, 4 clamp
	v_lshlrev_b32_e32 v18, v16, v15
	v_lshlrev_b32_e32 v16, 23, v16
	v_lshrrev_b32_e32 v18, 4, v18
	v_add_u32_e32 v17, 0x1000000, v15
	v_sub_u32_e32 v16, v18, v16
	v_ashrrev_i32_e32 v17, 8, v17
	v_add_u32_e32 v16, 0x3c000000, v16
	v_and_or_b32 v16, v17, s10, v16
	v_cmp_ne_u32_e32 vcc, 0, v15
	v_cndmask_b32_e32 v15, 0, v16, vcc
	v_and_or_b32 v12, v12, s11, v15
	v_bfe_u32 v15, v15, 16, 1
	v_add3_u32 v15, v12, v15, s13
	v_lshrrev_b32_e32 v15, 16, v15
	v_cmp_o_f32_e32 vcc, v12, v12
	v_cndmask_b32_e32 v12, v14, v15, vcc
.LBB55_2380:
	s_mov_b64 s[10:11], 0
.LBB55_2381:
	s_andn2_b64 vcc, exec, s[10:11]
	s_cbranch_vccnz .LBB55_2383
; %bb.2382:
	global_load_ubyte v12, v[0:1], off
	s_movk_i32 s10, 0x7f00
	s_brev_b32 s11, 16
	s_brev_b32 s13, 1
	s_movk_i32 s14, 0x7fff
	v_mov_b32_e32 v14, 0x7fc0
	s_waitcnt vmcnt(0)
	v_lshlrev_b16_e32 v15, 8, v12
	v_lshlrev_b32_e32 v12, 25, v12
	v_lshrrev_b32_e32 v16, 4, v12
	v_and_or_b32 v17, v15, s10, 0.5
	v_or_b32_e32 v16, 0x70000000, v16
	v_add_f32_e32 v17, -0.5, v17
	v_mul_f32_e32 v16, 0x7800000, v16
	v_cmp_gt_u32_e32 vcc, s11, v12
	v_bfe_i32 v15, v15, 0, 16
	v_cndmask_b32_e32 v12, v16, v17, vcc
	v_and_or_b32 v15, v15, s13, v12
	v_bfe_u32 v12, v12, 16, 1
	v_add3_u32 v12, v15, v12, s14
	v_lshrrev_b32_e32 v12, 16, v12
	v_cmp_o_f32_e32 vcc, v15, v15
	v_cndmask_b32_e32 v12, v14, v12, vcc
.LBB55_2383:
	s_mov_b64 s[10:11], 0
	s_mov_b64 s[14:15], -1
.LBB55_2384:
	s_andn2_b64 vcc, exec, s[10:11]
	s_mov_b64 s[10:11], 0
	s_cbranch_vccnz .LBB55_2395
; %bb.2385:
	v_mov_b32_e32 v12, 14
	v_cmp_gt_i16_sdwa s[10:11], v5, v12 src0_sel:BYTE_0 src1_sel:DWORD
	s_and_b64 vcc, exec, s[10:11]
	s_cbranch_vccz .LBB55_2388
; %bb.2386:
	v_mov_b32_e32 v12, 15
	v_cmp_eq_u16_sdwa s[0:1], v5, v12 src0_sel:BYTE_0 src1_sel:DWORD
	s_and_b64 vcc, exec, s[0:1]
	s_cbranch_vccz .LBB55_2391
; %bb.2387:
	global_load_ushort v12, v[0:1], off
	s_mov_b64 s[0:1], 0
	s_mov_b64 s[14:15], -1
	s_branch .LBB55_2392
.LBB55_2388:
	s_mov_b64 s[16:17], -1
                                        ; implicit-def: $vgpr12
	s_branch .LBB55_2393
.LBB55_2389:
	s_or_saveexec_b64 s[14:15], s[14:15]
	v_mov_b32_e32 v14, s13
	s_xor_b64 exec, exec, s[14:15]
	s_cbranch_execz .LBB55_2370
.LBB55_2390:
	v_cmp_ne_u16_e32 vcc, 0, v12
	s_andn2_b64 s[10:11], s[10:11], exec
	s_and_b64 s[16:17], vcc, exec
	v_mov_b32_e32 v14, 0
	s_or_b64 s[10:11], s[10:11], s[16:17]
	s_or_b64 exec, exec, s[14:15]
	s_and_saveexec_b64 s[14:15], s[10:11]
	s_cbranch_execnz .LBB55_2371
	s_branch .LBB55_2372
.LBB55_2391:
	s_mov_b64 s[0:1], -1
                                        ; implicit-def: $vgpr12
.LBB55_2392:
	s_mov_b64 s[16:17], 0
.LBB55_2393:
	s_mov_b64 s[10:11], 0
	s_and_b64 vcc, exec, s[16:17]
	s_cbranch_vccz .LBB55_2395
; %bb.2394:
	s_waitcnt vmcnt(0)
	v_mov_b32_e32 v12, 11
	v_cmp_ne_u16_sdwa s[0:1], v5, v12 src0_sel:BYTE_0 src1_sel:DWORD
	s_mov_b64 s[10:11], -1
                                        ; implicit-def: $vgpr12
.LBB55_2395:
	s_and_b64 vcc, exec, s[0:1]
	s_cbranch_vccnz .LBB55_2460
; %bb.2396:
	s_andn2_b64 vcc, exec, s[10:11]
	s_cbranch_vccnz .LBB55_2398
.LBB55_2397:
	global_load_ubyte v12, v[0:1], off
	s_mov_b64 s[14:15], -1
	s_waitcnt vmcnt(0)
	v_cmp_ne_u16_e32 vcc, 0, v12
	v_cndmask_b32_e64 v12, 0, 1.0, vcc
	v_lshrrev_b32_e32 v12, 16, v12
.LBB55_2398:
	s_mov_b64 s[0:1], 0
.LBB55_2399:
	s_and_b64 vcc, exec, s[0:1]
	s_cbranch_vccz .LBB55_2448
; %bb.2400:
	s_waitcnt vmcnt(0)
	v_mov_b32_e32 v12, 5
	v_cmp_lt_i16_sdwa s[0:1], v5, v12 src0_sel:BYTE_0 src1_sel:DWORD
	s_and_b64 vcc, exec, s[0:1]
	s_cbranch_vccnz .LBB55_2405
; %bb.2401:
	v_mov_b32_e32 v12, 8
	v_cmp_lt_i16_sdwa s[0:1], v5, v12 src0_sel:BYTE_0 src1_sel:DWORD
	s_and_b64 vcc, exec, s[0:1]
	s_cbranch_vccnz .LBB55_2406
; %bb.2402:
	;; [unrolled: 5-line block ×3, first 2 shown]
	v_cmp_gt_i16_sdwa s[0:1], v5, v12 src0_sel:BYTE_0 src1_sel:DWORD
	s_and_b64 vcc, exec, s[0:1]
	s_cbranch_vccz .LBB55_2408
; %bb.2404:
	global_load_dwordx2 v[14:15], v[0:1], off
	s_movk_i32 s0, 0x7fff
	v_mov_b32_e32 v12, 0x7fc0
	s_waitcnt vmcnt(0)
	v_cvt_f32_f64_e32 v14, v[14:15]
	v_bfe_u32 v15, v14, 16, 1
	v_add3_u32 v15, v14, v15, s0
	v_lshrrev_b32_e32 v15, 16, v15
	v_cmp_o_f32_e32 vcc, v14, v14
	v_cndmask_b32_e32 v12, v12, v15, vcc
	s_mov_b64 s[0:1], 0
	s_branch .LBB55_2409
.LBB55_2405:
	s_mov_b64 s[0:1], -1
                                        ; implicit-def: $vgpr12
	s_branch .LBB55_2427
.LBB55_2406:
	s_mov_b64 s[0:1], -1
                                        ; implicit-def: $vgpr12
	s_branch .LBB55_2415
.LBB55_2407:
	s_mov_b64 s[0:1], -1
                                        ; implicit-def: $vgpr12
	s_branch .LBB55_2412
.LBB55_2408:
	s_mov_b64 s[0:1], -1
                                        ; implicit-def: $vgpr12
.LBB55_2409:
	s_andn2_b64 vcc, exec, s[0:1]
	s_cbranch_vccnz .LBB55_2411
; %bb.2410:
	global_load_dword v12, v[0:1], off
	s_movk_i32 s0, 0x7fff
	v_mov_b32_e32 v14, 0x7fc0
	s_waitcnt vmcnt(0)
	v_bfe_u32 v15, v12, 16, 1
	v_add3_u32 v15, v12, v15, s0
	v_lshrrev_b32_e32 v15, 16, v15
	v_cmp_o_f32_e32 vcc, v12, v12
	v_cndmask_b32_e32 v12, v14, v15, vcc
.LBB55_2411:
	s_mov_b64 s[0:1], 0
.LBB55_2412:
	s_andn2_b64 vcc, exec, s[0:1]
	s_cbranch_vccnz .LBB55_2414
; %bb.2413:
	global_load_dword v12, v[0:1], off
	s_movk_i32 s0, 0x7fff
	v_mov_b32_e32 v15, 0x7fc0
	s_waitcnt vmcnt(0)
	v_cvt_f32_f16_e32 v14, v12
	v_cmp_o_f16_e32 vcc, v12, v12
	v_bfe_u32 v16, v14, 16, 1
	v_add3_u32 v14, v14, v16, s0
	v_lshrrev_b32_e32 v14, 16, v14
	v_cndmask_b32_e32 v12, v15, v14, vcc
.LBB55_2414:
	s_mov_b64 s[0:1], 0
.LBB55_2415:
	s_andn2_b64 vcc, exec, s[0:1]
	s_cbranch_vccnz .LBB55_2426
; %bb.2416:
	v_mov_b32_e32 v12, 6
	v_cmp_lt_i16_sdwa s[0:1], v5, v12 src0_sel:BYTE_0 src1_sel:DWORD
	s_and_b64 vcc, exec, s[0:1]
	s_cbranch_vccnz .LBB55_2419
; %bb.2417:
	v_cmp_gt_i16_sdwa s[0:1], v5, v12 src0_sel:BYTE_0 src1_sel:DWORD
	s_and_b64 vcc, exec, s[0:1]
	s_cbranch_vccz .LBB55_2420
; %bb.2418:
	global_load_dwordx2 v[14:15], v[0:1], off
	s_movk_i32 s0, 0x7fff
	v_mov_b32_e32 v12, 0x7fc0
	s_waitcnt vmcnt(0)
	v_cvt_f32_f64_e32 v14, v[14:15]
	v_bfe_u32 v15, v14, 16, 1
	v_add3_u32 v15, v14, v15, s0
	v_lshrrev_b32_e32 v15, 16, v15
	v_cmp_o_f32_e32 vcc, v14, v14
	v_cndmask_b32_e32 v12, v12, v15, vcc
	s_mov_b64 s[0:1], 0
	s_branch .LBB55_2421
.LBB55_2419:
	s_mov_b64 s[0:1], -1
                                        ; implicit-def: $vgpr12
	s_branch .LBB55_2424
.LBB55_2420:
	s_mov_b64 s[0:1], -1
                                        ; implicit-def: $vgpr12
.LBB55_2421:
	s_andn2_b64 vcc, exec, s[0:1]
	s_cbranch_vccnz .LBB55_2423
; %bb.2422:
	global_load_dword v12, v[0:1], off
	s_movk_i32 s0, 0x7fff
	v_mov_b32_e32 v14, 0x7fc0
	s_waitcnt vmcnt(0)
	v_bfe_u32 v15, v12, 16, 1
	v_add3_u32 v15, v12, v15, s0
	v_lshrrev_b32_e32 v15, 16, v15
	v_cmp_o_f32_e32 vcc, v12, v12
	v_cndmask_b32_e32 v12, v14, v15, vcc
.LBB55_2423:
	s_mov_b64 s[0:1], 0
.LBB55_2424:
	s_andn2_b64 vcc, exec, s[0:1]
	s_cbranch_vccnz .LBB55_2426
; %bb.2425:
	global_load_ushort v12, v[0:1], off
	s_movk_i32 s0, 0x7fff
	v_mov_b32_e32 v15, 0x7fc0
	s_waitcnt vmcnt(0)
	v_cvt_f32_f16_e32 v14, v12
	v_cmp_o_f16_e32 vcc, v12, v12
	v_bfe_u32 v16, v14, 16, 1
	v_add3_u32 v14, v14, v16, s0
	v_lshrrev_b32_e32 v14, 16, v14
	v_cndmask_b32_e32 v12, v15, v14, vcc
.LBB55_2426:
	s_mov_b64 s[0:1], 0
.LBB55_2427:
	s_andn2_b64 vcc, exec, s[0:1]
	s_cbranch_vccnz .LBB55_2447
; %bb.2428:
	v_mov_b32_e32 v12, 2
	v_cmp_lt_i16_sdwa s[0:1], v5, v12 src0_sel:BYTE_0 src1_sel:DWORD
	s_and_b64 vcc, exec, s[0:1]
	s_cbranch_vccnz .LBB55_2432
; %bb.2429:
	v_mov_b32_e32 v12, 3
	v_cmp_lt_i16_sdwa s[0:1], v5, v12 src0_sel:BYTE_0 src1_sel:DWORD
	s_and_b64 vcc, exec, s[0:1]
	s_cbranch_vccnz .LBB55_2433
; %bb.2430:
	v_cmp_gt_i16_sdwa s[0:1], v5, v12 src0_sel:BYTE_0 src1_sel:DWORD
	s_and_b64 vcc, exec, s[0:1]
	s_cbranch_vccz .LBB55_2434
; %bb.2431:
	global_load_dwordx2 v[14:15], v[0:1], off
	s_movk_i32 s0, 0x7fff
	s_waitcnt vmcnt(0)
	v_xor_b32_e32 v16, v14, v15
	v_ffbh_i32_e32 v12, v15
	v_ashrrev_i32_e32 v16, 31, v16
	v_add_u32_e32 v12, -1, v12
	v_add_u32_e32 v16, 32, v16
	v_min_u32_e32 v12, v12, v16
	v_lshlrev_b64 v[14:15], v12, v[14:15]
	v_min_u32_e32 v14, 1, v14
	v_or_b32_e32 v14, v15, v14
	v_cvt_f32_i32_e32 v14, v14
	v_sub_u32_e32 v12, 32, v12
	v_ldexp_f32 v12, v14, v12
	v_bfe_u32 v14, v12, 16, 1
	v_add3_u32 v12, v12, v14, s0
	v_lshrrev_b32_e32 v12, 16, v12
	s_mov_b64 s[0:1], 0
	s_branch .LBB55_2435
.LBB55_2432:
	s_mov_b64 s[0:1], -1
                                        ; implicit-def: $vgpr12
	s_branch .LBB55_2441
.LBB55_2433:
	s_mov_b64 s[0:1], -1
                                        ; implicit-def: $vgpr12
	s_branch .LBB55_2438
.LBB55_2434:
	s_mov_b64 s[0:1], -1
                                        ; implicit-def: $vgpr12
.LBB55_2435:
	s_andn2_b64 vcc, exec, s[0:1]
	s_cbranch_vccnz .LBB55_2437
; %bb.2436:
	global_load_dword v12, v[0:1], off
	s_movk_i32 s0, 0x7fff
	s_waitcnt vmcnt(0)
	v_cvt_f32_i32_e32 v12, v12
	v_bfe_u32 v14, v12, 16, 1
	v_add3_u32 v12, v12, v14, s0
	v_lshrrev_b32_e32 v12, 16, v12
.LBB55_2437:
	s_mov_b64 s[0:1], 0
.LBB55_2438:
	s_andn2_b64 vcc, exec, s[0:1]
	s_cbranch_vccnz .LBB55_2440
; %bb.2439:
	global_load_sshort v12, v[0:1], off
	s_movk_i32 s0, 0x7fff
	s_waitcnt vmcnt(0)
	v_cvt_f32_i32_e32 v12, v12
	v_bfe_u32 v14, v12, 16, 1
	v_add3_u32 v12, v12, v14, s0
	v_lshrrev_b32_e32 v12, 16, v12
.LBB55_2440:
	s_mov_b64 s[0:1], 0
.LBB55_2441:
	s_andn2_b64 vcc, exec, s[0:1]
	s_cbranch_vccnz .LBB55_2447
; %bb.2442:
	v_mov_b32_e32 v12, 0
	v_cmp_gt_i16_sdwa s[0:1], v5, v12 src0_sel:BYTE_0 src1_sel:DWORD
	s_and_b64 vcc, exec, s[0:1]
	s_cbranch_vccz .LBB55_2444
; %bb.2443:
	global_load_sbyte v5, v[0:1], off
	s_movk_i32 s0, 0x7fff
	s_waitcnt vmcnt(0)
	v_cvt_f32_i32_e32 v5, v5
	v_bfe_u32 v12, v5, 16, 1
	v_add3_u32 v5, v5, v12, s0
	v_lshrrev_b32_e32 v12, 16, v5
	s_mov_b64 s[0:1], 0
	s_branch .LBB55_2445
.LBB55_2444:
	s_mov_b64 s[0:1], -1
                                        ; implicit-def: $vgpr12
.LBB55_2445:
	s_andn2_b64 vcc, exec, s[0:1]
	s_cbranch_vccnz .LBB55_2447
; %bb.2446:
	global_load_ubyte v0, v[0:1], off
	s_movk_i32 s0, 0x7fff
	s_waitcnt vmcnt(0)
	v_cvt_f32_ubyte0_e32 v0, v0
	v_bfe_u32 v1, v0, 16, 1
	v_add3_u32 v0, v0, v1, s0
	v_lshrrev_b32_e32 v12, 16, v0
.LBB55_2447:
	s_mov_b64 s[14:15], -1
.LBB55_2448:
	s_andn2_b64 vcc, exec, s[14:15]
	s_cbranch_vccnz .LBB55_3032
; %bb.2449:
	v_add_u32_e32 v0, s24, v13
	v_ashrrev_i32_e32 v1, 31, v0
	v_mov_b32_e32 v5, s3
	v_add_co_u32_e32 v0, vcc, s2, v0
	v_addc_co_u32_e32 v1, vcc, v5, v1, vcc
	v_mov_b32_e32 v5, 11
	v_cmp_lt_i16_sdwa s[0:1], v4, v5 src0_sel:BYTE_0 src1_sel:DWORD
	s_and_b64 vcc, exec, s[0:1]
	s_cbranch_vccnz .LBB55_2456
; %bb.2450:
	v_mov_b32_e32 v5, 25
	v_cmp_gt_i16_sdwa s[0:1], v4, v5 src0_sel:BYTE_0 src1_sel:DWORD
	s_mov_b64 s[2:3], 0
	s_and_b64 vcc, exec, s[0:1]
	s_cbranch_vccz .LBB55_2457
; %bb.2451:
	v_mov_b32_e32 v5, 28
	v_cmp_gt_i16_sdwa s[0:1], v4, v5 src0_sel:BYTE_0 src1_sel:DWORD
	s_and_b64 vcc, exec, s[0:1]
	s_cbranch_vccz .LBB55_2458
; %bb.2452:
	v_mov_b32_e32 v5, 43
	v_cmp_gt_i16_sdwa s[0:1], v4, v5 src0_sel:BYTE_0 src1_sel:DWORD
	;; [unrolled: 5-line block ×3, first 2 shown]
	s_and_b64 vcc, exec, s[0:1]
	s_cbranch_vccz .LBB55_2461
; %bb.2454:
	v_mov_b32_e32 v5, 46
	v_cmp_eq_u16_sdwa s[0:1], v4, v5 src0_sel:BYTE_0 src1_sel:DWORD
	s_mov_b64 s[14:15], 0
	s_and_b64 vcc, exec, s[0:1]
	s_cbranch_vccz .LBB55_2462
; %bb.2455:
	global_load_dword v5, v[0:1], off
	s_mov_b64 s[0:1], 0
	s_mov_b64 s[10:11], -1
	s_branch .LBB55_2463
.LBB55_2456:
	s_mov_b64 s[0:1], -1
	s_mov_b64 s[10:11], 0
                                        ; implicit-def: $vgpr5
	s_branch .LBB55_2529
.LBB55_2457:
	s_mov_b64 s[14:15], -1
	s_mov_b64 s[10:11], 0
	s_mov_b64 s[0:1], 0
                                        ; implicit-def: $vgpr5
	s_branch .LBB55_2492
.LBB55_2458:
	s_mov_b64 s[14:15], -1
	s_mov_b64 s[10:11], 0
	s_mov_b64 s[0:1], 0
                                        ; implicit-def: $vgpr5
	s_branch .LBB55_2473
.LBB55_2459:
	s_mov_b64 s[14:15], -1
	s_mov_b64 s[10:11], 0
	s_mov_b64 s[0:1], 0
                                        ; implicit-def: $vgpr5
	s_branch .LBB55_2468
.LBB55_2460:
	s_trap 2
	s_or_b64 s[18:19], s[18:19], exec
                                        ; implicit-def: $vgpr12
	s_cbranch_execz .LBB55_2397
	s_branch .LBB55_2398
.LBB55_2461:
	s_mov_b64 s[14:15], -1
	s_mov_b64 s[10:11], 0
	s_mov_b64 s[0:1], 0
                                        ; implicit-def: $vgpr5
	s_branch .LBB55_2463
.LBB55_2462:
	s_mov_b64 s[0:1], -1
                                        ; implicit-def: $vgpr5
	s_mov_b64 s[10:11], 0
.LBB55_2463:
	s_and_b64 vcc, exec, s[14:15]
	s_cbranch_vccz .LBB55_2467
; %bb.2464:
	s_waitcnt vmcnt(0)
	v_mov_b32_e32 v5, 44
	v_cmp_eq_u16_sdwa s[0:1], v4, v5 src0_sel:BYTE_0 src1_sel:DWORD
	s_and_b64 vcc, exec, s[0:1]
	s_cbranch_vccz .LBB55_2466
; %bb.2465:
	global_load_ubyte v5, v[0:1], off
	s_movk_i32 s10, 0xff
	v_mov_b32_e32 v13, 0x7f800001
	v_mov_b32_e32 v14, 0x400000
	;; [unrolled: 1-line block ×3, first 2 shown]
	s_mov_b64 s[0:1], 0
	s_waitcnt vmcnt(0)
	v_lshlrev_b32_e32 v16, 23, v5
	v_cmp_ne_u32_e32 vcc, s10, v5
	v_cndmask_b32_e32 v13, v13, v16, vcc
	v_cmp_ne_u32_e32 vcc, 0, v5
	v_cndmask_b32_e32 v5, v14, v13, vcc
	v_add_u32_e32 v13, 0x7fff, v5
	v_lshrrev_b32_e32 v13, 16, v13
	v_cmp_o_f32_e32 vcc, v5, v5
	v_cndmask_b32_e32 v5, v15, v13, vcc
	s_mov_b64 s[10:11], -1
	s_branch .LBB55_2467
.LBB55_2466:
	s_mov_b64 s[0:1], -1
                                        ; implicit-def: $vgpr5
.LBB55_2467:
	s_mov_b64 s[14:15], 0
.LBB55_2468:
	s_and_b64 vcc, exec, s[14:15]
	s_cbranch_vccz .LBB55_2472
; %bb.2469:
	s_waitcnt vmcnt(0)
	v_mov_b32_e32 v5, 29
	v_cmp_eq_u16_sdwa s[0:1], v4, v5 src0_sel:BYTE_0 src1_sel:DWORD
	s_and_b64 vcc, exec, s[0:1]
	s_cbranch_vccz .LBB55_2471
; %bb.2470:
	global_load_dwordx2 v[14:15], v[0:1], off
	s_movk_i32 s10, 0x7fff
	s_mov_b64 s[0:1], 0
	s_mov_b64 s[14:15], 0
	s_waitcnt vmcnt(0)
	v_ffbh_u32_e32 v5, v15
	v_min_u32_e32 v5, 32, v5
	v_lshlrev_b64 v[14:15], v5, v[14:15]
	v_min_u32_e32 v13, 1, v14
	v_or_b32_e32 v13, v15, v13
	v_cvt_f32_u32_e32 v13, v13
	v_sub_u32_e32 v5, 32, v5
	v_ldexp_f32 v5, v13, v5
	v_bfe_u32 v13, v5, 16, 1
	v_add3_u32 v5, v5, v13, s10
	v_lshrrev_b32_e32 v5, 16, v5
	s_mov_b64 s[10:11], -1
	s_branch .LBB55_2473
.LBB55_2471:
	s_mov_b64 s[0:1], -1
                                        ; implicit-def: $vgpr5
.LBB55_2472:
	s_mov_b64 s[14:15], 0
.LBB55_2473:
	s_and_b64 vcc, exec, s[14:15]
	s_cbranch_vccz .LBB55_2491
; %bb.2474:
	s_waitcnt vmcnt(0)
	v_mov_b32_e32 v5, 27
	v_cmp_lt_i16_sdwa s[10:11], v4, v5 src0_sel:BYTE_0 src1_sel:DWORD
	s_and_b64 vcc, exec, s[10:11]
	s_cbranch_vccnz .LBB55_2477
; %bb.2475:
	v_cmp_gt_i16_sdwa s[10:11], v4, v5 src0_sel:BYTE_0 src1_sel:DWORD
	s_and_b64 vcc, exec, s[10:11]
	s_cbranch_vccz .LBB55_2478
; %bb.2476:
	global_load_dword v5, v[0:1], off
	s_movk_i32 s10, 0x7fff
	s_waitcnt vmcnt(0)
	v_cvt_f32_u32_e32 v5, v5
	v_bfe_u32 v13, v5, 16, 1
	v_add3_u32 v5, v5, v13, s10
	v_lshrrev_b32_e32 v5, 16, v5
	s_mov_b64 s[10:11], 0
	s_branch .LBB55_2479
.LBB55_2477:
	s_mov_b64 s[10:11], -1
                                        ; implicit-def: $vgpr5
	s_branch .LBB55_2482
.LBB55_2478:
	s_mov_b64 s[10:11], -1
                                        ; implicit-def: $vgpr5
.LBB55_2479:
	s_andn2_b64 vcc, exec, s[10:11]
	s_cbranch_vccnz .LBB55_2481
; %bb.2480:
	global_load_ushort v5, v[0:1], off
	s_movk_i32 s10, 0x7fff
	s_waitcnt vmcnt(0)
	v_cvt_f32_u32_e32 v5, v5
	v_bfe_u32 v13, v5, 16, 1
	v_add3_u32 v5, v5, v13, s10
	v_lshrrev_b32_e32 v5, 16, v5
.LBB55_2481:
	s_mov_b64 s[10:11], 0
.LBB55_2482:
	s_andn2_b64 vcc, exec, s[10:11]
	s_cbranch_vccnz .LBB55_2490
; %bb.2483:
	global_load_ubyte v5, v[0:1], off
	s_movk_i32 s10, 0x7f
                                        ; implicit-def: $sgpr13
	s_waitcnt vmcnt(0)
	v_cmp_lt_i16_e32 vcc, s10, v5
	s_mov_b64 s[10:11], 0
	s_and_saveexec_b64 s[14:15], vcc
	s_xor_b64 s[14:15], exec, s[14:15]
	s_cbranch_execz .LBB55_2504
; %bb.2484:
	s_movk_i32 s10, 0x80
	v_cmp_eq_u16_e32 vcc, s10, v5
	s_mov_b64 s[10:11], -1
                                        ; implicit-def: $sgpr13
	s_and_saveexec_b64 s[16:17], vcc
; %bb.2485:
	s_mov_b32 s13, 0x7f800001
	s_xor_b64 s[10:11], exec, -1
; %bb.2486:
	s_or_b64 exec, exec, s[16:17]
	s_and_b64 s[10:11], s[10:11], exec
	s_or_saveexec_b64 s[14:15], s[14:15]
	v_mov_b32_e32 v13, s13
	s_xor_b64 exec, exec, s[14:15]
	s_cbranch_execnz .LBB55_2505
.LBB55_2487:
	s_or_b64 exec, exec, s[14:15]
	s_and_saveexec_b64 s[14:15], s[10:11]
	s_cbranch_execz .LBB55_2489
.LBB55_2488:
	v_lshlrev_b32_e32 v13, 24, v5
	v_and_b32_e32 v5, 0xffff, v5
	v_and_b32_e32 v14, 7, v5
	v_ffbh_u32_e32 v16, v14
	v_min_u32_e32 v16, 32, v16
	v_subrev_u32_e32 v17, 28, v16
	v_bfe_u32 v15, v5, 3, 4
	v_lshlrev_b32_e32 v5, v17, v5
	v_sub_u32_e32 v16, 29, v16
	v_and_b32_e32 v5, 7, v5
	v_cmp_eq_u32_e32 vcc, 0, v15
	v_cndmask_b32_e32 v15, v15, v16, vcc
	v_cndmask_b32_e32 v5, v14, v5, vcc
	v_mov_b32_e32 v14, 0x3b800000
	v_lshlrev_b32_e32 v5, 20, v5
	v_and_b32_e32 v13, 0x80000000, v13
	v_lshl_add_u32 v14, v15, 23, v14
	v_or3_b32 v13, v13, v14, v5
.LBB55_2489:
	s_or_b64 exec, exec, s[14:15]
	v_bfe_u32 v5, v13, 16, 1
	s_movk_i32 s10, 0x7fff
	v_add3_u32 v5, v13, v5, s10
	v_lshrrev_b32_e32 v5, 16, v5
	v_mov_b32_e32 v14, 0x7fc0
	v_cmp_o_f32_e32 vcc, v13, v13
	v_cndmask_b32_e32 v5, v14, v5, vcc
.LBB55_2490:
	s_mov_b64 s[10:11], -1
.LBB55_2491:
	s_mov_b64 s[14:15], 0
.LBB55_2492:
	s_and_b64 vcc, exec, s[14:15]
	s_cbranch_vccz .LBB55_2525
; %bb.2493:
	s_waitcnt vmcnt(0)
	v_mov_b32_e32 v5, 22
	v_cmp_gt_i16_sdwa s[2:3], v4, v5 src0_sel:BYTE_0 src1_sel:DWORD
	s_and_b64 vcc, exec, s[2:3]
	s_cbranch_vccz .LBB55_2503
; %bb.2494:
	v_mov_b32_e32 v5, 24
	v_cmp_lt_i16_sdwa s[2:3], v4, v5 src0_sel:BYTE_0 src1_sel:DWORD
	s_and_b64 vcc, exec, s[2:3]
	s_cbranch_vccnz .LBB55_2506
; %bb.2495:
	v_cmp_gt_i16_sdwa s[2:3], v4, v5 src0_sel:BYTE_0 src1_sel:DWORD
	s_and_b64 vcc, exec, s[2:3]
	s_cbranch_vccz .LBB55_2507
; %bb.2496:
	global_load_ubyte v5, v[0:1], off
	s_movk_i32 s2, 0x7f
                                        ; implicit-def: $sgpr13
	s_waitcnt vmcnt(0)
	v_cmp_lt_i16_e32 vcc, s2, v5
	s_mov_b64 s[2:3], 0
	s_and_saveexec_b64 s[10:11], vcc
	s_xor_b64 s[10:11], exec, s[10:11]
	s_cbranch_execz .LBB55_2519
; %bb.2497:
	s_movk_i32 s2, 0x80
	v_cmp_eq_u16_e32 vcc, s2, v5
	s_mov_b64 s[2:3], -1
                                        ; implicit-def: $sgpr13
	s_and_saveexec_b64 s[14:15], vcc
; %bb.2498:
	s_mov_b32 s13, 0x7f800001
	s_xor_b64 s[2:3], exec, -1
; %bb.2499:
	s_or_b64 exec, exec, s[14:15]
	s_and_b64 s[2:3], s[2:3], exec
	s_or_saveexec_b64 s[10:11], s[10:11]
	v_mov_b32_e32 v13, s13
	s_xor_b64 exec, exec, s[10:11]
	s_cbranch_execnz .LBB55_2520
.LBB55_2500:
	s_or_b64 exec, exec, s[10:11]
	s_and_saveexec_b64 s[10:11], s[2:3]
	s_cbranch_execz .LBB55_2502
.LBB55_2501:
	v_lshlrev_b32_e32 v13, 24, v5
	v_and_b32_e32 v5, 0xffff, v5
	v_and_b32_e32 v14, 3, v5
	v_ffbh_u32_e32 v16, v14
	v_min_u32_e32 v16, 32, v16
	v_subrev_u32_e32 v17, 29, v16
	v_bfe_u32 v15, v5, 2, 5
	v_lshlrev_b32_e32 v5, v17, v5
	v_sub_u32_e32 v16, 30, v16
	v_and_b32_e32 v5, 3, v5
	v_cmp_eq_u32_e32 vcc, 0, v15
	v_cndmask_b32_e32 v15, v15, v16, vcc
	v_cndmask_b32_e32 v5, v14, v5, vcc
	v_mov_b32_e32 v14, 0x37800000
	v_lshlrev_b32_e32 v5, 21, v5
	v_and_b32_e32 v13, 0x80000000, v13
	v_lshl_add_u32 v14, v15, 23, v14
	v_or3_b32 v13, v13, v14, v5
.LBB55_2502:
	s_or_b64 exec, exec, s[10:11]
	v_bfe_u32 v5, v13, 16, 1
	s_movk_i32 s2, 0x7fff
	v_add3_u32 v5, v13, v5, s2
	v_lshrrev_b32_e32 v5, 16, v5
	v_mov_b32_e32 v14, 0x7fc0
	v_cmp_o_f32_e32 vcc, v13, v13
	v_cndmask_b32_e32 v5, v14, v5, vcc
	s_mov_b64 s[2:3], 0
	s_branch .LBB55_2508
.LBB55_2503:
	s_mov_b64 s[2:3], -1
                                        ; implicit-def: $vgpr5
	s_branch .LBB55_2514
.LBB55_2504:
	s_or_saveexec_b64 s[14:15], s[14:15]
	v_mov_b32_e32 v13, s13
	s_xor_b64 exec, exec, s[14:15]
	s_cbranch_execz .LBB55_2487
.LBB55_2505:
	v_cmp_ne_u16_e32 vcc, 0, v5
	s_andn2_b64 s[10:11], s[10:11], exec
	s_and_b64 s[16:17], vcc, exec
	v_mov_b32_e32 v13, 0
	s_or_b64 s[10:11], s[10:11], s[16:17]
	s_or_b64 exec, exec, s[14:15]
	s_and_saveexec_b64 s[14:15], s[10:11]
	s_cbranch_execnz .LBB55_2488
	s_branch .LBB55_2489
.LBB55_2506:
	s_mov_b64 s[2:3], -1
                                        ; implicit-def: $vgpr5
	s_branch .LBB55_2511
.LBB55_2507:
	s_mov_b64 s[2:3], -1
                                        ; implicit-def: $vgpr5
.LBB55_2508:
	s_and_b64 vcc, exec, s[2:3]
	s_cbranch_vccz .LBB55_2510
; %bb.2509:
	global_load_ubyte v5, v[0:1], off
	s_mov_b32 s2, 0x7f800000
	s_brev_b32 s3, 1
	s_movk_i32 s10, 0x7fff
	v_mov_b32_e32 v13, 0x7fc0
	s_waitcnt vmcnt(0)
	v_lshlrev_b32_e32 v5, 24, v5
	v_and_b32_e32 v14, 0x7f000000, v5
	v_ffbh_u32_e32 v15, v14
	v_min_u32_e32 v15, 32, v15
	v_sub_u32_e64 v15, v15, 4 clamp
	v_lshlrev_b32_e32 v17, v15, v14
	v_lshlrev_b32_e32 v15, 23, v15
	v_lshrrev_b32_e32 v17, 4, v17
	v_add_u32_e32 v16, 0x1000000, v14
	v_sub_u32_e32 v15, v17, v15
	v_ashrrev_i32_e32 v16, 8, v16
	v_add_u32_e32 v15, 0x3c000000, v15
	v_and_or_b32 v15, v16, s2, v15
	v_cmp_ne_u32_e32 vcc, 0, v14
	v_cndmask_b32_e32 v14, 0, v15, vcc
	v_and_or_b32 v5, v5, s3, v14
	v_bfe_u32 v14, v14, 16, 1
	v_add3_u32 v14, v5, v14, s10
	v_lshrrev_b32_e32 v14, 16, v14
	v_cmp_o_f32_e32 vcc, v5, v5
	v_cndmask_b32_e32 v5, v13, v14, vcc
.LBB55_2510:
	s_mov_b64 s[2:3], 0
.LBB55_2511:
	s_andn2_b64 vcc, exec, s[2:3]
	s_cbranch_vccnz .LBB55_2513
; %bb.2512:
	global_load_ubyte v5, v[0:1], off
	s_movk_i32 s2, 0x7f00
	s_brev_b32 s3, 16
	s_brev_b32 s10, 1
	s_movk_i32 s11, 0x7fff
	v_mov_b32_e32 v13, 0x7fc0
	s_waitcnt vmcnt(0)
	v_lshlrev_b16_e32 v14, 8, v5
	v_lshlrev_b32_e32 v5, 25, v5
	v_lshrrev_b32_e32 v15, 4, v5
	v_and_or_b32 v16, v14, s2, 0.5
	v_or_b32_e32 v15, 0x70000000, v15
	v_add_f32_e32 v16, -0.5, v16
	v_mul_f32_e32 v15, 0x7800000, v15
	v_cmp_gt_u32_e32 vcc, s3, v5
	v_bfe_i32 v14, v14, 0, 16
	v_cndmask_b32_e32 v5, v15, v16, vcc
	v_and_or_b32 v14, v14, s10, v5
	v_bfe_u32 v5, v5, 16, 1
	v_add3_u32 v5, v14, v5, s11
	v_lshrrev_b32_e32 v5, 16, v5
	v_cmp_o_f32_e32 vcc, v14, v14
	v_cndmask_b32_e32 v5, v13, v5, vcc
.LBB55_2513:
	s_mov_b64 s[2:3], 0
	s_mov_b64 s[10:11], -1
.LBB55_2514:
	s_andn2_b64 vcc, exec, s[2:3]
	s_mov_b64 s[2:3], 0
	s_cbranch_vccnz .LBB55_2525
; %bb.2515:
	v_mov_b32_e32 v5, 14
	v_cmp_gt_i16_sdwa s[2:3], v4, v5 src0_sel:BYTE_0 src1_sel:DWORD
	s_and_b64 vcc, exec, s[2:3]
	s_cbranch_vccz .LBB55_2518
; %bb.2516:
	v_mov_b32_e32 v5, 15
	v_cmp_eq_u16_sdwa s[0:1], v4, v5 src0_sel:BYTE_0 src1_sel:DWORD
	s_and_b64 vcc, exec, s[0:1]
	s_cbranch_vccz .LBB55_2521
; %bb.2517:
	global_load_ushort v5, v[0:1], off
	s_mov_b64 s[0:1], 0
	s_mov_b64 s[10:11], -1
	s_branch .LBB55_2522
.LBB55_2518:
	s_mov_b64 s[14:15], -1
                                        ; implicit-def: $vgpr5
	s_branch .LBB55_2523
.LBB55_2519:
	s_or_saveexec_b64 s[10:11], s[10:11]
	v_mov_b32_e32 v13, s13
	s_xor_b64 exec, exec, s[10:11]
	s_cbranch_execz .LBB55_2500
.LBB55_2520:
	v_cmp_ne_u16_e32 vcc, 0, v5
	s_andn2_b64 s[2:3], s[2:3], exec
	s_and_b64 s[14:15], vcc, exec
	v_mov_b32_e32 v13, 0
	s_or_b64 s[2:3], s[2:3], s[14:15]
	s_or_b64 exec, exec, s[10:11]
	s_and_saveexec_b64 s[10:11], s[2:3]
	s_cbranch_execnz .LBB55_2501
	s_branch .LBB55_2502
.LBB55_2521:
	s_mov_b64 s[0:1], -1
                                        ; implicit-def: $vgpr5
.LBB55_2522:
	s_mov_b64 s[14:15], 0
.LBB55_2523:
	s_mov_b64 s[2:3], 0
	s_and_b64 vcc, exec, s[14:15]
	s_cbranch_vccz .LBB55_2525
; %bb.2524:
	s_waitcnt vmcnt(0)
	v_mov_b32_e32 v5, 11
	v_cmp_ne_u16_sdwa s[0:1], v4, v5 src0_sel:BYTE_0 src1_sel:DWORD
	s_mov_b64 s[2:3], -1
                                        ; implicit-def: $vgpr5
.LBB55_2525:
	s_and_b64 vcc, exec, s[0:1]
	s_cbranch_vccnz .LBB55_2589
; %bb.2526:
	s_andn2_b64 vcc, exec, s[2:3]
	s_cbranch_vccnz .LBB55_2528
.LBB55_2527:
	global_load_ubyte v5, v[0:1], off
	s_mov_b64 s[10:11], -1
	s_waitcnt vmcnt(0)
	v_cmp_ne_u16_e32 vcc, 0, v5
	v_cndmask_b32_e64 v5, 0, 1.0, vcc
	v_lshrrev_b32_e32 v5, 16, v5
.LBB55_2528:
	s_mov_b64 s[0:1], 0
.LBB55_2529:
	s_and_b64 vcc, exec, s[0:1]
	s_cbranch_vccz .LBB55_2578
; %bb.2530:
	s_waitcnt vmcnt(0)
	v_mov_b32_e32 v5, 5
	v_cmp_lt_i16_sdwa s[0:1], v4, v5 src0_sel:BYTE_0 src1_sel:DWORD
	s_and_b64 vcc, exec, s[0:1]
	s_cbranch_vccnz .LBB55_2535
; %bb.2531:
	v_mov_b32_e32 v5, 8
	v_cmp_lt_i16_sdwa s[0:1], v4, v5 src0_sel:BYTE_0 src1_sel:DWORD
	s_and_b64 vcc, exec, s[0:1]
	s_cbranch_vccnz .LBB55_2536
; %bb.2532:
	;; [unrolled: 5-line block ×3, first 2 shown]
	v_cmp_gt_i16_sdwa s[0:1], v4, v5 src0_sel:BYTE_0 src1_sel:DWORD
	s_and_b64 vcc, exec, s[0:1]
	s_cbranch_vccz .LBB55_2538
; %bb.2534:
	global_load_dwordx2 v[14:15], v[0:1], off
	s_movk_i32 s0, 0x7fff
	v_mov_b32_e32 v5, 0x7fc0
	s_waitcnt vmcnt(0)
	v_cvt_f32_f64_e32 v13, v[14:15]
	v_bfe_u32 v14, v13, 16, 1
	v_add3_u32 v14, v13, v14, s0
	v_lshrrev_b32_e32 v14, 16, v14
	v_cmp_o_f32_e32 vcc, v13, v13
	v_cndmask_b32_e32 v5, v5, v14, vcc
	s_mov_b64 s[0:1], 0
	s_branch .LBB55_2539
.LBB55_2535:
	s_mov_b64 s[0:1], -1
                                        ; implicit-def: $vgpr5
	s_branch .LBB55_2557
.LBB55_2536:
	s_mov_b64 s[0:1], -1
                                        ; implicit-def: $vgpr5
	s_branch .LBB55_2545
.LBB55_2537:
	s_mov_b64 s[0:1], -1
                                        ; implicit-def: $vgpr5
	s_branch .LBB55_2542
.LBB55_2538:
	s_mov_b64 s[0:1], -1
                                        ; implicit-def: $vgpr5
.LBB55_2539:
	s_andn2_b64 vcc, exec, s[0:1]
	s_cbranch_vccnz .LBB55_2541
; %bb.2540:
	global_load_dword v5, v[0:1], off
	s_movk_i32 s0, 0x7fff
	v_mov_b32_e32 v13, 0x7fc0
	s_waitcnt vmcnt(0)
	v_bfe_u32 v14, v5, 16, 1
	v_add3_u32 v14, v5, v14, s0
	v_lshrrev_b32_e32 v14, 16, v14
	v_cmp_o_f32_e32 vcc, v5, v5
	v_cndmask_b32_e32 v5, v13, v14, vcc
.LBB55_2541:
	s_mov_b64 s[0:1], 0
.LBB55_2542:
	s_andn2_b64 vcc, exec, s[0:1]
	s_cbranch_vccnz .LBB55_2544
; %bb.2543:
	global_load_dword v5, v[0:1], off
	s_movk_i32 s0, 0x7fff
	v_mov_b32_e32 v14, 0x7fc0
	s_waitcnt vmcnt(0)
	v_cvt_f32_f16_e32 v13, v5
	v_cmp_o_f16_e32 vcc, v5, v5
	v_bfe_u32 v15, v13, 16, 1
	v_add3_u32 v13, v13, v15, s0
	v_lshrrev_b32_e32 v13, 16, v13
	v_cndmask_b32_e32 v5, v14, v13, vcc
.LBB55_2544:
	s_mov_b64 s[0:1], 0
.LBB55_2545:
	s_andn2_b64 vcc, exec, s[0:1]
	s_cbranch_vccnz .LBB55_2556
; %bb.2546:
	v_mov_b32_e32 v5, 6
	v_cmp_lt_i16_sdwa s[0:1], v4, v5 src0_sel:BYTE_0 src1_sel:DWORD
	s_and_b64 vcc, exec, s[0:1]
	s_cbranch_vccnz .LBB55_2549
; %bb.2547:
	v_cmp_gt_i16_sdwa s[0:1], v4, v5 src0_sel:BYTE_0 src1_sel:DWORD
	s_and_b64 vcc, exec, s[0:1]
	s_cbranch_vccz .LBB55_2550
; %bb.2548:
	global_load_dwordx2 v[14:15], v[0:1], off
	s_movk_i32 s0, 0x7fff
	v_mov_b32_e32 v5, 0x7fc0
	s_waitcnt vmcnt(0)
	v_cvt_f32_f64_e32 v13, v[14:15]
	v_bfe_u32 v14, v13, 16, 1
	v_add3_u32 v14, v13, v14, s0
	v_lshrrev_b32_e32 v14, 16, v14
	v_cmp_o_f32_e32 vcc, v13, v13
	v_cndmask_b32_e32 v5, v5, v14, vcc
	s_mov_b64 s[0:1], 0
	s_branch .LBB55_2551
.LBB55_2549:
	s_mov_b64 s[0:1], -1
                                        ; implicit-def: $vgpr5
	s_branch .LBB55_2554
.LBB55_2550:
	s_mov_b64 s[0:1], -1
                                        ; implicit-def: $vgpr5
.LBB55_2551:
	s_andn2_b64 vcc, exec, s[0:1]
	s_cbranch_vccnz .LBB55_2553
; %bb.2552:
	global_load_dword v5, v[0:1], off
	s_movk_i32 s0, 0x7fff
	v_mov_b32_e32 v13, 0x7fc0
	s_waitcnt vmcnt(0)
	v_bfe_u32 v14, v5, 16, 1
	v_add3_u32 v14, v5, v14, s0
	v_lshrrev_b32_e32 v14, 16, v14
	v_cmp_o_f32_e32 vcc, v5, v5
	v_cndmask_b32_e32 v5, v13, v14, vcc
.LBB55_2553:
	s_mov_b64 s[0:1], 0
.LBB55_2554:
	s_andn2_b64 vcc, exec, s[0:1]
	s_cbranch_vccnz .LBB55_2556
; %bb.2555:
	global_load_ushort v5, v[0:1], off
	s_movk_i32 s0, 0x7fff
	v_mov_b32_e32 v14, 0x7fc0
	s_waitcnt vmcnt(0)
	v_cvt_f32_f16_e32 v13, v5
	v_cmp_o_f16_e32 vcc, v5, v5
	v_bfe_u32 v15, v13, 16, 1
	v_add3_u32 v13, v13, v15, s0
	v_lshrrev_b32_e32 v13, 16, v13
	v_cndmask_b32_e32 v5, v14, v13, vcc
.LBB55_2556:
	s_mov_b64 s[0:1], 0
.LBB55_2557:
	s_andn2_b64 vcc, exec, s[0:1]
	s_cbranch_vccnz .LBB55_2577
; %bb.2558:
	v_mov_b32_e32 v5, 2
	v_cmp_lt_i16_sdwa s[0:1], v4, v5 src0_sel:BYTE_0 src1_sel:DWORD
	s_and_b64 vcc, exec, s[0:1]
	s_cbranch_vccnz .LBB55_2562
; %bb.2559:
	v_mov_b32_e32 v5, 3
	v_cmp_lt_i16_sdwa s[0:1], v4, v5 src0_sel:BYTE_0 src1_sel:DWORD
	s_and_b64 vcc, exec, s[0:1]
	s_cbranch_vccnz .LBB55_2563
; %bb.2560:
	v_cmp_gt_i16_sdwa s[0:1], v4, v5 src0_sel:BYTE_0 src1_sel:DWORD
	s_and_b64 vcc, exec, s[0:1]
	s_cbranch_vccz .LBB55_2564
; %bb.2561:
	global_load_dwordx2 v[14:15], v[0:1], off
	s_movk_i32 s0, 0x7fff
	s_waitcnt vmcnt(0)
	v_xor_b32_e32 v13, v14, v15
	v_ffbh_i32_e32 v5, v15
	v_ashrrev_i32_e32 v13, 31, v13
	v_add_u32_e32 v5, -1, v5
	v_add_u32_e32 v13, 32, v13
	v_min_u32_e32 v5, v5, v13
	v_lshlrev_b64 v[14:15], v5, v[14:15]
	v_min_u32_e32 v13, 1, v14
	v_or_b32_e32 v13, v15, v13
	v_cvt_f32_i32_e32 v13, v13
	v_sub_u32_e32 v5, 32, v5
	v_ldexp_f32 v5, v13, v5
	v_bfe_u32 v13, v5, 16, 1
	v_add3_u32 v5, v5, v13, s0
	v_lshrrev_b32_e32 v5, 16, v5
	s_mov_b64 s[0:1], 0
	s_branch .LBB55_2565
.LBB55_2562:
	s_mov_b64 s[0:1], -1
                                        ; implicit-def: $vgpr5
	s_branch .LBB55_2571
.LBB55_2563:
	s_mov_b64 s[0:1], -1
                                        ; implicit-def: $vgpr5
	s_branch .LBB55_2568
.LBB55_2564:
	s_mov_b64 s[0:1], -1
                                        ; implicit-def: $vgpr5
.LBB55_2565:
	s_andn2_b64 vcc, exec, s[0:1]
	s_cbranch_vccnz .LBB55_2567
; %bb.2566:
	global_load_dword v5, v[0:1], off
	s_movk_i32 s0, 0x7fff
	s_waitcnt vmcnt(0)
	v_cvt_f32_i32_e32 v5, v5
	v_bfe_u32 v13, v5, 16, 1
	v_add3_u32 v5, v5, v13, s0
	v_lshrrev_b32_e32 v5, 16, v5
.LBB55_2567:
	s_mov_b64 s[0:1], 0
.LBB55_2568:
	s_andn2_b64 vcc, exec, s[0:1]
	s_cbranch_vccnz .LBB55_2570
; %bb.2569:
	global_load_sshort v5, v[0:1], off
	s_movk_i32 s0, 0x7fff
	s_waitcnt vmcnt(0)
	v_cvt_f32_i32_e32 v5, v5
	v_bfe_u32 v13, v5, 16, 1
	v_add3_u32 v5, v5, v13, s0
	v_lshrrev_b32_e32 v5, 16, v5
.LBB55_2570:
	s_mov_b64 s[0:1], 0
.LBB55_2571:
	s_andn2_b64 vcc, exec, s[0:1]
	s_cbranch_vccnz .LBB55_2577
; %bb.2572:
	v_mov_b32_e32 v5, 0
	v_cmp_gt_i16_sdwa s[0:1], v4, v5 src0_sel:BYTE_0 src1_sel:DWORD
	s_and_b64 vcc, exec, s[0:1]
	s_cbranch_vccz .LBB55_2574
; %bb.2573:
	global_load_sbyte v4, v[0:1], off
	s_movk_i32 s0, 0x7fff
	s_waitcnt vmcnt(0)
	v_cvt_f32_i32_e32 v4, v4
	v_bfe_u32 v5, v4, 16, 1
	v_add3_u32 v4, v4, v5, s0
	v_lshrrev_b32_e32 v5, 16, v4
	s_mov_b64 s[0:1], 0
	s_branch .LBB55_2575
.LBB55_2574:
	s_mov_b64 s[0:1], -1
                                        ; implicit-def: $vgpr5
.LBB55_2575:
	s_andn2_b64 vcc, exec, s[0:1]
	s_cbranch_vccnz .LBB55_2577
; %bb.2576:
	global_load_ubyte v0, v[0:1], off
	s_movk_i32 s0, 0x7fff
	s_waitcnt vmcnt(0)
	v_cvt_f32_ubyte0_e32 v0, v0
	v_bfe_u32 v1, v0, 16, 1
	v_add3_u32 v0, v0, v1, s0
	v_lshrrev_b32_e32 v5, 16, v0
.LBB55_2577:
	s_mov_b64 s[10:11], -1
.LBB55_2578:
	s_andn2_b64 vcc, exec, s[10:11]
	s_cbranch_vccnz .LBB55_3032
; %bb.2579:
	s_waitcnt vmcnt(0)
	v_lshlrev_b32_e32 v0, 16, v6
	v_lshlrev_b32_e32 v1, 16, v7
	v_div_scale_f32 v4, s[0:1], v1, v1, v0
	v_rcp_f32_e32 v6, v4
	s_movk_i32 s0, 0x7fff
	v_mul_lo_u32 v3, s12, v3
	v_fma_f32 v7, -v4, v6, 1.0
	v_fmac_f32_e32 v6, v7, v6
	v_div_scale_f32 v7, vcc, v0, v1, v0
	v_mul_f32_e32 v13, v7, v6
	v_fma_f32 v14, -v4, v13, v7
	v_fmac_f32_e32 v13, v14, v6
	v_fma_f32 v4, -v4, v13, v7
	v_div_fmas_f32 v4, v4, v6, v13
	v_div_fixup_f32 v0, v4, v1, v0
	v_bfe_u32 v1, v0, 16, 1
	v_add3_u32 v1, v0, v1, s0
	v_lshrrev_b32_e32 v1, 16, v1
	v_mov_b32_e32 v4, 0x7fc0
	v_cmp_o_f32_e32 vcc, v0, v0
	v_cndmask_b32_e32 v0, v4, v1, vcc
	v_lshlrev_b32_e32 v1, 16, v0
	s_mov_b32 s0, 0x800000
	v_mov_b32_e32 v4, 0x80
	v_cmp_ngt_f32_e32 vcc, s0, v1
	v_cndmask_b32_e32 v0, v4, v0, vcc
	v_lshlrev_b32_e32 v1, 16, v0
	s_mov_b32 s0, 0x3f7e0000
	v_mov_b32_e32 v4, 0x3f7e
	v_cmp_nlt_f32_e32 vcc, s0, v1
	v_cndmask_b32_e32 v4, v4, v0, vcc
	v_ashrrev_i32_e32 v1, 31, v3
	v_mov_b32_e32 v6, s9
	v_add_co_u32_e32 v0, vcc, s8, v3
	v_addc_co_u32_e32 v1, vcc, v6, v1, vcc
	v_mov_b32_e32 v6, 11
	v_cmp_lt_i16_sdwa s[0:1], v2, v6 src0_sel:BYTE_0 src1_sel:DWORD
	s_and_b64 vcc, exec, s[0:1]
	s_cbranch_vccnz .LBB55_2586
; %bb.2580:
	v_mov_b32_e32 v6, 25
	v_cmp_gt_i16_sdwa s[0:1], v2, v6 src0_sel:BYTE_0 src1_sel:DWORD
	s_mov_b64 s[14:15], -1
	s_mov_b64 s[2:3], 0
	s_and_b64 vcc, exec, s[0:1]
	s_mov_b64 s[10:11], 0
	s_mov_b64 s[0:1], 0
	s_cbranch_vccz .LBB55_2618
; %bb.2581:
	v_mov_b32_e32 v6, 28
	v_cmp_gt_i16_sdwa s[0:1], v2, v6 src0_sel:BYTE_0 src1_sel:DWORD
	s_and_b64 vcc, exec, s[0:1]
	s_cbranch_vccz .LBB55_2587
; %bb.2582:
	v_mov_b32_e32 v6, 43
	v_cmp_gt_i16_sdwa s[0:1], v2, v6 src0_sel:BYTE_0 src1_sel:DWORD
	s_and_b64 vcc, exec, s[0:1]
	;; [unrolled: 5-line block ×3, first 2 shown]
	s_cbranch_vccz .LBB55_2590
; %bb.2584:
	v_mov_b32_e32 v6, 46
	v_cmp_eq_u16_sdwa s[10:11], v2, v6 src0_sel:BYTE_0 src1_sel:DWORD
	s_mov_b64 s[0:1], -1
	s_mov_b64 s[14:15], 0
	s_and_b64 vcc, exec, s[10:11]
	s_mov_b64 s[10:11], 0
	s_cbranch_vccz .LBB55_2591
; %bb.2585:
	v_and_b32_e32 v6, 0xffff, v4
	global_store_dword v[0:1], v6, off
	s_mov_b64 s[0:1], 0
	s_mov_b64 s[10:11], -1
	s_branch .LBB55_2591
.LBB55_2586:
	s_mov_b64 s[0:1], -1
	s_mov_b64 s[10:11], 0
	s_branch .LBB55_2662
.LBB55_2587:
	s_mov_b64 s[0:1], 0
	s_branch .LBB55_2601
.LBB55_2588:
	s_mov_b64 s[0:1], 0
	s_branch .LBB55_2597
.LBB55_2589:
	s_trap 2
	s_or_b64 s[18:19], s[18:19], exec
                                        ; implicit-def: $vgpr5
	s_cbranch_execz .LBB55_2527
	s_branch .LBB55_2528
.LBB55_2590:
	s_mov_b64 s[0:1], 0
.LBB55_2591:
	s_and_b64 vcc, exec, s[14:15]
	s_cbranch_vccz .LBB55_2596
; %bb.2592:
	v_mov_b32_e32 v6, 44
	v_cmp_eq_u16_sdwa s[14:15], v2, v6 src0_sel:BYTE_0 src1_sel:DWORD
	s_mov_b64 s[0:1], -1
	s_and_b64 vcc, exec, s[14:15]
	s_cbranch_vccz .LBB55_2596
; %bb.2593:
	v_and_b32_e32 v7, 0xffff, v4
	v_bfe_u32 v6, v7, 7, 8
	s_movk_i32 s0, 0xff
	v_cmp_ne_u32_e32 vcc, s0, v6
	v_mov_b32_e32 v13, 0xff
	s_and_saveexec_b64 s[10:11], vcc
; %bb.2594:
	v_lshlrev_b32_e32 v14, 16, v7
	s_mov_b32 s0, 0x3f0000
	v_lshrrev_b32_e32 v13, 7, v7
	v_and_b32_e32 v7, 64, v7
	v_and_or_b32 v6, v14, s0, v6
	v_cmp_ne_u32_e32 vcc, 0, v7
	v_cmp_ne_u32_e64 s[0:1], 0, v6
	s_and_b64 s[0:1], vcc, s[0:1]
	v_cndmask_b32_e64 v6, 0, 1, s[0:1]
	v_add_u32_e32 v13, v13, v6
; %bb.2595:
	s_or_b64 exec, exec, s[10:11]
	s_mov_b64 s[0:1], 0
	s_mov_b64 s[10:11], -1
	global_store_byte v[0:1], v13, off
.LBB55_2596:
	s_mov_b64 s[14:15], 0
.LBB55_2597:
	s_and_b64 vcc, exec, s[14:15]
	s_cbranch_vccz .LBB55_2600
; %bb.2598:
	v_mov_b32_e32 v6, 29
	v_cmp_eq_u16_sdwa s[14:15], v2, v6 src0_sel:BYTE_0 src1_sel:DWORD
	s_mov_b64 s[0:1], -1
	s_and_b64 vcc, exec, s[14:15]
	s_cbranch_vccz .LBB55_2600
; %bb.2599:
	v_lshlrev_b32_e32 v6, 16, v4
	v_trunc_f32_e32 v6, v6
	v_mul_f32_e32 v7, 0x2f800000, v6
	v_floor_f32_e32 v13, v7
	v_fmac_f32_e32 v6, 0xcf800000, v13
	v_cvt_u32_f32_e32 v7, v13
	v_cvt_u32_f32_e32 v6, v6
	s_mov_b64 s[0:1], 0
	s_mov_b64 s[10:11], -1
	s_mov_b64 s[14:15], 0
	global_store_dwordx2 v[0:1], v[6:7], off
	s_branch .LBB55_2601
.LBB55_2600:
	s_mov_b64 s[14:15], 0
.LBB55_2601:
	s_and_b64 vcc, exec, s[14:15]
	s_cbranch_vccz .LBB55_2617
; %bb.2602:
	v_mov_b32_e32 v6, 27
	v_cmp_lt_i16_sdwa s[14:15], v2, v6 src0_sel:BYTE_0 src1_sel:DWORD
	s_mov_b64 s[10:11], -1
	s_and_b64 vcc, exec, s[14:15]
	s_cbranch_vccnz .LBB55_2608
; %bb.2603:
	v_cmp_gt_i16_sdwa s[14:15], v2, v6 src0_sel:BYTE_0 src1_sel:DWORD
	s_and_b64 vcc, exec, s[14:15]
	s_cbranch_vccz .LBB55_2605
; %bb.2604:
	v_lshlrev_b32_e32 v6, 16, v4
	v_cvt_u32_f32_e32 v6, v6
	s_mov_b64 s[10:11], 0
	global_store_dword v[0:1], v6, off
.LBB55_2605:
	s_andn2_b64 vcc, exec, s[10:11]
	s_cbranch_vccnz .LBB55_2607
; %bb.2606:
	v_lshlrev_b32_e32 v6, 16, v4
	v_cvt_u32_f32_e32 v6, v6
	global_store_short v[0:1], v6, off
.LBB55_2607:
	s_mov_b64 s[10:11], 0
.LBB55_2608:
	s_andn2_b64 vcc, exec, s[10:11]
	s_cbranch_vccnz .LBB55_2616
; %bb.2609:
	v_lshlrev_b32_e32 v13, 16, v4
	v_and_b32_e32 v7, 0x7fffffff, v13
	s_mov_b32 s10, 0x43800000
	v_cmp_gt_u32_e32 vcc, s10, v7
	v_mov_b32_e32 v14, 0x80
	s_and_saveexec_b64 s[10:11], vcc
	s_cbranch_execz .LBB55_2615
; %bb.2610:
	s_mov_b32 s13, 0x3bffffff
	v_and_b32_e32 v6, 0xffff, v4
	v_cmp_lt_u32_e32 vcc, s13, v7
	s_mov_b64 s[14:15], 0
                                        ; implicit-def: $vgpr7
	s_and_saveexec_b64 s[16:17], vcc
	s_xor_b64 s[16:17], exec, s[16:17]
	s_cbranch_execz .LBB55_2711
; %bb.2611:
	v_bfe_u32 v7, v6, 4, 1
	s_mov_b32 s13, 0x487ffff
	v_add3_u32 v7, v13, v7, s13
	s_mov_b64 s[14:15], exec
	v_lshrrev_b32_e32 v7, 20, v7
                                        ; implicit-def: $vgpr13
	s_or_saveexec_b64 s[16:17], s[16:17]
                                        ; implicit-def: $sgpr13
	s_xor_b64 exec, exec, s[16:17]
	s_cbranch_execnz .LBB55_2712
.LBB55_2612:
	s_or_b64 exec, exec, s[16:17]
	v_mov_b32_e32 v14, s13
	s_and_saveexec_b64 s[16:17], s[14:15]
.LBB55_2613:
	v_lshrrev_b32_e32 v6, 8, v6
	s_movk_i32 s13, 0x80
	v_and_or_b32 v14, v6, s13, v7
.LBB55_2614:
	s_or_b64 exec, exec, s[16:17]
.LBB55_2615:
	s_or_b64 exec, exec, s[10:11]
	global_store_byte v[0:1], v14, off
.LBB55_2616:
	s_mov_b64 s[10:11], -1
.LBB55_2617:
	s_mov_b64 s[14:15], 0
.LBB55_2618:
	s_and_b64 vcc, exec, s[14:15]
	s_cbranch_vccz .LBB55_2658
; %bb.2619:
	v_mov_b32_e32 v6, 22
	v_cmp_gt_i16_sdwa s[14:15], v2, v6 src0_sel:BYTE_0 src1_sel:DWORD
	s_mov_b64 s[2:3], -1
	s_and_b64 vcc, exec, s[14:15]
	s_cbranch_vccz .LBB55_2651
; %bb.2620:
	v_mov_b32_e32 v6, 24
	v_cmp_lt_i16_sdwa s[10:11], v2, v6 src0_sel:BYTE_0 src1_sel:DWORD
	s_and_b64 vcc, exec, s[10:11]
	s_cbranch_vccnz .LBB55_2640
; %bb.2621:
	v_cmp_gt_i16_sdwa s[10:11], v2, v6 src0_sel:BYTE_0 src1_sel:DWORD
	s_and_b64 vcc, exec, s[10:11]
	s_cbranch_vccz .LBB55_2629
; %bb.2622:
	v_lshlrev_b32_e32 v13, 16, v4
	v_and_b32_e32 v7, 0x7fffffff, v13
	s_mov_b32 s2, 0x47800000
	v_cmp_gt_u32_e32 vcc, s2, v7
	v_mov_b32_e32 v14, 0x80
	s_and_saveexec_b64 s[2:3], vcc
	s_cbranch_execz .LBB55_2628
; %bb.2623:
	s_mov_b32 s10, 0x37ffffff
	v_and_b32_e32 v6, 0xffff, v4
	v_cmp_lt_u32_e32 vcc, s10, v7
	s_mov_b64 s[10:11], 0
                                        ; implicit-def: $vgpr7
	s_and_saveexec_b64 s[14:15], vcc
	s_xor_b64 s[14:15], exec, s[14:15]
	s_cbranch_execz .LBB55_2715
; %bb.2624:
	v_bfe_u32 v7, v6, 5, 1
	s_mov_b32 s13, 0x88fffff
	v_add3_u32 v7, v13, v7, s13
	s_mov_b64 s[10:11], exec
	v_lshrrev_b32_e32 v7, 21, v7
                                        ; implicit-def: $vgpr13
	s_or_saveexec_b64 s[14:15], s[14:15]
                                        ; implicit-def: $sgpr13
	s_xor_b64 exec, exec, s[14:15]
	s_cbranch_execnz .LBB55_2716
.LBB55_2625:
	s_or_b64 exec, exec, s[14:15]
	v_mov_b32_e32 v14, s13
	s_and_saveexec_b64 s[14:15], s[10:11]
.LBB55_2626:
	v_lshrrev_b32_e32 v6, 8, v6
	s_movk_i32 s10, 0x80
	v_and_or_b32 v14, v6, s10, v7
.LBB55_2627:
	s_or_b64 exec, exec, s[14:15]
.LBB55_2628:
	s_or_b64 exec, exec, s[2:3]
	s_mov_b64 s[2:3], 0
	global_store_byte v[0:1], v14, off
.LBB55_2629:
	s_and_b64 vcc, exec, s[2:3]
	s_cbranch_vccz .LBB55_2639
; %bb.2630:
	v_lshlrev_b32_e32 v13, 16, v4
	v_and_b32_e32 v14, 0x7fffffff, v13
	s_mov_b32 s2, 0x43f00000
	v_and_b32_e32 v6, 0xffff, v4
	v_cmp_gt_u32_e32 vcc, s2, v14
                                        ; implicit-def: $vgpr7
	s_and_saveexec_b64 s[2:3], vcc
	s_xor_b64 s[2:3], exec, s[2:3]
	s_cbranch_execz .LBB55_2636
; %bb.2631:
	s_mov_b32 s10, 0x3c7fffff
	v_cmp_lt_u32_e32 vcc, s10, v14
                                        ; implicit-def: $vgpr7
	s_and_saveexec_b64 s[10:11], vcc
	s_xor_b64 s[10:11], exec, s[10:11]
; %bb.2632:
	v_bfe_u32 v7, v6, 4, 1
	s_mov_b32 s13, 0x407ffff
	v_add3_u32 v7, v13, v7, s13
	v_lshrrev_b32_e32 v13, 20, v7
	v_and_b32_e32 v7, 0xff00000, v7
	s_mov_b32 s13, 0x7f00000
	v_mov_b32_e32 v14, 0x7e
	v_cmp_ne_u32_e32 vcc, s13, v7
	v_cndmask_b32_e32 v7, v14, v13, vcc
                                        ; implicit-def: $vgpr13
; %bb.2633:
	s_andn2_saveexec_b64 s[10:11], s[10:11]
; %bb.2634:
	s_mov_b32 s13, 0x46800000
	v_add_f32_e64 v7, |v13|, s13
; %bb.2635:
	s_or_b64 exec, exec, s[10:11]
                                        ; implicit-def: $vgpr14
.LBB55_2636:
	s_andn2_saveexec_b64 s[2:3], s[2:3]
; %bb.2637:
	s_mov_b32 s10, 0x7f800000
	v_mov_b32_e32 v7, 0x7e
	v_mov_b32_e32 v13, 0x7f
	v_cmp_lt_u32_e32 vcc, s10, v14
	v_cndmask_b32_e32 v7, v7, v13, vcc
; %bb.2638:
	s_or_b64 exec, exec, s[2:3]
	v_lshrrev_b32_e32 v6, 8, v6
	s_movk_i32 s2, 0x80
	v_and_or_b32 v6, v6, s2, v7
	global_store_byte v[0:1], v6, off
.LBB55_2639:
	s_mov_b64 s[2:3], 0
.LBB55_2640:
	s_andn2_b64 vcc, exec, s[2:3]
	s_cbranch_vccnz .LBB55_2650
; %bb.2641:
	v_lshlrev_b32_e32 v13, 16, v4
	v_and_b32_e32 v14, 0x7fffffff, v13
	s_mov_b32 s2, 0x47800000
	v_and_b32_e32 v6, 0xffff, v4
	v_cmp_gt_u32_e32 vcc, s2, v14
                                        ; implicit-def: $vgpr7
	s_and_saveexec_b64 s[2:3], vcc
	s_xor_b64 s[2:3], exec, s[2:3]
	s_cbranch_execz .LBB55_2647
; %bb.2642:
	s_mov_b32 s10, 0x387fffff
	v_cmp_lt_u32_e32 vcc, s10, v14
                                        ; implicit-def: $vgpr7
	s_and_saveexec_b64 s[10:11], vcc
	s_xor_b64 s[10:11], exec, s[10:11]
; %bb.2643:
	v_bfe_u32 v7, v6, 5, 1
	s_mov_b32 s13, 0x80fffff
	v_add3_u32 v7, v13, v7, s13
	v_lshrrev_b32_e32 v7, 21, v7
                                        ; implicit-def: $vgpr13
; %bb.2644:
	s_andn2_saveexec_b64 s[10:11], s[10:11]
; %bb.2645:
	s_mov_b32 s13, 0x43000000
	v_add_f32_e64 v7, |v13|, s13
; %bb.2646:
	s_or_b64 exec, exec, s[10:11]
                                        ; implicit-def: $vgpr14
.LBB55_2647:
	s_andn2_saveexec_b64 s[2:3], s[2:3]
; %bb.2648:
	s_mov_b32 s10, 0x7f800000
	v_mov_b32_e32 v7, 0x7c
	v_mov_b32_e32 v13, 0x7f
	v_cmp_lt_u32_e32 vcc, s10, v14
	v_cndmask_b32_e32 v7, v7, v13, vcc
; %bb.2649:
	s_or_b64 exec, exec, s[2:3]
	v_lshrrev_b32_e32 v6, 8, v6
	s_movk_i32 s2, 0x80
	v_and_or_b32 v6, v6, s2, v7
	global_store_byte v[0:1], v6, off
.LBB55_2650:
	s_mov_b64 s[2:3], 0
	s_mov_b64 s[10:11], -1
.LBB55_2651:
	s_andn2_b64 vcc, exec, s[2:3]
	s_mov_b64 s[2:3], 0
	s_cbranch_vccnz .LBB55_2658
; %bb.2652:
	v_mov_b32_e32 v6, 14
	v_cmp_gt_i16_sdwa s[2:3], v2, v6 src0_sel:BYTE_0 src1_sel:DWORD
	s_mov_b64 s[14:15], -1
	s_and_b64 vcc, exec, s[2:3]
	s_cbranch_vccz .LBB55_2656
; %bb.2653:
	v_mov_b32_e32 v6, 15
	v_cmp_eq_u16_sdwa s[2:3], v2, v6 src0_sel:BYTE_0 src1_sel:DWORD
	s_mov_b64 s[0:1], -1
	s_and_b64 vcc, exec, s[2:3]
	s_cbranch_vccz .LBB55_2655
; %bb.2654:
	global_store_short v[0:1], v4, off
	s_mov_b64 s[0:1], 0
	s_mov_b64 s[10:11], -1
.LBB55_2655:
	s_mov_b64 s[14:15], 0
.LBB55_2656:
	s_mov_b64 s[2:3], 0
	s_and_b64 vcc, exec, s[14:15]
	s_cbranch_vccz .LBB55_2658
; %bb.2657:
	v_mov_b32_e32 v6, 11
	v_cmp_ne_u16_sdwa s[0:1], v2, v6 src0_sel:BYTE_0 src1_sel:DWORD
	s_mov_b64 s[2:3], -1
.LBB55_2658:
	s_and_b64 vcc, exec, s[0:1]
	s_cbranch_vccnz .LBB55_2714
; %bb.2659:
	s_andn2_b64 vcc, exec, s[2:3]
	s_cbranch_vccnz .LBB55_2661
.LBB55_2660:
	v_and_b32_e32 v6, 0x7fff, v4
	v_cmp_ne_u16_e32 vcc, 0, v6
	v_cndmask_b32_e64 v6, 0, 1, vcc
	s_mov_b64 s[10:11], -1
	global_store_byte v[0:1], v6, off
.LBB55_2661:
	s_mov_b64 s[0:1], 0
.LBB55_2662:
	s_and_b64 vcc, exec, s[0:1]
	s_cbranch_vccz .LBB55_2701
; %bb.2663:
	v_mov_b32_e32 v6, 5
	v_cmp_lt_i16_sdwa s[2:3], v2, v6 src0_sel:BYTE_0 src1_sel:DWORD
	s_mov_b64 s[0:1], -1
	s_and_b64 vcc, exec, s[2:3]
	s_cbranch_vccnz .LBB55_2684
; %bb.2664:
	v_mov_b32_e32 v6, 8
	v_cmp_lt_i16_sdwa s[2:3], v2, v6 src0_sel:BYTE_0 src1_sel:DWORD
	s_and_b64 vcc, exec, s[2:3]
	s_cbranch_vccnz .LBB55_2674
; %bb.2665:
	v_mov_b32_e32 v6, 9
	v_cmp_lt_i16_sdwa s[2:3], v2, v6 src0_sel:BYTE_0 src1_sel:DWORD
	s_and_b64 vcc, exec, s[2:3]
	s_cbranch_vccnz .LBB55_2671
; %bb.2666:
	v_cmp_gt_i16_sdwa s[2:3], v2, v6 src0_sel:BYTE_0 src1_sel:DWORD
	s_and_b64 vcc, exec, s[2:3]
	s_cbranch_vccz .LBB55_2668
; %bb.2667:
	v_lshlrev_b32_e32 v6, 16, v4
	v_mov_b32_e32 v16, 0
	v_cvt_f64_f32_e32 v[14:15], v6
	v_mov_b32_e32 v17, v16
	global_store_dwordx4 v[0:1], v[14:17], off
	s_mov_b64 s[0:1], 0
.LBB55_2668:
	s_andn2_b64 vcc, exec, s[0:1]
	s_cbranch_vccnz .LBB55_2670
; %bb.2669:
	v_lshlrev_b32_e32 v6, 16, v4
	v_mov_b32_e32 v7, 0
	global_store_dwordx2 v[0:1], v[6:7], off
.LBB55_2670:
	s_mov_b64 s[0:1], 0
.LBB55_2671:
	s_andn2_b64 vcc, exec, s[0:1]
	s_cbranch_vccnz .LBB55_2673
; %bb.2672:
	v_lshlrev_b32_e32 v6, 16, v4
	v_cvt_f16_f32_e32 v6, v6
	global_store_dword v[0:1], v6, off
.LBB55_2673:
	s_mov_b64 s[0:1], 0
.LBB55_2674:
	s_andn2_b64 vcc, exec, s[0:1]
	s_cbranch_vccnz .LBB55_2683
; %bb.2675:
	v_mov_b32_e32 v6, 6
	v_cmp_lt_i16_sdwa s[2:3], v2, v6 src0_sel:BYTE_0 src1_sel:DWORD
	s_mov_b64 s[0:1], -1
	s_and_b64 vcc, exec, s[2:3]
	s_cbranch_vccnz .LBB55_2681
; %bb.2676:
	v_cmp_gt_i16_sdwa s[2:3], v2, v6 src0_sel:BYTE_0 src1_sel:DWORD
	s_and_b64 vcc, exec, s[2:3]
	s_cbranch_vccz .LBB55_2678
; %bb.2677:
	v_lshlrev_b32_e32 v6, 16, v4
	v_cvt_f64_f32_e32 v[6:7], v6
	global_store_dwordx2 v[0:1], v[6:7], off
	s_mov_b64 s[0:1], 0
.LBB55_2678:
	s_andn2_b64 vcc, exec, s[0:1]
	s_cbranch_vccnz .LBB55_2680
; %bb.2679:
	v_lshlrev_b32_e32 v6, 16, v4
	global_store_dword v[0:1], v6, off
.LBB55_2680:
	s_mov_b64 s[0:1], 0
.LBB55_2681:
	s_andn2_b64 vcc, exec, s[0:1]
	s_cbranch_vccnz .LBB55_2683
; %bb.2682:
	v_lshlrev_b32_e32 v6, 16, v4
	v_cvt_f16_f32_e32 v6, v6
	global_store_short v[0:1], v6, off
.LBB55_2683:
	s_mov_b64 s[0:1], 0
.LBB55_2684:
	s_andn2_b64 vcc, exec, s[0:1]
	s_cbranch_vccnz .LBB55_2700
; %bb.2685:
	v_mov_b32_e32 v6, 2
	v_cmp_lt_i16_sdwa s[2:3], v2, v6 src0_sel:BYTE_0 src1_sel:DWORD
	s_mov_b64 s[0:1], -1
	s_and_b64 vcc, exec, s[2:3]
	s_cbranch_vccnz .LBB55_2695
; %bb.2686:
	v_mov_b32_e32 v6, 3
	v_cmp_lt_i16_sdwa s[2:3], v2, v6 src0_sel:BYTE_0 src1_sel:DWORD
	s_and_b64 vcc, exec, s[2:3]
	s_cbranch_vccnz .LBB55_2692
; %bb.2687:
	v_cmp_gt_i16_sdwa s[2:3], v2, v6 src0_sel:BYTE_0 src1_sel:DWORD
	s_and_b64 vcc, exec, s[2:3]
	s_cbranch_vccz .LBB55_2689
; %bb.2688:
	v_lshlrev_b32_e32 v6, 16, v4
	v_trunc_f32_e32 v6, v6
	s_mov_b32 s0, 0x2f800000
	v_mul_f32_e64 v7, |v6|, s0
	v_floor_f32_e32 v7, v7
	s_mov_b32 s0, 0xcf800000
	v_cvt_u32_f32_e32 v13, v7
	v_fma_f32 v7, v7, s0, |v6|
	v_cvt_u32_f32_e32 v7, v7
	v_ashrrev_i32_e32 v14, 31, v6
	v_xor_b32_e32 v13, v13, v14
	s_mov_b64 s[0:1], 0
	v_xor_b32_e32 v6, v7, v14
	v_sub_co_u32_e32 v6, vcc, v6, v14
	v_subb_co_u32_e32 v7, vcc, v13, v14, vcc
	global_store_dwordx2 v[0:1], v[6:7], off
.LBB55_2689:
	s_andn2_b64 vcc, exec, s[0:1]
	s_cbranch_vccnz .LBB55_2691
; %bb.2690:
	v_lshlrev_b32_e32 v6, 16, v4
	v_cvt_i32_f32_e32 v6, v6
	global_store_dword v[0:1], v6, off
.LBB55_2691:
	s_mov_b64 s[0:1], 0
.LBB55_2692:
	s_andn2_b64 vcc, exec, s[0:1]
	s_cbranch_vccnz .LBB55_2694
; %bb.2693:
	v_lshlrev_b32_e32 v6, 16, v4
	v_cvt_i32_f32_e32 v6, v6
	global_store_short v[0:1], v6, off
.LBB55_2694:
	s_mov_b64 s[0:1], 0
.LBB55_2695:
	s_andn2_b64 vcc, exec, s[0:1]
	s_cbranch_vccnz .LBB55_2700
; %bb.2696:
	v_mov_b32_e32 v6, 0
	v_cmp_gt_i16_sdwa s[2:3], v2, v6 src0_sel:BYTE_0 src1_sel:DWORD
	s_mov_b64 s[0:1], -1
	s_and_b64 vcc, exec, s[2:3]
	v_lshlrev_b32_e32 v4, 16, v4
	s_cbranch_vccz .LBB55_2698
; %bb.2697:
	v_cvt_i32_f32_e32 v6, v4
	s_mov_b64 s[0:1], 0
	global_store_byte v[0:1], v6, off
.LBB55_2698:
	s_andn2_b64 vcc, exec, s[0:1]
	s_cbranch_vccnz .LBB55_2700
; %bb.2699:
	v_trunc_f32_e32 v4, v4
	s_mov_b32 s0, 0x2f800000
	v_mul_f32_e64 v6, |v4|, s0
	v_floor_f32_e32 v6, v6
	s_mov_b32 s0, 0xcf800000
	v_fma_f32 v6, v6, s0, |v4|
	v_cvt_u32_f32_e32 v6, v6
	v_ashrrev_i32_e32 v4, 31, v4
	v_xor_b32_e32 v6, v6, v4
	v_sub_u32_e32 v4, v6, v4
	global_store_byte v[0:1], v4, off
.LBB55_2700:
	s_mov_b64 s[10:11], -1
.LBB55_2701:
	s_andn2_b64 vcc, exec, s[10:11]
	s_cbranch_vccnz .LBB55_3032
; %bb.2702:
	v_lshlrev_b32_e32 v0, 16, v8
	v_lshlrev_b32_e32 v1, 16, v9
	v_div_scale_f32 v4, s[0:1], v1, v1, v0
	v_rcp_f32_e32 v6, v4
	s_movk_i32 s0, 0x7fff
	s_lshl_b32 s16, s12, 7
	v_add_u32_e32 v3, s16, v3
	v_fma_f32 v7, -v4, v6, 1.0
	v_fmac_f32_e32 v6, v7, v6
	v_div_scale_f32 v7, vcc, v0, v1, v0
	v_mul_f32_e32 v8, v7, v6
	v_fma_f32 v9, -v4, v8, v7
	v_fmac_f32_e32 v8, v9, v6
	v_fma_f32 v4, -v4, v8, v7
	v_div_fmas_f32 v4, v4, v6, v8
	v_div_fixup_f32 v0, v4, v1, v0
	v_bfe_u32 v1, v0, 16, 1
	v_add3_u32 v1, v0, v1, s0
	v_lshrrev_b32_e32 v1, 16, v1
	v_mov_b32_e32 v4, 0x7fc0
	v_cmp_o_f32_e32 vcc, v0, v0
	v_cndmask_b32_e32 v0, v4, v1, vcc
	v_lshlrev_b32_e32 v1, 16, v0
	s_mov_b32 s0, 0x800000
	v_mov_b32_e32 v4, 0x80
	v_cmp_ngt_f32_e32 vcc, s0, v1
	v_cndmask_b32_e32 v0, v4, v0, vcc
	v_lshlrev_b32_e32 v1, 16, v0
	s_mov_b32 s0, 0x3f7e0000
	v_mov_b32_e32 v4, 0x3f7e
	v_cmp_nlt_f32_e32 vcc, s0, v1
	v_cndmask_b32_e32 v4, v4, v0, vcc
	v_ashrrev_i32_e32 v1, 31, v3
	v_mov_b32_e32 v6, s9
	v_add_co_u32_e32 v0, vcc, s8, v3
	v_addc_co_u32_e32 v1, vcc, v6, v1, vcc
	v_mov_b32_e32 v6, 11
	v_cmp_lt_i16_sdwa s[0:1], v2, v6 src0_sel:BYTE_0 src1_sel:DWORD
	s_and_b64 vcc, exec, s[0:1]
	s_cbranch_vccnz .LBB55_2709
; %bb.2703:
	v_mov_b32_e32 v6, 25
	v_cmp_gt_i16_sdwa s[0:1], v2, v6 src0_sel:BYTE_0 src1_sel:DWORD
	s_mov_b64 s[12:13], -1
	s_mov_b64 s[2:3], 0
	s_and_b64 vcc, exec, s[0:1]
	s_mov_b64 s[10:11], 0
	s_mov_b64 s[0:1], 0
	s_cbranch_vccz .LBB55_2745
; %bb.2704:
	v_mov_b32_e32 v6, 28
	v_cmp_gt_i16_sdwa s[0:1], v2, v6 src0_sel:BYTE_0 src1_sel:DWORD
	s_and_b64 vcc, exec, s[0:1]
	s_cbranch_vccz .LBB55_2710
; %bb.2705:
	v_mov_b32_e32 v6, 43
	v_cmp_gt_i16_sdwa s[0:1], v2, v6 src0_sel:BYTE_0 src1_sel:DWORD
	s_and_b64 vcc, exec, s[0:1]
	;; [unrolled: 5-line block ×3, first 2 shown]
	s_cbranch_vccz .LBB55_2717
; %bb.2707:
	v_mov_b32_e32 v6, 46
	v_cmp_eq_u16_sdwa s[10:11], v2, v6 src0_sel:BYTE_0 src1_sel:DWORD
	s_mov_b64 s[0:1], -1
	s_mov_b64 s[12:13], 0
	s_and_b64 vcc, exec, s[10:11]
	s_mov_b64 s[10:11], 0
	s_cbranch_vccz .LBB55_2718
; %bb.2708:
	v_and_b32_e32 v6, 0xffff, v4
	global_store_dword v[0:1], v6, off
	s_mov_b64 s[0:1], 0
	s_mov_b64 s[10:11], -1
	s_branch .LBB55_2718
.LBB55_2709:
	s_mov_b64 s[0:1], -1
	s_mov_b64 s[10:11], 0
	s_branch .LBB55_2789
.LBB55_2710:
	s_mov_b64 s[0:1], 0
	s_branch .LBB55_2728
.LBB55_2711:
	s_or_saveexec_b64 s[16:17], s[16:17]
                                        ; implicit-def: $sgpr13
	s_xor_b64 exec, exec, s[16:17]
	s_cbranch_execz .LBB55_2612
.LBB55_2712:
	s_mov_b32 s13, 0x46000000
	v_add_f32_e64 v7, |v13|, s13
	v_and_b32_e32 v7, 0xff, v7
	v_cmp_ne_u32_e32 vcc, 0, v7
	s_andn2_b64 s[14:15], s[14:15], exec
	s_and_b64 s[20:21], vcc, exec
	s_mov_b32 s13, 0
	s_or_b64 s[14:15], s[14:15], s[20:21]
	s_or_b64 exec, exec, s[16:17]
	v_mov_b32_e32 v14, s13
	s_and_saveexec_b64 s[16:17], s[14:15]
	s_cbranch_execnz .LBB55_2613
	s_branch .LBB55_2614
.LBB55_2713:
	s_mov_b64 s[0:1], 0
	s_branch .LBB55_2724
.LBB55_2714:
	s_trap 2
	s_or_b64 s[18:19], s[18:19], exec
	s_cbranch_execz .LBB55_2660
	s_branch .LBB55_2661
.LBB55_2715:
	s_or_saveexec_b64 s[14:15], s[14:15]
                                        ; implicit-def: $sgpr13
	s_xor_b64 exec, exec, s[14:15]
	s_cbranch_execz .LBB55_2625
.LBB55_2716:
	s_mov_b32 s13, 0x42800000
	v_add_f32_e64 v7, |v13|, s13
	v_and_b32_e32 v7, 0xff, v7
	v_cmp_ne_u32_e32 vcc, 0, v7
	s_andn2_b64 s[10:11], s[10:11], exec
	s_and_b64 s[16:17], vcc, exec
	s_mov_b32 s13, 0
	s_or_b64 s[10:11], s[10:11], s[16:17]
	s_or_b64 exec, exec, s[14:15]
	v_mov_b32_e32 v14, s13
	s_and_saveexec_b64 s[14:15], s[10:11]
	s_cbranch_execnz .LBB55_2626
	s_branch .LBB55_2627
.LBB55_2717:
	s_mov_b64 s[0:1], 0
.LBB55_2718:
	s_and_b64 vcc, exec, s[12:13]
	s_cbranch_vccz .LBB55_2723
; %bb.2719:
	v_mov_b32_e32 v6, 44
	v_cmp_eq_u16_sdwa s[12:13], v2, v6 src0_sel:BYTE_0 src1_sel:DWORD
	s_mov_b64 s[0:1], -1
	s_and_b64 vcc, exec, s[12:13]
	s_cbranch_vccz .LBB55_2723
; %bb.2720:
	v_and_b32_e32 v7, 0xffff, v4
	v_bfe_u32 v6, v7, 7, 8
	s_movk_i32 s0, 0xff
	v_cmp_ne_u32_e32 vcc, s0, v6
	v_mov_b32_e32 v8, 0xff
	s_and_saveexec_b64 s[10:11], vcc
; %bb.2721:
	v_lshlrev_b32_e32 v9, 16, v7
	s_mov_b32 s0, 0x3f0000
	v_lshrrev_b32_e32 v8, 7, v7
	v_and_b32_e32 v7, 64, v7
	v_and_or_b32 v6, v9, s0, v6
	v_cmp_ne_u32_e32 vcc, 0, v7
	v_cmp_ne_u32_e64 s[0:1], 0, v6
	s_and_b64 s[0:1], vcc, s[0:1]
	v_cndmask_b32_e64 v6, 0, 1, s[0:1]
	v_add_u32_e32 v8, v8, v6
; %bb.2722:
	s_or_b64 exec, exec, s[10:11]
	s_mov_b64 s[0:1], 0
	s_mov_b64 s[10:11], -1
	global_store_byte v[0:1], v8, off
.LBB55_2723:
	s_mov_b64 s[12:13], 0
.LBB55_2724:
	s_and_b64 vcc, exec, s[12:13]
	s_cbranch_vccz .LBB55_2727
; %bb.2725:
	v_mov_b32_e32 v6, 29
	v_cmp_eq_u16_sdwa s[12:13], v2, v6 src0_sel:BYTE_0 src1_sel:DWORD
	s_mov_b64 s[0:1], -1
	s_and_b64 vcc, exec, s[12:13]
	s_cbranch_vccz .LBB55_2727
; %bb.2726:
	v_lshlrev_b32_e32 v6, 16, v4
	v_trunc_f32_e32 v6, v6
	v_mul_f32_e32 v7, 0x2f800000, v6
	v_floor_f32_e32 v8, v7
	v_fmac_f32_e32 v6, 0xcf800000, v8
	v_cvt_u32_f32_e32 v7, v8
	v_cvt_u32_f32_e32 v6, v6
	s_mov_b64 s[0:1], 0
	s_mov_b64 s[10:11], -1
	s_mov_b64 s[12:13], 0
	global_store_dwordx2 v[0:1], v[6:7], off
	s_branch .LBB55_2728
.LBB55_2727:
	s_mov_b64 s[12:13], 0
.LBB55_2728:
	s_and_b64 vcc, exec, s[12:13]
	s_cbranch_vccz .LBB55_2744
; %bb.2729:
	v_mov_b32_e32 v6, 27
	v_cmp_lt_i16_sdwa s[12:13], v2, v6 src0_sel:BYTE_0 src1_sel:DWORD
	s_mov_b64 s[10:11], -1
	s_and_b64 vcc, exec, s[12:13]
	s_cbranch_vccnz .LBB55_2735
; %bb.2730:
	v_cmp_gt_i16_sdwa s[12:13], v2, v6 src0_sel:BYTE_0 src1_sel:DWORD
	s_and_b64 vcc, exec, s[12:13]
	s_cbranch_vccz .LBB55_2732
; %bb.2731:
	v_lshlrev_b32_e32 v6, 16, v4
	v_cvt_u32_f32_e32 v6, v6
	s_mov_b64 s[10:11], 0
	global_store_dword v[0:1], v6, off
.LBB55_2732:
	s_andn2_b64 vcc, exec, s[10:11]
	s_cbranch_vccnz .LBB55_2734
; %bb.2733:
	v_lshlrev_b32_e32 v6, 16, v4
	v_cvt_u32_f32_e32 v6, v6
	global_store_short v[0:1], v6, off
.LBB55_2734:
	s_mov_b64 s[10:11], 0
.LBB55_2735:
	s_andn2_b64 vcc, exec, s[10:11]
	s_cbranch_vccnz .LBB55_2743
; %bb.2736:
	v_lshlrev_b32_e32 v8, 16, v4
	v_and_b32_e32 v7, 0x7fffffff, v8
	s_mov_b32 s10, 0x43800000
	v_cmp_gt_u32_e32 vcc, s10, v7
	v_mov_b32_e32 v9, 0x80
	s_and_saveexec_b64 s[10:11], vcc
	s_cbranch_execz .LBB55_2742
; %bb.2737:
	s_mov_b32 s12, 0x3bffffff
	v_and_b32_e32 v6, 0xffff, v4
	v_cmp_lt_u32_e32 vcc, s12, v7
	s_mov_b64 s[12:13], 0
                                        ; implicit-def: $vgpr7
	s_and_saveexec_b64 s[14:15], vcc
	s_xor_b64 s[14:15], exec, s[14:15]
	s_cbranch_execz .LBB55_2838
; %bb.2738:
	v_bfe_u32 v7, v6, 4, 1
	s_mov_b32 s17, 0x487ffff
	v_add3_u32 v7, v8, v7, s17
	s_mov_b64 s[12:13], exec
	v_lshrrev_b32_e32 v7, 20, v7
                                        ; implicit-def: $vgpr8
	s_or_saveexec_b64 s[14:15], s[14:15]
                                        ; implicit-def: $sgpr17
	s_xor_b64 exec, exec, s[14:15]
	s_cbranch_execnz .LBB55_2839
.LBB55_2739:
	s_or_b64 exec, exec, s[14:15]
	v_mov_b32_e32 v9, s17
	s_and_saveexec_b64 s[14:15], s[12:13]
.LBB55_2740:
	v_lshrrev_b32_e32 v6, 8, v6
	s_movk_i32 s12, 0x80
	v_and_or_b32 v9, v6, s12, v7
.LBB55_2741:
	s_or_b64 exec, exec, s[14:15]
.LBB55_2742:
	s_or_b64 exec, exec, s[10:11]
	global_store_byte v[0:1], v9, off
.LBB55_2743:
	s_mov_b64 s[10:11], -1
.LBB55_2744:
	s_mov_b64 s[12:13], 0
.LBB55_2745:
	s_and_b64 vcc, exec, s[12:13]
	s_cbranch_vccz .LBB55_2785
; %bb.2746:
	v_mov_b32_e32 v6, 22
	v_cmp_gt_i16_sdwa s[12:13], v2, v6 src0_sel:BYTE_0 src1_sel:DWORD
	s_mov_b64 s[2:3], -1
	s_and_b64 vcc, exec, s[12:13]
	s_cbranch_vccz .LBB55_2778
; %bb.2747:
	v_mov_b32_e32 v6, 24
	v_cmp_lt_i16_sdwa s[10:11], v2, v6 src0_sel:BYTE_0 src1_sel:DWORD
	s_and_b64 vcc, exec, s[10:11]
	s_cbranch_vccnz .LBB55_2767
; %bb.2748:
	v_cmp_gt_i16_sdwa s[10:11], v2, v6 src0_sel:BYTE_0 src1_sel:DWORD
	s_and_b64 vcc, exec, s[10:11]
	s_cbranch_vccz .LBB55_2756
; %bb.2749:
	v_lshlrev_b32_e32 v8, 16, v4
	v_and_b32_e32 v7, 0x7fffffff, v8
	s_mov_b32 s2, 0x47800000
	v_cmp_gt_u32_e32 vcc, s2, v7
	v_mov_b32_e32 v9, 0x80
	s_and_saveexec_b64 s[2:3], vcc
	s_cbranch_execz .LBB55_2755
; %bb.2750:
	s_mov_b32 s10, 0x37ffffff
	v_and_b32_e32 v6, 0xffff, v4
	v_cmp_lt_u32_e32 vcc, s10, v7
	s_mov_b64 s[10:11], 0
                                        ; implicit-def: $vgpr7
	s_and_saveexec_b64 s[12:13], vcc
	s_xor_b64 s[12:13], exec, s[12:13]
	s_cbranch_execz .LBB55_2842
; %bb.2751:
	v_bfe_u32 v7, v6, 5, 1
	s_mov_b32 s14, 0x88fffff
	v_add3_u32 v7, v8, v7, s14
	s_mov_b64 s[10:11], exec
	v_lshrrev_b32_e32 v7, 21, v7
                                        ; implicit-def: $vgpr8
	s_or_saveexec_b64 s[12:13], s[12:13]
                                        ; implicit-def: $sgpr14
	s_xor_b64 exec, exec, s[12:13]
	s_cbranch_execnz .LBB55_2843
.LBB55_2752:
	s_or_b64 exec, exec, s[12:13]
	v_mov_b32_e32 v9, s14
	s_and_saveexec_b64 s[12:13], s[10:11]
.LBB55_2753:
	v_lshrrev_b32_e32 v6, 8, v6
	s_movk_i32 s10, 0x80
	v_and_or_b32 v9, v6, s10, v7
.LBB55_2754:
	s_or_b64 exec, exec, s[12:13]
.LBB55_2755:
	s_or_b64 exec, exec, s[2:3]
	s_mov_b64 s[2:3], 0
	global_store_byte v[0:1], v9, off
.LBB55_2756:
	s_and_b64 vcc, exec, s[2:3]
	s_cbranch_vccz .LBB55_2766
; %bb.2757:
	v_lshlrev_b32_e32 v8, 16, v4
	v_and_b32_e32 v9, 0x7fffffff, v8
	s_mov_b32 s2, 0x43f00000
	v_and_b32_e32 v6, 0xffff, v4
	v_cmp_gt_u32_e32 vcc, s2, v9
                                        ; implicit-def: $vgpr7
	s_and_saveexec_b64 s[2:3], vcc
	s_xor_b64 s[2:3], exec, s[2:3]
	s_cbranch_execz .LBB55_2763
; %bb.2758:
	s_mov_b32 s10, 0x3c7fffff
	v_cmp_lt_u32_e32 vcc, s10, v9
                                        ; implicit-def: $vgpr7
	s_and_saveexec_b64 s[10:11], vcc
	s_xor_b64 s[10:11], exec, s[10:11]
; %bb.2759:
	v_bfe_u32 v7, v6, 4, 1
	s_mov_b32 s12, 0x407ffff
	v_add3_u32 v7, v8, v7, s12
	v_lshrrev_b32_e32 v8, 20, v7
	v_and_b32_e32 v7, 0xff00000, v7
	s_mov_b32 s12, 0x7f00000
	v_mov_b32_e32 v9, 0x7e
	v_cmp_ne_u32_e32 vcc, s12, v7
	v_cndmask_b32_e32 v7, v9, v8, vcc
                                        ; implicit-def: $vgpr8
; %bb.2760:
	s_andn2_saveexec_b64 s[10:11], s[10:11]
; %bb.2761:
	s_mov_b32 s12, 0x46800000
	v_add_f32_e64 v7, |v8|, s12
; %bb.2762:
	s_or_b64 exec, exec, s[10:11]
                                        ; implicit-def: $vgpr9
.LBB55_2763:
	s_andn2_saveexec_b64 s[2:3], s[2:3]
; %bb.2764:
	s_mov_b32 s10, 0x7f800000
	v_mov_b32_e32 v7, 0x7e
	v_mov_b32_e32 v8, 0x7f
	v_cmp_lt_u32_e32 vcc, s10, v9
	v_cndmask_b32_e32 v7, v7, v8, vcc
; %bb.2765:
	s_or_b64 exec, exec, s[2:3]
	v_lshrrev_b32_e32 v6, 8, v6
	s_movk_i32 s2, 0x80
	v_and_or_b32 v6, v6, s2, v7
	global_store_byte v[0:1], v6, off
.LBB55_2766:
	s_mov_b64 s[2:3], 0
.LBB55_2767:
	s_andn2_b64 vcc, exec, s[2:3]
	s_cbranch_vccnz .LBB55_2777
; %bb.2768:
	v_lshlrev_b32_e32 v8, 16, v4
	v_and_b32_e32 v9, 0x7fffffff, v8
	s_mov_b32 s2, 0x47800000
	v_and_b32_e32 v6, 0xffff, v4
	v_cmp_gt_u32_e32 vcc, s2, v9
                                        ; implicit-def: $vgpr7
	s_and_saveexec_b64 s[2:3], vcc
	s_xor_b64 s[2:3], exec, s[2:3]
	s_cbranch_execz .LBB55_2774
; %bb.2769:
	s_mov_b32 s10, 0x387fffff
	v_cmp_lt_u32_e32 vcc, s10, v9
                                        ; implicit-def: $vgpr7
	s_and_saveexec_b64 s[10:11], vcc
	s_xor_b64 s[10:11], exec, s[10:11]
; %bb.2770:
	v_bfe_u32 v7, v6, 5, 1
	s_mov_b32 s12, 0x80fffff
	v_add3_u32 v7, v8, v7, s12
	v_lshrrev_b32_e32 v7, 21, v7
                                        ; implicit-def: $vgpr8
; %bb.2771:
	s_andn2_saveexec_b64 s[10:11], s[10:11]
; %bb.2772:
	s_mov_b32 s12, 0x43000000
	v_add_f32_e64 v7, |v8|, s12
; %bb.2773:
	s_or_b64 exec, exec, s[10:11]
                                        ; implicit-def: $vgpr9
.LBB55_2774:
	s_andn2_saveexec_b64 s[2:3], s[2:3]
; %bb.2775:
	s_mov_b32 s10, 0x7f800000
	v_mov_b32_e32 v7, 0x7c
	v_mov_b32_e32 v8, 0x7f
	v_cmp_lt_u32_e32 vcc, s10, v9
	v_cndmask_b32_e32 v7, v7, v8, vcc
; %bb.2776:
	s_or_b64 exec, exec, s[2:3]
	v_lshrrev_b32_e32 v6, 8, v6
	s_movk_i32 s2, 0x80
	v_and_or_b32 v6, v6, s2, v7
	global_store_byte v[0:1], v6, off
.LBB55_2777:
	s_mov_b64 s[2:3], 0
	s_mov_b64 s[10:11], -1
.LBB55_2778:
	s_andn2_b64 vcc, exec, s[2:3]
	s_mov_b64 s[2:3], 0
	s_cbranch_vccnz .LBB55_2785
; %bb.2779:
	v_mov_b32_e32 v6, 14
	v_cmp_gt_i16_sdwa s[2:3], v2, v6 src0_sel:BYTE_0 src1_sel:DWORD
	s_mov_b64 s[12:13], -1
	s_and_b64 vcc, exec, s[2:3]
	s_cbranch_vccz .LBB55_2783
; %bb.2780:
	v_mov_b32_e32 v6, 15
	v_cmp_eq_u16_sdwa s[2:3], v2, v6 src0_sel:BYTE_0 src1_sel:DWORD
	s_mov_b64 s[0:1], -1
	s_and_b64 vcc, exec, s[2:3]
	s_cbranch_vccz .LBB55_2782
; %bb.2781:
	global_store_short v[0:1], v4, off
	s_mov_b64 s[0:1], 0
	s_mov_b64 s[10:11], -1
.LBB55_2782:
	s_mov_b64 s[12:13], 0
.LBB55_2783:
	s_mov_b64 s[2:3], 0
	s_and_b64 vcc, exec, s[12:13]
	s_cbranch_vccz .LBB55_2785
; %bb.2784:
	v_mov_b32_e32 v6, 11
	v_cmp_ne_u16_sdwa s[0:1], v2, v6 src0_sel:BYTE_0 src1_sel:DWORD
	s_mov_b64 s[2:3], -1
.LBB55_2785:
	s_and_b64 vcc, exec, s[0:1]
	s_cbranch_vccnz .LBB55_2841
; %bb.2786:
	s_andn2_b64 vcc, exec, s[2:3]
	s_cbranch_vccnz .LBB55_2788
.LBB55_2787:
	v_and_b32_e32 v6, 0x7fff, v4
	v_cmp_ne_u16_e32 vcc, 0, v6
	v_cndmask_b32_e64 v6, 0, 1, vcc
	s_mov_b64 s[10:11], -1
	global_store_byte v[0:1], v6, off
.LBB55_2788:
	s_mov_b64 s[0:1], 0
.LBB55_2789:
	s_and_b64 vcc, exec, s[0:1]
	s_cbranch_vccz .LBB55_2828
; %bb.2790:
	v_mov_b32_e32 v6, 5
	v_cmp_lt_i16_sdwa s[2:3], v2, v6 src0_sel:BYTE_0 src1_sel:DWORD
	s_mov_b64 s[0:1], -1
	s_and_b64 vcc, exec, s[2:3]
	s_cbranch_vccnz .LBB55_2811
; %bb.2791:
	v_mov_b32_e32 v6, 8
	v_cmp_lt_i16_sdwa s[2:3], v2, v6 src0_sel:BYTE_0 src1_sel:DWORD
	s_and_b64 vcc, exec, s[2:3]
	s_cbranch_vccnz .LBB55_2801
; %bb.2792:
	v_mov_b32_e32 v6, 9
	v_cmp_lt_i16_sdwa s[2:3], v2, v6 src0_sel:BYTE_0 src1_sel:DWORD
	s_and_b64 vcc, exec, s[2:3]
	s_cbranch_vccnz .LBB55_2798
; %bb.2793:
	v_cmp_gt_i16_sdwa s[2:3], v2, v6 src0_sel:BYTE_0 src1_sel:DWORD
	s_and_b64 vcc, exec, s[2:3]
	s_cbranch_vccz .LBB55_2795
; %bb.2794:
	v_lshlrev_b32_e32 v6, 16, v4
	v_mov_b32_e32 v8, 0
	v_cvt_f64_f32_e32 v[6:7], v6
	v_mov_b32_e32 v9, v8
	global_store_dwordx4 v[0:1], v[6:9], off
	s_mov_b64 s[0:1], 0
.LBB55_2795:
	s_andn2_b64 vcc, exec, s[0:1]
	s_cbranch_vccnz .LBB55_2797
; %bb.2796:
	v_lshlrev_b32_e32 v6, 16, v4
	v_mov_b32_e32 v7, 0
	global_store_dwordx2 v[0:1], v[6:7], off
.LBB55_2797:
	s_mov_b64 s[0:1], 0
.LBB55_2798:
	s_andn2_b64 vcc, exec, s[0:1]
	s_cbranch_vccnz .LBB55_2800
; %bb.2799:
	v_lshlrev_b32_e32 v6, 16, v4
	v_cvt_f16_f32_e32 v6, v6
	global_store_dword v[0:1], v6, off
.LBB55_2800:
	s_mov_b64 s[0:1], 0
.LBB55_2801:
	s_andn2_b64 vcc, exec, s[0:1]
	s_cbranch_vccnz .LBB55_2810
; %bb.2802:
	v_mov_b32_e32 v6, 6
	v_cmp_lt_i16_sdwa s[2:3], v2, v6 src0_sel:BYTE_0 src1_sel:DWORD
	s_mov_b64 s[0:1], -1
	s_and_b64 vcc, exec, s[2:3]
	s_cbranch_vccnz .LBB55_2808
; %bb.2803:
	v_cmp_gt_i16_sdwa s[2:3], v2, v6 src0_sel:BYTE_0 src1_sel:DWORD
	s_and_b64 vcc, exec, s[2:3]
	s_cbranch_vccz .LBB55_2805
; %bb.2804:
	v_lshlrev_b32_e32 v6, 16, v4
	v_cvt_f64_f32_e32 v[6:7], v6
	global_store_dwordx2 v[0:1], v[6:7], off
	s_mov_b64 s[0:1], 0
.LBB55_2805:
	s_andn2_b64 vcc, exec, s[0:1]
	s_cbranch_vccnz .LBB55_2807
; %bb.2806:
	v_lshlrev_b32_e32 v6, 16, v4
	global_store_dword v[0:1], v6, off
.LBB55_2807:
	s_mov_b64 s[0:1], 0
.LBB55_2808:
	s_andn2_b64 vcc, exec, s[0:1]
	s_cbranch_vccnz .LBB55_2810
; %bb.2809:
	v_lshlrev_b32_e32 v6, 16, v4
	v_cvt_f16_f32_e32 v6, v6
	global_store_short v[0:1], v6, off
.LBB55_2810:
	s_mov_b64 s[0:1], 0
.LBB55_2811:
	s_andn2_b64 vcc, exec, s[0:1]
	s_cbranch_vccnz .LBB55_2827
; %bb.2812:
	v_mov_b32_e32 v6, 2
	v_cmp_lt_i16_sdwa s[2:3], v2, v6 src0_sel:BYTE_0 src1_sel:DWORD
	s_mov_b64 s[0:1], -1
	s_and_b64 vcc, exec, s[2:3]
	s_cbranch_vccnz .LBB55_2822
; %bb.2813:
	v_mov_b32_e32 v6, 3
	v_cmp_lt_i16_sdwa s[2:3], v2, v6 src0_sel:BYTE_0 src1_sel:DWORD
	s_and_b64 vcc, exec, s[2:3]
	s_cbranch_vccnz .LBB55_2819
; %bb.2814:
	v_cmp_gt_i16_sdwa s[2:3], v2, v6 src0_sel:BYTE_0 src1_sel:DWORD
	s_and_b64 vcc, exec, s[2:3]
	s_cbranch_vccz .LBB55_2816
; %bb.2815:
	v_lshlrev_b32_e32 v6, 16, v4
	v_trunc_f32_e32 v6, v6
	s_mov_b32 s0, 0x2f800000
	v_mul_f32_e64 v7, |v6|, s0
	v_floor_f32_e32 v7, v7
	s_mov_b32 s0, 0xcf800000
	v_cvt_u32_f32_e32 v8, v7
	v_fma_f32 v7, v7, s0, |v6|
	v_cvt_u32_f32_e32 v7, v7
	v_ashrrev_i32_e32 v9, 31, v6
	v_xor_b32_e32 v8, v8, v9
	s_mov_b64 s[0:1], 0
	v_xor_b32_e32 v6, v7, v9
	v_sub_co_u32_e32 v6, vcc, v6, v9
	v_subb_co_u32_e32 v7, vcc, v8, v9, vcc
	global_store_dwordx2 v[0:1], v[6:7], off
.LBB55_2816:
	s_andn2_b64 vcc, exec, s[0:1]
	s_cbranch_vccnz .LBB55_2818
; %bb.2817:
	v_lshlrev_b32_e32 v6, 16, v4
	v_cvt_i32_f32_e32 v6, v6
	global_store_dword v[0:1], v6, off
.LBB55_2818:
	s_mov_b64 s[0:1], 0
.LBB55_2819:
	s_andn2_b64 vcc, exec, s[0:1]
	s_cbranch_vccnz .LBB55_2821
; %bb.2820:
	v_lshlrev_b32_e32 v6, 16, v4
	v_cvt_i32_f32_e32 v6, v6
	global_store_short v[0:1], v6, off
.LBB55_2821:
	s_mov_b64 s[0:1], 0
.LBB55_2822:
	s_andn2_b64 vcc, exec, s[0:1]
	s_cbranch_vccnz .LBB55_2827
; %bb.2823:
	v_mov_b32_e32 v6, 0
	v_cmp_gt_i16_sdwa s[2:3], v2, v6 src0_sel:BYTE_0 src1_sel:DWORD
	s_mov_b64 s[0:1], -1
	s_and_b64 vcc, exec, s[2:3]
	v_lshlrev_b32_e32 v4, 16, v4
	s_cbranch_vccz .LBB55_2825
; %bb.2824:
	v_cvt_i32_f32_e32 v6, v4
	s_mov_b64 s[0:1], 0
	global_store_byte v[0:1], v6, off
.LBB55_2825:
	s_andn2_b64 vcc, exec, s[0:1]
	s_cbranch_vccnz .LBB55_2827
; %bb.2826:
	v_trunc_f32_e32 v4, v4
	s_mov_b32 s0, 0x2f800000
	v_mul_f32_e64 v6, |v4|, s0
	v_floor_f32_e32 v6, v6
	s_mov_b32 s0, 0xcf800000
	v_fma_f32 v6, v6, s0, |v4|
	v_cvt_u32_f32_e32 v6, v6
	v_ashrrev_i32_e32 v4, 31, v4
	v_xor_b32_e32 v6, v6, v4
	v_sub_u32_e32 v4, v6, v4
	global_store_byte v[0:1], v4, off
.LBB55_2827:
	s_mov_b64 s[10:11], -1
.LBB55_2828:
	s_andn2_b64 vcc, exec, s[10:11]
	s_cbranch_vccnz .LBB55_3032
; %bb.2829:
	v_lshlrev_b32_e32 v0, 16, v10
	v_lshlrev_b32_e32 v1, 16, v11
	v_div_scale_f32 v4, s[0:1], v1, v1, v0
	v_rcp_f32_e32 v6, v4
	s_movk_i32 s0, 0x7fff
	v_add_u32_e32 v3, s16, v3
	v_fma_f32 v7, -v4, v6, 1.0
	v_fmac_f32_e32 v6, v7, v6
	v_div_scale_f32 v7, vcc, v0, v1, v0
	v_mul_f32_e32 v8, v7, v6
	v_fma_f32 v9, -v4, v8, v7
	v_fmac_f32_e32 v8, v9, v6
	v_fma_f32 v4, -v4, v8, v7
	v_div_fmas_f32 v4, v4, v6, v8
	v_div_fixup_f32 v0, v4, v1, v0
	v_bfe_u32 v1, v0, 16, 1
	v_add3_u32 v1, v0, v1, s0
	v_lshrrev_b32_e32 v1, 16, v1
	v_mov_b32_e32 v4, 0x7fc0
	v_cmp_o_f32_e32 vcc, v0, v0
	v_cndmask_b32_e32 v0, v4, v1, vcc
	v_lshlrev_b32_e32 v1, 16, v0
	s_mov_b32 s0, 0x800000
	v_mov_b32_e32 v4, 0x80
	v_cmp_ngt_f32_e32 vcc, s0, v1
	v_cndmask_b32_e32 v0, v4, v0, vcc
	v_lshlrev_b32_e32 v1, 16, v0
	s_mov_b32 s0, 0x3f7e0000
	v_mov_b32_e32 v4, 0x3f7e
	v_cmp_nlt_f32_e32 vcc, s0, v1
	v_cndmask_b32_e32 v4, v4, v0, vcc
	v_ashrrev_i32_e32 v1, 31, v3
	v_mov_b32_e32 v6, s9
	v_add_co_u32_e32 v0, vcc, s8, v3
	v_addc_co_u32_e32 v1, vcc, v6, v1, vcc
	v_mov_b32_e32 v6, 11
	v_cmp_lt_i16_sdwa s[0:1], v2, v6 src0_sel:BYTE_0 src1_sel:DWORD
	s_and_b64 vcc, exec, s[0:1]
	s_cbranch_vccnz .LBB55_2836
; %bb.2830:
	v_mov_b32_e32 v6, 25
	v_cmp_gt_i16_sdwa s[0:1], v2, v6 src0_sel:BYTE_0 src1_sel:DWORD
	s_mov_b64 s[12:13], -1
	s_mov_b64 s[2:3], 0
	s_and_b64 vcc, exec, s[0:1]
	s_mov_b64 s[10:11], 0
	s_mov_b64 s[0:1], 0
	s_cbranch_vccz .LBB55_2872
; %bb.2831:
	v_mov_b32_e32 v6, 28
	v_cmp_gt_i16_sdwa s[0:1], v2, v6 src0_sel:BYTE_0 src1_sel:DWORD
	s_and_b64 vcc, exec, s[0:1]
	s_cbranch_vccz .LBB55_2837
; %bb.2832:
	v_mov_b32_e32 v6, 43
	v_cmp_gt_i16_sdwa s[0:1], v2, v6 src0_sel:BYTE_0 src1_sel:DWORD
	s_and_b64 vcc, exec, s[0:1]
	;; [unrolled: 5-line block ×3, first 2 shown]
	s_cbranch_vccz .LBB55_2844
; %bb.2834:
	v_mov_b32_e32 v6, 46
	v_cmp_eq_u16_sdwa s[10:11], v2, v6 src0_sel:BYTE_0 src1_sel:DWORD
	s_mov_b64 s[0:1], -1
	s_mov_b64 s[12:13], 0
	s_and_b64 vcc, exec, s[10:11]
	s_mov_b64 s[10:11], 0
	s_cbranch_vccz .LBB55_2845
; %bb.2835:
	v_and_b32_e32 v6, 0xffff, v4
	global_store_dword v[0:1], v6, off
	s_mov_b64 s[0:1], 0
	s_mov_b64 s[10:11], -1
	s_branch .LBB55_2845
.LBB55_2836:
	s_mov_b64 s[0:1], -1
	s_mov_b64 s[10:11], 0
	s_branch .LBB55_2916
.LBB55_2837:
	s_mov_b64 s[0:1], 0
	s_branch .LBB55_2855
.LBB55_2838:
	s_or_saveexec_b64 s[14:15], s[14:15]
                                        ; implicit-def: $sgpr17
	s_xor_b64 exec, exec, s[14:15]
	s_cbranch_execz .LBB55_2739
.LBB55_2839:
	s_mov_b32 s17, 0x46000000
	v_add_f32_e64 v7, |v8|, s17
	v_and_b32_e32 v7, 0xff, v7
	v_cmp_ne_u32_e32 vcc, 0, v7
	s_andn2_b64 s[12:13], s[12:13], exec
	s_and_b64 s[20:21], vcc, exec
	s_mov_b32 s17, 0
	s_or_b64 s[12:13], s[12:13], s[20:21]
	s_or_b64 exec, exec, s[14:15]
	v_mov_b32_e32 v9, s17
	s_and_saveexec_b64 s[14:15], s[12:13]
	s_cbranch_execnz .LBB55_2740
	s_branch .LBB55_2741
.LBB55_2840:
	s_mov_b64 s[0:1], 0
	s_branch .LBB55_2851
.LBB55_2841:
	s_trap 2
	s_or_b64 s[18:19], s[18:19], exec
	s_cbranch_execz .LBB55_2787
	s_branch .LBB55_2788
.LBB55_2842:
	s_or_saveexec_b64 s[12:13], s[12:13]
                                        ; implicit-def: $sgpr14
	s_xor_b64 exec, exec, s[12:13]
	s_cbranch_execz .LBB55_2752
.LBB55_2843:
	s_mov_b32 s14, 0x42800000
	v_add_f32_e64 v7, |v8|, s14
	v_and_b32_e32 v7, 0xff, v7
	v_cmp_ne_u32_e32 vcc, 0, v7
	s_andn2_b64 s[10:11], s[10:11], exec
	s_and_b64 s[20:21], vcc, exec
	s_mov_b32 s14, 0
	s_or_b64 s[10:11], s[10:11], s[20:21]
	s_or_b64 exec, exec, s[12:13]
	v_mov_b32_e32 v9, s14
	s_and_saveexec_b64 s[12:13], s[10:11]
	s_cbranch_execnz .LBB55_2753
	s_branch .LBB55_2754
.LBB55_2844:
	s_mov_b64 s[0:1], 0
.LBB55_2845:
	s_and_b64 vcc, exec, s[12:13]
	s_cbranch_vccz .LBB55_2850
; %bb.2846:
	v_mov_b32_e32 v6, 44
	v_cmp_eq_u16_sdwa s[12:13], v2, v6 src0_sel:BYTE_0 src1_sel:DWORD
	s_mov_b64 s[0:1], -1
	s_and_b64 vcc, exec, s[12:13]
	s_cbranch_vccz .LBB55_2850
; %bb.2847:
	v_and_b32_e32 v7, 0xffff, v4
	v_bfe_u32 v6, v7, 7, 8
	s_movk_i32 s0, 0xff
	v_cmp_ne_u32_e32 vcc, s0, v6
	v_mov_b32_e32 v8, 0xff
	s_and_saveexec_b64 s[10:11], vcc
; %bb.2848:
	v_lshlrev_b32_e32 v9, 16, v7
	s_mov_b32 s0, 0x3f0000
	v_lshrrev_b32_e32 v8, 7, v7
	v_and_b32_e32 v7, 64, v7
	v_and_or_b32 v6, v9, s0, v6
	v_cmp_ne_u32_e32 vcc, 0, v7
	v_cmp_ne_u32_e64 s[0:1], 0, v6
	s_and_b64 s[0:1], vcc, s[0:1]
	v_cndmask_b32_e64 v6, 0, 1, s[0:1]
	v_add_u32_e32 v8, v8, v6
; %bb.2849:
	s_or_b64 exec, exec, s[10:11]
	s_mov_b64 s[0:1], 0
	s_mov_b64 s[10:11], -1
	global_store_byte v[0:1], v8, off
.LBB55_2850:
	s_mov_b64 s[12:13], 0
.LBB55_2851:
	s_and_b64 vcc, exec, s[12:13]
	s_cbranch_vccz .LBB55_2854
; %bb.2852:
	v_mov_b32_e32 v6, 29
	v_cmp_eq_u16_sdwa s[12:13], v2, v6 src0_sel:BYTE_0 src1_sel:DWORD
	s_mov_b64 s[0:1], -1
	s_and_b64 vcc, exec, s[12:13]
	s_cbranch_vccz .LBB55_2854
; %bb.2853:
	v_lshlrev_b32_e32 v6, 16, v4
	v_trunc_f32_e32 v6, v6
	v_mul_f32_e32 v7, 0x2f800000, v6
	v_floor_f32_e32 v8, v7
	v_fmac_f32_e32 v6, 0xcf800000, v8
	v_cvt_u32_f32_e32 v7, v8
	v_cvt_u32_f32_e32 v6, v6
	s_mov_b64 s[0:1], 0
	s_mov_b64 s[10:11], -1
	s_mov_b64 s[12:13], 0
	global_store_dwordx2 v[0:1], v[6:7], off
	s_branch .LBB55_2855
.LBB55_2854:
	s_mov_b64 s[12:13], 0
.LBB55_2855:
	s_and_b64 vcc, exec, s[12:13]
	s_cbranch_vccz .LBB55_2871
; %bb.2856:
	v_mov_b32_e32 v6, 27
	v_cmp_lt_i16_sdwa s[12:13], v2, v6 src0_sel:BYTE_0 src1_sel:DWORD
	s_mov_b64 s[10:11], -1
	s_and_b64 vcc, exec, s[12:13]
	s_cbranch_vccnz .LBB55_2862
; %bb.2857:
	v_cmp_gt_i16_sdwa s[12:13], v2, v6 src0_sel:BYTE_0 src1_sel:DWORD
	s_and_b64 vcc, exec, s[12:13]
	s_cbranch_vccz .LBB55_2859
; %bb.2858:
	v_lshlrev_b32_e32 v6, 16, v4
	v_cvt_u32_f32_e32 v6, v6
	s_mov_b64 s[10:11], 0
	global_store_dword v[0:1], v6, off
.LBB55_2859:
	s_andn2_b64 vcc, exec, s[10:11]
	s_cbranch_vccnz .LBB55_2861
; %bb.2860:
	v_lshlrev_b32_e32 v6, 16, v4
	v_cvt_u32_f32_e32 v6, v6
	global_store_short v[0:1], v6, off
.LBB55_2861:
	s_mov_b64 s[10:11], 0
.LBB55_2862:
	s_andn2_b64 vcc, exec, s[10:11]
	s_cbranch_vccnz .LBB55_2870
; %bb.2863:
	v_lshlrev_b32_e32 v8, 16, v4
	v_and_b32_e32 v7, 0x7fffffff, v8
	s_mov_b32 s10, 0x43800000
	v_cmp_gt_u32_e32 vcc, s10, v7
	v_mov_b32_e32 v9, 0x80
	s_and_saveexec_b64 s[10:11], vcc
	s_cbranch_execz .LBB55_2869
; %bb.2864:
	s_mov_b32 s12, 0x3bffffff
	v_and_b32_e32 v6, 0xffff, v4
	v_cmp_lt_u32_e32 vcc, s12, v7
	s_mov_b64 s[12:13], 0
                                        ; implicit-def: $vgpr7
	s_and_saveexec_b64 s[14:15], vcc
	s_xor_b64 s[14:15], exec, s[14:15]
	s_cbranch_execz .LBB55_3078
; %bb.2865:
	v_bfe_u32 v7, v6, 4, 1
	s_mov_b32 s17, 0x487ffff
	v_add3_u32 v7, v8, v7, s17
	s_mov_b64 s[12:13], exec
	v_lshrrev_b32_e32 v7, 20, v7
                                        ; implicit-def: $vgpr8
	s_or_saveexec_b64 s[14:15], s[14:15]
                                        ; implicit-def: $sgpr17
	s_xor_b64 exec, exec, s[14:15]
	s_cbranch_execnz .LBB55_3079
.LBB55_2866:
	s_or_b64 exec, exec, s[14:15]
	v_mov_b32_e32 v9, s17
	s_and_saveexec_b64 s[14:15], s[12:13]
.LBB55_2867:
	v_lshrrev_b32_e32 v6, 8, v6
	s_movk_i32 s12, 0x80
	v_and_or_b32 v9, v6, s12, v7
.LBB55_2868:
	s_or_b64 exec, exec, s[14:15]
.LBB55_2869:
	s_or_b64 exec, exec, s[10:11]
	global_store_byte v[0:1], v9, off
.LBB55_2870:
	s_mov_b64 s[10:11], -1
.LBB55_2871:
	s_mov_b64 s[12:13], 0
.LBB55_2872:
	s_and_b64 vcc, exec, s[12:13]
	s_cbranch_vccz .LBB55_2912
; %bb.2873:
	v_mov_b32_e32 v6, 22
	v_cmp_gt_i16_sdwa s[12:13], v2, v6 src0_sel:BYTE_0 src1_sel:DWORD
	s_mov_b64 s[2:3], -1
	s_and_b64 vcc, exec, s[12:13]
	s_cbranch_vccz .LBB55_2905
; %bb.2874:
	v_mov_b32_e32 v6, 24
	v_cmp_lt_i16_sdwa s[10:11], v2, v6 src0_sel:BYTE_0 src1_sel:DWORD
	s_and_b64 vcc, exec, s[10:11]
	s_cbranch_vccnz .LBB55_2894
; %bb.2875:
	v_cmp_gt_i16_sdwa s[10:11], v2, v6 src0_sel:BYTE_0 src1_sel:DWORD
	s_and_b64 vcc, exec, s[10:11]
	s_cbranch_vccz .LBB55_2883
; %bb.2876:
	v_lshlrev_b32_e32 v8, 16, v4
	v_and_b32_e32 v7, 0x7fffffff, v8
	s_mov_b32 s2, 0x47800000
	v_cmp_gt_u32_e32 vcc, s2, v7
	v_mov_b32_e32 v9, 0x80
	s_and_saveexec_b64 s[2:3], vcc
	s_cbranch_execz .LBB55_2882
; %bb.2877:
	s_mov_b32 s10, 0x37ffffff
	v_and_b32_e32 v6, 0xffff, v4
	v_cmp_lt_u32_e32 vcc, s10, v7
	s_mov_b64 s[10:11], 0
                                        ; implicit-def: $vgpr7
	s_and_saveexec_b64 s[12:13], vcc
	s_xor_b64 s[12:13], exec, s[12:13]
	s_cbranch_execz .LBB55_3081
; %bb.2878:
	v_bfe_u32 v7, v6, 5, 1
	s_mov_b32 s14, 0x88fffff
	v_add3_u32 v7, v8, v7, s14
	s_mov_b64 s[10:11], exec
	v_lshrrev_b32_e32 v7, 21, v7
                                        ; implicit-def: $vgpr8
	s_or_saveexec_b64 s[12:13], s[12:13]
                                        ; implicit-def: $sgpr14
	s_xor_b64 exec, exec, s[12:13]
	s_cbranch_execnz .LBB55_3082
.LBB55_2879:
	s_or_b64 exec, exec, s[12:13]
	v_mov_b32_e32 v9, s14
	s_and_saveexec_b64 s[12:13], s[10:11]
.LBB55_2880:
	v_lshrrev_b32_e32 v6, 8, v6
	s_movk_i32 s10, 0x80
	v_and_or_b32 v9, v6, s10, v7
.LBB55_2881:
	s_or_b64 exec, exec, s[12:13]
.LBB55_2882:
	s_or_b64 exec, exec, s[2:3]
	s_mov_b64 s[2:3], 0
	global_store_byte v[0:1], v9, off
.LBB55_2883:
	s_and_b64 vcc, exec, s[2:3]
	s_cbranch_vccz .LBB55_2893
; %bb.2884:
	v_lshlrev_b32_e32 v8, 16, v4
	v_and_b32_e32 v9, 0x7fffffff, v8
	s_mov_b32 s2, 0x43f00000
	v_and_b32_e32 v6, 0xffff, v4
	v_cmp_gt_u32_e32 vcc, s2, v9
                                        ; implicit-def: $vgpr7
	s_and_saveexec_b64 s[2:3], vcc
	s_xor_b64 s[2:3], exec, s[2:3]
	s_cbranch_execz .LBB55_2890
; %bb.2885:
	s_mov_b32 s10, 0x3c7fffff
	v_cmp_lt_u32_e32 vcc, s10, v9
                                        ; implicit-def: $vgpr7
	s_and_saveexec_b64 s[10:11], vcc
	s_xor_b64 s[10:11], exec, s[10:11]
; %bb.2886:
	v_bfe_u32 v7, v6, 4, 1
	s_mov_b32 s12, 0x407ffff
	v_add3_u32 v7, v8, v7, s12
	v_lshrrev_b32_e32 v8, 20, v7
	v_and_b32_e32 v7, 0xff00000, v7
	s_mov_b32 s12, 0x7f00000
	v_mov_b32_e32 v9, 0x7e
	v_cmp_ne_u32_e32 vcc, s12, v7
	v_cndmask_b32_e32 v7, v9, v8, vcc
                                        ; implicit-def: $vgpr8
; %bb.2887:
	s_andn2_saveexec_b64 s[10:11], s[10:11]
; %bb.2888:
	s_mov_b32 s12, 0x46800000
	v_add_f32_e64 v7, |v8|, s12
; %bb.2889:
	s_or_b64 exec, exec, s[10:11]
                                        ; implicit-def: $vgpr9
.LBB55_2890:
	s_andn2_saveexec_b64 s[2:3], s[2:3]
; %bb.2891:
	s_mov_b32 s10, 0x7f800000
	v_mov_b32_e32 v7, 0x7e
	v_mov_b32_e32 v8, 0x7f
	v_cmp_lt_u32_e32 vcc, s10, v9
	v_cndmask_b32_e32 v7, v7, v8, vcc
; %bb.2892:
	s_or_b64 exec, exec, s[2:3]
	v_lshrrev_b32_e32 v6, 8, v6
	s_movk_i32 s2, 0x80
	v_and_or_b32 v6, v6, s2, v7
	global_store_byte v[0:1], v6, off
.LBB55_2893:
	s_mov_b64 s[2:3], 0
.LBB55_2894:
	s_andn2_b64 vcc, exec, s[2:3]
	s_cbranch_vccnz .LBB55_2904
; %bb.2895:
	v_lshlrev_b32_e32 v8, 16, v4
	v_and_b32_e32 v9, 0x7fffffff, v8
	s_mov_b32 s2, 0x47800000
	v_and_b32_e32 v6, 0xffff, v4
	v_cmp_gt_u32_e32 vcc, s2, v9
                                        ; implicit-def: $vgpr7
	s_and_saveexec_b64 s[2:3], vcc
	s_xor_b64 s[2:3], exec, s[2:3]
	s_cbranch_execz .LBB55_2901
; %bb.2896:
	s_mov_b32 s10, 0x387fffff
	v_cmp_lt_u32_e32 vcc, s10, v9
                                        ; implicit-def: $vgpr7
	s_and_saveexec_b64 s[10:11], vcc
	s_xor_b64 s[10:11], exec, s[10:11]
; %bb.2897:
	v_bfe_u32 v7, v6, 5, 1
	s_mov_b32 s12, 0x80fffff
	v_add3_u32 v7, v8, v7, s12
	v_lshrrev_b32_e32 v7, 21, v7
                                        ; implicit-def: $vgpr8
; %bb.2898:
	s_andn2_saveexec_b64 s[10:11], s[10:11]
; %bb.2899:
	s_mov_b32 s12, 0x43000000
	v_add_f32_e64 v7, |v8|, s12
; %bb.2900:
	s_or_b64 exec, exec, s[10:11]
                                        ; implicit-def: $vgpr9
.LBB55_2901:
	s_andn2_saveexec_b64 s[2:3], s[2:3]
; %bb.2902:
	s_mov_b32 s10, 0x7f800000
	v_mov_b32_e32 v7, 0x7c
	v_mov_b32_e32 v8, 0x7f
	v_cmp_lt_u32_e32 vcc, s10, v9
	v_cndmask_b32_e32 v7, v7, v8, vcc
; %bb.2903:
	s_or_b64 exec, exec, s[2:3]
	v_lshrrev_b32_e32 v6, 8, v6
	s_movk_i32 s2, 0x80
	v_and_or_b32 v6, v6, s2, v7
	global_store_byte v[0:1], v6, off
.LBB55_2904:
	s_mov_b64 s[2:3], 0
	s_mov_b64 s[10:11], -1
.LBB55_2905:
	s_andn2_b64 vcc, exec, s[2:3]
	s_mov_b64 s[2:3], 0
	s_cbranch_vccnz .LBB55_2912
; %bb.2906:
	v_mov_b32_e32 v6, 14
	v_cmp_gt_i16_sdwa s[2:3], v2, v6 src0_sel:BYTE_0 src1_sel:DWORD
	s_mov_b64 s[12:13], -1
	s_and_b64 vcc, exec, s[2:3]
	s_cbranch_vccz .LBB55_2910
; %bb.2907:
	v_mov_b32_e32 v6, 15
	v_cmp_eq_u16_sdwa s[2:3], v2, v6 src0_sel:BYTE_0 src1_sel:DWORD
	s_mov_b64 s[0:1], -1
	s_and_b64 vcc, exec, s[2:3]
	s_cbranch_vccz .LBB55_2909
; %bb.2908:
	global_store_short v[0:1], v4, off
	s_mov_b64 s[0:1], 0
	s_mov_b64 s[10:11], -1
.LBB55_2909:
	s_mov_b64 s[12:13], 0
.LBB55_2910:
	s_mov_b64 s[2:3], 0
	s_and_b64 vcc, exec, s[12:13]
	s_cbranch_vccz .LBB55_2912
; %bb.2911:
	v_mov_b32_e32 v6, 11
	v_cmp_ne_u16_sdwa s[0:1], v2, v6 src0_sel:BYTE_0 src1_sel:DWORD
	s_mov_b64 s[2:3], -1
.LBB55_2912:
	s_and_b64 vcc, exec, s[0:1]
	s_cbranch_vccnz .LBB55_3080
; %bb.2913:
	s_andn2_b64 vcc, exec, s[2:3]
	s_cbranch_vccnz .LBB55_2915
.LBB55_2914:
	v_and_b32_e32 v6, 0x7fff, v4
	v_cmp_ne_u16_e32 vcc, 0, v6
	v_cndmask_b32_e64 v6, 0, 1, vcc
	s_mov_b64 s[10:11], -1
	global_store_byte v[0:1], v6, off
.LBB55_2915:
	s_mov_b64 s[0:1], 0
.LBB55_2916:
	s_and_b64 vcc, exec, s[0:1]
	s_cbranch_vccz .LBB55_2955
; %bb.2917:
	v_mov_b32_e32 v6, 5
	v_cmp_lt_i16_sdwa s[2:3], v2, v6 src0_sel:BYTE_0 src1_sel:DWORD
	s_mov_b64 s[0:1], -1
	s_and_b64 vcc, exec, s[2:3]
	s_cbranch_vccnz .LBB55_2938
; %bb.2918:
	v_mov_b32_e32 v6, 8
	v_cmp_lt_i16_sdwa s[2:3], v2, v6 src0_sel:BYTE_0 src1_sel:DWORD
	s_and_b64 vcc, exec, s[2:3]
	s_cbranch_vccnz .LBB55_2928
; %bb.2919:
	v_mov_b32_e32 v6, 9
	v_cmp_lt_i16_sdwa s[2:3], v2, v6 src0_sel:BYTE_0 src1_sel:DWORD
	s_and_b64 vcc, exec, s[2:3]
	s_cbranch_vccnz .LBB55_2925
; %bb.2920:
	v_cmp_gt_i16_sdwa s[2:3], v2, v6 src0_sel:BYTE_0 src1_sel:DWORD
	s_and_b64 vcc, exec, s[2:3]
	s_cbranch_vccz .LBB55_2922
; %bb.2921:
	v_lshlrev_b32_e32 v6, 16, v4
	v_mov_b32_e32 v8, 0
	v_cvt_f64_f32_e32 v[6:7], v6
	v_mov_b32_e32 v9, v8
	global_store_dwordx4 v[0:1], v[6:9], off
	s_mov_b64 s[0:1], 0
.LBB55_2922:
	s_andn2_b64 vcc, exec, s[0:1]
	s_cbranch_vccnz .LBB55_2924
; %bb.2923:
	v_lshlrev_b32_e32 v6, 16, v4
	v_mov_b32_e32 v7, 0
	global_store_dwordx2 v[0:1], v[6:7], off
.LBB55_2924:
	s_mov_b64 s[0:1], 0
.LBB55_2925:
	s_andn2_b64 vcc, exec, s[0:1]
	s_cbranch_vccnz .LBB55_2927
; %bb.2926:
	v_lshlrev_b32_e32 v6, 16, v4
	v_cvt_f16_f32_e32 v6, v6
	global_store_dword v[0:1], v6, off
.LBB55_2927:
	s_mov_b64 s[0:1], 0
.LBB55_2928:
	s_andn2_b64 vcc, exec, s[0:1]
	s_cbranch_vccnz .LBB55_2937
; %bb.2929:
	v_mov_b32_e32 v6, 6
	v_cmp_lt_i16_sdwa s[2:3], v2, v6 src0_sel:BYTE_0 src1_sel:DWORD
	s_mov_b64 s[0:1], -1
	s_and_b64 vcc, exec, s[2:3]
	s_cbranch_vccnz .LBB55_2935
; %bb.2930:
	v_cmp_gt_i16_sdwa s[2:3], v2, v6 src0_sel:BYTE_0 src1_sel:DWORD
	s_and_b64 vcc, exec, s[2:3]
	s_cbranch_vccz .LBB55_2932
; %bb.2931:
	v_lshlrev_b32_e32 v6, 16, v4
	v_cvt_f64_f32_e32 v[6:7], v6
	global_store_dwordx2 v[0:1], v[6:7], off
	s_mov_b64 s[0:1], 0
.LBB55_2932:
	s_andn2_b64 vcc, exec, s[0:1]
	s_cbranch_vccnz .LBB55_2934
; %bb.2933:
	v_lshlrev_b32_e32 v6, 16, v4
	global_store_dword v[0:1], v6, off
.LBB55_2934:
	s_mov_b64 s[0:1], 0
.LBB55_2935:
	s_andn2_b64 vcc, exec, s[0:1]
	s_cbranch_vccnz .LBB55_2937
; %bb.2936:
	v_lshlrev_b32_e32 v6, 16, v4
	v_cvt_f16_f32_e32 v6, v6
	global_store_short v[0:1], v6, off
.LBB55_2937:
	s_mov_b64 s[0:1], 0
.LBB55_2938:
	s_andn2_b64 vcc, exec, s[0:1]
	s_cbranch_vccnz .LBB55_2954
; %bb.2939:
	v_mov_b32_e32 v6, 2
	v_cmp_lt_i16_sdwa s[2:3], v2, v6 src0_sel:BYTE_0 src1_sel:DWORD
	s_mov_b64 s[0:1], -1
	s_and_b64 vcc, exec, s[2:3]
	s_cbranch_vccnz .LBB55_2949
; %bb.2940:
	v_mov_b32_e32 v6, 3
	v_cmp_lt_i16_sdwa s[2:3], v2, v6 src0_sel:BYTE_0 src1_sel:DWORD
	s_and_b64 vcc, exec, s[2:3]
	s_cbranch_vccnz .LBB55_2946
; %bb.2941:
	v_cmp_gt_i16_sdwa s[2:3], v2, v6 src0_sel:BYTE_0 src1_sel:DWORD
	s_and_b64 vcc, exec, s[2:3]
	s_cbranch_vccz .LBB55_2943
; %bb.2942:
	v_lshlrev_b32_e32 v6, 16, v4
	v_trunc_f32_e32 v6, v6
	s_mov_b32 s0, 0x2f800000
	v_mul_f32_e64 v7, |v6|, s0
	v_floor_f32_e32 v7, v7
	s_mov_b32 s0, 0xcf800000
	v_cvt_u32_f32_e32 v8, v7
	v_fma_f32 v7, v7, s0, |v6|
	v_cvt_u32_f32_e32 v7, v7
	v_ashrrev_i32_e32 v9, 31, v6
	v_xor_b32_e32 v8, v8, v9
	s_mov_b64 s[0:1], 0
	v_xor_b32_e32 v6, v7, v9
	v_sub_co_u32_e32 v6, vcc, v6, v9
	v_subb_co_u32_e32 v7, vcc, v8, v9, vcc
	global_store_dwordx2 v[0:1], v[6:7], off
.LBB55_2943:
	s_andn2_b64 vcc, exec, s[0:1]
	s_cbranch_vccnz .LBB55_2945
; %bb.2944:
	v_lshlrev_b32_e32 v6, 16, v4
	v_cvt_i32_f32_e32 v6, v6
	global_store_dword v[0:1], v6, off
.LBB55_2945:
	s_mov_b64 s[0:1], 0
.LBB55_2946:
	s_andn2_b64 vcc, exec, s[0:1]
	s_cbranch_vccnz .LBB55_2948
; %bb.2947:
	v_lshlrev_b32_e32 v6, 16, v4
	v_cvt_i32_f32_e32 v6, v6
	global_store_short v[0:1], v6, off
.LBB55_2948:
	s_mov_b64 s[0:1], 0
.LBB55_2949:
	s_andn2_b64 vcc, exec, s[0:1]
	s_cbranch_vccnz .LBB55_2954
; %bb.2950:
	v_mov_b32_e32 v6, 0
	v_cmp_gt_i16_sdwa s[2:3], v2, v6 src0_sel:BYTE_0 src1_sel:DWORD
	s_mov_b64 s[0:1], -1
	s_and_b64 vcc, exec, s[2:3]
	v_lshlrev_b32_e32 v4, 16, v4
	s_cbranch_vccz .LBB55_2952
; %bb.2951:
	v_cvt_i32_f32_e32 v6, v4
	s_mov_b64 s[0:1], 0
	global_store_byte v[0:1], v6, off
.LBB55_2952:
	s_andn2_b64 vcc, exec, s[0:1]
	s_cbranch_vccnz .LBB55_2954
; %bb.2953:
	v_trunc_f32_e32 v4, v4
	s_mov_b32 s0, 0x2f800000
	v_mul_f32_e64 v6, |v4|, s0
	v_floor_f32_e32 v6, v6
	s_mov_b32 s0, 0xcf800000
	v_fma_f32 v6, v6, s0, |v4|
	v_cvt_u32_f32_e32 v6, v6
	v_ashrrev_i32_e32 v4, 31, v4
	v_xor_b32_e32 v6, v6, v4
	v_sub_u32_e32 v4, v6, v4
	global_store_byte v[0:1], v4, off
.LBB55_2954:
	s_mov_b64 s[10:11], -1
.LBB55_2955:
	s_andn2_b64 vcc, exec, s[10:11]
	s_cbranch_vccnz .LBB55_3032
; %bb.2956:
	v_lshlrev_b32_e32 v0, 16, v12
	v_lshlrev_b32_e32 v1, 16, v5
	v_div_scale_f32 v4, s[0:1], v1, v1, v0
	v_rcp_f32_e32 v5, v4
	s_movk_i32 s0, 0x7fff
	v_fma_f32 v6, -v4, v5, 1.0
	v_fmac_f32_e32 v5, v6, v5
	v_div_scale_f32 v6, vcc, v0, v1, v0
	v_mul_f32_e32 v7, v6, v5
	v_fma_f32 v8, -v4, v7, v6
	v_fmac_f32_e32 v7, v8, v5
	v_fma_f32 v4, -v4, v7, v6
	v_div_fmas_f32 v4, v4, v5, v7
	v_div_fixup_f32 v0, v4, v1, v0
	v_bfe_u32 v1, v0, 16, 1
	v_add3_u32 v1, v0, v1, s0
	v_lshrrev_b32_e32 v1, 16, v1
	v_mov_b32_e32 v4, 0x7fc0
	v_cmp_o_f32_e32 vcc, v0, v0
	v_cndmask_b32_e32 v0, v4, v1, vcc
	v_lshlrev_b32_e32 v1, 16, v0
	s_mov_b32 s0, 0x800000
	v_mov_b32_e32 v4, 0x80
	v_cmp_ngt_f32_e32 vcc, s0, v1
	v_cndmask_b32_e32 v0, v4, v0, vcc
	v_lshlrev_b32_e32 v1, 16, v0
	s_mov_b32 s0, 0x3f7e0000
	v_mov_b32_e32 v4, 0x3f7e
	v_cmp_nlt_f32_e32 vcc, s0, v1
	v_cndmask_b32_e32 v7, v4, v0, vcc
	v_add_u32_e32 v0, s16, v3
	v_ashrrev_i32_e32 v1, 31, v0
	v_mov_b32_e32 v3, s9
	v_add_co_u32_e32 v0, vcc, s8, v0
	v_addc_co_u32_e32 v1, vcc, v3, v1, vcc
	v_and_b32_e32 v6, 0xff, v2
	v_cmp_gt_i16_e32 vcc, 11, v6
	s_cbranch_vccnz .LBB55_3077
; %bb.2957:
	v_cmp_lt_i16_e32 vcc, 25, v6
	s_mov_b64 s[8:9], -1
	s_mov_b64 s[2:3], 0
	s_mov_b64 s[0:1], 0
	s_cbranch_vccz .LBB55_2990
; %bb.2958:
	v_cmp_lt_i16_e32 vcc, 28, v6
	s_cbranch_vccz .LBB55_2974
; %bb.2959:
	v_cmp_lt_i16_e32 vcc, 43, v6
	s_cbranch_vccz .LBB55_2970
; %bb.2960:
	v_cmp_lt_i16_e32 vcc, 45, v6
	s_cbranch_vccz .LBB55_2964
; %bb.2961:
	v_cmp_eq_u16_e32 vcc, 46, v6
	s_mov_b64 s[0:1], -1
	s_cbranch_vccz .LBB55_2963
; %bb.2962:
	v_and_b32_e32 v2, 0xffff, v7
	global_store_dword v[0:1], v2, off
	s_mov_b64 s[0:1], 0
.LBB55_2963:
	s_mov_b64 s[8:9], 0
.LBB55_2964:
	s_and_b64 vcc, exec, s[8:9]
	s_cbranch_vccz .LBB55_2969
; %bb.2965:
	v_cmp_eq_u16_e32 vcc, 44, v6
	s_mov_b64 s[0:1], -1
	s_cbranch_vccz .LBB55_2969
; %bb.2966:
	v_and_b32_e32 v3, 0xffff, v7
	v_bfe_u32 v2, v3, 7, 8
	s_movk_i32 s0, 0xff
	v_cmp_ne_u32_e32 vcc, s0, v2
	v_mov_b32_e32 v4, 0xff
	s_and_saveexec_b64 s[8:9], vcc
; %bb.2967:
	v_lshlrev_b32_e32 v5, 16, v3
	s_mov_b32 s0, 0x3f0000
	v_lshrrev_b32_e32 v4, 7, v3
	v_and_b32_e32 v3, 64, v3
	v_and_or_b32 v2, v5, s0, v2
	v_cmp_ne_u32_e32 vcc, 0, v3
	v_cmp_ne_u32_e64 s[0:1], 0, v2
	s_and_b64 s[0:1], vcc, s[0:1]
	v_cndmask_b32_e64 v2, 0, 1, s[0:1]
	v_add_u32_e32 v4, v4, v2
; %bb.2968:
	s_or_b64 exec, exec, s[8:9]
	s_mov_b64 s[0:1], 0
	global_store_byte v[0:1], v4, off
.LBB55_2969:
	s_mov_b64 s[8:9], 0
.LBB55_2970:
	s_and_b64 vcc, exec, s[8:9]
	s_cbranch_vccz .LBB55_2973
; %bb.2971:
	v_cmp_eq_u16_e32 vcc, 29, v6
	s_mov_b64 s[0:1], -1
	s_cbranch_vccz .LBB55_2973
; %bb.2972:
	v_lshlrev_b32_e32 v2, 16, v7
	v_trunc_f32_e32 v2, v2
	v_mul_f32_e32 v3, 0x2f800000, v2
	v_floor_f32_e32 v4, v3
	v_fmac_f32_e32 v2, 0xcf800000, v4
	v_cvt_u32_f32_e32 v3, v4
	v_cvt_u32_f32_e32 v2, v2
	s_mov_b64 s[0:1], 0
	global_store_dwordx2 v[0:1], v[2:3], off
.LBB55_2973:
	s_mov_b64 s[8:9], 0
.LBB55_2974:
	s_and_b64 vcc, exec, s[8:9]
	s_cbranch_vccz .LBB55_2989
; %bb.2975:
	v_cmp_gt_i16_e32 vcc, 27, v6
	s_mov_b64 s[8:9], -1
	s_cbranch_vccnz .LBB55_2981
; %bb.2976:
	v_cmp_lt_i16_e32 vcc, 27, v6
	s_cbranch_vccz .LBB55_2978
; %bb.2977:
	v_lshlrev_b32_e32 v2, 16, v7
	v_cvt_u32_f32_e32 v2, v2
	s_mov_b64 s[8:9], 0
	global_store_dword v[0:1], v2, off
.LBB55_2978:
	s_andn2_b64 vcc, exec, s[8:9]
	s_cbranch_vccnz .LBB55_2980
; %bb.2979:
	v_lshlrev_b32_e32 v2, 16, v7
	v_cvt_u32_f32_e32 v2, v2
	global_store_short v[0:1], v2, off
.LBB55_2980:
	s_mov_b64 s[8:9], 0
.LBB55_2981:
	s_andn2_b64 vcc, exec, s[8:9]
	s_cbranch_vccnz .LBB55_2989
; %bb.2982:
	v_lshlrev_b32_e32 v4, 16, v7
	v_and_b32_e32 v3, 0x7fffffff, v4
	s_mov_b32 s8, 0x43800000
	v_cmp_gt_u32_e32 vcc, s8, v3
	v_mov_b32_e32 v5, 0x80
	s_and_saveexec_b64 s[8:9], vcc
	s_cbranch_execz .LBB55_2988
; %bb.2983:
	s_mov_b32 s10, 0x3bffffff
	v_and_b32_e32 v2, 0xffff, v7
	v_cmp_lt_u32_e32 vcc, s10, v3
	s_mov_b64 s[10:11], 0
                                        ; implicit-def: $vgpr3
	s_and_saveexec_b64 s[12:13], vcc
	s_xor_b64 s[12:13], exec, s[12:13]
	s_cbranch_execz .LBB55_3083
; %bb.2984:
	v_bfe_u32 v3, v2, 4, 1
	s_mov_b32 s14, 0x487ffff
	v_add3_u32 v3, v4, v3, s14
	s_mov_b64 s[10:11], exec
	v_lshrrev_b32_e32 v3, 20, v3
                                        ; implicit-def: $vgpr4
	s_or_saveexec_b64 s[12:13], s[12:13]
                                        ; implicit-def: $sgpr14
	s_xor_b64 exec, exec, s[12:13]
	s_cbranch_execnz .LBB55_3084
.LBB55_2985:
	s_or_b64 exec, exec, s[12:13]
	v_mov_b32_e32 v5, s14
	s_and_saveexec_b64 s[12:13], s[10:11]
.LBB55_2986:
	v_lshrrev_b32_e32 v2, 8, v2
	s_movk_i32 s10, 0x80
	v_and_or_b32 v5, v2, s10, v3
.LBB55_2987:
	s_or_b64 exec, exec, s[12:13]
.LBB55_2988:
	s_or_b64 exec, exec, s[8:9]
	global_store_byte v[0:1], v5, off
.LBB55_2989:
	s_mov_b64 s[8:9], 0
.LBB55_2990:
	s_and_b64 vcc, exec, s[8:9]
	s_cbranch_vccz .LBB55_3030
; %bb.2991:
	v_cmp_lt_i16_e32 vcc, 22, v6
	s_mov_b64 s[2:3], -1
	s_cbranch_vccz .LBB55_3023
; %bb.2992:
	v_cmp_gt_i16_e32 vcc, 24, v6
	s_cbranch_vccnz .LBB55_3012
; %bb.2993:
	v_cmp_lt_i16_e32 vcc, 24, v6
	s_cbranch_vccz .LBB55_3001
; %bb.2994:
	v_lshlrev_b32_e32 v4, 16, v7
	v_and_b32_e32 v3, 0x7fffffff, v4
	s_mov_b32 s2, 0x47800000
	v_cmp_gt_u32_e32 vcc, s2, v3
	v_mov_b32_e32 v5, 0x80
	s_and_saveexec_b64 s[2:3], vcc
	s_cbranch_execz .LBB55_3000
; %bb.2995:
	s_mov_b32 s8, 0x37ffffff
	v_and_b32_e32 v2, 0xffff, v7
	v_cmp_lt_u32_e32 vcc, s8, v3
	s_mov_b64 s[8:9], 0
                                        ; implicit-def: $vgpr3
	s_and_saveexec_b64 s[10:11], vcc
	s_xor_b64 s[10:11], exec, s[10:11]
	s_cbranch_execz .LBB55_3086
; %bb.2996:
	v_bfe_u32 v3, v2, 5, 1
	s_mov_b32 s12, 0x88fffff
	v_add3_u32 v3, v4, v3, s12
	s_mov_b64 s[8:9], exec
	v_lshrrev_b32_e32 v3, 21, v3
                                        ; implicit-def: $vgpr4
	s_or_saveexec_b64 s[10:11], s[10:11]
                                        ; implicit-def: $sgpr12
	s_xor_b64 exec, exec, s[10:11]
	s_cbranch_execnz .LBB55_3087
.LBB55_2997:
	s_or_b64 exec, exec, s[10:11]
	v_mov_b32_e32 v5, s12
	s_and_saveexec_b64 s[10:11], s[8:9]
.LBB55_2998:
	v_lshrrev_b32_e32 v2, 8, v2
	s_movk_i32 s8, 0x80
	v_and_or_b32 v5, v2, s8, v3
.LBB55_2999:
	s_or_b64 exec, exec, s[10:11]
.LBB55_3000:
	s_or_b64 exec, exec, s[2:3]
	s_mov_b64 s[2:3], 0
	global_store_byte v[0:1], v5, off
.LBB55_3001:
	s_and_b64 vcc, exec, s[2:3]
	s_cbranch_vccz .LBB55_3011
; %bb.3002:
	v_lshlrev_b32_e32 v4, 16, v7
	v_and_b32_e32 v5, 0x7fffffff, v4
	s_mov_b32 s2, 0x43f00000
	v_and_b32_e32 v2, 0xffff, v7
	v_cmp_gt_u32_e32 vcc, s2, v5
                                        ; implicit-def: $vgpr3
	s_and_saveexec_b64 s[2:3], vcc
	s_xor_b64 s[2:3], exec, s[2:3]
	s_cbranch_execz .LBB55_3008
; %bb.3003:
	s_mov_b32 s8, 0x3c7fffff
	v_cmp_lt_u32_e32 vcc, s8, v5
                                        ; implicit-def: $vgpr3
	s_and_saveexec_b64 s[8:9], vcc
	s_xor_b64 s[8:9], exec, s[8:9]
; %bb.3004:
	v_bfe_u32 v3, v2, 4, 1
	s_mov_b32 s10, 0x407ffff
	v_add3_u32 v3, v4, v3, s10
	v_lshrrev_b32_e32 v4, 20, v3
	v_and_b32_e32 v3, 0xff00000, v3
	s_mov_b32 s10, 0x7f00000
	v_mov_b32_e32 v5, 0x7e
	v_cmp_ne_u32_e32 vcc, s10, v3
	v_cndmask_b32_e32 v3, v5, v4, vcc
                                        ; implicit-def: $vgpr4
; %bb.3005:
	s_andn2_saveexec_b64 s[8:9], s[8:9]
; %bb.3006:
	s_mov_b32 s10, 0x46800000
	v_add_f32_e64 v3, |v4|, s10
; %bb.3007:
	s_or_b64 exec, exec, s[8:9]
                                        ; implicit-def: $vgpr5
.LBB55_3008:
	s_andn2_saveexec_b64 s[2:3], s[2:3]
; %bb.3009:
	s_mov_b32 s8, 0x7f800000
	v_mov_b32_e32 v3, 0x7e
	v_mov_b32_e32 v4, 0x7f
	v_cmp_lt_u32_e32 vcc, s8, v5
	v_cndmask_b32_e32 v3, v3, v4, vcc
; %bb.3010:
	s_or_b64 exec, exec, s[2:3]
	v_lshrrev_b32_e32 v2, 8, v2
	s_movk_i32 s2, 0x80
	v_and_or_b32 v2, v2, s2, v3
	global_store_byte v[0:1], v2, off
.LBB55_3011:
	s_mov_b64 s[2:3], 0
.LBB55_3012:
	s_andn2_b64 vcc, exec, s[2:3]
	s_cbranch_vccnz .LBB55_3022
; %bb.3013:
	v_lshlrev_b32_e32 v4, 16, v7
	v_and_b32_e32 v5, 0x7fffffff, v4
	s_mov_b32 s2, 0x47800000
	v_and_b32_e32 v2, 0xffff, v7
	v_cmp_gt_u32_e32 vcc, s2, v5
                                        ; implicit-def: $vgpr3
	s_and_saveexec_b64 s[2:3], vcc
	s_xor_b64 s[2:3], exec, s[2:3]
	s_cbranch_execz .LBB55_3019
; %bb.3014:
	s_mov_b32 s8, 0x387fffff
	v_cmp_lt_u32_e32 vcc, s8, v5
                                        ; implicit-def: $vgpr3
	s_and_saveexec_b64 s[8:9], vcc
	s_xor_b64 s[8:9], exec, s[8:9]
; %bb.3015:
	v_bfe_u32 v3, v2, 5, 1
	s_mov_b32 s10, 0x80fffff
	v_add3_u32 v3, v4, v3, s10
	v_lshrrev_b32_e32 v3, 21, v3
                                        ; implicit-def: $vgpr4
; %bb.3016:
	s_andn2_saveexec_b64 s[8:9], s[8:9]
; %bb.3017:
	s_mov_b32 s10, 0x43000000
	v_add_f32_e64 v3, |v4|, s10
; %bb.3018:
	s_or_b64 exec, exec, s[8:9]
                                        ; implicit-def: $vgpr5
.LBB55_3019:
	s_andn2_saveexec_b64 s[2:3], s[2:3]
; %bb.3020:
	s_mov_b32 s8, 0x7f800000
	v_mov_b32_e32 v3, 0x7c
	v_mov_b32_e32 v4, 0x7f
	v_cmp_lt_u32_e32 vcc, s8, v5
	v_cndmask_b32_e32 v3, v3, v4, vcc
; %bb.3021:
	s_or_b64 exec, exec, s[2:3]
	v_lshrrev_b32_e32 v2, 8, v2
	s_movk_i32 s2, 0x80
	v_and_or_b32 v2, v2, s2, v3
	global_store_byte v[0:1], v2, off
.LBB55_3022:
	s_mov_b64 s[2:3], 0
.LBB55_3023:
	s_andn2_b64 vcc, exec, s[2:3]
	s_mov_b64 s[2:3], 0
	s_cbranch_vccnz .LBB55_3030
; %bb.3024:
	v_cmp_lt_i16_e32 vcc, 14, v6
	s_mov_b64 s[8:9], -1
	s_cbranch_vccz .LBB55_3028
; %bb.3025:
	v_cmp_eq_u16_e32 vcc, 15, v6
	s_mov_b64 s[0:1], -1
	s_cbranch_vccz .LBB55_3027
; %bb.3026:
	global_store_short v[0:1], v7, off
	s_mov_b64 s[0:1], 0
.LBB55_3027:
	s_mov_b64 s[8:9], 0
.LBB55_3028:
	s_and_b64 vcc, exec, s[8:9]
	s_cbranch_vccz .LBB55_3030
; %bb.3029:
	v_cmp_ne_u16_e64 s[0:1], 11, v6
	s_mov_b64 s[2:3], -1
.LBB55_3030:
	s_and_b64 vcc, exec, s[0:1]
	s_cbranch_vccnz .LBB55_3085
.LBB55_3031:
	s_mov_b64 s[0:1], 0
	s_branch .LBB55_3033
.LBB55_3032:
	s_mov_b64 s[0:1], 0
	s_mov_b64 s[2:3], 0
                                        ; implicit-def: $vgpr6
                                        ; implicit-def: $vgpr0_vgpr1
                                        ; implicit-def: $vgpr7
.LBB55_3033:
	s_and_b64 s[16:17], s[2:3], exec
	s_andn2_b64 s[2:3], s[6:7], exec
	s_and_b64 s[6:7], s[18:19], exec
	s_and_b64 s[0:1], s[0:1], exec
	s_or_b64 s[6:7], s[2:3], s[6:7]
.LBB55_3034:
	s_or_b64 exec, exec, s[4:5]
	s_and_saveexec_b64 s[2:3], s[6:7]
	s_cbranch_execz .LBB55_3037
; %bb.3035:
	; divergent unreachable
	s_or_b64 exec, exec, s[2:3]
	s_and_saveexec_b64 s[2:3], s[16:17]
	s_xor_b64 s[2:3], exec, s[2:3]
	s_cbranch_execnz .LBB55_3038
.LBB55_3036:
	s_or_b64 exec, exec, s[2:3]
	s_and_saveexec_b64 s[2:3], s[0:1]
	s_cbranch_execnz .LBB55_3039
	s_branch .LBB55_3076
.LBB55_3037:
	s_or_b64 exec, exec, s[2:3]
	s_and_saveexec_b64 s[2:3], s[16:17]
	s_xor_b64 s[2:3], exec, s[2:3]
	s_cbranch_execz .LBB55_3036
.LBB55_3038:
	s_waitcnt vmcnt(0)
	v_and_b32_e32 v2, 0x7fff, v7
	v_cmp_ne_u16_e32 vcc, 0, v2
	v_cndmask_b32_e64 v2, 0, 1, vcc
	global_store_byte v[0:1], v2, off
	s_or_b64 exec, exec, s[2:3]
	s_and_saveexec_b64 s[2:3], s[0:1]
	s_cbranch_execz .LBB55_3076
.LBB55_3039:
	s_waitcnt vmcnt(0)
	v_cmp_gt_i16_e32 vcc, 5, v6
	s_mov_b64 s[0:1], -1
	s_cbranch_vccnz .LBB55_3060
; %bb.3040:
	v_cmp_gt_i16_e32 vcc, 8, v6
	s_cbranch_vccnz .LBB55_3050
; %bb.3041:
	v_cmp_gt_i16_e32 vcc, 9, v6
	s_cbranch_vccnz .LBB55_3047
; %bb.3042:
	v_cmp_lt_i16_e32 vcc, 9, v6
	v_lshlrev_b32_e32 v2, 16, v7
	s_cbranch_vccz .LBB55_3044
; %bb.3043:
	v_mov_b32_e32 v10, 0
	v_cvt_f64_f32_e32 v[8:9], v2
	v_mov_b32_e32 v11, v10
	global_store_dwordx4 v[0:1], v[8:11], off
	s_mov_b64 s[0:1], 0
.LBB55_3044:
	s_andn2_b64 vcc, exec, s[0:1]
	s_cbranch_vccnz .LBB55_3046
; %bb.3045:
	v_mov_b32_e32 v3, 0
	global_store_dwordx2 v[0:1], v[2:3], off
.LBB55_3046:
	s_mov_b64 s[0:1], 0
.LBB55_3047:
	s_andn2_b64 vcc, exec, s[0:1]
	s_cbranch_vccnz .LBB55_3049
; %bb.3048:
	v_lshlrev_b32_e32 v2, 16, v7
	v_cvt_f16_f32_e32 v2, v2
	global_store_dword v[0:1], v2, off
.LBB55_3049:
	s_mov_b64 s[0:1], 0
.LBB55_3050:
	s_andn2_b64 vcc, exec, s[0:1]
	s_cbranch_vccnz .LBB55_3059
; %bb.3051:
	v_cmp_gt_i16_e32 vcc, 6, v6
	s_mov_b64 s[0:1], -1
	s_cbranch_vccnz .LBB55_3057
; %bb.3052:
	v_cmp_lt_i16_e32 vcc, 6, v6
	v_lshlrev_b32_e32 v2, 16, v7
	s_cbranch_vccz .LBB55_3054
; %bb.3053:
	v_cvt_f64_f32_e32 v[4:5], v2
	global_store_dwordx2 v[0:1], v[4:5], off
	s_mov_b64 s[0:1], 0
.LBB55_3054:
	s_andn2_b64 vcc, exec, s[0:1]
	s_cbranch_vccnz .LBB55_3056
; %bb.3055:
	global_store_dword v[0:1], v2, off
.LBB55_3056:
	s_mov_b64 s[0:1], 0
.LBB55_3057:
	s_andn2_b64 vcc, exec, s[0:1]
	s_cbranch_vccnz .LBB55_3059
; %bb.3058:
	v_lshlrev_b32_e32 v2, 16, v7
	v_cvt_f16_f32_e32 v2, v2
	global_store_short v[0:1], v2, off
.LBB55_3059:
	s_mov_b64 s[0:1], 0
.LBB55_3060:
	s_andn2_b64 vcc, exec, s[0:1]
	s_cbranch_vccnz .LBB55_3076
; %bb.3061:
	v_cmp_gt_i16_e32 vcc, 2, v6
	s_mov_b64 s[0:1], -1
	s_cbranch_vccnz .LBB55_3071
; %bb.3062:
	v_cmp_gt_i16_e32 vcc, 3, v6
	s_cbranch_vccnz .LBB55_3068
; %bb.3063:
	v_cmp_lt_i16_e32 vcc, 3, v6
	v_lshlrev_b32_e32 v2, 16, v7
	s_cbranch_vccz .LBB55_3065
; %bb.3064:
	v_trunc_f32_e32 v3, v2
	s_mov_b32 s0, 0x2f800000
	v_mul_f32_e64 v4, |v3|, s0
	v_floor_f32_e32 v4, v4
	s_mov_b32 s0, 0xcf800000
	v_cvt_u32_f32_e32 v5, v4
	v_fma_f32 v4, v4, s0, |v3|
	v_cvt_u32_f32_e32 v4, v4
	v_ashrrev_i32_e32 v3, 31, v3
	v_xor_b32_e32 v5, v5, v3
	s_mov_b64 s[0:1], 0
	v_xor_b32_e32 v4, v4, v3
	v_sub_co_u32_e32 v4, vcc, v4, v3
	v_subb_co_u32_e32 v5, vcc, v5, v3, vcc
	global_store_dwordx2 v[0:1], v[4:5], off
.LBB55_3065:
	s_andn2_b64 vcc, exec, s[0:1]
	s_cbranch_vccnz .LBB55_3067
; %bb.3066:
	v_cvt_i32_f32_e32 v2, v2
	global_store_dword v[0:1], v2, off
.LBB55_3067:
	s_mov_b64 s[0:1], 0
.LBB55_3068:
	s_andn2_b64 vcc, exec, s[0:1]
	s_cbranch_vccnz .LBB55_3070
; %bb.3069:
	v_lshlrev_b32_e32 v2, 16, v7
	v_cvt_i32_f32_e32 v2, v2
	global_store_short v[0:1], v2, off
.LBB55_3070:
	s_mov_b64 s[0:1], 0
.LBB55_3071:
	s_andn2_b64 vcc, exec, s[0:1]
	s_cbranch_vccnz .LBB55_3076
; %bb.3072:
	v_cmp_lt_i16_e32 vcc, 0, v6
	s_mov_b64 s[0:1], -1
	v_lshlrev_b32_e32 v2, 16, v7
	s_cbranch_vccz .LBB55_3074
; %bb.3073:
	v_cvt_i32_f32_e32 v3, v2
	s_mov_b64 s[0:1], 0
	global_store_byte v[0:1], v3, off
.LBB55_3074:
	s_andn2_b64 vcc, exec, s[0:1]
	s_cbranch_vccnz .LBB55_3076
; %bb.3075:
	v_trunc_f32_e32 v2, v2
	s_mov_b32 s0, 0x2f800000
	v_mul_f32_e64 v3, |v2|, s0
	v_floor_f32_e32 v3, v3
	s_mov_b32 s0, 0xcf800000
	v_fma_f32 v3, v3, s0, |v2|
	v_cvt_u32_f32_e32 v3, v3
	v_ashrrev_i32_e32 v2, 31, v2
	v_xor_b32_e32 v3, v3, v2
	v_sub_u32_e32 v2, v3, v2
	global_store_byte v[0:1], v2, off
	s_endpgm
.LBB55_3076:
	s_endpgm
.LBB55_3077:
	s_mov_b64 s[2:3], 0
	s_mov_b64 s[0:1], -1
	s_branch .LBB55_3033
.LBB55_3078:
	s_or_saveexec_b64 s[14:15], s[14:15]
                                        ; implicit-def: $sgpr17
	s_xor_b64 exec, exec, s[14:15]
	s_cbranch_execz .LBB55_2866
.LBB55_3079:
	s_mov_b32 s17, 0x46000000
	v_add_f32_e64 v7, |v8|, s17
	v_and_b32_e32 v7, 0xff, v7
	v_cmp_ne_u32_e32 vcc, 0, v7
	s_andn2_b64 s[12:13], s[12:13], exec
	s_and_b64 s[20:21], vcc, exec
	s_mov_b32 s17, 0
	s_or_b64 s[12:13], s[12:13], s[20:21]
	s_or_b64 exec, exec, s[14:15]
	v_mov_b32_e32 v9, s17
	s_and_saveexec_b64 s[14:15], s[12:13]
	s_cbranch_execnz .LBB55_2867
	s_branch .LBB55_2868
.LBB55_3080:
	s_trap 2
	s_or_b64 s[18:19], s[18:19], exec
	s_cbranch_execz .LBB55_2914
	s_branch .LBB55_2915
.LBB55_3081:
	s_or_saveexec_b64 s[12:13], s[12:13]
                                        ; implicit-def: $sgpr14
	s_xor_b64 exec, exec, s[12:13]
	s_cbranch_execz .LBB55_2879
.LBB55_3082:
	s_mov_b32 s14, 0x42800000
	v_add_f32_e64 v7, |v8|, s14
	v_and_b32_e32 v7, 0xff, v7
	v_cmp_ne_u32_e32 vcc, 0, v7
	s_andn2_b64 s[10:11], s[10:11], exec
	s_and_b64 s[20:21], vcc, exec
	s_mov_b32 s14, 0
	s_or_b64 s[10:11], s[10:11], s[20:21]
	s_or_b64 exec, exec, s[12:13]
	v_mov_b32_e32 v9, s14
	s_and_saveexec_b64 s[12:13], s[10:11]
	s_cbranch_execnz .LBB55_2880
	s_branch .LBB55_2881
.LBB55_3083:
	s_or_saveexec_b64 s[12:13], s[12:13]
                                        ; implicit-def: $sgpr14
	s_xor_b64 exec, exec, s[12:13]
	s_cbranch_execz .LBB55_2985
.LBB55_3084:
	s_mov_b32 s14, 0x46000000
	v_add_f32_e64 v3, |v4|, s14
	v_and_b32_e32 v3, 0xff, v3
	v_cmp_ne_u32_e32 vcc, 0, v3
	s_andn2_b64 s[10:11], s[10:11], exec
	s_and_b64 s[16:17], vcc, exec
	s_mov_b32 s14, 0
	s_or_b64 s[10:11], s[10:11], s[16:17]
	s_or_b64 exec, exec, s[12:13]
	v_mov_b32_e32 v5, s14
	s_and_saveexec_b64 s[12:13], s[10:11]
	s_cbranch_execnz .LBB55_2986
	s_branch .LBB55_2987
.LBB55_3085:
	s_mov_b64 s[2:3], 0
	s_or_b64 s[18:19], s[18:19], exec
	s_trap 2
	s_branch .LBB55_3031
.LBB55_3086:
	s_or_saveexec_b64 s[10:11], s[10:11]
                                        ; implicit-def: $sgpr12
	s_xor_b64 exec, exec, s[10:11]
	s_cbranch_execz .LBB55_2997
.LBB55_3087:
	s_mov_b32 s12, 0x42800000
	v_add_f32_e64 v3, |v4|, s12
	v_and_b32_e32 v3, 0xff, v3
	v_cmp_ne_u32_e32 vcc, 0, v3
	s_andn2_b64 s[8:9], s[8:9], exec
	s_and_b64 s[14:15], vcc, exec
	s_mov_b32 s12, 0
	s_or_b64 s[8:9], s[8:9], s[14:15]
	s_or_b64 exec, exec, s[10:11]
	v_mov_b32_e32 v5, s12
	s_and_saveexec_b64 s[10:11], s[8:9]
	s_cbranch_execnz .LBB55_2998
	s_branch .LBB55_2999
	.section	.rodata,"a",@progbits
	.p2align	6, 0x0
	.amdhsa_kernel _ZN2at6native32elementwise_kernel_manual_unrollILi128ELi4EZNS0_15gpu_kernel_implIZZZNS0_23launch_dirichlet_kernelERNS_18TensorIteratorBaseEENKUlvE_clEvENKUlvE2_clEvEUlN3c108BFloat16ES8_E_EEvS4_RKT_EUlibE_EEviT1_
		.amdhsa_group_segment_fixed_size 0
		.amdhsa_private_segment_fixed_size 0
		.amdhsa_kernarg_size 48
		.amdhsa_user_sgpr_count 6
		.amdhsa_user_sgpr_private_segment_buffer 1
		.amdhsa_user_sgpr_dispatch_ptr 0
		.amdhsa_user_sgpr_queue_ptr 0
		.amdhsa_user_sgpr_kernarg_segment_ptr 1
		.amdhsa_user_sgpr_dispatch_id 0
		.amdhsa_user_sgpr_flat_scratch_init 0
		.amdhsa_user_sgpr_kernarg_preload_length 0
		.amdhsa_user_sgpr_kernarg_preload_offset 0
		.amdhsa_user_sgpr_private_segment_size 0
		.amdhsa_uses_dynamic_stack 0
		.amdhsa_system_sgpr_private_segment_wavefront_offset 0
		.amdhsa_system_sgpr_workgroup_id_x 1
		.amdhsa_system_sgpr_workgroup_id_y 0
		.amdhsa_system_sgpr_workgroup_id_z 0
		.amdhsa_system_sgpr_workgroup_info 0
		.amdhsa_system_vgpr_workitem_id 0
		.amdhsa_next_free_vgpr 19
		.amdhsa_next_free_sgpr 54
		.amdhsa_accum_offset 20
		.amdhsa_reserve_vcc 1
		.amdhsa_reserve_flat_scratch 0
		.amdhsa_float_round_mode_32 0
		.amdhsa_float_round_mode_16_64 0
		.amdhsa_float_denorm_mode_32 3
		.amdhsa_float_denorm_mode_16_64 3
		.amdhsa_dx10_clamp 1
		.amdhsa_ieee_mode 1
		.amdhsa_fp16_overflow 0
		.amdhsa_tg_split 0
		.amdhsa_exception_fp_ieee_invalid_op 0
		.amdhsa_exception_fp_denorm_src 0
		.amdhsa_exception_fp_ieee_div_zero 0
		.amdhsa_exception_fp_ieee_overflow 0
		.amdhsa_exception_fp_ieee_underflow 0
		.amdhsa_exception_fp_ieee_inexact 0
		.amdhsa_exception_int_div_zero 0
	.end_amdhsa_kernel
	.section	.text._ZN2at6native32elementwise_kernel_manual_unrollILi128ELi4EZNS0_15gpu_kernel_implIZZZNS0_23launch_dirichlet_kernelERNS_18TensorIteratorBaseEENKUlvE_clEvENKUlvE2_clEvEUlN3c108BFloat16ES8_E_EEvS4_RKT_EUlibE_EEviT1_,"axG",@progbits,_ZN2at6native32elementwise_kernel_manual_unrollILi128ELi4EZNS0_15gpu_kernel_implIZZZNS0_23launch_dirichlet_kernelERNS_18TensorIteratorBaseEENKUlvE_clEvENKUlvE2_clEvEUlN3c108BFloat16ES8_E_EEvS4_RKT_EUlibE_EEviT1_,comdat
.Lfunc_end55:
	.size	_ZN2at6native32elementwise_kernel_manual_unrollILi128ELi4EZNS0_15gpu_kernel_implIZZZNS0_23launch_dirichlet_kernelERNS_18TensorIteratorBaseEENKUlvE_clEvENKUlvE2_clEvEUlN3c108BFloat16ES8_E_EEvS4_RKT_EUlibE_EEviT1_, .Lfunc_end55-_ZN2at6native32elementwise_kernel_manual_unrollILi128ELi4EZNS0_15gpu_kernel_implIZZZNS0_23launch_dirichlet_kernelERNS_18TensorIteratorBaseEENKUlvE_clEvENKUlvE2_clEvEUlN3c108BFloat16ES8_E_EEvS4_RKT_EUlibE_EEviT1_
                                        ; -- End function
	.section	.AMDGPU.csdata,"",@progbits
; Kernel info:
; codeLenInByte = 65608
; NumSgprs: 58
; NumVgprs: 19
; NumAgprs: 0
; TotalNumVgprs: 19
; ScratchSize: 0
; MemoryBound: 0
; FloatMode: 240
; IeeeMode: 1
; LDSByteSize: 0 bytes/workgroup (compile time only)
; SGPRBlocks: 7
; VGPRBlocks: 2
; NumSGPRsForWavesPerEU: 58
; NumVGPRsForWavesPerEU: 19
; AccumOffset: 20
; Occupancy: 8
; WaveLimiterHint : 0
; COMPUTE_PGM_RSRC2:SCRATCH_EN: 0
; COMPUTE_PGM_RSRC2:USER_SGPR: 6
; COMPUTE_PGM_RSRC2:TRAP_HANDLER: 0
; COMPUTE_PGM_RSRC2:TGID_X_EN: 1
; COMPUTE_PGM_RSRC2:TGID_Y_EN: 0
; COMPUTE_PGM_RSRC2:TGID_Z_EN: 0
; COMPUTE_PGM_RSRC2:TIDIG_COMP_CNT: 0
; COMPUTE_PGM_RSRC3_GFX90A:ACCUM_OFFSET: 4
; COMPUTE_PGM_RSRC3_GFX90A:TG_SPLIT: 0
	.section	.text._ZN2at6native32elementwise_kernel_manual_unrollILi128ELi4EZNS0_15gpu_kernel_implIZZZNS0_23launch_dirichlet_kernelERNS_18TensorIteratorBaseEENKUlvE_clEvENKUlvE2_clEvEUlN3c108BFloat16ES8_E_EEvS4_RKT_EUlibE0_EEviT1_,"axG",@progbits,_ZN2at6native32elementwise_kernel_manual_unrollILi128ELi4EZNS0_15gpu_kernel_implIZZZNS0_23launch_dirichlet_kernelERNS_18TensorIteratorBaseEENKUlvE_clEvENKUlvE2_clEvEUlN3c108BFloat16ES8_E_EEvS4_RKT_EUlibE0_EEviT1_,comdat
	.globl	_ZN2at6native32elementwise_kernel_manual_unrollILi128ELi4EZNS0_15gpu_kernel_implIZZZNS0_23launch_dirichlet_kernelERNS_18TensorIteratorBaseEENKUlvE_clEvENKUlvE2_clEvEUlN3c108BFloat16ES8_E_EEvS4_RKT_EUlibE0_EEviT1_ ; -- Begin function _ZN2at6native32elementwise_kernel_manual_unrollILi128ELi4EZNS0_15gpu_kernel_implIZZZNS0_23launch_dirichlet_kernelERNS_18TensorIteratorBaseEENKUlvE_clEvENKUlvE2_clEvEUlN3c108BFloat16ES8_E_EEvS4_RKT_EUlibE0_EEviT1_
	.p2align	8
	.type	_ZN2at6native32elementwise_kernel_manual_unrollILi128ELi4EZNS0_15gpu_kernel_implIZZZNS0_23launch_dirichlet_kernelERNS_18TensorIteratorBaseEENKUlvE_clEvENKUlvE2_clEvEUlN3c108BFloat16ES8_E_EEvS4_RKT_EUlibE0_EEviT1_,@function
_ZN2at6native32elementwise_kernel_manual_unrollILi128ELi4EZNS0_15gpu_kernel_implIZZZNS0_23launch_dirichlet_kernelERNS_18TensorIteratorBaseEENKUlvE_clEvENKUlvE2_clEvEUlN3c108BFloat16ES8_E_EEvS4_RKT_EUlibE0_EEviT1_: ; @_ZN2at6native32elementwise_kernel_manual_unrollILi128ELi4EZNS0_15gpu_kernel_implIZZZNS0_23launch_dirichlet_kernelERNS_18TensorIteratorBaseEENKUlvE_clEvENKUlvE2_clEvEUlN3c108BFloat16ES8_E_EEvS4_RKT_EUlibE0_EEviT1_
; %bb.0:
	s_load_dword s66, s[4:5], 0x0
	s_load_dword s33, s[4:5], 0x8
	s_or_b32 s2, s4, 8
	v_lshl_or_b32 v8, s6, 9, v0
	v_or_b32_e32 v24, 0x180, v8
	s_mov_b32 s3, s5
	s_waitcnt lgkmcnt(0)
	s_add_i32 s68, s33, -1
	s_cmp_gt_u32 s68, 1
	v_cmp_le_i32_e32 vcc, s66, v24
	s_cselect_b64 s[20:21], -1, 0
	s_mov_b64 s[6:7], 0
	s_mov_b64 s[12:13], 0
	s_and_saveexec_b64 s[0:1], vcc
	s_xor_b64 s[22:23], exec, s[0:1]
	s_cbranch_execz .LBB56_1585
; %bb.1:
	v_mov_b32_e32 v0, 0
	global_load_ushort v6, v0, s[2:3] offset:417
	global_load_sbyte v7, v0, s[2:3] offset:419
	s_load_dwordx4 s[16:19], s[2:3], 0x4
	s_load_dwordx2 s[28:29], s[2:3], 0x14
	s_load_dwordx4 s[12:15], s[2:3], 0xc4
	s_load_dwordx2 s[26:27], s[2:3], 0xd4
	s_load_dwordx2 s[24:25], s[2:3], 0x198
	s_load_dwordx4 s[8:11], s[2:3], 0x188
	s_cmp_lg_u32 s33, 0
	s_cselect_b64 s[34:35], -1, 0
	s_min_u32 s69, s68, 15
	s_cmp_gt_u32 s33, 1
	v_cmp_gt_i32_e32 vcc, s66, v8
	s_mov_b64 s[0:1], -1
	s_mov_b64 s[46:47], 0
	s_mov_b64 s[40:41], 0
	;; [unrolled: 1-line block ×3, first 2 shown]
	s_cselect_b64 s[30:31], -1, 0
	s_mov_b64 s[36:37], 0
	s_waitcnt vmcnt(1)
	v_lshrrev_b32_e32 v9, 8, v6
	s_and_saveexec_b64 s[42:43], vcc
	s_cbranch_execz .LBB56_393
; %bb.2:
	s_andn2_b64 vcc, exec, s[20:21]
	s_cbranch_vccnz .LBB56_9
; %bb.3:
	s_andn2_b64 vcc, exec, s[34:35]
	v_mov_b32_e32 v2, 0
	v_mov_b32_e32 v4, 0
	;; [unrolled: 1-line block ×3, first 2 shown]
	s_cbranch_vccnz .LBB56_8
; %bb.4:
	s_add_i32 s0, s69, 1
	s_and_b32 s36, s0, 30
	s_add_u32 s0, s2, 0xffffffec
	s_addc_u32 s1, s3, -1
	v_mov_b32_e32 v0, 0
	v_mov_b32_e32 v1, v8
	;; [unrolled: 1-line block ×4, first 2 shown]
.LBB56_5:                               ; =>This Inner Loop Header: Depth=1
	s_mov_b64 s[38:39], s[0:1]
	s_load_dwordx4 s[48:51], s[38:39], 0x18
	s_load_dwordx2 s[40:41], s[38:39], 0x28
	s_load_dwordx2 s[44:45], s[38:39], 0xe8
	s_load_dwordx4 s[52:55], s[38:39], 0xd8
	s_add_u32 s0, s38, 24
	s_waitcnt lgkmcnt(0)
	v_mul_hi_u32 v3, s49, v1
	v_add_u32_e32 v3, v1, v3
	v_lshrrev_b32_e32 v3, s50, v3
	v_mul_lo_u32 v5, v3, s48
	v_mul_hi_u32 v10, s40, v3
	v_sub_u32_e32 v1, v1, v5
	v_add_u32_e32 v5, v3, v10
	v_mul_lo_u32 v10, v1, s52
	v_mul_lo_u32 v11, v1, s53
	;; [unrolled: 1-line block ×3, first 2 shown]
	v_lshrrev_b32_e32 v1, s41, v5
	v_mul_lo_u32 v5, v1, s51
	v_sub_u32_e32 v3, v3, v5
	s_addc_u32 s1, s39, 0
	s_add_i32 s36, s36, -2
	v_mul_lo_u32 v5, v3, s55
	v_mul_lo_u32 v13, v3, s44
	;; [unrolled: 1-line block ×3, first 2 shown]
	s_cmp_lg_u32 s36, 0
	v_add3_u32 v0, v10, v0, v5
	v_add3_u32 v2, v12, v2, v3
	;; [unrolled: 1-line block ×3, first 2 shown]
	s_cbranch_scc1 .LBB56_5
; %bb.6:
	s_bitcmp1_b32 s69, 0
	s_cselect_b64 s[36:37], -1, 0
	s_and_b64 vcc, exec, s[36:37]
	s_cbranch_vccnz .LBB56_8
; %bb.7:
	s_load_dwordx2 s[36:37], s[0:1], 0x18
	s_load_dword s38, s[0:1], 0x20
	s_load_dword s39, s[0:1], 0xe0
	s_nop 0
	s_load_dwordx2 s[0:1], s[0:1], 0xd8
	s_waitcnt lgkmcnt(0)
	v_mul_hi_u32 v3, s37, v1
	v_add_u32_e32 v3, v1, v3
	v_lshrrev_b32_e32 v3, s38, v3
	v_mul_lo_u32 v3, v3, s36
	v_sub_u32_e32 v3, v1, v3
	v_mad_u64_u32 v[0:1], s[36:37], v3, s0, v[0:1]
	v_mad_u64_u32 v[4:5], s[0:1], v3, s1, v[4:5]
	;; [unrolled: 1-line block ×3, first 2 shown]
.LBB56_8:
	s_cbranch_execz .LBB56_10
	s_branch .LBB56_12
.LBB56_9:
                                        ; implicit-def: $vgpr2
                                        ; implicit-def: $vgpr4
                                        ; implicit-def: $vgpr0
	s_andn2_b64 vcc, exec, s[0:1]
	s_cbranch_vccnz .LBB56_12
.LBB56_10:
	s_waitcnt lgkmcnt(0)
	v_mul_hi_u32 v0, s17, v8
	v_add_u32_e32 v0, v8, v0
	v_lshrrev_b32_e32 v1, s18, v0
	v_mul_lo_u32 v0, v1, s16
	v_sub_u32_e32 v3, v8, v0
	v_mul_lo_u32 v0, v3, s12
	v_mul_lo_u32 v2, v3, s14
	s_andn2_b64 vcc, exec, s[30:31]
	v_mul_lo_u32 v4, v3, s13
	s_cbranch_vccnz .LBB56_12
; %bb.11:
	v_mul_hi_u32 v3, s28, v1
	v_add_u32_e32 v3, v1, v3
	v_lshrrev_b32_e32 v3, s29, v3
	v_mul_lo_u32 v3, v3, s19
	v_sub_u32_e32 v3, v1, v3
	v_mad_u64_u32 v[0:1], s[0:1], v3, s15, v[0:1]
	v_mad_u64_u32 v[4:5], s[0:1], v3, s26, v[4:5]
	;; [unrolled: 1-line block ×3, first 2 shown]
.LBB56_12:
	s_waitcnt lgkmcnt(0)
	v_mov_b32_e32 v1, s11
	v_add_co_u32_e32 v4, vcc, s10, v4
	v_addc_co_u32_e32 v5, vcc, 0, v1, vcc
	v_mov_b32_e32 v1, 11
	v_cmp_lt_i16_sdwa s[0:1], v9, v1 src0_sel:BYTE_0 src1_sel:DWORD
	s_and_b64 vcc, exec, s[0:1]
	s_cbranch_vccnz .LBB56_19
; %bb.13:
	v_mov_b32_e32 v1, 25
	v_cmp_gt_i16_sdwa s[0:1], v9, v1 src0_sel:BYTE_0 src1_sel:DWORD
	s_and_b64 vcc, exec, s[0:1]
	s_cbranch_vccz .LBB56_28
; %bb.14:
	v_mov_b32_e32 v1, 28
	v_cmp_gt_i16_sdwa s[0:1], v9, v1 src0_sel:BYTE_0 src1_sel:DWORD
	s_and_b64 vcc, exec, s[0:1]
	s_cbranch_vccz .LBB56_38
	;; [unrolled: 5-line block ×4, first 2 shown]
; %bb.17:
	v_mov_b32_e32 v1, 46
	v_cmp_eq_u16_sdwa s[0:1], v9, v1 src0_sel:BYTE_0 src1_sel:DWORD
	s_mov_b64 s[36:37], 0
	s_and_b64 vcc, exec, s[0:1]
	s_cbranch_vccz .LBB56_47
; %bb.18:
	global_load_dword v1, v[4:5], off
	s_mov_b64 s[0:1], -1
	s_mov_b64 s[40:41], 0
	s_branch .LBB56_49
.LBB56_19:
	s_mov_b64 s[40:41], 0
                                        ; implicit-def: $vgpr1
	s_mov_b64 s[0:1], 0
	s_cbranch_execnz .LBB56_115
.LBB56_20:
	s_andn2_b64 vcc, exec, s[0:1]
	s_cbranch_vccnz .LBB56_162
.LBB56_21:
	v_mov_b32_e32 v3, s25
	v_add_co_u32_e32 v2, vcc, s24, v2
	v_mov_b32_e32 v4, 11
	v_addc_co_u32_e32 v3, vcc, 0, v3, vcc
	s_waitcnt vmcnt(0)
	v_cmp_lt_i16_sdwa s[0:1], v7, v4 src0_sel:BYTE_0 src1_sel:DWORD
	s_and_b64 vcc, exec, s[0:1]
	s_cbranch_vccnz .LBB56_29
; %bb.22:
	v_mov_b32_e32 v4, 25
	v_cmp_gt_i16_sdwa s[0:1], v7, v4 src0_sel:BYTE_0 src1_sel:DWORD
	s_and_b64 vcc, exec, s[0:1]
	s_cbranch_vccz .LBB56_39
; %bb.23:
	v_mov_b32_e32 v4, 28
	v_cmp_gt_i16_sdwa s[0:1], v7, v4 src0_sel:BYTE_0 src1_sel:DWORD
	s_and_b64 vcc, exec, s[0:1]
	s_cbranch_vccz .LBB56_42
	;; [unrolled: 5-line block ×4, first 2 shown]
; %bb.26:
	v_mov_b32_e32 v4, 46
	v_cmp_eq_u16_sdwa s[0:1], v7, v4 src0_sel:BYTE_0 src1_sel:DWORD
	s_mov_b64 s[36:37], 0
	s_and_b64 vcc, exec, s[0:1]
	s_cbranch_vccz .LBB56_163
; %bb.27:
	global_load_dword v4, v[2:3], off
	s_mov_b64 s[0:1], -1
	s_mov_b64 s[38:39], 0
	s_branch .LBB56_165
.LBB56_28:
	s_mov_b64 s[40:41], 0
	s_mov_b64 s[0:1], 0
                                        ; implicit-def: $vgpr1
	s_cbranch_execnz .LBB56_80
	s_branch .LBB56_114
.LBB56_29:
	s_mov_b64 s[38:39], 0
                                        ; implicit-def: $vgpr4
	s_mov_b64 s[0:1], 0
	s_cbranch_execnz .LBB56_342
.LBB56_30:
	s_andn2_b64 vcc, exec, s[0:1]
	s_cbranch_vccnz .LBB56_390
.LBB56_31:
	v_lshlrev_b32_e32 v1, 16, v1
	s_waitcnt vmcnt(0)
	v_lshlrev_b32_e32 v2, 16, v4
	v_div_scale_f32 v3, s[0:1], v2, v2, v1
	v_rcp_f32_e32 v4, v3
	s_movk_i32 s0, 0x7fff
	v_fma_f32 v5, -v3, v4, 1.0
	v_fmac_f32_e32 v4, v5, v4
	v_div_scale_f32 v5, vcc, v1, v2, v1
	v_mul_f32_e32 v10, v5, v4
	v_fma_f32 v11, -v3, v10, v5
	v_fmac_f32_e32 v10, v11, v4
	v_fma_f32 v3, -v3, v10, v5
	v_div_fmas_f32 v3, v3, v4, v10
	v_div_fixup_f32 v1, v3, v2, v1
	v_bfe_u32 v2, v1, 16, 1
	v_add3_u32 v2, v1, v2, s0
	v_lshrrev_b32_e32 v2, 16, v2
	v_mov_b32_e32 v3, 0x7fc0
	v_cmp_o_f32_e32 vcc, v1, v1
	v_cndmask_b32_e32 v1, v3, v2, vcc
	v_lshlrev_b32_e32 v2, 16, v1
	s_mov_b32 s0, 0x800000
	v_mov_b32_e32 v3, 0x80
	v_cmp_ngt_f32_e32 vcc, s0, v2
	v_cndmask_b32_e32 v1, v3, v1, vcc
	v_lshlrev_b32_e32 v2, 16, v1
	s_mov_b32 s0, 0x3f7e0000
	v_mov_b32_e32 v3, 0x3f7e
	v_cmp_nlt_f32_e32 vcc, s0, v2
	v_cndmask_b32_e32 v2, v3, v1, vcc
	v_mov_b32_e32 v1, s9
	v_add_co_u32_e32 v0, vcc, s8, v0
	v_mov_b32_e32 v3, 11
	v_addc_co_u32_e32 v1, vcc, 0, v1, vcc
	v_cmp_lt_i16_sdwa s[0:1], v6, v3 src0_sel:BYTE_0 src1_sel:DWORD
	s_and_b64 vcc, exec, s[0:1]
	s_cbranch_vccnz .LBB56_40
; %bb.32:
	v_mov_b32_e32 v3, 25
	v_cmp_gt_i16_sdwa s[0:1], v6, v3 src0_sel:BYTE_0 src1_sel:DWORD
	s_and_b64 vcc, exec, s[0:1]
	s_cbranch_vccz .LBB56_43
; %bb.33:
	v_mov_b32_e32 v3, 28
	v_cmp_gt_i16_sdwa s[0:1], v6, v3 src0_sel:BYTE_0 src1_sel:DWORD
	s_and_b64 vcc, exec, s[0:1]
	s_cbranch_vccz .LBB56_46
	;; [unrolled: 5-line block ×4, first 2 shown]
; %bb.36:
	v_mov_b32_e32 v3, 46
	v_cmp_eq_u16_sdwa s[36:37], v6, v3 src0_sel:BYTE_0 src1_sel:DWORD
	s_mov_b64 s[44:45], 0
	s_mov_b64 s[0:1], -1
	s_and_b64 vcc, exec, s[36:37]
	s_mov_b64 s[36:37], 0
	s_cbranch_vccz .LBB56_169
; %bb.37:
	v_and_b32_e32 v3, 0xffff, v2
	global_store_dword v[0:1], v3, off
	s_mov_b64 s[36:37], -1
	s_mov_b64 s[0:1], 0
	s_branch .LBB56_169
.LBB56_38:
	s_mov_b64 s[36:37], -1
	s_mov_b64 s[40:41], 0
	s_mov_b64 s[0:1], 0
                                        ; implicit-def: $vgpr1
	s_branch .LBB56_61
.LBB56_39:
	s_mov_b64 s[36:37], -1
	s_mov_b64 s[38:39], 0
	s_mov_b64 s[0:1], 0
                                        ; implicit-def: $vgpr4
	s_branch .LBB56_306
.LBB56_40:
	s_mov_b64 s[44:45], -1
	s_mov_b64 s[0:1], 0
	s_mov_b64 s[36:37], 0
	s_branch .LBB56_238
.LBB56_41:
	s_mov_b64 s[36:37], -1
	s_mov_b64 s[40:41], 0
	s_mov_b64 s[0:1], 0
                                        ; implicit-def: $vgpr1
	s_branch .LBB56_56
.LBB56_42:
	s_mov_b64 s[36:37], -1
	s_mov_b64 s[38:39], 0
	s_mov_b64 s[0:1], 0
                                        ; implicit-def: $vgpr4
	s_branch .LBB56_287
.LBB56_43:
	s_mov_b64 s[44:45], -1
	s_mov_b64 s[0:1], 0
	s_mov_b64 s[36:37], 0
	s_branch .LBB56_196
.LBB56_44:
	s_mov_b64 s[36:37], -1
	s_mov_b64 s[40:41], 0
	s_branch .LBB56_48
.LBB56_45:
	s_mov_b64 s[36:37], -1
	s_mov_b64 s[38:39], 0
	s_mov_b64 s[0:1], 0
                                        ; implicit-def: $vgpr4
	s_branch .LBB56_282
.LBB56_46:
	s_mov_b64 s[44:45], -1
	s_mov_b64 s[0:1], 0
	s_mov_b64 s[36:37], 0
	s_branch .LBB56_179
.LBB56_47:
	s_mov_b64 s[40:41], -1
.LBB56_48:
	s_mov_b64 s[0:1], 0
                                        ; implicit-def: $vgpr1
.LBB56_49:
	s_and_b64 vcc, exec, s[36:37]
	s_cbranch_vccz .LBB56_55
; %bb.50:
	s_waitcnt vmcnt(0)
	v_mov_b32_e32 v1, 44
	v_cmp_eq_u16_sdwa s[36:37], v9, v1 src0_sel:BYTE_0 src1_sel:DWORD
	s_and_b64 vcc, exec, s[36:37]
	s_cbranch_vccz .LBB56_54
; %bb.51:
	global_load_ubyte v1, v[4:5], off
	s_movk_i32 s36, 0xff
	v_mov_b32_e32 v3, 0x7f800001
	v_mov_b32_e32 v10, 0x400000
	;; [unrolled: 1-line block ×3, first 2 shown]
	s_mov_b64 s[0:1], -1
	s_mov_b64 s[40:41], 0
	s_waitcnt vmcnt(0)
	v_lshlrev_b32_e32 v12, 23, v1
	v_cmp_ne_u32_e32 vcc, s36, v1
	v_cndmask_b32_e32 v3, v3, v12, vcc
	v_cmp_ne_u32_e32 vcc, 0, v1
	v_cndmask_b32_e32 v1, v10, v3, vcc
	v_add_u32_e32 v3, 0x7fff, v1
	v_lshrrev_b32_e32 v3, 16, v3
	v_cmp_o_f32_e32 vcc, v1, v1
	v_cndmask_b32_e32 v1, v11, v3, vcc
	s_branch .LBB56_55
.LBB56_52:
	s_mov_b64 s[36:37], -1
	s_mov_b64 s[38:39], 0
	s_branch .LBB56_164
.LBB56_53:
	s_mov_b64 s[44:45], -1
	s_mov_b64 s[0:1], 0
	s_mov_b64 s[36:37], 0
	s_branch .LBB56_175
.LBB56_54:
	s_mov_b64 s[40:41], -1
                                        ; implicit-def: $vgpr1
.LBB56_55:
	s_mov_b64 s[36:37], 0
.LBB56_56:
	s_and_b64 vcc, exec, s[36:37]
	s_cbranch_vccz .LBB56_60
; %bb.57:
	s_waitcnt vmcnt(0)
	v_mov_b32_e32 v1, 29
	v_cmp_eq_u16_sdwa s[36:37], v9, v1 src0_sel:BYTE_0 src1_sel:DWORD
	s_and_b64 vcc, exec, s[36:37]
	s_cbranch_vccz .LBB56_59
; %bb.58:
	global_load_dwordx2 v[10:11], v[4:5], off
	s_movk_i32 s36, 0x7fff
	s_mov_b64 s[0:1], -1
	s_mov_b64 s[40:41], 0
	s_waitcnt vmcnt(0)
	v_ffbh_u32_e32 v1, v11
	v_min_u32_e32 v1, 32, v1
	v_lshlrev_b64 v[10:11], v1, v[10:11]
	v_min_u32_e32 v3, 1, v10
	v_or_b32_e32 v3, v11, v3
	v_cvt_f32_u32_e32 v3, v3
	v_sub_u32_e32 v1, 32, v1
	v_ldexp_f32 v1, v3, v1
	v_bfe_u32 v3, v1, 16, 1
	v_add3_u32 v1, v1, v3, s36
	v_lshrrev_b32_e32 v1, 16, v1
	s_branch .LBB56_60
.LBB56_59:
	s_mov_b64 s[40:41], -1
                                        ; implicit-def: $vgpr1
.LBB56_60:
	s_mov_b64 s[36:37], 0
.LBB56_61:
	s_and_b64 vcc, exec, s[36:37]
	s_cbranch_vccz .LBB56_79
; %bb.62:
	s_waitcnt vmcnt(0)
	v_mov_b32_e32 v1, 27
	v_cmp_lt_i16_sdwa s[0:1], v9, v1 src0_sel:BYTE_0 src1_sel:DWORD
	s_and_b64 vcc, exec, s[0:1]
	s_cbranch_vccnz .LBB56_65
; %bb.63:
	v_cmp_gt_i16_sdwa s[0:1], v9, v1 src0_sel:BYTE_0 src1_sel:DWORD
	s_and_b64 vcc, exec, s[0:1]
	s_cbranch_vccz .LBB56_66
; %bb.64:
	global_load_dword v1, v[4:5], off
	s_movk_i32 s0, 0x7fff
	s_waitcnt vmcnt(0)
	v_cvt_f32_u32_e32 v1, v1
	v_bfe_u32 v3, v1, 16, 1
	v_add3_u32 v1, v1, v3, s0
	v_lshrrev_b32_e32 v1, 16, v1
	s_mov_b64 s[0:1], 0
	s_branch .LBB56_67
.LBB56_65:
	s_mov_b64 s[0:1], -1
                                        ; implicit-def: $vgpr1
	s_branch .LBB56_70
.LBB56_66:
	s_mov_b64 s[0:1], -1
                                        ; implicit-def: $vgpr1
.LBB56_67:
	s_andn2_b64 vcc, exec, s[0:1]
	s_cbranch_vccnz .LBB56_69
; %bb.68:
	global_load_ushort v1, v[4:5], off
	s_movk_i32 s0, 0x7fff
	s_waitcnt vmcnt(0)
	v_cvt_f32_u32_e32 v1, v1
	v_bfe_u32 v3, v1, 16, 1
	v_add3_u32 v1, v1, v3, s0
	v_lshrrev_b32_e32 v1, 16, v1
.LBB56_69:
	s_mov_b64 s[0:1], 0
.LBB56_70:
	s_andn2_b64 vcc, exec, s[0:1]
	s_cbranch_vccnz .LBB56_78
; %bb.71:
	global_load_ubyte v1, v[4:5], off
	s_movk_i32 s0, 0x7f
                                        ; implicit-def: $sgpr44
	s_waitcnt vmcnt(0)
	v_cmp_lt_i16_e32 vcc, s0, v1
	s_mov_b64 s[0:1], 0
	s_and_saveexec_b64 s[36:37], vcc
	s_xor_b64 s[36:37], exec, s[36:37]
	s_cbranch_execz .LBB56_91
; %bb.72:
	s_movk_i32 s0, 0x80
	v_cmp_eq_u16_e32 vcc, s0, v1
	s_mov_b64 s[0:1], -1
                                        ; implicit-def: $sgpr44
	s_and_saveexec_b64 s[38:39], vcc
; %bb.73:
	s_mov_b32 s44, 0x7f800001
	s_xor_b64 s[0:1], exec, -1
; %bb.74:
	s_or_b64 exec, exec, s[38:39]
	s_and_b64 s[0:1], s[0:1], exec
	s_or_saveexec_b64 s[36:37], s[36:37]
	v_mov_b32_e32 v3, s44
	s_xor_b64 exec, exec, s[36:37]
	s_cbranch_execnz .LBB56_92
.LBB56_75:
	s_or_b64 exec, exec, s[36:37]
	s_and_saveexec_b64 s[36:37], s[0:1]
	s_cbranch_execz .LBB56_77
.LBB56_76:
	v_lshlrev_b32_e32 v3, 24, v1
	v_and_b32_e32 v1, 0xffff, v1
	v_and_b32_e32 v10, 7, v1
	v_ffbh_u32_e32 v12, v10
	v_min_u32_e32 v12, 32, v12
	v_subrev_u32_e32 v13, 28, v12
	v_bfe_u32 v11, v1, 3, 4
	v_lshlrev_b32_e32 v1, v13, v1
	v_sub_u32_e32 v12, 29, v12
	v_and_b32_e32 v1, 7, v1
	v_cmp_eq_u32_e32 vcc, 0, v11
	v_cndmask_b32_e32 v11, v11, v12, vcc
	v_cndmask_b32_e32 v1, v10, v1, vcc
	v_mov_b32_e32 v10, 0x3b800000
	v_lshlrev_b32_e32 v1, 20, v1
	v_and_b32_e32 v3, 0x80000000, v3
	v_lshl_add_u32 v10, v11, 23, v10
	v_or3_b32 v3, v3, v10, v1
.LBB56_77:
	s_or_b64 exec, exec, s[36:37]
	v_bfe_u32 v1, v3, 16, 1
	s_movk_i32 s0, 0x7fff
	v_add3_u32 v1, v3, v1, s0
	v_lshrrev_b32_e32 v1, 16, v1
	v_mov_b32_e32 v10, 0x7fc0
	v_cmp_o_f32_e32 vcc, v3, v3
	v_cndmask_b32_e32 v1, v10, v1, vcc
.LBB56_78:
	s_mov_b64 s[0:1], -1
.LBB56_79:
	s_branch .LBB56_114
.LBB56_80:
	s_waitcnt vmcnt(0)
	v_mov_b32_e32 v1, 22
	v_cmp_gt_i16_sdwa s[36:37], v9, v1 src0_sel:BYTE_0 src1_sel:DWORD
	s_and_b64 vcc, exec, s[36:37]
	s_cbranch_vccz .LBB56_90
; %bb.81:
	v_mov_b32_e32 v1, 24
	v_cmp_lt_i16_sdwa s[0:1], v9, v1 src0_sel:BYTE_0 src1_sel:DWORD
	s_and_b64 vcc, exec, s[0:1]
	s_cbranch_vccnz .LBB56_93
; %bb.82:
	v_cmp_gt_i16_sdwa s[0:1], v9, v1 src0_sel:BYTE_0 src1_sel:DWORD
	s_and_b64 vcc, exec, s[0:1]
	s_cbranch_vccz .LBB56_94
; %bb.83:
	global_load_ubyte v1, v[4:5], off
	s_movk_i32 s0, 0x7f
                                        ; implicit-def: $sgpr44
	s_waitcnt vmcnt(0)
	v_cmp_lt_i16_e32 vcc, s0, v1
	s_mov_b64 s[0:1], 0
	s_and_saveexec_b64 s[36:37], vcc
	s_xor_b64 s[36:37], exec, s[36:37]
	s_cbranch_execz .LBB56_106
; %bb.84:
	s_movk_i32 s0, 0x80
	v_cmp_eq_u16_e32 vcc, s0, v1
	s_mov_b64 s[0:1], -1
                                        ; implicit-def: $sgpr44
	s_and_saveexec_b64 s[38:39], vcc
; %bb.85:
	s_mov_b32 s44, 0x7f800001
	s_xor_b64 s[0:1], exec, -1
; %bb.86:
	s_or_b64 exec, exec, s[38:39]
	s_and_b64 s[0:1], s[0:1], exec
	s_or_saveexec_b64 s[36:37], s[36:37]
	v_mov_b32_e32 v3, s44
	s_xor_b64 exec, exec, s[36:37]
	s_cbranch_execnz .LBB56_107
.LBB56_87:
	s_or_b64 exec, exec, s[36:37]
	s_and_saveexec_b64 s[36:37], s[0:1]
	s_cbranch_execz .LBB56_89
.LBB56_88:
	v_lshlrev_b32_e32 v3, 24, v1
	v_and_b32_e32 v1, 0xffff, v1
	v_and_b32_e32 v10, 3, v1
	v_ffbh_u32_e32 v12, v10
	v_min_u32_e32 v12, 32, v12
	v_subrev_u32_e32 v13, 29, v12
	v_bfe_u32 v11, v1, 2, 5
	v_lshlrev_b32_e32 v1, v13, v1
	v_sub_u32_e32 v12, 30, v12
	v_and_b32_e32 v1, 3, v1
	v_cmp_eq_u32_e32 vcc, 0, v11
	v_cndmask_b32_e32 v11, v11, v12, vcc
	v_cndmask_b32_e32 v1, v10, v1, vcc
	v_mov_b32_e32 v10, 0x37800000
	v_lshlrev_b32_e32 v1, 21, v1
	v_and_b32_e32 v3, 0x80000000, v3
	v_lshl_add_u32 v10, v11, 23, v10
	v_or3_b32 v3, v3, v10, v1
.LBB56_89:
	s_or_b64 exec, exec, s[36:37]
	v_bfe_u32 v1, v3, 16, 1
	s_movk_i32 s0, 0x7fff
	v_add3_u32 v1, v3, v1, s0
	v_lshrrev_b32_e32 v1, 16, v1
	v_mov_b32_e32 v10, 0x7fc0
	v_cmp_o_f32_e32 vcc, v3, v3
	v_cndmask_b32_e32 v1, v10, v1, vcc
	s_mov_b64 s[0:1], 0
	s_branch .LBB56_95
.LBB56_90:
	s_mov_b64 s[36:37], -1
                                        ; implicit-def: $vgpr1
	s_branch .LBB56_101
.LBB56_91:
	s_or_saveexec_b64 s[36:37], s[36:37]
	v_mov_b32_e32 v3, s44
	s_xor_b64 exec, exec, s[36:37]
	s_cbranch_execz .LBB56_75
.LBB56_92:
	v_cmp_ne_u16_e32 vcc, 0, v1
	s_andn2_b64 s[0:1], s[0:1], exec
	s_and_b64 s[38:39], vcc, exec
	v_mov_b32_e32 v3, 0
	s_or_b64 s[0:1], s[0:1], s[38:39]
	s_or_b64 exec, exec, s[36:37]
	s_and_saveexec_b64 s[36:37], s[0:1]
	s_cbranch_execnz .LBB56_76
	s_branch .LBB56_77
.LBB56_93:
	s_mov_b64 s[0:1], -1
                                        ; implicit-def: $vgpr1
	s_branch .LBB56_98
.LBB56_94:
	s_mov_b64 s[0:1], -1
                                        ; implicit-def: $vgpr1
.LBB56_95:
	s_and_b64 vcc, exec, s[0:1]
	s_cbranch_vccz .LBB56_97
; %bb.96:
	global_load_ubyte v1, v[4:5], off
	s_mov_b32 s0, 0x7f800000
	s_brev_b32 s1, 1
	s_movk_i32 s36, 0x7fff
	v_mov_b32_e32 v3, 0x7fc0
	s_waitcnt vmcnt(0)
	v_lshlrev_b32_e32 v1, 24, v1
	v_and_b32_e32 v10, 0x7f000000, v1
	v_ffbh_u32_e32 v11, v10
	v_min_u32_e32 v11, 32, v11
	v_sub_u32_e64 v11, v11, 4 clamp
	v_lshlrev_b32_e32 v13, v11, v10
	v_lshlrev_b32_e32 v11, 23, v11
	v_lshrrev_b32_e32 v13, 4, v13
	v_add_u32_e32 v12, 0x1000000, v10
	v_sub_u32_e32 v11, v13, v11
	v_ashrrev_i32_e32 v12, 8, v12
	v_add_u32_e32 v11, 0x3c000000, v11
	v_and_or_b32 v11, v12, s0, v11
	v_cmp_ne_u32_e32 vcc, 0, v10
	v_cndmask_b32_e32 v10, 0, v11, vcc
	v_and_or_b32 v1, v1, s1, v10
	v_bfe_u32 v10, v10, 16, 1
	v_add3_u32 v10, v1, v10, s36
	v_lshrrev_b32_e32 v10, 16, v10
	v_cmp_o_f32_e32 vcc, v1, v1
	v_cndmask_b32_e32 v1, v3, v10, vcc
.LBB56_97:
	s_mov_b64 s[0:1], 0
.LBB56_98:
	s_andn2_b64 vcc, exec, s[0:1]
	s_cbranch_vccnz .LBB56_100
; %bb.99:
	global_load_ubyte v1, v[4:5], off
	s_movk_i32 s0, 0x7f00
	s_brev_b32 s1, 16
	s_brev_b32 s36, 1
	s_movk_i32 s37, 0x7fff
	v_mov_b32_e32 v3, 0x7fc0
	s_waitcnt vmcnt(0)
	v_lshlrev_b16_e32 v10, 8, v1
	v_lshlrev_b32_e32 v1, 25, v1
	v_lshrrev_b32_e32 v11, 4, v1
	v_and_or_b32 v12, v10, s0, 0.5
	v_or_b32_e32 v11, 0x70000000, v11
	v_add_f32_e32 v12, -0.5, v12
	v_mul_f32_e32 v11, 0x7800000, v11
	v_cmp_gt_u32_e32 vcc, s1, v1
	v_bfe_i32 v10, v10, 0, 16
	v_cndmask_b32_e32 v1, v11, v12, vcc
	v_and_or_b32 v10, v10, s36, v1
	v_bfe_u32 v1, v1, 16, 1
	v_add3_u32 v1, v10, v1, s37
	v_lshrrev_b32_e32 v1, 16, v1
	v_cmp_o_f32_e32 vcc, v10, v10
	v_cndmask_b32_e32 v1, v3, v1, vcc
.LBB56_100:
	s_mov_b64 s[36:37], 0
	s_mov_b64 s[0:1], -1
.LBB56_101:
	s_andn2_b64 vcc, exec, s[36:37]
	s_cbranch_vccnz .LBB56_114
; %bb.102:
	v_mov_b32_e32 v1, 14
	v_cmp_gt_i16_sdwa s[36:37], v9, v1 src0_sel:BYTE_0 src1_sel:DWORD
	s_and_b64 vcc, exec, s[36:37]
	s_cbranch_vccz .LBB56_105
; %bb.103:
	v_mov_b32_e32 v1, 15
	v_cmp_eq_u16_sdwa s[36:37], v9, v1 src0_sel:BYTE_0 src1_sel:DWORD
	s_and_b64 vcc, exec, s[36:37]
	s_cbranch_vccz .LBB56_108
; %bb.104:
	global_load_ushort v1, v[4:5], off
	s_mov_b64 s[0:1], -1
	s_mov_b64 s[40:41], 0
	s_branch .LBB56_109
.LBB56_105:
	s_mov_b64 s[36:37], -1
                                        ; implicit-def: $vgpr1
	s_branch .LBB56_110
.LBB56_106:
	s_or_saveexec_b64 s[36:37], s[36:37]
	v_mov_b32_e32 v3, s44
	s_xor_b64 exec, exec, s[36:37]
	s_cbranch_execz .LBB56_87
.LBB56_107:
	v_cmp_ne_u16_e32 vcc, 0, v1
	s_andn2_b64 s[0:1], s[0:1], exec
	s_and_b64 s[38:39], vcc, exec
	v_mov_b32_e32 v3, 0
	s_or_b64 s[0:1], s[0:1], s[38:39]
	s_or_b64 exec, exec, s[36:37]
	s_and_saveexec_b64 s[36:37], s[0:1]
	s_cbranch_execnz .LBB56_88
	s_branch .LBB56_89
.LBB56_108:
	s_mov_b64 s[40:41], -1
                                        ; implicit-def: $vgpr1
.LBB56_109:
	s_mov_b64 s[36:37], 0
.LBB56_110:
	s_and_b64 vcc, exec, s[36:37]
	s_cbranch_vccz .LBB56_114
; %bb.111:
	s_waitcnt vmcnt(0)
	v_mov_b32_e32 v1, 11
	v_cmp_eq_u16_sdwa s[36:37], v9, v1 src0_sel:BYTE_0 src1_sel:DWORD
	s_and_b64 vcc, exec, s[36:37]
	s_cbranch_vccz .LBB56_113
; %bb.112:
	global_load_ubyte v1, v[4:5], off
	s_mov_b64 s[0:1], -1
	s_mov_b64 s[40:41], 0
	s_waitcnt vmcnt(0)
	v_cmp_ne_u16_e32 vcc, 0, v1
	v_cndmask_b32_e64 v1, 0, 1.0, vcc
	v_lshrrev_b32_e32 v1, 16, v1
	s_branch .LBB56_114
.LBB56_113:
	s_mov_b64 s[40:41], -1
                                        ; implicit-def: $vgpr1
.LBB56_114:
	s_branch .LBB56_20
.LBB56_115:
	s_waitcnt vmcnt(0)
	v_mov_b32_e32 v1, 5
	v_cmp_lt_i16_sdwa s[0:1], v9, v1 src0_sel:BYTE_0 src1_sel:DWORD
	s_and_b64 vcc, exec, s[0:1]
	s_cbranch_vccnz .LBB56_120
; %bb.116:
	v_mov_b32_e32 v1, 8
	v_cmp_lt_i16_sdwa s[0:1], v9, v1 src0_sel:BYTE_0 src1_sel:DWORD
	s_and_b64 vcc, exec, s[0:1]
	s_cbranch_vccnz .LBB56_121
; %bb.117:
	v_mov_b32_e32 v1, 9
	v_cmp_lt_i16_sdwa s[0:1], v9, v1 src0_sel:BYTE_0 src1_sel:DWORD
	s_and_b64 vcc, exec, s[0:1]
	s_cbranch_vccnz .LBB56_122
; %bb.118:
	v_cmp_gt_i16_sdwa s[0:1], v9, v1 src0_sel:BYTE_0 src1_sel:DWORD
	s_and_b64 vcc, exec, s[0:1]
	s_cbranch_vccz .LBB56_123
; %bb.119:
	global_load_dwordx2 v[10:11], v[4:5], off
	s_movk_i32 s0, 0x7fff
	v_mov_b32_e32 v1, 0x7fc0
	s_waitcnt vmcnt(0)
	v_cvt_f32_f64_e32 v3, v[10:11]
	v_bfe_u32 v10, v3, 16, 1
	v_add3_u32 v10, v3, v10, s0
	v_lshrrev_b32_e32 v10, 16, v10
	v_cmp_o_f32_e32 vcc, v3, v3
	v_cndmask_b32_e32 v1, v1, v10, vcc
	s_mov_b64 s[0:1], 0
	s_branch .LBB56_124
.LBB56_120:
                                        ; implicit-def: $vgpr1
	s_branch .LBB56_142
.LBB56_121:
	s_mov_b64 s[0:1], -1
                                        ; implicit-def: $vgpr1
	s_branch .LBB56_130
.LBB56_122:
	s_mov_b64 s[0:1], -1
                                        ; implicit-def: $vgpr1
	s_branch .LBB56_127
.LBB56_123:
	s_mov_b64 s[0:1], -1
                                        ; implicit-def: $vgpr1
.LBB56_124:
	s_andn2_b64 vcc, exec, s[0:1]
	s_cbranch_vccnz .LBB56_126
; %bb.125:
	global_load_dword v1, v[4:5], off
	s_movk_i32 s0, 0x7fff
	v_mov_b32_e32 v3, 0x7fc0
	s_waitcnt vmcnt(0)
	v_bfe_u32 v10, v1, 16, 1
	v_add3_u32 v10, v1, v10, s0
	v_lshrrev_b32_e32 v10, 16, v10
	v_cmp_o_f32_e32 vcc, v1, v1
	v_cndmask_b32_e32 v1, v3, v10, vcc
.LBB56_126:
	s_mov_b64 s[0:1], 0
.LBB56_127:
	s_andn2_b64 vcc, exec, s[0:1]
	s_cbranch_vccnz .LBB56_129
; %bb.128:
	global_load_dword v1, v[4:5], off
	s_movk_i32 s0, 0x7fff
	v_mov_b32_e32 v10, 0x7fc0
	s_waitcnt vmcnt(0)
	v_cvt_f32_f16_e32 v3, v1
	v_cmp_o_f16_e32 vcc, v1, v1
	v_bfe_u32 v11, v3, 16, 1
	v_add3_u32 v3, v3, v11, s0
	v_lshrrev_b32_e32 v3, 16, v3
	v_cndmask_b32_e32 v1, v10, v3, vcc
.LBB56_129:
	s_mov_b64 s[0:1], 0
.LBB56_130:
	s_andn2_b64 vcc, exec, s[0:1]
	s_cbranch_vccnz .LBB56_141
; %bb.131:
	v_mov_b32_e32 v1, 6
	v_cmp_lt_i16_sdwa s[0:1], v9, v1 src0_sel:BYTE_0 src1_sel:DWORD
	s_and_b64 vcc, exec, s[0:1]
	s_cbranch_vccnz .LBB56_134
; %bb.132:
	v_cmp_gt_i16_sdwa s[0:1], v9, v1 src0_sel:BYTE_0 src1_sel:DWORD
	s_and_b64 vcc, exec, s[0:1]
	s_cbranch_vccz .LBB56_135
; %bb.133:
	global_load_dwordx2 v[10:11], v[4:5], off
	s_movk_i32 s0, 0x7fff
	v_mov_b32_e32 v1, 0x7fc0
	s_waitcnt vmcnt(0)
	v_cvt_f32_f64_e32 v3, v[10:11]
	v_bfe_u32 v10, v3, 16, 1
	v_add3_u32 v10, v3, v10, s0
	v_lshrrev_b32_e32 v10, 16, v10
	v_cmp_o_f32_e32 vcc, v3, v3
	v_cndmask_b32_e32 v1, v1, v10, vcc
	s_mov_b64 s[0:1], 0
	s_branch .LBB56_136
.LBB56_134:
	s_mov_b64 s[0:1], -1
                                        ; implicit-def: $vgpr1
	s_branch .LBB56_139
.LBB56_135:
	s_mov_b64 s[0:1], -1
                                        ; implicit-def: $vgpr1
.LBB56_136:
	s_andn2_b64 vcc, exec, s[0:1]
	s_cbranch_vccnz .LBB56_138
; %bb.137:
	global_load_dword v1, v[4:5], off
	s_movk_i32 s0, 0x7fff
	v_mov_b32_e32 v3, 0x7fc0
	s_waitcnt vmcnt(0)
	v_bfe_u32 v10, v1, 16, 1
	v_add3_u32 v10, v1, v10, s0
	v_lshrrev_b32_e32 v10, 16, v10
	v_cmp_o_f32_e32 vcc, v1, v1
	v_cndmask_b32_e32 v1, v3, v10, vcc
.LBB56_138:
	s_mov_b64 s[0:1], 0
.LBB56_139:
	s_andn2_b64 vcc, exec, s[0:1]
	s_cbranch_vccnz .LBB56_141
; %bb.140:
	global_load_ushort v1, v[4:5], off
	s_movk_i32 s0, 0x7fff
	v_mov_b32_e32 v10, 0x7fc0
	s_waitcnt vmcnt(0)
	v_cvt_f32_f16_e32 v3, v1
	v_cmp_o_f16_e32 vcc, v1, v1
	v_bfe_u32 v11, v3, 16, 1
	v_add3_u32 v3, v3, v11, s0
	v_lshrrev_b32_e32 v3, 16, v3
	v_cndmask_b32_e32 v1, v10, v3, vcc
.LBB56_141:
	s_cbranch_execnz .LBB56_161
.LBB56_142:
	v_mov_b32_e32 v1, 2
	v_cmp_lt_i16_sdwa s[0:1], v9, v1 src0_sel:BYTE_0 src1_sel:DWORD
	s_and_b64 vcc, exec, s[0:1]
	s_cbranch_vccnz .LBB56_146
; %bb.143:
	v_mov_b32_e32 v1, 3
	v_cmp_lt_i16_sdwa s[0:1], v9, v1 src0_sel:BYTE_0 src1_sel:DWORD
	s_and_b64 vcc, exec, s[0:1]
	s_cbranch_vccnz .LBB56_147
; %bb.144:
	v_cmp_gt_i16_sdwa s[0:1], v9, v1 src0_sel:BYTE_0 src1_sel:DWORD
	s_and_b64 vcc, exec, s[0:1]
	s_cbranch_vccz .LBB56_148
; %bb.145:
	global_load_dwordx2 v[10:11], v[4:5], off
	s_movk_i32 s0, 0x7fff
	s_waitcnt vmcnt(0)
	v_xor_b32_e32 v3, v10, v11
	v_ffbh_i32_e32 v1, v11
	v_ashrrev_i32_e32 v3, 31, v3
	v_add_u32_e32 v1, -1, v1
	v_add_u32_e32 v3, 32, v3
	v_min_u32_e32 v1, v1, v3
	v_lshlrev_b64 v[10:11], v1, v[10:11]
	v_min_u32_e32 v3, 1, v10
	v_or_b32_e32 v3, v11, v3
	v_cvt_f32_i32_e32 v3, v3
	v_sub_u32_e32 v1, 32, v1
	v_ldexp_f32 v1, v3, v1
	v_bfe_u32 v3, v1, 16, 1
	v_add3_u32 v1, v1, v3, s0
	v_lshrrev_b32_e32 v1, 16, v1
	s_mov_b64 s[0:1], 0
	s_branch .LBB56_149
.LBB56_146:
	s_mov_b64 s[0:1], -1
                                        ; implicit-def: $vgpr1
	s_branch .LBB56_155
.LBB56_147:
	s_mov_b64 s[0:1], -1
                                        ; implicit-def: $vgpr1
	s_branch .LBB56_152
.LBB56_148:
	s_mov_b64 s[0:1], -1
                                        ; implicit-def: $vgpr1
.LBB56_149:
	s_andn2_b64 vcc, exec, s[0:1]
	s_cbranch_vccnz .LBB56_151
; %bb.150:
	global_load_dword v1, v[4:5], off
	s_movk_i32 s0, 0x7fff
	s_waitcnt vmcnt(0)
	v_cvt_f32_i32_e32 v1, v1
	v_bfe_u32 v3, v1, 16, 1
	v_add3_u32 v1, v1, v3, s0
	v_lshrrev_b32_e32 v1, 16, v1
.LBB56_151:
	s_mov_b64 s[0:1], 0
.LBB56_152:
	s_andn2_b64 vcc, exec, s[0:1]
	s_cbranch_vccnz .LBB56_154
; %bb.153:
	global_load_sshort v1, v[4:5], off
	s_movk_i32 s0, 0x7fff
	s_waitcnt vmcnt(0)
	v_cvt_f32_i32_e32 v1, v1
	v_bfe_u32 v3, v1, 16, 1
	v_add3_u32 v1, v1, v3, s0
	v_lshrrev_b32_e32 v1, 16, v1
.LBB56_154:
	s_mov_b64 s[0:1], 0
.LBB56_155:
	s_andn2_b64 vcc, exec, s[0:1]
	s_cbranch_vccnz .LBB56_161
; %bb.156:
	v_mov_b32_e32 v1, 0
	v_cmp_gt_i16_sdwa s[0:1], v9, v1 src0_sel:BYTE_0 src1_sel:DWORD
	s_and_b64 vcc, exec, s[0:1]
	s_cbranch_vccz .LBB56_158
; %bb.157:
	global_load_sbyte v1, v[4:5], off
	s_movk_i32 s0, 0x7fff
	s_waitcnt vmcnt(0)
	v_cvt_f32_i32_e32 v1, v1
	v_bfe_u32 v3, v1, 16, 1
	v_add3_u32 v1, v1, v3, s0
	v_lshrrev_b32_e32 v1, 16, v1
	s_mov_b64 s[0:1], 0
	s_branch .LBB56_159
.LBB56_158:
	s_mov_b64 s[0:1], -1
                                        ; implicit-def: $vgpr1
.LBB56_159:
	s_andn2_b64 vcc, exec, s[0:1]
	s_cbranch_vccnz .LBB56_161
; %bb.160:
	global_load_ubyte v1, v[4:5], off
	s_movk_i32 s0, 0x7fff
	s_waitcnt vmcnt(0)
	v_cvt_f32_ubyte0_e32 v1, v1
	v_bfe_u32 v3, v1, 16, 1
	v_add3_u32 v1, v1, v3, s0
	v_lshrrev_b32_e32 v1, 16, v1
.LBB56_161:
	s_branch .LBB56_21
.LBB56_162:
	s_mov_b64 s[0:1], 0
	s_mov_b64 s[38:39], 0
	s_branch .LBB56_391
.LBB56_163:
	s_mov_b64 s[38:39], -1
.LBB56_164:
	s_mov_b64 s[0:1], 0
                                        ; implicit-def: $vgpr4
.LBB56_165:
	s_and_b64 vcc, exec, s[36:37]
	s_cbranch_vccz .LBB56_281
; %bb.166:
	s_waitcnt vmcnt(0)
	v_mov_b32_e32 v4, 44
	v_cmp_eq_u16_sdwa s[36:37], v7, v4 src0_sel:BYTE_0 src1_sel:DWORD
	s_and_b64 vcc, exec, s[36:37]
	s_cbranch_vccz .LBB56_280
; %bb.167:
	global_load_ubyte v4, v[2:3], off
	s_movk_i32 s36, 0xff
	v_mov_b32_e32 v5, 0x7f800001
	v_mov_b32_e32 v10, 0x400000
	;; [unrolled: 1-line block ×3, first 2 shown]
	s_mov_b64 s[0:1], -1
	s_mov_b64 s[38:39], 0
	s_waitcnt vmcnt(0)
	v_lshlrev_b32_e32 v12, 23, v4
	v_cmp_ne_u32_e32 vcc, s36, v4
	v_cndmask_b32_e32 v5, v5, v12, vcc
	v_cmp_ne_u32_e32 vcc, 0, v4
	v_cndmask_b32_e32 v4, v10, v5, vcc
	v_add_u32_e32 v5, 0x7fff, v4
	v_lshrrev_b32_e32 v5, 16, v5
	v_cmp_o_f32_e32 vcc, v4, v4
	v_cndmask_b32_e32 v4, v11, v5, vcc
	s_branch .LBB56_281
.LBB56_168:
	s_mov_b64 s[44:45], -1
	s_mov_b64 s[0:1], 0
	s_mov_b64 s[36:37], 0
.LBB56_169:
	s_and_b64 vcc, exec, s[44:45]
	s_cbranch_vccz .LBB56_174
; %bb.170:
	v_mov_b32_e32 v3, 44
	v_cmp_eq_u16_sdwa s[44:45], v6, v3 src0_sel:BYTE_0 src1_sel:DWORD
	s_mov_b64 s[0:1], -1
	s_and_b64 vcc, exec, s[44:45]
	s_cbranch_vccz .LBB56_174
; %bb.171:
	v_and_b32_e32 v4, 0xffff, v2
	v_bfe_u32 v3, v4, 7, 8
	s_movk_i32 s0, 0xff
	v_cmp_ne_u32_e32 vcc, s0, v3
	v_mov_b32_e32 v5, 0xff
	s_and_saveexec_b64 s[36:37], vcc
; %bb.172:
	v_lshlrev_b32_e32 v10, 16, v4
	s_mov_b32 s0, 0x3f0000
	v_lshrrev_b32_e32 v5, 7, v4
	v_and_b32_e32 v4, 64, v4
	v_and_or_b32 v3, v10, s0, v3
	v_cmp_ne_u32_e32 vcc, 0, v4
	v_cmp_ne_u32_e64 s[0:1], 0, v3
	s_and_b64 s[0:1], vcc, s[0:1]
	v_cndmask_b32_e64 v3, 0, 1, s[0:1]
	v_add_u32_e32 v5, v5, v3
; %bb.173:
	s_or_b64 exec, exec, s[36:37]
	s_mov_b64 s[36:37], -1
	s_mov_b64 s[0:1], 0
	global_store_byte v[0:1], v5, off
.LBB56_174:
	s_mov_b64 s[44:45], 0
.LBB56_175:
	s_and_b64 vcc, exec, s[44:45]
	s_cbranch_vccz .LBB56_178
; %bb.176:
	v_mov_b32_e32 v3, 29
	v_cmp_eq_u16_sdwa s[44:45], v6, v3 src0_sel:BYTE_0 src1_sel:DWORD
	s_mov_b64 s[0:1], -1
	s_and_b64 vcc, exec, s[44:45]
	s_cbranch_vccz .LBB56_178
; %bb.177:
	v_lshlrev_b32_e32 v3, 16, v2
	v_trunc_f32_e32 v3, v3
	v_mul_f32_e32 v4, 0x2f800000, v3
	v_floor_f32_e32 v4, v4
	v_fmac_f32_e32 v3, 0xcf800000, v4
	v_cvt_u32_f32_e32 v5, v4
	v_cvt_u32_f32_e32 v4, v3
	s_mov_b64 s[36:37], -1
	s_mov_b64 s[0:1], 0
	s_mov_b64 s[44:45], 0
	global_store_dwordx2 v[0:1], v[4:5], off
	s_branch .LBB56_179
.LBB56_178:
	s_mov_b64 s[44:45], 0
.LBB56_179:
	s_and_b64 vcc, exec, s[44:45]
	s_cbranch_vccz .LBB56_195
; %bb.180:
	v_mov_b32_e32 v3, 27
	v_cmp_lt_i16_sdwa s[44:45], v6, v3 src0_sel:BYTE_0 src1_sel:DWORD
	s_mov_b64 s[36:37], -1
	s_and_b64 vcc, exec, s[44:45]
	s_cbranch_vccnz .LBB56_186
; %bb.181:
	v_cmp_gt_i16_sdwa s[44:45], v6, v3 src0_sel:BYTE_0 src1_sel:DWORD
	s_and_b64 vcc, exec, s[44:45]
	s_cbranch_vccz .LBB56_183
; %bb.182:
	v_lshlrev_b32_e32 v3, 16, v2
	v_cvt_u32_f32_e32 v3, v3
	s_mov_b64 s[36:37], 0
	global_store_dword v[0:1], v3, off
.LBB56_183:
	s_andn2_b64 vcc, exec, s[36:37]
	s_cbranch_vccnz .LBB56_185
; %bb.184:
	v_lshlrev_b32_e32 v3, 16, v2
	v_cvt_u32_f32_e32 v3, v3
	global_store_short v[0:1], v3, off
.LBB56_185:
	s_mov_b64 s[36:37], 0
.LBB56_186:
	s_andn2_b64 vcc, exec, s[36:37]
	s_cbranch_vccnz .LBB56_194
; %bb.187:
	v_lshlrev_b32_e32 v5, 16, v2
	v_and_b32_e32 v4, 0x7fffffff, v5
	s_mov_b32 s36, 0x43800000
	v_cmp_gt_u32_e32 vcc, s36, v4
	v_mov_b32_e32 v10, 0x80
	s_and_saveexec_b64 s[36:37], vcc
	s_cbranch_execz .LBB56_193
; %bb.188:
	s_mov_b32 s44, 0x3bffffff
	v_and_b32_e32 v3, 0xffff, v2
	v_cmp_lt_u32_e32 vcc, s44, v4
	s_mov_b64 s[44:45], 0
                                        ; implicit-def: $vgpr4
	s_and_saveexec_b64 s[48:49], vcc
	s_xor_b64 s[48:49], exec, s[48:49]
	s_cbranch_execz .LBB56_432
; %bb.189:
	v_bfe_u32 v4, v3, 4, 1
	s_mov_b32 s50, 0x487ffff
	v_add3_u32 v4, v5, v4, s50
	s_mov_b64 s[44:45], exec
	v_lshrrev_b32_e32 v4, 20, v4
                                        ; implicit-def: $vgpr5
	s_or_saveexec_b64 s[48:49], s[48:49]
                                        ; implicit-def: $sgpr50
	s_xor_b64 exec, exec, s[48:49]
	s_cbranch_execnz .LBB56_433
.LBB56_190:
	s_or_b64 exec, exec, s[48:49]
	v_mov_b32_e32 v10, s50
	s_and_saveexec_b64 s[48:49], s[44:45]
.LBB56_191:
	v_lshrrev_b32_e32 v3, 8, v3
	s_movk_i32 s44, 0x80
	v_and_or_b32 v10, v3, s44, v4
.LBB56_192:
	s_or_b64 exec, exec, s[48:49]
.LBB56_193:
	s_or_b64 exec, exec, s[36:37]
	global_store_byte v[0:1], v10, off
.LBB56_194:
	s_mov_b64 s[36:37], -1
.LBB56_195:
	s_mov_b64 s[44:45], 0
.LBB56_196:
	s_and_b64 vcc, exec, s[44:45]
	s_cbranch_vccz .LBB56_237
; %bb.197:
	v_mov_b32_e32 v3, 22
	v_cmp_gt_i16_sdwa s[48:49], v6, v3 src0_sel:BYTE_0 src1_sel:DWORD
	s_mov_b64 s[44:45], -1
	s_and_b64 vcc, exec, s[48:49]
	s_cbranch_vccz .LBB56_229
; %bb.198:
	v_mov_b32_e32 v3, 24
	v_cmp_lt_i16_sdwa s[44:45], v6, v3 src0_sel:BYTE_0 src1_sel:DWORD
	s_mov_b64 s[36:37], -1
	s_and_b64 vcc, exec, s[44:45]
	s_cbranch_vccnz .LBB56_218
; %bb.199:
	v_cmp_gt_i16_sdwa s[44:45], v6, v3 src0_sel:BYTE_0 src1_sel:DWORD
	s_and_b64 vcc, exec, s[44:45]
	s_cbranch_vccz .LBB56_207
; %bb.200:
	v_lshlrev_b32_e32 v5, 16, v2
	v_and_b32_e32 v4, 0x7fffffff, v5
	s_mov_b32 s36, 0x47800000
	v_cmp_gt_u32_e32 vcc, s36, v4
	v_mov_b32_e32 v10, 0x80
	s_and_saveexec_b64 s[36:37], vcc
	s_cbranch_execz .LBB56_206
; %bb.201:
	s_mov_b32 s44, 0x37ffffff
	v_and_b32_e32 v3, 0xffff, v2
	v_cmp_lt_u32_e32 vcc, s44, v4
	s_mov_b64 s[44:45], 0
                                        ; implicit-def: $vgpr4
	s_and_saveexec_b64 s[48:49], vcc
	s_xor_b64 s[48:49], exec, s[48:49]
	s_cbranch_execz .LBB56_551
; %bb.202:
	v_bfe_u32 v4, v3, 5, 1
	s_mov_b32 s50, 0x88fffff
	v_add3_u32 v4, v5, v4, s50
	s_mov_b64 s[44:45], exec
	v_lshrrev_b32_e32 v4, 21, v4
                                        ; implicit-def: $vgpr5
	s_or_saveexec_b64 s[48:49], s[48:49]
                                        ; implicit-def: $sgpr50
	s_xor_b64 exec, exec, s[48:49]
	s_cbranch_execnz .LBB56_552
.LBB56_203:
	s_or_b64 exec, exec, s[48:49]
	v_mov_b32_e32 v10, s50
	s_and_saveexec_b64 s[48:49], s[44:45]
.LBB56_204:
	v_lshrrev_b32_e32 v3, 8, v3
	s_movk_i32 s44, 0x80
	v_and_or_b32 v10, v3, s44, v4
.LBB56_205:
	s_or_b64 exec, exec, s[48:49]
.LBB56_206:
	s_or_b64 exec, exec, s[36:37]
	s_mov_b64 s[36:37], 0
	global_store_byte v[0:1], v10, off
.LBB56_207:
	s_and_b64 vcc, exec, s[36:37]
	s_cbranch_vccz .LBB56_217
; %bb.208:
	v_lshlrev_b32_e32 v5, 16, v2
	v_and_b32_e32 v10, 0x7fffffff, v5
	s_mov_b32 s36, 0x43f00000
	v_and_b32_e32 v3, 0xffff, v2
	v_cmp_gt_u32_e32 vcc, s36, v10
                                        ; implicit-def: $vgpr4
	s_and_saveexec_b64 s[36:37], vcc
	s_xor_b64 s[36:37], exec, s[36:37]
	s_cbranch_execz .LBB56_214
; %bb.209:
	s_mov_b32 s44, 0x3c7fffff
	v_cmp_lt_u32_e32 vcc, s44, v10
                                        ; implicit-def: $vgpr4
	s_and_saveexec_b64 s[44:45], vcc
	s_xor_b64 s[44:45], exec, s[44:45]
; %bb.210:
	v_bfe_u32 v4, v3, 4, 1
	s_mov_b32 s48, 0x407ffff
	v_add3_u32 v4, v5, v4, s48
	v_lshrrev_b32_e32 v5, 20, v4
	v_and_b32_e32 v4, 0xff00000, v4
	s_mov_b32 s48, 0x7f00000
	v_mov_b32_e32 v10, 0x7e
	v_cmp_ne_u32_e32 vcc, s48, v4
	v_cndmask_b32_e32 v4, v10, v5, vcc
                                        ; implicit-def: $vgpr5
; %bb.211:
	s_andn2_saveexec_b64 s[44:45], s[44:45]
; %bb.212:
	s_mov_b32 s48, 0x46800000
	v_add_f32_e64 v4, |v5|, s48
; %bb.213:
	s_or_b64 exec, exec, s[44:45]
                                        ; implicit-def: $vgpr10
.LBB56_214:
	s_andn2_saveexec_b64 s[36:37], s[36:37]
; %bb.215:
	s_mov_b32 s44, 0x7f800000
	v_mov_b32_e32 v4, 0x7e
	v_mov_b32_e32 v5, 0x7f
	v_cmp_lt_u32_e32 vcc, s44, v10
	v_cndmask_b32_e32 v4, v4, v5, vcc
; %bb.216:
	s_or_b64 exec, exec, s[36:37]
	v_lshrrev_b32_e32 v3, 8, v3
	s_movk_i32 s36, 0x80
	v_and_or_b32 v3, v3, s36, v4
	global_store_byte v[0:1], v3, off
.LBB56_217:
	s_mov_b64 s[36:37], 0
.LBB56_218:
	s_andn2_b64 vcc, exec, s[36:37]
	s_cbranch_vccnz .LBB56_228
; %bb.219:
	v_lshlrev_b32_e32 v5, 16, v2
	v_and_b32_e32 v10, 0x7fffffff, v5
	s_mov_b32 s36, 0x47800000
	v_and_b32_e32 v3, 0xffff, v2
	v_cmp_gt_u32_e32 vcc, s36, v10
                                        ; implicit-def: $vgpr4
	s_and_saveexec_b64 s[36:37], vcc
	s_xor_b64 s[36:37], exec, s[36:37]
	s_cbranch_execz .LBB56_225
; %bb.220:
	s_mov_b32 s44, 0x387fffff
	v_cmp_lt_u32_e32 vcc, s44, v10
                                        ; implicit-def: $vgpr4
	s_and_saveexec_b64 s[44:45], vcc
	s_xor_b64 s[44:45], exec, s[44:45]
; %bb.221:
	v_bfe_u32 v4, v3, 5, 1
	s_mov_b32 s48, 0x80fffff
	v_add3_u32 v4, v5, v4, s48
	v_lshrrev_b32_e32 v4, 21, v4
                                        ; implicit-def: $vgpr5
; %bb.222:
	s_andn2_saveexec_b64 s[44:45], s[44:45]
; %bb.223:
	s_mov_b32 s48, 0x43000000
	v_add_f32_e64 v4, |v5|, s48
; %bb.224:
	s_or_b64 exec, exec, s[44:45]
                                        ; implicit-def: $vgpr10
.LBB56_225:
	s_andn2_saveexec_b64 s[36:37], s[36:37]
; %bb.226:
	s_mov_b32 s44, 0x7f800000
	v_mov_b32_e32 v4, 0x7c
	v_mov_b32_e32 v5, 0x7f
	v_cmp_lt_u32_e32 vcc, s44, v10
	v_cndmask_b32_e32 v4, v4, v5, vcc
; %bb.227:
	s_or_b64 exec, exec, s[36:37]
	v_lshrrev_b32_e32 v3, 8, v3
	s_movk_i32 s36, 0x80
	v_and_or_b32 v3, v3, s36, v4
	global_store_byte v[0:1], v3, off
.LBB56_228:
	s_mov_b64 s[44:45], 0
	s_mov_b64 s[36:37], -1
.LBB56_229:
	s_andn2_b64 vcc, exec, s[44:45]
	s_cbranch_vccnz .LBB56_237
; %bb.230:
	v_mov_b32_e32 v3, 14
	v_cmp_gt_i16_sdwa s[48:49], v6, v3 src0_sel:BYTE_0 src1_sel:DWORD
	s_mov_b64 s[44:45], -1
	s_and_b64 vcc, exec, s[48:49]
	s_cbranch_vccz .LBB56_234
; %bb.231:
	v_mov_b32_e32 v3, 15
	v_cmp_eq_u16_sdwa s[44:45], v6, v3 src0_sel:BYTE_0 src1_sel:DWORD
	s_mov_b64 s[0:1], -1
	s_and_b64 vcc, exec, s[44:45]
	s_cbranch_vccz .LBB56_233
; %bb.232:
	global_store_short v[0:1], v2, off
	s_mov_b64 s[36:37], -1
	s_mov_b64 s[0:1], 0
.LBB56_233:
	s_mov_b64 s[44:45], 0
.LBB56_234:
	s_and_b64 vcc, exec, s[44:45]
	s_cbranch_vccz .LBB56_237
; %bb.235:
	v_mov_b32_e32 v3, 11
	v_cmp_eq_u16_sdwa s[44:45], v6, v3 src0_sel:BYTE_0 src1_sel:DWORD
	s_mov_b64 s[0:1], -1
	s_and_b64 vcc, exec, s[44:45]
	s_cbranch_vccz .LBB56_237
; %bb.236:
	v_and_b32_e32 v3, 0x7fff, v2
	v_cmp_ne_u16_e32 vcc, 0, v3
	v_cndmask_b32_e64 v3, 0, 1, vcc
	s_mov_b64 s[36:37], -1
	s_mov_b64 s[0:1], 0
	global_store_byte v[0:1], v3, off
.LBB56_237:
	s_mov_b64 s[44:45], 0
.LBB56_238:
	s_and_b64 vcc, exec, s[44:45]
	s_cbranch_vccz .LBB56_277
; %bb.239:
	v_mov_b32_e32 v3, 5
	v_cmp_lt_i16_sdwa s[44:45], v6, v3 src0_sel:BYTE_0 src1_sel:DWORD
	s_mov_b64 s[36:37], -1
	s_and_b64 vcc, exec, s[44:45]
	s_cbranch_vccnz .LBB56_260
; %bb.240:
	v_mov_b32_e32 v3, 8
	v_cmp_lt_i16_sdwa s[44:45], v6, v3 src0_sel:BYTE_0 src1_sel:DWORD
	s_and_b64 vcc, exec, s[44:45]
	s_cbranch_vccnz .LBB56_250
; %bb.241:
	v_mov_b32_e32 v3, 9
	v_cmp_lt_i16_sdwa s[44:45], v6, v3 src0_sel:BYTE_0 src1_sel:DWORD
	s_and_b64 vcc, exec, s[44:45]
	s_cbranch_vccnz .LBB56_247
; %bb.242:
	v_cmp_gt_i16_sdwa s[44:45], v6, v3 src0_sel:BYTE_0 src1_sel:DWORD
	s_and_b64 vcc, exec, s[44:45]
	s_cbranch_vccz .LBB56_244
; %bb.243:
	v_lshlrev_b32_e32 v3, 16, v2
	v_mov_b32_e32 v12, 0
	v_cvt_f64_f32_e32 v[10:11], v3
	v_mov_b32_e32 v13, v12
	global_store_dwordx4 v[0:1], v[10:13], off
	s_mov_b64 s[36:37], 0
.LBB56_244:
	s_andn2_b64 vcc, exec, s[36:37]
	s_cbranch_vccnz .LBB56_246
; %bb.245:
	v_lshlrev_b32_e32 v4, 16, v2
	v_mov_b32_e32 v5, 0
	global_store_dwordx2 v[0:1], v[4:5], off
.LBB56_246:
	s_mov_b64 s[36:37], 0
.LBB56_247:
	s_andn2_b64 vcc, exec, s[36:37]
	s_cbranch_vccnz .LBB56_249
; %bb.248:
	v_lshlrev_b32_e32 v3, 16, v2
	v_cvt_f16_f32_e32 v3, v3
	global_store_dword v[0:1], v3, off
.LBB56_249:
	s_mov_b64 s[36:37], 0
.LBB56_250:
	s_andn2_b64 vcc, exec, s[36:37]
	s_cbranch_vccnz .LBB56_259
; %bb.251:
	v_mov_b32_e32 v3, 6
	v_cmp_lt_i16_sdwa s[44:45], v6, v3 src0_sel:BYTE_0 src1_sel:DWORD
	s_mov_b64 s[36:37], -1
	s_and_b64 vcc, exec, s[44:45]
	s_cbranch_vccnz .LBB56_257
; %bb.252:
	v_cmp_gt_i16_sdwa s[44:45], v6, v3 src0_sel:BYTE_0 src1_sel:DWORD
	s_and_b64 vcc, exec, s[44:45]
	s_cbranch_vccz .LBB56_254
; %bb.253:
	v_lshlrev_b32_e32 v3, 16, v2
	v_cvt_f64_f32_e32 v[4:5], v3
	global_store_dwordx2 v[0:1], v[4:5], off
	s_mov_b64 s[36:37], 0
.LBB56_254:
	s_andn2_b64 vcc, exec, s[36:37]
	s_cbranch_vccnz .LBB56_256
; %bb.255:
	v_lshlrev_b32_e32 v3, 16, v2
	global_store_dword v[0:1], v3, off
.LBB56_256:
	s_mov_b64 s[36:37], 0
.LBB56_257:
	s_andn2_b64 vcc, exec, s[36:37]
	s_cbranch_vccnz .LBB56_259
; %bb.258:
	v_lshlrev_b32_e32 v3, 16, v2
	v_cvt_f16_f32_e32 v3, v3
	global_store_short v[0:1], v3, off
.LBB56_259:
	s_mov_b64 s[36:37], 0
.LBB56_260:
	s_andn2_b64 vcc, exec, s[36:37]
	s_cbranch_vccnz .LBB56_276
; %bb.261:
	v_mov_b32_e32 v3, 2
	v_cmp_lt_i16_sdwa s[44:45], v6, v3 src0_sel:BYTE_0 src1_sel:DWORD
	s_mov_b64 s[36:37], -1
	s_and_b64 vcc, exec, s[44:45]
	s_cbranch_vccnz .LBB56_271
; %bb.262:
	v_mov_b32_e32 v3, 3
	v_cmp_lt_i16_sdwa s[44:45], v6, v3 src0_sel:BYTE_0 src1_sel:DWORD
	s_and_b64 vcc, exec, s[44:45]
	s_cbranch_vccnz .LBB56_268
; %bb.263:
	v_cmp_gt_i16_sdwa s[44:45], v6, v3 src0_sel:BYTE_0 src1_sel:DWORD
	s_and_b64 vcc, exec, s[44:45]
	s_cbranch_vccz .LBB56_265
; %bb.264:
	v_lshlrev_b32_e32 v3, 16, v2
	v_trunc_f32_e32 v3, v3
	s_mov_b32 s36, 0x2f800000
	v_mul_f32_e64 v4, |v3|, s36
	v_floor_f32_e32 v4, v4
	s_mov_b32 s36, 0xcf800000
	v_cvt_u32_f32_e32 v5, v4
	v_fma_f32 v4, v4, s36, |v3|
	v_cvt_u32_f32_e32 v4, v4
	v_ashrrev_i32_e32 v3, 31, v3
	v_xor_b32_e32 v5, v5, v3
	s_mov_b64 s[36:37], 0
	v_xor_b32_e32 v4, v4, v3
	v_sub_co_u32_e32 v4, vcc, v4, v3
	v_subb_co_u32_e32 v5, vcc, v5, v3, vcc
	global_store_dwordx2 v[0:1], v[4:5], off
.LBB56_265:
	s_andn2_b64 vcc, exec, s[36:37]
	s_cbranch_vccnz .LBB56_267
; %bb.266:
	v_lshlrev_b32_e32 v3, 16, v2
	v_cvt_i32_f32_e32 v3, v3
	global_store_dword v[0:1], v3, off
.LBB56_267:
	s_mov_b64 s[36:37], 0
.LBB56_268:
	s_andn2_b64 vcc, exec, s[36:37]
	s_cbranch_vccnz .LBB56_270
; %bb.269:
	v_lshlrev_b32_e32 v3, 16, v2
	v_cvt_i32_f32_e32 v3, v3
	global_store_short v[0:1], v3, off
.LBB56_270:
	s_mov_b64 s[36:37], 0
.LBB56_271:
	s_andn2_b64 vcc, exec, s[36:37]
	s_cbranch_vccnz .LBB56_276
; %bb.272:
	v_mov_b32_e32 v3, 0
	v_cmp_gt_i16_sdwa s[44:45], v6, v3 src0_sel:BYTE_0 src1_sel:DWORD
	s_mov_b64 s[36:37], -1
	s_and_b64 vcc, exec, s[44:45]
	s_cbranch_vccz .LBB56_274
; %bb.273:
	v_lshlrev_b32_e32 v3, 16, v2
	v_cvt_i32_f32_e32 v3, v3
	s_mov_b64 s[36:37], 0
	global_store_byte v[0:1], v3, off
.LBB56_274:
	s_andn2_b64 vcc, exec, s[36:37]
	s_cbranch_vccnz .LBB56_276
; %bb.275:
	v_lshlrev_b32_e32 v2, 16, v2
	v_trunc_f32_e32 v2, v2
	s_mov_b32 s36, 0x2f800000
	v_mul_f32_e64 v3, |v2|, s36
	v_floor_f32_e32 v3, v3
	s_mov_b32 s36, 0xcf800000
	v_fma_f32 v3, v3, s36, |v2|
	v_cvt_u32_f32_e32 v3, v3
	v_ashrrev_i32_e32 v2, 31, v2
	v_xor_b32_e32 v3, v3, v2
	v_sub_u32_e32 v2, v3, v2
	global_store_byte v[0:1], v2, off
.LBB56_276:
	s_mov_b64 s[36:37], -1
.LBB56_277:
	s_andn2_b64 vcc, exec, s[36:37]
	s_cbranch_vccnz .LBB56_279
; %bb.278:
	v_add_u32_e32 v8, 0x80, v8
	s_mov_b64 s[44:45], -1
	s_branch .LBB56_392
.LBB56_279:
	s_mov_b64 s[44:45], 0
                                        ; implicit-def: $vgpr8
	s_branch .LBB56_392
.LBB56_280:
	s_mov_b64 s[38:39], -1
                                        ; implicit-def: $vgpr4
.LBB56_281:
	s_mov_b64 s[36:37], 0
.LBB56_282:
	s_and_b64 vcc, exec, s[36:37]
	s_cbranch_vccz .LBB56_286
; %bb.283:
	s_waitcnt vmcnt(0)
	v_mov_b32_e32 v4, 29
	v_cmp_eq_u16_sdwa s[36:37], v7, v4 src0_sel:BYTE_0 src1_sel:DWORD
	s_and_b64 vcc, exec, s[36:37]
	s_cbranch_vccz .LBB56_285
; %bb.284:
	global_load_dwordx2 v[4:5], v[2:3], off
	s_movk_i32 s36, 0x7fff
	s_mov_b64 s[0:1], -1
	s_mov_b64 s[38:39], 0
	s_waitcnt vmcnt(0)
	v_ffbh_u32_e32 v10, v5
	v_min_u32_e32 v10, 32, v10
	v_lshlrev_b64 v[4:5], v10, v[4:5]
	v_min_u32_e32 v4, 1, v4
	v_or_b32_e32 v4, v5, v4
	v_cvt_f32_u32_e32 v4, v4
	v_sub_u32_e32 v5, 32, v10
	v_ldexp_f32 v4, v4, v5
	v_bfe_u32 v5, v4, 16, 1
	v_add3_u32 v4, v4, v5, s36
	v_lshrrev_b32_e32 v4, 16, v4
	s_branch .LBB56_286
.LBB56_285:
	s_mov_b64 s[38:39], -1
                                        ; implicit-def: $vgpr4
.LBB56_286:
	s_mov_b64 s[36:37], 0
.LBB56_287:
	s_and_b64 vcc, exec, s[36:37]
	s_cbranch_vccz .LBB56_305
; %bb.288:
	s_waitcnt vmcnt(0)
	v_mov_b32_e32 v4, 27
	v_cmp_lt_i16_sdwa s[0:1], v7, v4 src0_sel:BYTE_0 src1_sel:DWORD
	s_and_b64 vcc, exec, s[0:1]
	s_cbranch_vccnz .LBB56_291
; %bb.289:
	v_cmp_gt_i16_sdwa s[0:1], v7, v4 src0_sel:BYTE_0 src1_sel:DWORD
	s_and_b64 vcc, exec, s[0:1]
	s_cbranch_vccz .LBB56_292
; %bb.290:
	global_load_dword v4, v[2:3], off
	s_movk_i32 s0, 0x7fff
	s_waitcnt vmcnt(0)
	v_cvt_f32_u32_e32 v4, v4
	v_bfe_u32 v5, v4, 16, 1
	v_add3_u32 v4, v4, v5, s0
	v_lshrrev_b32_e32 v4, 16, v4
	s_mov_b64 s[0:1], 0
	s_branch .LBB56_293
.LBB56_291:
	s_mov_b64 s[0:1], -1
                                        ; implicit-def: $vgpr4
	s_branch .LBB56_296
.LBB56_292:
	s_mov_b64 s[0:1], -1
                                        ; implicit-def: $vgpr4
.LBB56_293:
	s_andn2_b64 vcc, exec, s[0:1]
	s_cbranch_vccnz .LBB56_295
; %bb.294:
	global_load_ushort v4, v[2:3], off
	s_movk_i32 s0, 0x7fff
	s_waitcnt vmcnt(0)
	v_cvt_f32_u32_e32 v4, v4
	v_bfe_u32 v5, v4, 16, 1
	v_add3_u32 v4, v4, v5, s0
	v_lshrrev_b32_e32 v4, 16, v4
.LBB56_295:
	s_mov_b64 s[0:1], 0
.LBB56_296:
	s_andn2_b64 vcc, exec, s[0:1]
	s_cbranch_vccnz .LBB56_304
; %bb.297:
	global_load_ubyte v4, v[2:3], off
	s_movk_i32 s0, 0x7f
                                        ; implicit-def: $sgpr48
	s_waitcnt vmcnt(0)
	v_cmp_lt_i16_e32 vcc, s0, v4
	s_mov_b64 s[0:1], 0
	s_and_saveexec_b64 s[36:37], vcc
	s_xor_b64 s[36:37], exec, s[36:37]
	s_cbranch_execz .LBB56_318
; %bb.298:
	s_movk_i32 s0, 0x80
	v_cmp_eq_u16_e32 vcc, s0, v4
	s_mov_b64 s[0:1], -1
                                        ; implicit-def: $sgpr48
	s_and_saveexec_b64 s[44:45], vcc
; %bb.299:
	s_mov_b32 s48, 0x7f800001
	s_xor_b64 s[0:1], exec, -1
; %bb.300:
	s_or_b64 exec, exec, s[44:45]
	s_and_b64 s[0:1], s[0:1], exec
	s_or_saveexec_b64 s[36:37], s[36:37]
	v_mov_b32_e32 v5, s48
	s_xor_b64 exec, exec, s[36:37]
	s_cbranch_execnz .LBB56_319
.LBB56_301:
	s_or_b64 exec, exec, s[36:37]
	s_and_saveexec_b64 s[36:37], s[0:1]
	s_cbranch_execz .LBB56_303
.LBB56_302:
	v_lshlrev_b32_e32 v5, 24, v4
	v_and_b32_e32 v4, 0xffff, v4
	v_and_b32_e32 v10, 7, v4
	v_ffbh_u32_e32 v12, v10
	v_min_u32_e32 v12, 32, v12
	v_subrev_u32_e32 v13, 28, v12
	v_bfe_u32 v11, v4, 3, 4
	v_lshlrev_b32_e32 v4, v13, v4
	v_sub_u32_e32 v12, 29, v12
	v_and_b32_e32 v4, 7, v4
	v_cmp_eq_u32_e32 vcc, 0, v11
	v_cndmask_b32_e32 v11, v11, v12, vcc
	v_cndmask_b32_e32 v4, v10, v4, vcc
	v_mov_b32_e32 v10, 0x3b800000
	v_lshlrev_b32_e32 v4, 20, v4
	v_and_b32_e32 v5, 0x80000000, v5
	v_lshl_add_u32 v10, v11, 23, v10
	v_or3_b32 v5, v5, v10, v4
.LBB56_303:
	s_or_b64 exec, exec, s[36:37]
	v_bfe_u32 v4, v5, 16, 1
	s_movk_i32 s0, 0x7fff
	v_add3_u32 v4, v5, v4, s0
	v_lshrrev_b32_e32 v4, 16, v4
	v_mov_b32_e32 v10, 0x7fc0
	v_cmp_o_f32_e32 vcc, v5, v5
	v_cndmask_b32_e32 v4, v10, v4, vcc
.LBB56_304:
	s_mov_b64 s[0:1], -1
.LBB56_305:
	s_mov_b64 s[36:37], 0
.LBB56_306:
	s_and_b64 vcc, exec, s[36:37]
	s_cbranch_vccz .LBB56_341
; %bb.307:
	s_waitcnt vmcnt(0)
	v_mov_b32_e32 v4, 22
	v_cmp_gt_i16_sdwa s[36:37], v7, v4 src0_sel:BYTE_0 src1_sel:DWORD
	s_and_b64 vcc, exec, s[36:37]
	s_cbranch_vccz .LBB56_317
; %bb.308:
	v_mov_b32_e32 v4, 24
	v_cmp_lt_i16_sdwa s[0:1], v7, v4 src0_sel:BYTE_0 src1_sel:DWORD
	s_and_b64 vcc, exec, s[0:1]
	s_cbranch_vccnz .LBB56_320
; %bb.309:
	v_cmp_gt_i16_sdwa s[0:1], v7, v4 src0_sel:BYTE_0 src1_sel:DWORD
	s_and_b64 vcc, exec, s[0:1]
	s_cbranch_vccz .LBB56_321
; %bb.310:
	global_load_ubyte v4, v[2:3], off
	s_movk_i32 s0, 0x7f
                                        ; implicit-def: $sgpr48
	s_waitcnt vmcnt(0)
	v_cmp_lt_i16_e32 vcc, s0, v4
	s_mov_b64 s[0:1], 0
	s_and_saveexec_b64 s[36:37], vcc
	s_xor_b64 s[36:37], exec, s[36:37]
	s_cbranch_execz .LBB56_333
; %bb.311:
	s_movk_i32 s0, 0x80
	v_cmp_eq_u16_e32 vcc, s0, v4
	s_mov_b64 s[0:1], -1
                                        ; implicit-def: $sgpr48
	s_and_saveexec_b64 s[44:45], vcc
; %bb.312:
	s_mov_b32 s48, 0x7f800001
	s_xor_b64 s[0:1], exec, -1
; %bb.313:
	s_or_b64 exec, exec, s[44:45]
	s_and_b64 s[0:1], s[0:1], exec
	s_or_saveexec_b64 s[36:37], s[36:37]
	v_mov_b32_e32 v5, s48
	s_xor_b64 exec, exec, s[36:37]
	s_cbranch_execnz .LBB56_334
.LBB56_314:
	s_or_b64 exec, exec, s[36:37]
	s_and_saveexec_b64 s[36:37], s[0:1]
	s_cbranch_execz .LBB56_316
.LBB56_315:
	v_lshlrev_b32_e32 v5, 24, v4
	v_and_b32_e32 v4, 0xffff, v4
	v_and_b32_e32 v10, 3, v4
	v_ffbh_u32_e32 v12, v10
	v_min_u32_e32 v12, 32, v12
	v_subrev_u32_e32 v13, 29, v12
	v_bfe_u32 v11, v4, 2, 5
	v_lshlrev_b32_e32 v4, v13, v4
	v_sub_u32_e32 v12, 30, v12
	v_and_b32_e32 v4, 3, v4
	v_cmp_eq_u32_e32 vcc, 0, v11
	v_cndmask_b32_e32 v11, v11, v12, vcc
	v_cndmask_b32_e32 v4, v10, v4, vcc
	v_mov_b32_e32 v10, 0x37800000
	v_lshlrev_b32_e32 v4, 21, v4
	v_and_b32_e32 v5, 0x80000000, v5
	v_lshl_add_u32 v10, v11, 23, v10
	v_or3_b32 v5, v5, v10, v4
.LBB56_316:
	s_or_b64 exec, exec, s[36:37]
	v_bfe_u32 v4, v5, 16, 1
	s_movk_i32 s0, 0x7fff
	v_add3_u32 v4, v5, v4, s0
	v_lshrrev_b32_e32 v4, 16, v4
	v_mov_b32_e32 v10, 0x7fc0
	v_cmp_o_f32_e32 vcc, v5, v5
	v_cndmask_b32_e32 v4, v10, v4, vcc
	s_mov_b64 s[0:1], 0
	s_branch .LBB56_322
.LBB56_317:
	s_mov_b64 s[36:37], -1
                                        ; implicit-def: $vgpr4
	s_branch .LBB56_328
.LBB56_318:
	s_or_saveexec_b64 s[36:37], s[36:37]
	v_mov_b32_e32 v5, s48
	s_xor_b64 exec, exec, s[36:37]
	s_cbranch_execz .LBB56_301
.LBB56_319:
	v_cmp_ne_u16_e32 vcc, 0, v4
	s_andn2_b64 s[0:1], s[0:1], exec
	s_and_b64 s[44:45], vcc, exec
	v_mov_b32_e32 v5, 0
	s_or_b64 s[0:1], s[0:1], s[44:45]
	s_or_b64 exec, exec, s[36:37]
	s_and_saveexec_b64 s[36:37], s[0:1]
	s_cbranch_execnz .LBB56_302
	s_branch .LBB56_303
.LBB56_320:
	s_mov_b64 s[0:1], -1
                                        ; implicit-def: $vgpr4
	s_branch .LBB56_325
.LBB56_321:
	s_mov_b64 s[0:1], -1
                                        ; implicit-def: $vgpr4
.LBB56_322:
	s_and_b64 vcc, exec, s[0:1]
	s_cbranch_vccz .LBB56_324
; %bb.323:
	global_load_ubyte v4, v[2:3], off
	s_mov_b32 s0, 0x7f800000
	s_brev_b32 s1, 1
	s_movk_i32 s36, 0x7fff
	v_mov_b32_e32 v5, 0x7fc0
	s_waitcnt vmcnt(0)
	v_lshlrev_b32_e32 v4, 24, v4
	v_and_b32_e32 v10, 0x7f000000, v4
	v_ffbh_u32_e32 v11, v10
	v_min_u32_e32 v11, 32, v11
	v_sub_u32_e64 v11, v11, 4 clamp
	v_lshlrev_b32_e32 v13, v11, v10
	v_lshlrev_b32_e32 v11, 23, v11
	v_lshrrev_b32_e32 v13, 4, v13
	v_add_u32_e32 v12, 0x1000000, v10
	v_sub_u32_e32 v11, v13, v11
	v_ashrrev_i32_e32 v12, 8, v12
	v_add_u32_e32 v11, 0x3c000000, v11
	v_and_or_b32 v11, v12, s0, v11
	v_cmp_ne_u32_e32 vcc, 0, v10
	v_cndmask_b32_e32 v10, 0, v11, vcc
	v_and_or_b32 v4, v4, s1, v10
	v_bfe_u32 v10, v10, 16, 1
	v_add3_u32 v10, v4, v10, s36
	v_lshrrev_b32_e32 v10, 16, v10
	v_cmp_o_f32_e32 vcc, v4, v4
	v_cndmask_b32_e32 v4, v5, v10, vcc
.LBB56_324:
	s_mov_b64 s[0:1], 0
.LBB56_325:
	s_andn2_b64 vcc, exec, s[0:1]
	s_cbranch_vccnz .LBB56_327
; %bb.326:
	global_load_ubyte v4, v[2:3], off
	s_movk_i32 s0, 0x7f00
	s_brev_b32 s1, 16
	s_brev_b32 s36, 1
	s_movk_i32 s37, 0x7fff
	v_mov_b32_e32 v5, 0x7fc0
	s_waitcnt vmcnt(0)
	v_lshlrev_b16_e32 v10, 8, v4
	v_lshlrev_b32_e32 v4, 25, v4
	v_lshrrev_b32_e32 v11, 4, v4
	v_and_or_b32 v12, v10, s0, 0.5
	v_or_b32_e32 v11, 0x70000000, v11
	v_add_f32_e32 v12, -0.5, v12
	v_mul_f32_e32 v11, 0x7800000, v11
	v_cmp_gt_u32_e32 vcc, s1, v4
	v_bfe_i32 v10, v10, 0, 16
	v_cndmask_b32_e32 v4, v11, v12, vcc
	v_and_or_b32 v10, v10, s36, v4
	v_bfe_u32 v4, v4, 16, 1
	v_add3_u32 v4, v10, v4, s37
	v_lshrrev_b32_e32 v4, 16, v4
	v_cmp_o_f32_e32 vcc, v10, v10
	v_cndmask_b32_e32 v4, v5, v4, vcc
.LBB56_327:
	s_mov_b64 s[36:37], 0
	s_mov_b64 s[0:1], -1
.LBB56_328:
	s_andn2_b64 vcc, exec, s[36:37]
	s_cbranch_vccnz .LBB56_341
; %bb.329:
	v_mov_b32_e32 v4, 14
	v_cmp_gt_i16_sdwa s[36:37], v7, v4 src0_sel:BYTE_0 src1_sel:DWORD
	s_and_b64 vcc, exec, s[36:37]
	s_cbranch_vccz .LBB56_332
; %bb.330:
	v_mov_b32_e32 v4, 15
	v_cmp_eq_u16_sdwa s[36:37], v7, v4 src0_sel:BYTE_0 src1_sel:DWORD
	s_and_b64 vcc, exec, s[36:37]
	s_cbranch_vccz .LBB56_335
; %bb.331:
	global_load_ushort v4, v[2:3], off
	s_mov_b64 s[0:1], -1
	s_mov_b64 s[38:39], 0
	s_branch .LBB56_336
.LBB56_332:
	s_mov_b64 s[36:37], -1
                                        ; implicit-def: $vgpr4
	s_branch .LBB56_337
.LBB56_333:
	s_or_saveexec_b64 s[36:37], s[36:37]
	v_mov_b32_e32 v5, s48
	s_xor_b64 exec, exec, s[36:37]
	s_cbranch_execz .LBB56_314
.LBB56_334:
	v_cmp_ne_u16_e32 vcc, 0, v4
	s_andn2_b64 s[0:1], s[0:1], exec
	s_and_b64 s[44:45], vcc, exec
	v_mov_b32_e32 v5, 0
	s_or_b64 s[0:1], s[0:1], s[44:45]
	s_or_b64 exec, exec, s[36:37]
	s_and_saveexec_b64 s[36:37], s[0:1]
	s_cbranch_execnz .LBB56_315
	s_branch .LBB56_316
.LBB56_335:
	s_mov_b64 s[38:39], -1
                                        ; implicit-def: $vgpr4
.LBB56_336:
	s_mov_b64 s[36:37], 0
.LBB56_337:
	s_and_b64 vcc, exec, s[36:37]
	s_cbranch_vccz .LBB56_341
; %bb.338:
	s_waitcnt vmcnt(0)
	v_mov_b32_e32 v4, 11
	v_cmp_eq_u16_sdwa s[36:37], v7, v4 src0_sel:BYTE_0 src1_sel:DWORD
	s_and_b64 vcc, exec, s[36:37]
	s_cbranch_vccz .LBB56_340
; %bb.339:
	global_load_ubyte v4, v[2:3], off
	s_mov_b64 s[0:1], -1
	s_mov_b64 s[38:39], 0
	s_waitcnt vmcnt(0)
	v_cmp_ne_u16_e32 vcc, 0, v4
	v_cndmask_b32_e64 v4, 0, 1.0, vcc
	v_lshrrev_b32_e32 v4, 16, v4
	s_branch .LBB56_341
.LBB56_340:
	s_mov_b64 s[38:39], -1
                                        ; implicit-def: $vgpr4
.LBB56_341:
	s_branch .LBB56_30
.LBB56_342:
	s_waitcnt vmcnt(0)
	v_mov_b32_e32 v4, 5
	v_cmp_lt_i16_sdwa s[0:1], v7, v4 src0_sel:BYTE_0 src1_sel:DWORD
	s_and_b64 vcc, exec, s[0:1]
	s_cbranch_vccnz .LBB56_347
; %bb.343:
	v_mov_b32_e32 v4, 8
	v_cmp_lt_i16_sdwa s[0:1], v7, v4 src0_sel:BYTE_0 src1_sel:DWORD
	s_and_b64 vcc, exec, s[0:1]
	s_cbranch_vccnz .LBB56_348
; %bb.344:
	;; [unrolled: 5-line block ×3, first 2 shown]
	v_cmp_gt_i16_sdwa s[0:1], v7, v4 src0_sel:BYTE_0 src1_sel:DWORD
	s_and_b64 vcc, exec, s[0:1]
	s_cbranch_vccz .LBB56_350
; %bb.346:
	global_load_dwordx2 v[4:5], v[2:3], off
	s_movk_i32 s0, 0x7fff
	v_mov_b32_e32 v10, 0x7fc0
	s_waitcnt vmcnt(0)
	v_cvt_f32_f64_e32 v4, v[4:5]
	v_bfe_u32 v5, v4, 16, 1
	v_add3_u32 v5, v4, v5, s0
	v_lshrrev_b32_e32 v5, 16, v5
	v_cmp_o_f32_e32 vcc, v4, v4
	v_cndmask_b32_e32 v4, v10, v5, vcc
	s_mov_b64 s[0:1], 0
	s_branch .LBB56_351
.LBB56_347:
	s_mov_b64 s[0:1], -1
                                        ; implicit-def: $vgpr4
	s_branch .LBB56_369
.LBB56_348:
	s_mov_b64 s[0:1], -1
                                        ; implicit-def: $vgpr4
	s_branch .LBB56_357
.LBB56_349:
	s_mov_b64 s[0:1], -1
                                        ; implicit-def: $vgpr4
	s_branch .LBB56_354
.LBB56_350:
	s_mov_b64 s[0:1], -1
                                        ; implicit-def: $vgpr4
.LBB56_351:
	s_andn2_b64 vcc, exec, s[0:1]
	s_cbranch_vccnz .LBB56_353
; %bb.352:
	global_load_dword v4, v[2:3], off
	s_movk_i32 s0, 0x7fff
	v_mov_b32_e32 v5, 0x7fc0
	s_waitcnt vmcnt(0)
	v_bfe_u32 v10, v4, 16, 1
	v_add3_u32 v10, v4, v10, s0
	v_lshrrev_b32_e32 v10, 16, v10
	v_cmp_o_f32_e32 vcc, v4, v4
	v_cndmask_b32_e32 v4, v5, v10, vcc
.LBB56_353:
	s_mov_b64 s[0:1], 0
.LBB56_354:
	s_andn2_b64 vcc, exec, s[0:1]
	s_cbranch_vccnz .LBB56_356
; %bb.355:
	global_load_dword v4, v[2:3], off
	s_movk_i32 s0, 0x7fff
	v_mov_b32_e32 v10, 0x7fc0
	s_waitcnt vmcnt(0)
	v_cvt_f32_f16_e32 v5, v4
	v_cmp_o_f16_e32 vcc, v4, v4
	v_bfe_u32 v11, v5, 16, 1
	v_add3_u32 v5, v5, v11, s0
	v_lshrrev_b32_e32 v5, 16, v5
	v_cndmask_b32_e32 v4, v10, v5, vcc
.LBB56_356:
	s_mov_b64 s[0:1], 0
.LBB56_357:
	s_andn2_b64 vcc, exec, s[0:1]
	s_cbranch_vccnz .LBB56_368
; %bb.358:
	v_mov_b32_e32 v4, 6
	v_cmp_lt_i16_sdwa s[0:1], v7, v4 src0_sel:BYTE_0 src1_sel:DWORD
	s_and_b64 vcc, exec, s[0:1]
	s_cbranch_vccnz .LBB56_361
; %bb.359:
	v_cmp_gt_i16_sdwa s[0:1], v7, v4 src0_sel:BYTE_0 src1_sel:DWORD
	s_and_b64 vcc, exec, s[0:1]
	s_cbranch_vccz .LBB56_362
; %bb.360:
	global_load_dwordx2 v[4:5], v[2:3], off
	s_movk_i32 s0, 0x7fff
	v_mov_b32_e32 v10, 0x7fc0
	s_waitcnt vmcnt(0)
	v_cvt_f32_f64_e32 v4, v[4:5]
	v_bfe_u32 v5, v4, 16, 1
	v_add3_u32 v5, v4, v5, s0
	v_lshrrev_b32_e32 v5, 16, v5
	v_cmp_o_f32_e32 vcc, v4, v4
	v_cndmask_b32_e32 v4, v10, v5, vcc
	s_mov_b64 s[0:1], 0
	s_branch .LBB56_363
.LBB56_361:
	s_mov_b64 s[0:1], -1
                                        ; implicit-def: $vgpr4
	s_branch .LBB56_366
.LBB56_362:
	s_mov_b64 s[0:1], -1
                                        ; implicit-def: $vgpr4
.LBB56_363:
	s_andn2_b64 vcc, exec, s[0:1]
	s_cbranch_vccnz .LBB56_365
; %bb.364:
	global_load_dword v4, v[2:3], off
	s_movk_i32 s0, 0x7fff
	v_mov_b32_e32 v5, 0x7fc0
	s_waitcnt vmcnt(0)
	v_bfe_u32 v10, v4, 16, 1
	v_add3_u32 v10, v4, v10, s0
	v_lshrrev_b32_e32 v10, 16, v10
	v_cmp_o_f32_e32 vcc, v4, v4
	v_cndmask_b32_e32 v4, v5, v10, vcc
.LBB56_365:
	s_mov_b64 s[0:1], 0
.LBB56_366:
	s_andn2_b64 vcc, exec, s[0:1]
	s_cbranch_vccnz .LBB56_368
; %bb.367:
	global_load_ushort v4, v[2:3], off
	s_movk_i32 s0, 0x7fff
	v_mov_b32_e32 v10, 0x7fc0
	s_waitcnt vmcnt(0)
	v_cvt_f32_f16_e32 v5, v4
	v_cmp_o_f16_e32 vcc, v4, v4
	v_bfe_u32 v11, v5, 16, 1
	v_add3_u32 v5, v5, v11, s0
	v_lshrrev_b32_e32 v5, 16, v5
	v_cndmask_b32_e32 v4, v10, v5, vcc
.LBB56_368:
	s_mov_b64 s[0:1], 0
.LBB56_369:
	s_andn2_b64 vcc, exec, s[0:1]
	s_cbranch_vccnz .LBB56_389
; %bb.370:
	v_mov_b32_e32 v4, 2
	v_cmp_lt_i16_sdwa s[0:1], v7, v4 src0_sel:BYTE_0 src1_sel:DWORD
	s_and_b64 vcc, exec, s[0:1]
	s_cbranch_vccnz .LBB56_374
; %bb.371:
	v_mov_b32_e32 v4, 3
	v_cmp_lt_i16_sdwa s[0:1], v7, v4 src0_sel:BYTE_0 src1_sel:DWORD
	s_and_b64 vcc, exec, s[0:1]
	s_cbranch_vccnz .LBB56_375
; %bb.372:
	v_cmp_gt_i16_sdwa s[0:1], v7, v4 src0_sel:BYTE_0 src1_sel:DWORD
	s_and_b64 vcc, exec, s[0:1]
	s_cbranch_vccz .LBB56_376
; %bb.373:
	global_load_dwordx2 v[4:5], v[2:3], off
	s_movk_i32 s0, 0x7fff
	s_waitcnt vmcnt(0)
	v_xor_b32_e32 v11, v4, v5
	v_ffbh_i32_e32 v10, v5
	v_ashrrev_i32_e32 v11, 31, v11
	v_add_u32_e32 v10, -1, v10
	v_add_u32_e32 v11, 32, v11
	v_min_u32_e32 v10, v10, v11
	v_lshlrev_b64 v[4:5], v10, v[4:5]
	v_min_u32_e32 v4, 1, v4
	v_or_b32_e32 v4, v5, v4
	v_cvt_f32_i32_e32 v4, v4
	v_sub_u32_e32 v5, 32, v10
	v_ldexp_f32 v4, v4, v5
	v_bfe_u32 v5, v4, 16, 1
	v_add3_u32 v4, v4, v5, s0
	v_lshrrev_b32_e32 v4, 16, v4
	s_mov_b64 s[0:1], 0
	s_branch .LBB56_377
.LBB56_374:
	s_mov_b64 s[0:1], -1
                                        ; implicit-def: $vgpr4
	s_branch .LBB56_383
.LBB56_375:
	s_mov_b64 s[0:1], -1
                                        ; implicit-def: $vgpr4
	s_branch .LBB56_380
.LBB56_376:
	s_mov_b64 s[0:1], -1
                                        ; implicit-def: $vgpr4
.LBB56_377:
	s_andn2_b64 vcc, exec, s[0:1]
	s_cbranch_vccnz .LBB56_379
; %bb.378:
	global_load_dword v4, v[2:3], off
	s_movk_i32 s0, 0x7fff
	s_waitcnt vmcnt(0)
	v_cvt_f32_i32_e32 v4, v4
	v_bfe_u32 v5, v4, 16, 1
	v_add3_u32 v4, v4, v5, s0
	v_lshrrev_b32_e32 v4, 16, v4
.LBB56_379:
	s_mov_b64 s[0:1], 0
.LBB56_380:
	s_andn2_b64 vcc, exec, s[0:1]
	s_cbranch_vccnz .LBB56_382
; %bb.381:
	global_load_sshort v4, v[2:3], off
	s_movk_i32 s0, 0x7fff
	s_waitcnt vmcnt(0)
	v_cvt_f32_i32_e32 v4, v4
	v_bfe_u32 v5, v4, 16, 1
	v_add3_u32 v4, v4, v5, s0
	v_lshrrev_b32_e32 v4, 16, v4
.LBB56_382:
	s_mov_b64 s[0:1], 0
.LBB56_383:
	s_andn2_b64 vcc, exec, s[0:1]
	s_cbranch_vccnz .LBB56_389
; %bb.384:
	v_mov_b32_e32 v4, 0
	v_cmp_gt_i16_sdwa s[0:1], v7, v4 src0_sel:BYTE_0 src1_sel:DWORD
	s_and_b64 vcc, exec, s[0:1]
	s_cbranch_vccz .LBB56_386
; %bb.385:
	global_load_sbyte v4, v[2:3], off
	s_movk_i32 s0, 0x7fff
	s_waitcnt vmcnt(0)
	v_cvt_f32_i32_e32 v4, v4
	v_bfe_u32 v5, v4, 16, 1
	v_add3_u32 v4, v4, v5, s0
	v_lshrrev_b32_e32 v4, 16, v4
	s_mov_b64 s[0:1], 0
	s_branch .LBB56_387
.LBB56_386:
	s_mov_b64 s[0:1], -1
                                        ; implicit-def: $vgpr4
.LBB56_387:
	s_andn2_b64 vcc, exec, s[0:1]
	s_cbranch_vccnz .LBB56_389
; %bb.388:
	global_load_ubyte v2, v[2:3], off
	s_movk_i32 s0, 0x7fff
	s_waitcnt vmcnt(0)
	v_cvt_f32_ubyte0_e32 v2, v2
	v_bfe_u32 v3, v2, 16, 1
	v_add3_u32 v2, v2, v3, s0
	v_lshrrev_b32_e32 v4, 16, v2
.LBB56_389:
	s_branch .LBB56_31
.LBB56_390:
	s_mov_b64 s[0:1], 0
.LBB56_391:
                                        ; implicit-def: $vgpr8
	s_mov_b64 s[44:45], 0
.LBB56_392:
	s_and_b64 s[36:37], s[0:1], exec
	s_and_b64 s[38:39], s[38:39], exec
	s_and_b64 s[40:41], s[40:41], exec
	s_orn2_b64 s[0:1], s[44:45], exec
.LBB56_393:
	s_or_b64 exec, exec, s[42:43]
	s_mov_b64 s[50:51], 0
	s_mov_b64 s[48:49], 0
                                        ; implicit-def: $vgpr3
                                        ; implicit-def: $vgpr4_vgpr5
                                        ; implicit-def: $vgpr2
                                        ; implicit-def: $vgpr0
                                        ; implicit-def: $vgpr1
	s_and_saveexec_b64 s[42:43], s[0:1]
	s_cbranch_execz .LBB56_402
; %bb.394:
	v_cmp_gt_i32_e32 vcc, s66, v8
	s_mov_b64 s[0:1], -1
	s_mov_b64 s[44:45], s[40:41]
	s_mov_b64 s[46:47], s[38:39]
	;; [unrolled: 1-line block ×3, first 2 shown]
	s_and_saveexec_b64 s[50:51], vcc
	s_cbranch_execz .LBB56_793
; %bb.395:
	s_andn2_b64 vcc, exec, s[20:21]
	s_cbranch_vccnz .LBB56_405
; %bb.396:
	s_andn2_b64 vcc, exec, s[34:35]
	v_mov_b32_e32 v2, 0
	s_waitcnt vmcnt(0)
	v_mov_b32_e32 v4, 0
	v_mov_b32_e32 v0, 0
	s_cbranch_vccnz .LBB56_401
; %bb.397:
	s_add_i32 s0, s69, 1
	s_and_b32 s44, s0, 30
	s_add_u32 s0, s2, 0xffffffec
	s_addc_u32 s1, s3, -1
	v_mov_b32_e32 v0, 0
	v_mov_b32_e32 v1, v8
	;; [unrolled: 1-line block ×4, first 2 shown]
.LBB56_398:                             ; =>This Inner Loop Header: Depth=1
	s_mov_b64 s[46:47], s[0:1]
	s_load_dwordx4 s[52:55], s[46:47], 0x18
	s_load_dwordx2 s[48:49], s[46:47], 0x28
	s_load_dwordx2 s[60:61], s[46:47], 0xe8
	s_load_dwordx4 s[56:59], s[46:47], 0xd8
	s_add_u32 s0, s46, 24
	s_waitcnt lgkmcnt(0)
	v_mul_hi_u32 v3, s53, v1
	v_add_u32_e32 v3, v1, v3
	v_lshrrev_b32_e32 v3, s54, v3
	v_mul_lo_u32 v5, v3, s52
	v_mul_hi_u32 v10, s48, v3
	v_sub_u32_e32 v1, v1, v5
	v_add_u32_e32 v5, v3, v10
	v_mul_lo_u32 v10, v1, s56
	v_mul_lo_u32 v11, v1, s57
	v_mul_lo_u32 v12, v1, s58
	v_lshrrev_b32_e32 v1, s49, v5
	v_mul_lo_u32 v5, v1, s55
	v_sub_u32_e32 v3, v3, v5
	s_addc_u32 s1, s47, 0
	s_add_i32 s44, s44, -2
	v_mul_lo_u32 v5, v3, s59
	v_mul_lo_u32 v13, v3, s60
	;; [unrolled: 1-line block ×3, first 2 shown]
	s_cmp_eq_u32 s44, 0
	v_add3_u32 v0, v10, v0, v5
	v_add3_u32 v2, v12, v2, v3
	;; [unrolled: 1-line block ×3, first 2 shown]
	s_cbranch_scc0 .LBB56_398
; %bb.399:
	s_bitcmp1_b32 s69, 0
	s_cselect_b64 s[44:45], -1, 0
	s_and_b64 vcc, exec, s[44:45]
	s_cbranch_vccnz .LBB56_401
; %bb.400:
	s_load_dwordx2 s[44:45], s[0:1], 0x18
	s_load_dword s46, s[0:1], 0x20
	s_load_dword s47, s[0:1], 0xe0
	s_nop 0
	s_load_dwordx2 s[0:1], s[0:1], 0xd8
	s_waitcnt lgkmcnt(0)
	v_mul_hi_u32 v3, s45, v1
	v_add_u32_e32 v3, v1, v3
	v_lshrrev_b32_e32 v3, s46, v3
	v_mul_lo_u32 v3, v3, s44
	v_sub_u32_e32 v3, v1, v3
	v_mad_u64_u32 v[0:1], s[44:45], v3, s0, v[0:1]
	v_mad_u64_u32 v[4:5], s[0:1], v3, s1, v[4:5]
	;; [unrolled: 1-line block ×3, first 2 shown]
.LBB56_401:
	s_cbranch_execz .LBB56_406
	s_branch .LBB56_408
.LBB56_402:
	s_or_b64 exec, exec, s[42:43]
	s_waitcnt lgkmcnt(0)
	s_mov_b64 s[10:11], 0
	s_and_saveexec_b64 s[0:1], s[40:41]
	s_cbranch_execnz .LBB56_1289
.LBB56_403:
	s_or_b64 exec, exec, s[0:1]
	s_and_saveexec_b64 s[0:1], s[46:47]
	s_xor_b64 s[0:1], exec, s[0:1]
	s_cbranch_execz .LBB56_1290
.LBB56_404:
	s_waitcnt vmcnt(0)
	global_load_ubyte v1, v[4:5], off
	s_or_b64 s[48:49], s[48:49], exec
	s_waitcnt vmcnt(0)
	v_cmp_ne_u16_e32 vcc, 0, v1
	v_cndmask_b32_e64 v1, 0, 1.0, vcc
	v_lshrrev_b32_e32 v1, 16, v1
	s_or_b64 exec, exec, s[0:1]
	s_and_saveexec_b64 s[0:1], s[50:51]
	s_cbranch_execz .LBB56_1336
	s_branch .LBB56_1291
.LBB56_405:
                                        ; implicit-def: $vgpr2
                                        ; implicit-def: $vgpr4
                                        ; implicit-def: $vgpr0
	s_andn2_b64 vcc, exec, s[0:1]
	s_cbranch_vccnz .LBB56_408
.LBB56_406:
	s_waitcnt lgkmcnt(0)
	v_mul_hi_u32 v0, s17, v8
	v_add_u32_e32 v0, v8, v0
	s_waitcnt vmcnt(0)
	v_lshrrev_b32_e32 v1, s18, v0
	v_mul_lo_u32 v0, v1, s16
	v_sub_u32_e32 v3, v8, v0
	v_mul_lo_u32 v0, v3, s12
	v_mul_lo_u32 v2, v3, s14
	s_andn2_b64 vcc, exec, s[30:31]
	v_mul_lo_u32 v4, v3, s13
	s_cbranch_vccnz .LBB56_408
; %bb.407:
	v_mul_hi_u32 v3, s28, v1
	v_add_u32_e32 v3, v1, v3
	v_lshrrev_b32_e32 v3, s29, v3
	v_mul_lo_u32 v3, v3, s19
	v_sub_u32_e32 v3, v1, v3
	v_mad_u64_u32 v[0:1], s[0:1], v3, s15, v[0:1]
	v_mad_u64_u32 v[4:5], s[0:1], v3, s26, v[4:5]
	;; [unrolled: 1-line block ×3, first 2 shown]
.LBB56_408:
	s_waitcnt vmcnt(0) lgkmcnt(0)
	v_mov_b32_e32 v1, s11
	v_add_co_u32_e32 v4, vcc, s10, v4
	v_addc_co_u32_e32 v5, vcc, 0, v1, vcc
	v_mov_b32_e32 v1, 11
	v_cmp_lt_i16_sdwa s[0:1], v9, v1 src0_sel:BYTE_0 src1_sel:DWORD
	s_and_b64 vcc, exec, s[0:1]
	s_cbranch_vccnz .LBB56_415
; %bb.409:
	v_mov_b32_e32 v1, 25
	v_cmp_gt_i16_sdwa s[0:1], v9, v1 src0_sel:BYTE_0 src1_sel:DWORD
	s_and_b64 vcc, exec, s[0:1]
	s_cbranch_vccz .LBB56_424
; %bb.410:
	v_mov_b32_e32 v1, 28
	v_cmp_gt_i16_sdwa s[0:1], v9, v1 src0_sel:BYTE_0 src1_sel:DWORD
	s_and_b64 vcc, exec, s[0:1]
	s_cbranch_vccz .LBB56_426
	;; [unrolled: 5-line block ×4, first 2 shown]
; %bb.413:
	v_mov_b32_e32 v1, 46
	v_cmp_eq_u16_sdwa s[0:1], v9, v1 src0_sel:BYTE_0 src1_sel:DWORD
	s_mov_b64 s[46:47], 0
	s_and_b64 vcc, exec, s[0:1]
	s_cbranch_vccz .LBB56_434
; %bb.414:
	global_load_dword v1, v[4:5], off
	s_mov_b64 s[0:1], -1
	s_mov_b64 s[44:45], 0
	s_branch .LBB56_435
.LBB56_415:
	s_mov_b64 s[0:1], 0
                                        ; implicit-def: $vgpr1
	s_mov_b64 s[44:45], s[40:41]
	s_cbranch_execnz .LBB56_501
.LBB56_416:
	s_andn2_b64 vcc, exec, s[0:1]
	s_cbranch_vccnz .LBB56_549
.LBB56_417:
	v_mov_b32_e32 v3, s25
	v_add_co_u32_e32 v2, vcc, s24, v2
	v_mov_b32_e32 v4, 11
	v_addc_co_u32_e32 v3, vcc, 0, v3, vcc
	v_cmp_lt_i16_sdwa s[0:1], v7, v4 src0_sel:BYTE_0 src1_sel:DWORD
	s_and_b64 vcc, exec, s[0:1]
	s_cbranch_vccnz .LBB56_425
; %bb.418:
	v_mov_b32_e32 v4, 25
	v_cmp_gt_i16_sdwa s[0:1], v7, v4 src0_sel:BYTE_0 src1_sel:DWORD
	s_and_b64 vcc, exec, s[0:1]
	s_cbranch_vccz .LBB56_427
; %bb.419:
	v_mov_b32_e32 v4, 28
	v_cmp_gt_i16_sdwa s[0:1], v7, v4 src0_sel:BYTE_0 src1_sel:DWORD
	s_and_b64 vcc, exec, s[0:1]
	s_cbranch_vccz .LBB56_429
	;; [unrolled: 5-line block ×4, first 2 shown]
; %bb.422:
	v_mov_b32_e32 v4, 46
	v_cmp_eq_u16_sdwa s[0:1], v7, v4 src0_sel:BYTE_0 src1_sel:DWORD
	s_mov_b64 s[48:49], 0
	s_and_b64 vcc, exec, s[0:1]
	s_cbranch_vccz .LBB56_553
; %bb.423:
	global_load_dword v4, v[2:3], off
	s_mov_b64 s[0:1], -1
	s_mov_b64 s[46:47], 0
	s_branch .LBB56_554
.LBB56_424:
	s_mov_b64 s[46:47], -1
	s_mov_b64 s[0:1], 0
	s_mov_b64 s[44:45], s[40:41]
                                        ; implicit-def: $vgpr1
	s_branch .LBB56_465
.LBB56_425:
	s_mov_b64 s[48:49], -1
	s_mov_b64 s[0:1], 0
                                        ; implicit-def: $vgpr4
	s_mov_b64 s[46:47], s[38:39]
	s_branch .LBB56_619
.LBB56_426:
	s_mov_b64 s[46:47], -1
	s_mov_b64 s[0:1], 0
	s_mov_b64 s[44:45], s[40:41]
                                        ; implicit-def: $vgpr1
	s_branch .LBB56_446
.LBB56_427:
	s_mov_b64 s[48:49], -1
	s_mov_b64 s[0:1], 0
	s_mov_b64 s[46:47], s[38:39]
                                        ; implicit-def: $vgpr4
	s_branch .LBB56_583
.LBB56_428:
	s_mov_b64 s[46:47], -1
	s_mov_b64 s[0:1], 0
	s_mov_b64 s[44:45], s[40:41]
                                        ; implicit-def: $vgpr1
	s_branch .LBB56_441
.LBB56_429:
	s_mov_b64 s[48:49], -1
	s_mov_b64 s[0:1], 0
	s_mov_b64 s[46:47], s[38:39]
                                        ; implicit-def: $vgpr4
	s_branch .LBB56_564
.LBB56_430:
	s_mov_b64 s[46:47], -1
	s_mov_b64 s[0:1], 0
	s_mov_b64 s[44:45], s[40:41]
                                        ; implicit-def: $vgpr1
	s_branch .LBB56_435
.LBB56_431:
	s_mov_b64 s[48:49], -1
	s_mov_b64 s[0:1], 0
	s_mov_b64 s[46:47], s[38:39]
                                        ; implicit-def: $vgpr4
	s_branch .LBB56_559
.LBB56_432:
	s_or_saveexec_b64 s[48:49], s[48:49]
                                        ; implicit-def: $sgpr50
	s_xor_b64 exec, exec, s[48:49]
	s_cbranch_execz .LBB56_190
.LBB56_433:
	s_mov_b32 s50, 0x46000000
	v_add_f32_e64 v4, |v5|, s50
	v_and_b32_e32 v4, 0xff, v4
	v_cmp_ne_u32_e32 vcc, 0, v4
	s_andn2_b64 s[44:45], s[44:45], exec
	s_and_b64 s[52:53], vcc, exec
	s_mov_b32 s50, 0
	s_or_b64 s[44:45], s[44:45], s[52:53]
	s_or_b64 exec, exec, s[48:49]
	v_mov_b32_e32 v10, s50
	s_and_saveexec_b64 s[48:49], s[44:45]
	s_cbranch_execnz .LBB56_191
	s_branch .LBB56_192
.LBB56_434:
	s_mov_b64 s[44:45], -1
                                        ; implicit-def: $vgpr1
	s_mov_b64 s[0:1], 0
.LBB56_435:
	s_and_b64 vcc, exec, s[46:47]
	s_cbranch_vccz .LBB56_440
; %bb.436:
	s_waitcnt vmcnt(0)
	v_mov_b32_e32 v1, 44
	v_cmp_eq_u16_sdwa s[44:45], v9, v1 src0_sel:BYTE_0 src1_sel:DWORD
	s_and_b64 vcc, exec, s[44:45]
	s_cbranch_vccz .LBB56_439
; %bb.437:
	global_load_ubyte v1, v[4:5], off
	s_movk_i32 s44, 0xff
	v_mov_b32_e32 v3, 0x7f800001
	v_mov_b32_e32 v10, 0x400000
	;; [unrolled: 1-line block ×3, first 2 shown]
	s_mov_b64 s[0:1], -1
	s_waitcnt vmcnt(0)
	v_lshlrev_b32_e32 v12, 23, v1
	v_cmp_ne_u32_e32 vcc, s44, v1
	v_cndmask_b32_e32 v3, v3, v12, vcc
	v_cmp_ne_u32_e32 vcc, 0, v1
	v_cndmask_b32_e32 v1, v10, v3, vcc
	v_add_u32_e32 v3, 0x7fff, v1
	v_lshrrev_b32_e32 v3, 16, v3
	v_cmp_o_f32_e32 vcc, v1, v1
	v_cndmask_b32_e32 v1, v11, v3, vcc
	s_mov_b64 s[44:45], 0
	s_branch .LBB56_440
.LBB56_438:
	s_mov_b64 s[48:49], -1
	s_mov_b64 s[0:1], 0
	s_mov_b64 s[46:47], s[38:39]
                                        ; implicit-def: $vgpr4
	s_branch .LBB56_554
.LBB56_439:
	s_mov_b64 s[44:45], -1
                                        ; implicit-def: $vgpr1
.LBB56_440:
	s_mov_b64 s[46:47], 0
.LBB56_441:
	s_and_b64 vcc, exec, s[46:47]
	s_cbranch_vccz .LBB56_445
; %bb.442:
	s_waitcnt vmcnt(0)
	v_mov_b32_e32 v1, 29
	v_cmp_eq_u16_sdwa s[44:45], v9, v1 src0_sel:BYTE_0 src1_sel:DWORD
	s_and_b64 vcc, exec, s[44:45]
	s_cbranch_vccz .LBB56_444
; %bb.443:
	global_load_dwordx2 v[10:11], v[4:5], off
	s_movk_i32 s44, 0x7fff
	s_mov_b64 s[0:1], -1
	s_mov_b64 s[46:47], 0
	s_waitcnt vmcnt(0)
	v_ffbh_u32_e32 v1, v11
	v_min_u32_e32 v1, 32, v1
	v_lshlrev_b64 v[10:11], v1, v[10:11]
	v_min_u32_e32 v3, 1, v10
	v_or_b32_e32 v3, v11, v3
	v_cvt_f32_u32_e32 v3, v3
	v_sub_u32_e32 v1, 32, v1
	v_ldexp_f32 v1, v3, v1
	v_bfe_u32 v3, v1, 16, 1
	v_add3_u32 v1, v1, v3, s44
	v_lshrrev_b32_e32 v1, 16, v1
	s_mov_b64 s[44:45], 0
	s_branch .LBB56_446
.LBB56_444:
	s_mov_b64 s[44:45], -1
                                        ; implicit-def: $vgpr1
.LBB56_445:
	s_mov_b64 s[46:47], 0
.LBB56_446:
	s_and_b64 vcc, exec, s[46:47]
	s_cbranch_vccz .LBB56_464
; %bb.447:
	s_waitcnt vmcnt(0)
	v_mov_b32_e32 v1, 27
	v_cmp_lt_i16_sdwa s[0:1], v9, v1 src0_sel:BYTE_0 src1_sel:DWORD
	s_and_b64 vcc, exec, s[0:1]
	s_cbranch_vccnz .LBB56_450
; %bb.448:
	v_cmp_gt_i16_sdwa s[0:1], v9, v1 src0_sel:BYTE_0 src1_sel:DWORD
	s_and_b64 vcc, exec, s[0:1]
	s_cbranch_vccz .LBB56_451
; %bb.449:
	global_load_dword v1, v[4:5], off
	s_movk_i32 s0, 0x7fff
	s_waitcnt vmcnt(0)
	v_cvt_f32_u32_e32 v1, v1
	v_bfe_u32 v3, v1, 16, 1
	v_add3_u32 v1, v1, v3, s0
	v_lshrrev_b32_e32 v1, 16, v1
	s_mov_b64 s[0:1], 0
	s_branch .LBB56_452
.LBB56_450:
	s_mov_b64 s[0:1], -1
                                        ; implicit-def: $vgpr1
	s_branch .LBB56_455
.LBB56_451:
	s_mov_b64 s[0:1], -1
                                        ; implicit-def: $vgpr1
.LBB56_452:
	s_andn2_b64 vcc, exec, s[0:1]
	s_cbranch_vccnz .LBB56_454
; %bb.453:
	global_load_ushort v1, v[4:5], off
	s_movk_i32 s0, 0x7fff
	s_waitcnt vmcnt(0)
	v_cvt_f32_u32_e32 v1, v1
	v_bfe_u32 v3, v1, 16, 1
	v_add3_u32 v1, v1, v3, s0
	v_lshrrev_b32_e32 v1, 16, v1
.LBB56_454:
	s_mov_b64 s[0:1], 0
.LBB56_455:
	s_andn2_b64 vcc, exec, s[0:1]
	s_cbranch_vccnz .LBB56_463
; %bb.456:
	global_load_ubyte v1, v[4:5], off
	s_movk_i32 s0, 0x7f
                                        ; implicit-def: $sgpr52
	s_waitcnt vmcnt(0)
	v_cmp_lt_i16_e32 vcc, s0, v1
	s_mov_b64 s[0:1], 0
	s_and_saveexec_b64 s[46:47], vcc
	s_xor_b64 s[46:47], exec, s[46:47]
	s_cbranch_execz .LBB56_477
; %bb.457:
	s_movk_i32 s0, 0x80
	v_cmp_eq_u16_e32 vcc, s0, v1
	s_mov_b64 s[0:1], -1
                                        ; implicit-def: $sgpr52
	s_and_saveexec_b64 s[48:49], vcc
; %bb.458:
	s_mov_b32 s52, 0x7f800001
	s_xor_b64 s[0:1], exec, -1
; %bb.459:
	s_or_b64 exec, exec, s[48:49]
	s_and_b64 s[0:1], s[0:1], exec
	s_or_saveexec_b64 s[46:47], s[46:47]
	v_mov_b32_e32 v3, s52
	s_xor_b64 exec, exec, s[46:47]
	s_cbranch_execnz .LBB56_478
.LBB56_460:
	s_or_b64 exec, exec, s[46:47]
	s_and_saveexec_b64 s[46:47], s[0:1]
	s_cbranch_execz .LBB56_462
.LBB56_461:
	v_lshlrev_b32_e32 v3, 24, v1
	v_and_b32_e32 v1, 0xffff, v1
	v_and_b32_e32 v10, 7, v1
	v_ffbh_u32_e32 v12, v10
	v_min_u32_e32 v12, 32, v12
	v_subrev_u32_e32 v13, 28, v12
	v_bfe_u32 v11, v1, 3, 4
	v_lshlrev_b32_e32 v1, v13, v1
	v_sub_u32_e32 v12, 29, v12
	v_and_b32_e32 v1, 7, v1
	v_cmp_eq_u32_e32 vcc, 0, v11
	v_cndmask_b32_e32 v11, v11, v12, vcc
	v_cndmask_b32_e32 v1, v10, v1, vcc
	v_mov_b32_e32 v10, 0x3b800000
	v_lshlrev_b32_e32 v1, 20, v1
	v_and_b32_e32 v3, 0x80000000, v3
	v_lshl_add_u32 v10, v11, 23, v10
	v_or3_b32 v3, v3, v10, v1
.LBB56_462:
	s_or_b64 exec, exec, s[46:47]
	v_bfe_u32 v1, v3, 16, 1
	s_movk_i32 s0, 0x7fff
	v_add3_u32 v1, v3, v1, s0
	v_lshrrev_b32_e32 v1, 16, v1
	v_mov_b32_e32 v10, 0x7fc0
	v_cmp_o_f32_e32 vcc, v3, v3
	v_cndmask_b32_e32 v1, v10, v1, vcc
.LBB56_463:
	s_mov_b64 s[0:1], -1
.LBB56_464:
	s_mov_b64 s[46:47], 0
.LBB56_465:
	s_and_b64 vcc, exec, s[46:47]
	s_cbranch_vccz .LBB56_500
; %bb.466:
	s_waitcnt vmcnt(0)
	v_mov_b32_e32 v1, 22
	v_cmp_gt_i16_sdwa s[46:47], v9, v1 src0_sel:BYTE_0 src1_sel:DWORD
	s_and_b64 vcc, exec, s[46:47]
	s_cbranch_vccz .LBB56_476
; %bb.467:
	v_mov_b32_e32 v1, 24
	v_cmp_lt_i16_sdwa s[0:1], v9, v1 src0_sel:BYTE_0 src1_sel:DWORD
	s_and_b64 vcc, exec, s[0:1]
	s_cbranch_vccnz .LBB56_479
; %bb.468:
	v_cmp_gt_i16_sdwa s[0:1], v9, v1 src0_sel:BYTE_0 src1_sel:DWORD
	s_and_b64 vcc, exec, s[0:1]
	s_cbranch_vccz .LBB56_480
; %bb.469:
	global_load_ubyte v1, v[4:5], off
	s_movk_i32 s0, 0x7f
                                        ; implicit-def: $sgpr52
	s_waitcnt vmcnt(0)
	v_cmp_lt_i16_e32 vcc, s0, v1
	s_mov_b64 s[0:1], 0
	s_and_saveexec_b64 s[46:47], vcc
	s_xor_b64 s[46:47], exec, s[46:47]
	s_cbranch_execz .LBB56_492
; %bb.470:
	s_movk_i32 s0, 0x80
	v_cmp_eq_u16_e32 vcc, s0, v1
	s_mov_b64 s[0:1], -1
                                        ; implicit-def: $sgpr52
	s_and_saveexec_b64 s[48:49], vcc
; %bb.471:
	s_mov_b32 s52, 0x7f800001
	s_xor_b64 s[0:1], exec, -1
; %bb.472:
	s_or_b64 exec, exec, s[48:49]
	s_and_b64 s[0:1], s[0:1], exec
	s_or_saveexec_b64 s[46:47], s[46:47]
	v_mov_b32_e32 v3, s52
	s_xor_b64 exec, exec, s[46:47]
	s_cbranch_execnz .LBB56_493
.LBB56_473:
	s_or_b64 exec, exec, s[46:47]
	s_and_saveexec_b64 s[46:47], s[0:1]
	s_cbranch_execz .LBB56_475
.LBB56_474:
	v_lshlrev_b32_e32 v3, 24, v1
	v_and_b32_e32 v1, 0xffff, v1
	v_and_b32_e32 v10, 3, v1
	v_ffbh_u32_e32 v12, v10
	v_min_u32_e32 v12, 32, v12
	v_subrev_u32_e32 v13, 29, v12
	v_bfe_u32 v11, v1, 2, 5
	v_lshlrev_b32_e32 v1, v13, v1
	v_sub_u32_e32 v12, 30, v12
	v_and_b32_e32 v1, 3, v1
	v_cmp_eq_u32_e32 vcc, 0, v11
	v_cndmask_b32_e32 v11, v11, v12, vcc
	v_cndmask_b32_e32 v1, v10, v1, vcc
	v_mov_b32_e32 v10, 0x37800000
	v_lshlrev_b32_e32 v1, 21, v1
	v_and_b32_e32 v3, 0x80000000, v3
	v_lshl_add_u32 v10, v11, 23, v10
	v_or3_b32 v3, v3, v10, v1
.LBB56_475:
	s_or_b64 exec, exec, s[46:47]
	v_bfe_u32 v1, v3, 16, 1
	s_movk_i32 s0, 0x7fff
	v_add3_u32 v1, v3, v1, s0
	v_lshrrev_b32_e32 v1, 16, v1
	v_mov_b32_e32 v10, 0x7fc0
	v_cmp_o_f32_e32 vcc, v3, v3
	v_cndmask_b32_e32 v1, v10, v1, vcc
	s_mov_b64 s[0:1], 0
	s_branch .LBB56_481
.LBB56_476:
	s_mov_b64 s[46:47], -1
                                        ; implicit-def: $vgpr1
	s_branch .LBB56_487
.LBB56_477:
	s_or_saveexec_b64 s[46:47], s[46:47]
	v_mov_b32_e32 v3, s52
	s_xor_b64 exec, exec, s[46:47]
	s_cbranch_execz .LBB56_460
.LBB56_478:
	v_cmp_ne_u16_e32 vcc, 0, v1
	s_andn2_b64 s[0:1], s[0:1], exec
	s_and_b64 s[48:49], vcc, exec
	v_mov_b32_e32 v3, 0
	s_or_b64 s[0:1], s[0:1], s[48:49]
	s_or_b64 exec, exec, s[46:47]
	s_and_saveexec_b64 s[46:47], s[0:1]
	s_cbranch_execnz .LBB56_461
	s_branch .LBB56_462
.LBB56_479:
	s_mov_b64 s[0:1], -1
                                        ; implicit-def: $vgpr1
	s_branch .LBB56_484
.LBB56_480:
	s_mov_b64 s[0:1], -1
                                        ; implicit-def: $vgpr1
.LBB56_481:
	s_and_b64 vcc, exec, s[0:1]
	s_cbranch_vccz .LBB56_483
; %bb.482:
	global_load_ubyte v1, v[4:5], off
	s_mov_b32 s0, 0x7f800000
	s_brev_b32 s1, 1
	s_movk_i32 s46, 0x7fff
	v_mov_b32_e32 v3, 0x7fc0
	s_waitcnt vmcnt(0)
	v_lshlrev_b32_e32 v1, 24, v1
	v_and_b32_e32 v10, 0x7f000000, v1
	v_ffbh_u32_e32 v11, v10
	v_min_u32_e32 v11, 32, v11
	v_sub_u32_e64 v11, v11, 4 clamp
	v_lshlrev_b32_e32 v13, v11, v10
	v_lshlrev_b32_e32 v11, 23, v11
	v_lshrrev_b32_e32 v13, 4, v13
	v_add_u32_e32 v12, 0x1000000, v10
	v_sub_u32_e32 v11, v13, v11
	v_ashrrev_i32_e32 v12, 8, v12
	v_add_u32_e32 v11, 0x3c000000, v11
	v_and_or_b32 v11, v12, s0, v11
	v_cmp_ne_u32_e32 vcc, 0, v10
	v_cndmask_b32_e32 v10, 0, v11, vcc
	v_and_or_b32 v1, v1, s1, v10
	v_bfe_u32 v10, v10, 16, 1
	v_add3_u32 v10, v1, v10, s46
	v_lshrrev_b32_e32 v10, 16, v10
	v_cmp_o_f32_e32 vcc, v1, v1
	v_cndmask_b32_e32 v1, v3, v10, vcc
.LBB56_483:
	s_mov_b64 s[0:1], 0
.LBB56_484:
	s_andn2_b64 vcc, exec, s[0:1]
	s_cbranch_vccnz .LBB56_486
; %bb.485:
	global_load_ubyte v1, v[4:5], off
	s_movk_i32 s0, 0x7f00
	s_brev_b32 s1, 16
	s_brev_b32 s46, 1
	s_movk_i32 s47, 0x7fff
	v_mov_b32_e32 v3, 0x7fc0
	s_waitcnt vmcnt(0)
	v_lshlrev_b16_e32 v10, 8, v1
	v_lshlrev_b32_e32 v1, 25, v1
	v_lshrrev_b32_e32 v11, 4, v1
	v_and_or_b32 v12, v10, s0, 0.5
	v_or_b32_e32 v11, 0x70000000, v11
	v_add_f32_e32 v12, -0.5, v12
	v_mul_f32_e32 v11, 0x7800000, v11
	v_cmp_gt_u32_e32 vcc, s1, v1
	v_bfe_i32 v10, v10, 0, 16
	v_cndmask_b32_e32 v1, v11, v12, vcc
	v_and_or_b32 v10, v10, s46, v1
	v_bfe_u32 v1, v1, 16, 1
	v_add3_u32 v1, v10, v1, s47
	v_lshrrev_b32_e32 v1, 16, v1
	v_cmp_o_f32_e32 vcc, v10, v10
	v_cndmask_b32_e32 v1, v3, v1, vcc
.LBB56_486:
	s_mov_b64 s[46:47], 0
	s_mov_b64 s[0:1], -1
.LBB56_487:
	s_andn2_b64 vcc, exec, s[46:47]
	s_cbranch_vccnz .LBB56_500
; %bb.488:
	v_mov_b32_e32 v1, 14
	v_cmp_gt_i16_sdwa s[46:47], v9, v1 src0_sel:BYTE_0 src1_sel:DWORD
	s_and_b64 vcc, exec, s[46:47]
	s_cbranch_vccz .LBB56_491
; %bb.489:
	v_mov_b32_e32 v1, 15
	v_cmp_eq_u16_sdwa s[44:45], v9, v1 src0_sel:BYTE_0 src1_sel:DWORD
	s_and_b64 vcc, exec, s[44:45]
	s_cbranch_vccz .LBB56_494
; %bb.490:
	global_load_ushort v1, v[4:5], off
	s_mov_b64 s[0:1], -1
	s_mov_b64 s[44:45], 0
	s_branch .LBB56_495
.LBB56_491:
	s_mov_b64 s[46:47], -1
                                        ; implicit-def: $vgpr1
	s_branch .LBB56_496
.LBB56_492:
	s_or_saveexec_b64 s[46:47], s[46:47]
	v_mov_b32_e32 v3, s52
	s_xor_b64 exec, exec, s[46:47]
	s_cbranch_execz .LBB56_473
.LBB56_493:
	v_cmp_ne_u16_e32 vcc, 0, v1
	s_andn2_b64 s[0:1], s[0:1], exec
	s_and_b64 s[48:49], vcc, exec
	v_mov_b32_e32 v3, 0
	s_or_b64 s[0:1], s[0:1], s[48:49]
	s_or_b64 exec, exec, s[46:47]
	s_and_saveexec_b64 s[46:47], s[0:1]
	s_cbranch_execnz .LBB56_474
	s_branch .LBB56_475
.LBB56_494:
	s_mov_b64 s[44:45], -1
                                        ; implicit-def: $vgpr1
.LBB56_495:
	s_mov_b64 s[46:47], 0
.LBB56_496:
	s_and_b64 vcc, exec, s[46:47]
	s_cbranch_vccz .LBB56_500
; %bb.497:
	s_waitcnt vmcnt(0)
	v_mov_b32_e32 v1, 11
	v_cmp_eq_u16_sdwa s[44:45], v9, v1 src0_sel:BYTE_0 src1_sel:DWORD
	s_and_b64 vcc, exec, s[44:45]
	s_cbranch_vccz .LBB56_499
; %bb.498:
	global_load_ubyte v1, v[4:5], off
	s_mov_b64 s[0:1], -1
	s_mov_b64 s[44:45], 0
	s_waitcnt vmcnt(0)
	v_cmp_ne_u16_e32 vcc, 0, v1
	v_cndmask_b32_e64 v1, 0, 1.0, vcc
	v_lshrrev_b32_e32 v1, 16, v1
	s_branch .LBB56_500
.LBB56_499:
	s_mov_b64 s[44:45], -1
                                        ; implicit-def: $vgpr1
.LBB56_500:
	s_branch .LBB56_416
.LBB56_501:
	s_waitcnt vmcnt(0)
	v_mov_b32_e32 v1, 5
	v_cmp_lt_i16_sdwa s[0:1], v9, v1 src0_sel:BYTE_0 src1_sel:DWORD
	s_and_b64 vcc, exec, s[0:1]
	s_cbranch_vccnz .LBB56_506
; %bb.502:
	v_mov_b32_e32 v1, 8
	v_cmp_lt_i16_sdwa s[0:1], v9, v1 src0_sel:BYTE_0 src1_sel:DWORD
	s_and_b64 vcc, exec, s[0:1]
	s_cbranch_vccnz .LBB56_507
; %bb.503:
	;; [unrolled: 5-line block ×3, first 2 shown]
	v_cmp_gt_i16_sdwa s[0:1], v9, v1 src0_sel:BYTE_0 src1_sel:DWORD
	s_and_b64 vcc, exec, s[0:1]
	s_cbranch_vccz .LBB56_509
; %bb.505:
	global_load_dwordx2 v[10:11], v[4:5], off
	s_movk_i32 s0, 0x7fff
	v_mov_b32_e32 v1, 0x7fc0
	s_waitcnt vmcnt(0)
	v_cvt_f32_f64_e32 v3, v[10:11]
	v_bfe_u32 v10, v3, 16, 1
	v_add3_u32 v10, v3, v10, s0
	v_lshrrev_b32_e32 v10, 16, v10
	v_cmp_o_f32_e32 vcc, v3, v3
	v_cndmask_b32_e32 v1, v1, v10, vcc
	s_mov_b64 s[0:1], 0
	s_branch .LBB56_510
.LBB56_506:
	s_mov_b64 s[0:1], -1
                                        ; implicit-def: $vgpr1
	s_branch .LBB56_528
.LBB56_507:
	s_mov_b64 s[0:1], -1
                                        ; implicit-def: $vgpr1
	s_branch .LBB56_516
.LBB56_508:
	s_mov_b64 s[0:1], -1
                                        ; implicit-def: $vgpr1
	s_branch .LBB56_513
.LBB56_509:
	s_mov_b64 s[0:1], -1
                                        ; implicit-def: $vgpr1
.LBB56_510:
	s_andn2_b64 vcc, exec, s[0:1]
	s_cbranch_vccnz .LBB56_512
; %bb.511:
	global_load_dword v1, v[4:5], off
	s_movk_i32 s0, 0x7fff
	v_mov_b32_e32 v3, 0x7fc0
	s_waitcnt vmcnt(0)
	v_bfe_u32 v10, v1, 16, 1
	v_add3_u32 v10, v1, v10, s0
	v_lshrrev_b32_e32 v10, 16, v10
	v_cmp_o_f32_e32 vcc, v1, v1
	v_cndmask_b32_e32 v1, v3, v10, vcc
.LBB56_512:
	s_mov_b64 s[0:1], 0
.LBB56_513:
	s_andn2_b64 vcc, exec, s[0:1]
	s_cbranch_vccnz .LBB56_515
; %bb.514:
	global_load_dword v1, v[4:5], off
	s_movk_i32 s0, 0x7fff
	v_mov_b32_e32 v10, 0x7fc0
	s_waitcnt vmcnt(0)
	v_cvt_f32_f16_e32 v3, v1
	v_cmp_o_f16_e32 vcc, v1, v1
	v_bfe_u32 v11, v3, 16, 1
	v_add3_u32 v3, v3, v11, s0
	v_lshrrev_b32_e32 v3, 16, v3
	v_cndmask_b32_e32 v1, v10, v3, vcc
.LBB56_515:
	s_mov_b64 s[0:1], 0
.LBB56_516:
	s_andn2_b64 vcc, exec, s[0:1]
	s_cbranch_vccnz .LBB56_527
; %bb.517:
	v_mov_b32_e32 v1, 6
	v_cmp_lt_i16_sdwa s[0:1], v9, v1 src0_sel:BYTE_0 src1_sel:DWORD
	s_and_b64 vcc, exec, s[0:1]
	s_cbranch_vccnz .LBB56_520
; %bb.518:
	v_cmp_gt_i16_sdwa s[0:1], v9, v1 src0_sel:BYTE_0 src1_sel:DWORD
	s_and_b64 vcc, exec, s[0:1]
	s_cbranch_vccz .LBB56_521
; %bb.519:
	global_load_dwordx2 v[10:11], v[4:5], off
	s_movk_i32 s0, 0x7fff
	v_mov_b32_e32 v1, 0x7fc0
	s_waitcnt vmcnt(0)
	v_cvt_f32_f64_e32 v3, v[10:11]
	v_bfe_u32 v10, v3, 16, 1
	v_add3_u32 v10, v3, v10, s0
	v_lshrrev_b32_e32 v10, 16, v10
	v_cmp_o_f32_e32 vcc, v3, v3
	v_cndmask_b32_e32 v1, v1, v10, vcc
	s_mov_b64 s[0:1], 0
	s_branch .LBB56_522
.LBB56_520:
	s_mov_b64 s[0:1], -1
                                        ; implicit-def: $vgpr1
	s_branch .LBB56_525
.LBB56_521:
	s_mov_b64 s[0:1], -1
                                        ; implicit-def: $vgpr1
.LBB56_522:
	s_andn2_b64 vcc, exec, s[0:1]
	s_cbranch_vccnz .LBB56_524
; %bb.523:
	global_load_dword v1, v[4:5], off
	s_movk_i32 s0, 0x7fff
	v_mov_b32_e32 v3, 0x7fc0
	s_waitcnt vmcnt(0)
	v_bfe_u32 v10, v1, 16, 1
	v_add3_u32 v10, v1, v10, s0
	v_lshrrev_b32_e32 v10, 16, v10
	v_cmp_o_f32_e32 vcc, v1, v1
	v_cndmask_b32_e32 v1, v3, v10, vcc
.LBB56_524:
	s_mov_b64 s[0:1], 0
.LBB56_525:
	s_andn2_b64 vcc, exec, s[0:1]
	s_cbranch_vccnz .LBB56_527
; %bb.526:
	global_load_ushort v1, v[4:5], off
	s_movk_i32 s0, 0x7fff
	v_mov_b32_e32 v10, 0x7fc0
	s_waitcnt vmcnt(0)
	v_cvt_f32_f16_e32 v3, v1
	v_cmp_o_f16_e32 vcc, v1, v1
	v_bfe_u32 v11, v3, 16, 1
	v_add3_u32 v3, v3, v11, s0
	v_lshrrev_b32_e32 v3, 16, v3
	v_cndmask_b32_e32 v1, v10, v3, vcc
.LBB56_527:
	s_mov_b64 s[0:1], 0
.LBB56_528:
	s_andn2_b64 vcc, exec, s[0:1]
	s_cbranch_vccnz .LBB56_548
; %bb.529:
	v_mov_b32_e32 v1, 2
	v_cmp_lt_i16_sdwa s[0:1], v9, v1 src0_sel:BYTE_0 src1_sel:DWORD
	s_and_b64 vcc, exec, s[0:1]
	s_cbranch_vccnz .LBB56_533
; %bb.530:
	v_mov_b32_e32 v1, 3
	v_cmp_lt_i16_sdwa s[0:1], v9, v1 src0_sel:BYTE_0 src1_sel:DWORD
	s_and_b64 vcc, exec, s[0:1]
	s_cbranch_vccnz .LBB56_534
; %bb.531:
	v_cmp_gt_i16_sdwa s[0:1], v9, v1 src0_sel:BYTE_0 src1_sel:DWORD
	s_and_b64 vcc, exec, s[0:1]
	s_cbranch_vccz .LBB56_535
; %bb.532:
	global_load_dwordx2 v[10:11], v[4:5], off
	s_movk_i32 s0, 0x7fff
	s_waitcnt vmcnt(0)
	v_xor_b32_e32 v3, v10, v11
	v_ffbh_i32_e32 v1, v11
	v_ashrrev_i32_e32 v3, 31, v3
	v_add_u32_e32 v1, -1, v1
	v_add_u32_e32 v3, 32, v3
	v_min_u32_e32 v1, v1, v3
	v_lshlrev_b64 v[10:11], v1, v[10:11]
	v_min_u32_e32 v3, 1, v10
	v_or_b32_e32 v3, v11, v3
	v_cvt_f32_i32_e32 v3, v3
	v_sub_u32_e32 v1, 32, v1
	v_ldexp_f32 v1, v3, v1
	v_bfe_u32 v3, v1, 16, 1
	v_add3_u32 v1, v1, v3, s0
	v_lshrrev_b32_e32 v1, 16, v1
	s_mov_b64 s[0:1], 0
	s_branch .LBB56_536
.LBB56_533:
	s_mov_b64 s[0:1], -1
                                        ; implicit-def: $vgpr1
	s_branch .LBB56_542
.LBB56_534:
	s_mov_b64 s[0:1], -1
                                        ; implicit-def: $vgpr1
	s_branch .LBB56_539
.LBB56_535:
	s_mov_b64 s[0:1], -1
                                        ; implicit-def: $vgpr1
.LBB56_536:
	s_andn2_b64 vcc, exec, s[0:1]
	s_cbranch_vccnz .LBB56_538
; %bb.537:
	global_load_dword v1, v[4:5], off
	s_movk_i32 s0, 0x7fff
	s_waitcnt vmcnt(0)
	v_cvt_f32_i32_e32 v1, v1
	v_bfe_u32 v3, v1, 16, 1
	v_add3_u32 v1, v1, v3, s0
	v_lshrrev_b32_e32 v1, 16, v1
.LBB56_538:
	s_mov_b64 s[0:1], 0
.LBB56_539:
	s_andn2_b64 vcc, exec, s[0:1]
	s_cbranch_vccnz .LBB56_541
; %bb.540:
	global_load_sshort v1, v[4:5], off
	s_movk_i32 s0, 0x7fff
	s_waitcnt vmcnt(0)
	v_cvt_f32_i32_e32 v1, v1
	v_bfe_u32 v3, v1, 16, 1
	v_add3_u32 v1, v1, v3, s0
	v_lshrrev_b32_e32 v1, 16, v1
.LBB56_541:
	s_mov_b64 s[0:1], 0
.LBB56_542:
	s_andn2_b64 vcc, exec, s[0:1]
	s_cbranch_vccnz .LBB56_548
; %bb.543:
	v_mov_b32_e32 v1, 0
	v_cmp_gt_i16_sdwa s[0:1], v9, v1 src0_sel:BYTE_0 src1_sel:DWORD
	s_and_b64 vcc, exec, s[0:1]
	s_cbranch_vccz .LBB56_545
; %bb.544:
	global_load_sbyte v1, v[4:5], off
	s_movk_i32 s0, 0x7fff
	s_waitcnt vmcnt(0)
	v_cvt_f32_i32_e32 v1, v1
	v_bfe_u32 v3, v1, 16, 1
	v_add3_u32 v1, v1, v3, s0
	v_lshrrev_b32_e32 v1, 16, v1
	s_mov_b64 s[0:1], 0
	s_branch .LBB56_546
.LBB56_545:
	s_mov_b64 s[0:1], -1
                                        ; implicit-def: $vgpr1
.LBB56_546:
	s_andn2_b64 vcc, exec, s[0:1]
	s_cbranch_vccnz .LBB56_548
; %bb.547:
	global_load_ubyte v1, v[4:5], off
	s_movk_i32 s0, 0x7fff
	s_waitcnt vmcnt(0)
	v_cvt_f32_ubyte0_e32 v1, v1
	v_bfe_u32 v3, v1, 16, 1
	v_add3_u32 v1, v1, v3, s0
	v_lshrrev_b32_e32 v1, 16, v1
.LBB56_548:
	s_branch .LBB56_417
.LBB56_549:
	s_mov_b64 s[52:53], 0
	s_mov_b64 s[0:1], s[36:37]
	;; [unrolled: 1-line block ×3, first 2 shown]
.LBB56_550:
                                        ; implicit-def: $vgpr8
	s_branch .LBB56_792
.LBB56_551:
	s_or_saveexec_b64 s[48:49], s[48:49]
                                        ; implicit-def: $sgpr50
	s_xor_b64 exec, exec, s[48:49]
	s_cbranch_execz .LBB56_203
.LBB56_552:
	s_mov_b32 s50, 0x42800000
	v_add_f32_e64 v4, |v5|, s50
	v_and_b32_e32 v4, 0xff, v4
	v_cmp_ne_u32_e32 vcc, 0, v4
	s_andn2_b64 s[44:45], s[44:45], exec
	s_and_b64 s[52:53], vcc, exec
	s_mov_b32 s50, 0
	s_or_b64 s[44:45], s[44:45], s[52:53]
	s_or_b64 exec, exec, s[48:49]
	v_mov_b32_e32 v10, s50
	s_and_saveexec_b64 s[48:49], s[44:45]
	s_cbranch_execnz .LBB56_204
	s_branch .LBB56_205
.LBB56_553:
	s_mov_b64 s[46:47], -1
                                        ; implicit-def: $vgpr4
	s_mov_b64 s[0:1], 0
.LBB56_554:
	s_and_b64 vcc, exec, s[48:49]
	s_cbranch_vccz .LBB56_558
; %bb.555:
	s_waitcnt vmcnt(0)
	v_mov_b32_e32 v4, 44
	v_cmp_eq_u16_sdwa s[46:47], v7, v4 src0_sel:BYTE_0 src1_sel:DWORD
	s_and_b64 vcc, exec, s[46:47]
	s_cbranch_vccz .LBB56_557
; %bb.556:
	global_load_ubyte v4, v[2:3], off
	s_movk_i32 s46, 0xff
	v_mov_b32_e32 v5, 0x7f800001
	v_mov_b32_e32 v10, 0x400000
	;; [unrolled: 1-line block ×3, first 2 shown]
	s_mov_b64 s[0:1], -1
	s_waitcnt vmcnt(0)
	v_lshlrev_b32_e32 v12, 23, v4
	v_cmp_ne_u32_e32 vcc, s46, v4
	v_cndmask_b32_e32 v5, v5, v12, vcc
	v_cmp_ne_u32_e32 vcc, 0, v4
	v_cndmask_b32_e32 v4, v10, v5, vcc
	v_add_u32_e32 v5, 0x7fff, v4
	v_lshrrev_b32_e32 v5, 16, v5
	v_cmp_o_f32_e32 vcc, v4, v4
	v_cndmask_b32_e32 v4, v11, v5, vcc
	s_mov_b64 s[46:47], 0
	s_branch .LBB56_558
.LBB56_557:
	s_mov_b64 s[46:47], -1
                                        ; implicit-def: $vgpr4
.LBB56_558:
	s_mov_b64 s[48:49], 0
.LBB56_559:
	s_and_b64 vcc, exec, s[48:49]
	s_cbranch_vccz .LBB56_563
; %bb.560:
	s_waitcnt vmcnt(0)
	v_mov_b32_e32 v4, 29
	v_cmp_eq_u16_sdwa s[46:47], v7, v4 src0_sel:BYTE_0 src1_sel:DWORD
	s_and_b64 vcc, exec, s[46:47]
	s_cbranch_vccz .LBB56_562
; %bb.561:
	global_load_dwordx2 v[4:5], v[2:3], off
	s_movk_i32 s46, 0x7fff
	s_mov_b64 s[0:1], -1
	s_mov_b64 s[48:49], 0
	s_waitcnt vmcnt(0)
	v_ffbh_u32_e32 v10, v5
	v_min_u32_e32 v10, 32, v10
	v_lshlrev_b64 v[4:5], v10, v[4:5]
	v_min_u32_e32 v4, 1, v4
	v_or_b32_e32 v4, v5, v4
	v_cvt_f32_u32_e32 v4, v4
	v_sub_u32_e32 v5, 32, v10
	v_ldexp_f32 v4, v4, v5
	v_bfe_u32 v5, v4, 16, 1
	v_add3_u32 v4, v4, v5, s46
	v_lshrrev_b32_e32 v4, 16, v4
	s_mov_b64 s[46:47], 0
	s_branch .LBB56_564
.LBB56_562:
	s_mov_b64 s[46:47], -1
                                        ; implicit-def: $vgpr4
.LBB56_563:
	s_mov_b64 s[48:49], 0
.LBB56_564:
	s_and_b64 vcc, exec, s[48:49]
	s_cbranch_vccz .LBB56_582
; %bb.565:
	s_waitcnt vmcnt(0)
	v_mov_b32_e32 v4, 27
	v_cmp_lt_i16_sdwa s[0:1], v7, v4 src0_sel:BYTE_0 src1_sel:DWORD
	s_and_b64 vcc, exec, s[0:1]
	s_cbranch_vccnz .LBB56_568
; %bb.566:
	v_cmp_gt_i16_sdwa s[0:1], v7, v4 src0_sel:BYTE_0 src1_sel:DWORD
	s_and_b64 vcc, exec, s[0:1]
	s_cbranch_vccz .LBB56_569
; %bb.567:
	global_load_dword v4, v[2:3], off
	s_movk_i32 s0, 0x7fff
	s_waitcnt vmcnt(0)
	v_cvt_f32_u32_e32 v4, v4
	v_bfe_u32 v5, v4, 16, 1
	v_add3_u32 v4, v4, v5, s0
	v_lshrrev_b32_e32 v4, 16, v4
	s_mov_b64 s[0:1], 0
	s_branch .LBB56_570
.LBB56_568:
	s_mov_b64 s[0:1], -1
                                        ; implicit-def: $vgpr4
	s_branch .LBB56_573
.LBB56_569:
	s_mov_b64 s[0:1], -1
                                        ; implicit-def: $vgpr4
.LBB56_570:
	s_andn2_b64 vcc, exec, s[0:1]
	s_cbranch_vccnz .LBB56_572
; %bb.571:
	global_load_ushort v4, v[2:3], off
	s_movk_i32 s0, 0x7fff
	s_waitcnt vmcnt(0)
	v_cvt_f32_u32_e32 v4, v4
	v_bfe_u32 v5, v4, 16, 1
	v_add3_u32 v4, v4, v5, s0
	v_lshrrev_b32_e32 v4, 16, v4
.LBB56_572:
	s_mov_b64 s[0:1], 0
.LBB56_573:
	s_andn2_b64 vcc, exec, s[0:1]
	s_cbranch_vccnz .LBB56_581
; %bb.574:
	global_load_ubyte v4, v[2:3], off
	s_movk_i32 s0, 0x7f
                                        ; implicit-def: $sgpr54
	s_waitcnt vmcnt(0)
	v_cmp_lt_i16_e32 vcc, s0, v4
	s_mov_b64 s[0:1], 0
	s_and_saveexec_b64 s[48:49], vcc
	s_xor_b64 s[48:49], exec, s[48:49]
	s_cbranch_execz .LBB56_595
; %bb.575:
	s_movk_i32 s0, 0x80
	v_cmp_eq_u16_e32 vcc, s0, v4
	s_mov_b64 s[0:1], -1
                                        ; implicit-def: $sgpr54
	s_and_saveexec_b64 s[52:53], vcc
; %bb.576:
	s_mov_b32 s54, 0x7f800001
	s_xor_b64 s[0:1], exec, -1
; %bb.577:
	s_or_b64 exec, exec, s[52:53]
	s_and_b64 s[0:1], s[0:1], exec
	s_or_saveexec_b64 s[48:49], s[48:49]
	v_mov_b32_e32 v5, s54
	s_xor_b64 exec, exec, s[48:49]
	s_cbranch_execnz .LBB56_596
.LBB56_578:
	s_or_b64 exec, exec, s[48:49]
	s_and_saveexec_b64 s[48:49], s[0:1]
	s_cbranch_execz .LBB56_580
.LBB56_579:
	v_lshlrev_b32_e32 v5, 24, v4
	v_and_b32_e32 v4, 0xffff, v4
	v_and_b32_e32 v10, 7, v4
	v_ffbh_u32_e32 v12, v10
	v_min_u32_e32 v12, 32, v12
	v_subrev_u32_e32 v13, 28, v12
	v_bfe_u32 v11, v4, 3, 4
	v_lshlrev_b32_e32 v4, v13, v4
	v_sub_u32_e32 v12, 29, v12
	v_and_b32_e32 v4, 7, v4
	v_cmp_eq_u32_e32 vcc, 0, v11
	v_cndmask_b32_e32 v11, v11, v12, vcc
	v_cndmask_b32_e32 v4, v10, v4, vcc
	v_mov_b32_e32 v10, 0x3b800000
	v_lshlrev_b32_e32 v4, 20, v4
	v_and_b32_e32 v5, 0x80000000, v5
	v_lshl_add_u32 v10, v11, 23, v10
	v_or3_b32 v5, v5, v10, v4
.LBB56_580:
	s_or_b64 exec, exec, s[48:49]
	v_bfe_u32 v4, v5, 16, 1
	s_movk_i32 s0, 0x7fff
	v_add3_u32 v4, v5, v4, s0
	v_lshrrev_b32_e32 v4, 16, v4
	v_mov_b32_e32 v10, 0x7fc0
	v_cmp_o_f32_e32 vcc, v5, v5
	v_cndmask_b32_e32 v4, v10, v4, vcc
.LBB56_581:
	s_mov_b64 s[0:1], -1
.LBB56_582:
	s_mov_b64 s[48:49], 0
.LBB56_583:
	s_and_b64 vcc, exec, s[48:49]
	s_cbranch_vccz .LBB56_618
; %bb.584:
	s_waitcnt vmcnt(0)
	v_mov_b32_e32 v4, 22
	v_cmp_gt_i16_sdwa s[48:49], v7, v4 src0_sel:BYTE_0 src1_sel:DWORD
	s_and_b64 vcc, exec, s[48:49]
	s_cbranch_vccz .LBB56_594
; %bb.585:
	v_mov_b32_e32 v4, 24
	v_cmp_lt_i16_sdwa s[0:1], v7, v4 src0_sel:BYTE_0 src1_sel:DWORD
	s_and_b64 vcc, exec, s[0:1]
	s_cbranch_vccnz .LBB56_597
; %bb.586:
	v_cmp_gt_i16_sdwa s[0:1], v7, v4 src0_sel:BYTE_0 src1_sel:DWORD
	s_and_b64 vcc, exec, s[0:1]
	s_cbranch_vccz .LBB56_598
; %bb.587:
	global_load_ubyte v4, v[2:3], off
	s_movk_i32 s0, 0x7f
                                        ; implicit-def: $sgpr54
	s_waitcnt vmcnt(0)
	v_cmp_lt_i16_e32 vcc, s0, v4
	s_mov_b64 s[0:1], 0
	s_and_saveexec_b64 s[48:49], vcc
	s_xor_b64 s[48:49], exec, s[48:49]
	s_cbranch_execz .LBB56_610
; %bb.588:
	s_movk_i32 s0, 0x80
	v_cmp_eq_u16_e32 vcc, s0, v4
	s_mov_b64 s[0:1], -1
                                        ; implicit-def: $sgpr54
	s_and_saveexec_b64 s[52:53], vcc
; %bb.589:
	s_mov_b32 s54, 0x7f800001
	s_xor_b64 s[0:1], exec, -1
; %bb.590:
	s_or_b64 exec, exec, s[52:53]
	s_and_b64 s[0:1], s[0:1], exec
	s_or_saveexec_b64 s[48:49], s[48:49]
	v_mov_b32_e32 v5, s54
	s_xor_b64 exec, exec, s[48:49]
	s_cbranch_execnz .LBB56_611
.LBB56_591:
	s_or_b64 exec, exec, s[48:49]
	s_and_saveexec_b64 s[48:49], s[0:1]
	s_cbranch_execz .LBB56_593
.LBB56_592:
	v_lshlrev_b32_e32 v5, 24, v4
	v_and_b32_e32 v4, 0xffff, v4
	v_and_b32_e32 v10, 3, v4
	v_ffbh_u32_e32 v12, v10
	v_min_u32_e32 v12, 32, v12
	v_subrev_u32_e32 v13, 29, v12
	v_bfe_u32 v11, v4, 2, 5
	v_lshlrev_b32_e32 v4, v13, v4
	v_sub_u32_e32 v12, 30, v12
	v_and_b32_e32 v4, 3, v4
	v_cmp_eq_u32_e32 vcc, 0, v11
	v_cndmask_b32_e32 v11, v11, v12, vcc
	v_cndmask_b32_e32 v4, v10, v4, vcc
	v_mov_b32_e32 v10, 0x37800000
	v_lshlrev_b32_e32 v4, 21, v4
	v_and_b32_e32 v5, 0x80000000, v5
	v_lshl_add_u32 v10, v11, 23, v10
	v_or3_b32 v5, v5, v10, v4
.LBB56_593:
	s_or_b64 exec, exec, s[48:49]
	v_bfe_u32 v4, v5, 16, 1
	s_movk_i32 s0, 0x7fff
	v_add3_u32 v4, v5, v4, s0
	v_lshrrev_b32_e32 v4, 16, v4
	v_mov_b32_e32 v10, 0x7fc0
	v_cmp_o_f32_e32 vcc, v5, v5
	v_cndmask_b32_e32 v4, v10, v4, vcc
	s_mov_b64 s[0:1], 0
	s_branch .LBB56_599
.LBB56_594:
	s_mov_b64 s[48:49], -1
                                        ; implicit-def: $vgpr4
	s_branch .LBB56_605
.LBB56_595:
	s_or_saveexec_b64 s[48:49], s[48:49]
	v_mov_b32_e32 v5, s54
	s_xor_b64 exec, exec, s[48:49]
	s_cbranch_execz .LBB56_578
.LBB56_596:
	v_cmp_ne_u16_e32 vcc, 0, v4
	s_andn2_b64 s[0:1], s[0:1], exec
	s_and_b64 s[52:53], vcc, exec
	v_mov_b32_e32 v5, 0
	s_or_b64 s[0:1], s[0:1], s[52:53]
	s_or_b64 exec, exec, s[48:49]
	s_and_saveexec_b64 s[48:49], s[0:1]
	s_cbranch_execnz .LBB56_579
	s_branch .LBB56_580
.LBB56_597:
	s_mov_b64 s[0:1], -1
                                        ; implicit-def: $vgpr4
	s_branch .LBB56_602
.LBB56_598:
	s_mov_b64 s[0:1], -1
                                        ; implicit-def: $vgpr4
.LBB56_599:
	s_and_b64 vcc, exec, s[0:1]
	s_cbranch_vccz .LBB56_601
; %bb.600:
	global_load_ubyte v4, v[2:3], off
	s_mov_b32 s0, 0x7f800000
	s_brev_b32 s1, 1
	s_movk_i32 s48, 0x7fff
	v_mov_b32_e32 v5, 0x7fc0
	s_waitcnt vmcnt(0)
	v_lshlrev_b32_e32 v4, 24, v4
	v_and_b32_e32 v10, 0x7f000000, v4
	v_ffbh_u32_e32 v11, v10
	v_min_u32_e32 v11, 32, v11
	v_sub_u32_e64 v11, v11, 4 clamp
	v_lshlrev_b32_e32 v13, v11, v10
	v_lshlrev_b32_e32 v11, 23, v11
	v_lshrrev_b32_e32 v13, 4, v13
	v_add_u32_e32 v12, 0x1000000, v10
	v_sub_u32_e32 v11, v13, v11
	v_ashrrev_i32_e32 v12, 8, v12
	v_add_u32_e32 v11, 0x3c000000, v11
	v_and_or_b32 v11, v12, s0, v11
	v_cmp_ne_u32_e32 vcc, 0, v10
	v_cndmask_b32_e32 v10, 0, v11, vcc
	v_and_or_b32 v4, v4, s1, v10
	v_bfe_u32 v10, v10, 16, 1
	v_add3_u32 v10, v4, v10, s48
	v_lshrrev_b32_e32 v10, 16, v10
	v_cmp_o_f32_e32 vcc, v4, v4
	v_cndmask_b32_e32 v4, v5, v10, vcc
.LBB56_601:
	s_mov_b64 s[0:1], 0
.LBB56_602:
	s_andn2_b64 vcc, exec, s[0:1]
	s_cbranch_vccnz .LBB56_604
; %bb.603:
	global_load_ubyte v4, v[2:3], off
	s_movk_i32 s0, 0x7f00
	s_brev_b32 s1, 16
	s_brev_b32 s48, 1
	s_movk_i32 s49, 0x7fff
	v_mov_b32_e32 v5, 0x7fc0
	s_waitcnt vmcnt(0)
	v_lshlrev_b16_e32 v10, 8, v4
	v_lshlrev_b32_e32 v4, 25, v4
	v_lshrrev_b32_e32 v11, 4, v4
	v_and_or_b32 v12, v10, s0, 0.5
	v_or_b32_e32 v11, 0x70000000, v11
	v_add_f32_e32 v12, -0.5, v12
	v_mul_f32_e32 v11, 0x7800000, v11
	v_cmp_gt_u32_e32 vcc, s1, v4
	v_bfe_i32 v10, v10, 0, 16
	v_cndmask_b32_e32 v4, v11, v12, vcc
	v_and_or_b32 v10, v10, s48, v4
	v_bfe_u32 v4, v4, 16, 1
	v_add3_u32 v4, v10, v4, s49
	v_lshrrev_b32_e32 v4, 16, v4
	v_cmp_o_f32_e32 vcc, v10, v10
	v_cndmask_b32_e32 v4, v5, v4, vcc
.LBB56_604:
	s_mov_b64 s[48:49], 0
	s_mov_b64 s[0:1], -1
.LBB56_605:
	s_andn2_b64 vcc, exec, s[48:49]
	s_cbranch_vccnz .LBB56_618
; %bb.606:
	v_mov_b32_e32 v4, 14
	v_cmp_gt_i16_sdwa s[48:49], v7, v4 src0_sel:BYTE_0 src1_sel:DWORD
	s_and_b64 vcc, exec, s[48:49]
	s_cbranch_vccz .LBB56_609
; %bb.607:
	v_mov_b32_e32 v4, 15
	v_cmp_eq_u16_sdwa s[46:47], v7, v4 src0_sel:BYTE_0 src1_sel:DWORD
	s_and_b64 vcc, exec, s[46:47]
	s_cbranch_vccz .LBB56_612
; %bb.608:
	global_load_ushort v4, v[2:3], off
	s_mov_b64 s[0:1], -1
	s_mov_b64 s[46:47], 0
	s_branch .LBB56_613
.LBB56_609:
	s_mov_b64 s[48:49], -1
                                        ; implicit-def: $vgpr4
	s_branch .LBB56_614
.LBB56_610:
	s_or_saveexec_b64 s[48:49], s[48:49]
	v_mov_b32_e32 v5, s54
	s_xor_b64 exec, exec, s[48:49]
	s_cbranch_execz .LBB56_591
.LBB56_611:
	v_cmp_ne_u16_e32 vcc, 0, v4
	s_andn2_b64 s[0:1], s[0:1], exec
	s_and_b64 s[52:53], vcc, exec
	v_mov_b32_e32 v5, 0
	s_or_b64 s[0:1], s[0:1], s[52:53]
	s_or_b64 exec, exec, s[48:49]
	s_and_saveexec_b64 s[48:49], s[0:1]
	s_cbranch_execnz .LBB56_592
	s_branch .LBB56_593
.LBB56_612:
	s_mov_b64 s[46:47], -1
                                        ; implicit-def: $vgpr4
.LBB56_613:
	s_mov_b64 s[48:49], 0
.LBB56_614:
	s_and_b64 vcc, exec, s[48:49]
	s_cbranch_vccz .LBB56_618
; %bb.615:
	s_waitcnt vmcnt(0)
	v_mov_b32_e32 v4, 11
	v_cmp_eq_u16_sdwa s[46:47], v7, v4 src0_sel:BYTE_0 src1_sel:DWORD
	s_and_b64 vcc, exec, s[46:47]
	s_cbranch_vccz .LBB56_617
; %bb.616:
	global_load_ubyte v4, v[2:3], off
	s_mov_b64 s[0:1], -1
	s_mov_b64 s[46:47], 0
	s_waitcnt vmcnt(0)
	v_cmp_ne_u16_e32 vcc, 0, v4
	v_cndmask_b32_e64 v4, 0, 1.0, vcc
	v_lshrrev_b32_e32 v4, 16, v4
	s_branch .LBB56_618
.LBB56_617:
	s_mov_b64 s[46:47], -1
                                        ; implicit-def: $vgpr4
.LBB56_618:
	s_mov_b64 s[48:49], 0
.LBB56_619:
	s_and_b64 vcc, exec, s[48:49]
	s_cbranch_vccz .LBB56_668
; %bb.620:
	s_waitcnt vmcnt(0)
	v_mov_b32_e32 v4, 5
	v_cmp_lt_i16_sdwa s[0:1], v7, v4 src0_sel:BYTE_0 src1_sel:DWORD
	s_and_b64 vcc, exec, s[0:1]
	s_cbranch_vccnz .LBB56_625
; %bb.621:
	v_mov_b32_e32 v4, 8
	v_cmp_lt_i16_sdwa s[0:1], v7, v4 src0_sel:BYTE_0 src1_sel:DWORD
	s_and_b64 vcc, exec, s[0:1]
	s_cbranch_vccnz .LBB56_626
; %bb.622:
	;; [unrolled: 5-line block ×3, first 2 shown]
	v_cmp_gt_i16_sdwa s[0:1], v7, v4 src0_sel:BYTE_0 src1_sel:DWORD
	s_and_b64 vcc, exec, s[0:1]
	s_cbranch_vccz .LBB56_628
; %bb.624:
	global_load_dwordx2 v[4:5], v[2:3], off
	s_movk_i32 s0, 0x7fff
	v_mov_b32_e32 v10, 0x7fc0
	s_waitcnt vmcnt(0)
	v_cvt_f32_f64_e32 v4, v[4:5]
	v_bfe_u32 v5, v4, 16, 1
	v_add3_u32 v5, v4, v5, s0
	v_lshrrev_b32_e32 v5, 16, v5
	v_cmp_o_f32_e32 vcc, v4, v4
	v_cndmask_b32_e32 v4, v10, v5, vcc
	s_mov_b64 s[0:1], 0
	s_branch .LBB56_629
.LBB56_625:
	s_mov_b64 s[0:1], -1
                                        ; implicit-def: $vgpr4
	s_branch .LBB56_647
.LBB56_626:
	s_mov_b64 s[0:1], -1
                                        ; implicit-def: $vgpr4
	s_branch .LBB56_635
.LBB56_627:
	s_mov_b64 s[0:1], -1
                                        ; implicit-def: $vgpr4
	s_branch .LBB56_632
.LBB56_628:
	s_mov_b64 s[0:1], -1
                                        ; implicit-def: $vgpr4
.LBB56_629:
	s_andn2_b64 vcc, exec, s[0:1]
	s_cbranch_vccnz .LBB56_631
; %bb.630:
	global_load_dword v4, v[2:3], off
	s_movk_i32 s0, 0x7fff
	v_mov_b32_e32 v5, 0x7fc0
	s_waitcnt vmcnt(0)
	v_bfe_u32 v10, v4, 16, 1
	v_add3_u32 v10, v4, v10, s0
	v_lshrrev_b32_e32 v10, 16, v10
	v_cmp_o_f32_e32 vcc, v4, v4
	v_cndmask_b32_e32 v4, v5, v10, vcc
.LBB56_631:
	s_mov_b64 s[0:1], 0
.LBB56_632:
	s_andn2_b64 vcc, exec, s[0:1]
	s_cbranch_vccnz .LBB56_634
; %bb.633:
	global_load_dword v4, v[2:3], off
	s_movk_i32 s0, 0x7fff
	v_mov_b32_e32 v10, 0x7fc0
	s_waitcnt vmcnt(0)
	v_cvt_f32_f16_e32 v5, v4
	v_cmp_o_f16_e32 vcc, v4, v4
	v_bfe_u32 v11, v5, 16, 1
	v_add3_u32 v5, v5, v11, s0
	v_lshrrev_b32_e32 v5, 16, v5
	v_cndmask_b32_e32 v4, v10, v5, vcc
.LBB56_634:
	s_mov_b64 s[0:1], 0
.LBB56_635:
	s_andn2_b64 vcc, exec, s[0:1]
	s_cbranch_vccnz .LBB56_646
; %bb.636:
	v_mov_b32_e32 v4, 6
	v_cmp_lt_i16_sdwa s[0:1], v7, v4 src0_sel:BYTE_0 src1_sel:DWORD
	s_and_b64 vcc, exec, s[0:1]
	s_cbranch_vccnz .LBB56_639
; %bb.637:
	v_cmp_gt_i16_sdwa s[0:1], v7, v4 src0_sel:BYTE_0 src1_sel:DWORD
	s_and_b64 vcc, exec, s[0:1]
	s_cbranch_vccz .LBB56_640
; %bb.638:
	global_load_dwordx2 v[4:5], v[2:3], off
	s_movk_i32 s0, 0x7fff
	v_mov_b32_e32 v10, 0x7fc0
	s_waitcnt vmcnt(0)
	v_cvt_f32_f64_e32 v4, v[4:5]
	v_bfe_u32 v5, v4, 16, 1
	v_add3_u32 v5, v4, v5, s0
	v_lshrrev_b32_e32 v5, 16, v5
	v_cmp_o_f32_e32 vcc, v4, v4
	v_cndmask_b32_e32 v4, v10, v5, vcc
	s_mov_b64 s[0:1], 0
	s_branch .LBB56_641
.LBB56_639:
	s_mov_b64 s[0:1], -1
                                        ; implicit-def: $vgpr4
	s_branch .LBB56_644
.LBB56_640:
	s_mov_b64 s[0:1], -1
                                        ; implicit-def: $vgpr4
.LBB56_641:
	s_andn2_b64 vcc, exec, s[0:1]
	s_cbranch_vccnz .LBB56_643
; %bb.642:
	global_load_dword v4, v[2:3], off
	s_movk_i32 s0, 0x7fff
	v_mov_b32_e32 v5, 0x7fc0
	s_waitcnt vmcnt(0)
	v_bfe_u32 v10, v4, 16, 1
	v_add3_u32 v10, v4, v10, s0
	v_lshrrev_b32_e32 v10, 16, v10
	v_cmp_o_f32_e32 vcc, v4, v4
	v_cndmask_b32_e32 v4, v5, v10, vcc
.LBB56_643:
	s_mov_b64 s[0:1], 0
.LBB56_644:
	s_andn2_b64 vcc, exec, s[0:1]
	s_cbranch_vccnz .LBB56_646
; %bb.645:
	global_load_ushort v4, v[2:3], off
	s_movk_i32 s0, 0x7fff
	v_mov_b32_e32 v10, 0x7fc0
	s_waitcnt vmcnt(0)
	v_cvt_f32_f16_e32 v5, v4
	v_cmp_o_f16_e32 vcc, v4, v4
	v_bfe_u32 v11, v5, 16, 1
	v_add3_u32 v5, v5, v11, s0
	v_lshrrev_b32_e32 v5, 16, v5
	v_cndmask_b32_e32 v4, v10, v5, vcc
.LBB56_646:
	s_mov_b64 s[0:1], 0
.LBB56_647:
	s_andn2_b64 vcc, exec, s[0:1]
	s_cbranch_vccnz .LBB56_667
; %bb.648:
	v_mov_b32_e32 v4, 2
	v_cmp_lt_i16_sdwa s[0:1], v7, v4 src0_sel:BYTE_0 src1_sel:DWORD
	s_and_b64 vcc, exec, s[0:1]
	s_cbranch_vccnz .LBB56_652
; %bb.649:
	v_mov_b32_e32 v4, 3
	v_cmp_lt_i16_sdwa s[0:1], v7, v4 src0_sel:BYTE_0 src1_sel:DWORD
	s_and_b64 vcc, exec, s[0:1]
	s_cbranch_vccnz .LBB56_653
; %bb.650:
	v_cmp_gt_i16_sdwa s[0:1], v7, v4 src0_sel:BYTE_0 src1_sel:DWORD
	s_and_b64 vcc, exec, s[0:1]
	s_cbranch_vccz .LBB56_654
; %bb.651:
	global_load_dwordx2 v[4:5], v[2:3], off
	s_movk_i32 s0, 0x7fff
	s_waitcnt vmcnt(0)
	v_xor_b32_e32 v11, v4, v5
	v_ffbh_i32_e32 v10, v5
	v_ashrrev_i32_e32 v11, 31, v11
	v_add_u32_e32 v10, -1, v10
	v_add_u32_e32 v11, 32, v11
	v_min_u32_e32 v10, v10, v11
	v_lshlrev_b64 v[4:5], v10, v[4:5]
	v_min_u32_e32 v4, 1, v4
	v_or_b32_e32 v4, v5, v4
	v_cvt_f32_i32_e32 v4, v4
	v_sub_u32_e32 v5, 32, v10
	v_ldexp_f32 v4, v4, v5
	v_bfe_u32 v5, v4, 16, 1
	v_add3_u32 v4, v4, v5, s0
	v_lshrrev_b32_e32 v4, 16, v4
	s_mov_b64 s[0:1], 0
	s_branch .LBB56_655
.LBB56_652:
	s_mov_b64 s[0:1], -1
                                        ; implicit-def: $vgpr4
	s_branch .LBB56_661
.LBB56_653:
	s_mov_b64 s[0:1], -1
                                        ; implicit-def: $vgpr4
	s_branch .LBB56_658
.LBB56_654:
	s_mov_b64 s[0:1], -1
                                        ; implicit-def: $vgpr4
.LBB56_655:
	s_andn2_b64 vcc, exec, s[0:1]
	s_cbranch_vccnz .LBB56_657
; %bb.656:
	global_load_dword v4, v[2:3], off
	s_movk_i32 s0, 0x7fff
	s_waitcnt vmcnt(0)
	v_cvt_f32_i32_e32 v4, v4
	v_bfe_u32 v5, v4, 16, 1
	v_add3_u32 v4, v4, v5, s0
	v_lshrrev_b32_e32 v4, 16, v4
.LBB56_657:
	s_mov_b64 s[0:1], 0
.LBB56_658:
	s_andn2_b64 vcc, exec, s[0:1]
	s_cbranch_vccnz .LBB56_660
; %bb.659:
	global_load_sshort v4, v[2:3], off
	s_movk_i32 s0, 0x7fff
	s_waitcnt vmcnt(0)
	v_cvt_f32_i32_e32 v4, v4
	v_bfe_u32 v5, v4, 16, 1
	v_add3_u32 v4, v4, v5, s0
	v_lshrrev_b32_e32 v4, 16, v4
.LBB56_660:
	s_mov_b64 s[0:1], 0
.LBB56_661:
	s_andn2_b64 vcc, exec, s[0:1]
	s_cbranch_vccnz .LBB56_667
; %bb.662:
	v_mov_b32_e32 v4, 0
	v_cmp_gt_i16_sdwa s[0:1], v7, v4 src0_sel:BYTE_0 src1_sel:DWORD
	s_and_b64 vcc, exec, s[0:1]
	s_cbranch_vccz .LBB56_664
; %bb.663:
	global_load_sbyte v4, v[2:3], off
	s_movk_i32 s0, 0x7fff
	s_waitcnt vmcnt(0)
	v_cvt_f32_i32_e32 v4, v4
	v_bfe_u32 v5, v4, 16, 1
	v_add3_u32 v4, v4, v5, s0
	v_lshrrev_b32_e32 v4, 16, v4
	s_mov_b64 s[0:1], 0
	s_branch .LBB56_665
.LBB56_664:
	s_mov_b64 s[0:1], -1
                                        ; implicit-def: $vgpr4
.LBB56_665:
	s_andn2_b64 vcc, exec, s[0:1]
	s_cbranch_vccnz .LBB56_667
; %bb.666:
	global_load_ubyte v2, v[2:3], off
	s_movk_i32 s0, 0x7fff
	s_waitcnt vmcnt(0)
	v_cvt_f32_ubyte0_e32 v2, v2
	v_bfe_u32 v3, v2, 16, 1
	v_add3_u32 v2, v2, v3, s0
	v_lshrrev_b32_e32 v4, 16, v2
.LBB56_667:
	s_mov_b64 s[0:1], -1
.LBB56_668:
	s_andn2_b64 vcc, exec, s[0:1]
	s_cbranch_vccnz .LBB56_676
; %bb.669:
	s_waitcnt vmcnt(0)
	v_lshlrev_b32_e32 v1, 16, v1
	v_lshlrev_b32_e32 v2, 16, v4
	v_div_scale_f32 v3, s[0:1], v2, v2, v1
	v_rcp_f32_e32 v4, v3
	s_movk_i32 s0, 0x7fff
	v_fma_f32 v5, -v3, v4, 1.0
	v_fmac_f32_e32 v4, v5, v4
	v_div_scale_f32 v5, vcc, v1, v2, v1
	v_mul_f32_e32 v10, v5, v4
	v_fma_f32 v11, -v3, v10, v5
	v_fmac_f32_e32 v10, v11, v4
	v_fma_f32 v3, -v3, v10, v5
	v_div_fmas_f32 v3, v3, v4, v10
	v_div_fixup_f32 v1, v3, v2, v1
	v_bfe_u32 v2, v1, 16, 1
	v_add3_u32 v2, v1, v2, s0
	v_lshrrev_b32_e32 v2, 16, v2
	v_mov_b32_e32 v3, 0x7fc0
	v_cmp_o_f32_e32 vcc, v1, v1
	v_cndmask_b32_e32 v1, v3, v2, vcc
	v_lshlrev_b32_e32 v2, 16, v1
	s_mov_b32 s0, 0x800000
	v_mov_b32_e32 v3, 0x80
	v_cmp_ngt_f32_e32 vcc, s0, v2
	v_cndmask_b32_e32 v1, v3, v1, vcc
	v_lshlrev_b32_e32 v2, 16, v1
	s_mov_b32 s0, 0x3f7e0000
	v_mov_b32_e32 v3, 0x3f7e
	v_cmp_nlt_f32_e32 vcc, s0, v2
	v_cndmask_b32_e32 v2, v3, v1, vcc
	v_mov_b32_e32 v1, s9
	v_add_co_u32_e32 v0, vcc, s8, v0
	v_mov_b32_e32 v3, 11
	v_addc_co_u32_e32 v1, vcc, 0, v1, vcc
	v_cmp_lt_i16_sdwa s[0:1], v6, v3 src0_sel:BYTE_0 src1_sel:DWORD
	s_and_b64 vcc, exec, s[0:1]
	s_cbranch_vccnz .LBB56_677
; %bb.670:
	v_mov_b32_e32 v3, 25
	v_cmp_gt_i16_sdwa s[0:1], v6, v3 src0_sel:BYTE_0 src1_sel:DWORD
	s_and_b64 vcc, exec, s[0:1]
	s_cbranch_vccz .LBB56_678
; %bb.671:
	v_mov_b32_e32 v3, 28
	v_cmp_gt_i16_sdwa s[0:1], v6, v3 src0_sel:BYTE_0 src1_sel:DWORD
	s_and_b64 vcc, exec, s[0:1]
	s_cbranch_vccz .LBB56_679
	;; [unrolled: 5-line block ×4, first 2 shown]
; %bb.674:
	v_mov_b32_e32 v3, 46
	v_cmp_eq_u16_sdwa s[48:49], v6, v3 src0_sel:BYTE_0 src1_sel:DWORD
	s_mov_b64 s[52:53], 0
	s_mov_b64 s[0:1], -1
	s_and_b64 vcc, exec, s[48:49]
	s_mov_b64 s[48:49], 0
	s_cbranch_vccz .LBB56_682
; %bb.675:
	v_and_b32_e32 v3, 0xffff, v2
	global_store_dword v[0:1], v3, off
	s_mov_b64 s[48:49], -1
	s_mov_b64 s[0:1], 0
	s_branch .LBB56_682
.LBB56_676:
	s_mov_b64 s[52:53], 0
                                        ; implicit-def: $vgpr8
	s_mov_b64 s[0:1], s[36:37]
	s_branch .LBB56_792
.LBB56_677:
	s_mov_b64 s[52:53], -1
	s_mov_b64 s[48:49], 0
	s_mov_b64 s[0:1], s[36:37]
	s_branch .LBB56_751
.LBB56_678:
	s_mov_b64 s[52:53], -1
	s_mov_b64 s[48:49], 0
	s_mov_b64 s[0:1], s[36:37]
	s_branch .LBB56_709
.LBB56_679:
	s_mov_b64 s[52:53], -1
	s_mov_b64 s[48:49], 0
	s_mov_b64 s[0:1], s[36:37]
	s_branch .LBB56_692
.LBB56_680:
	s_mov_b64 s[52:53], -1
	s_mov_b64 s[48:49], 0
	s_mov_b64 s[0:1], s[36:37]
	s_branch .LBB56_688
.LBB56_681:
	s_mov_b64 s[52:53], -1
	s_mov_b64 s[48:49], 0
	s_mov_b64 s[0:1], s[36:37]
.LBB56_682:
	s_and_b64 vcc, exec, s[52:53]
	s_cbranch_vccz .LBB56_687
; %bb.683:
	v_mov_b32_e32 v3, 44
	v_cmp_eq_u16_sdwa s[52:53], v6, v3 src0_sel:BYTE_0 src1_sel:DWORD
	s_mov_b64 s[0:1], -1
	s_and_b64 vcc, exec, s[52:53]
	s_cbranch_vccz .LBB56_687
; %bb.684:
	v_and_b32_e32 v4, 0xffff, v2
	v_bfe_u32 v3, v4, 7, 8
	s_movk_i32 s0, 0xff
	v_cmp_ne_u32_e32 vcc, s0, v3
	v_mov_b32_e32 v5, 0xff
	s_and_saveexec_b64 s[48:49], vcc
; %bb.685:
	v_lshlrev_b32_e32 v10, 16, v4
	s_mov_b32 s0, 0x3f0000
	v_lshrrev_b32_e32 v5, 7, v4
	v_and_b32_e32 v4, 64, v4
	v_and_or_b32 v3, v10, s0, v3
	v_cmp_ne_u32_e32 vcc, 0, v4
	v_cmp_ne_u32_e64 s[0:1], 0, v3
	s_and_b64 s[0:1], vcc, s[0:1]
	v_cndmask_b32_e64 v3, 0, 1, s[0:1]
	v_add_u32_e32 v5, v5, v3
; %bb.686:
	s_or_b64 exec, exec, s[48:49]
	s_mov_b64 s[48:49], -1
	s_mov_b64 s[0:1], 0
	global_store_byte v[0:1], v5, off
.LBB56_687:
	s_mov_b64 s[52:53], 0
.LBB56_688:
	s_and_b64 vcc, exec, s[52:53]
	s_cbranch_vccz .LBB56_691
; %bb.689:
	v_mov_b32_e32 v3, 29
	v_cmp_eq_u16_sdwa s[52:53], v6, v3 src0_sel:BYTE_0 src1_sel:DWORD
	s_mov_b64 s[0:1], -1
	s_and_b64 vcc, exec, s[52:53]
	s_cbranch_vccz .LBB56_691
; %bb.690:
	v_lshlrev_b32_e32 v3, 16, v2
	v_trunc_f32_e32 v3, v3
	v_mul_f32_e32 v4, 0x2f800000, v3
	v_floor_f32_e32 v4, v4
	v_fmac_f32_e32 v3, 0xcf800000, v4
	v_cvt_u32_f32_e32 v5, v4
	v_cvt_u32_f32_e32 v4, v3
	s_mov_b64 s[48:49], -1
	s_mov_b64 s[0:1], 0
	s_mov_b64 s[52:53], 0
	global_store_dwordx2 v[0:1], v[4:5], off
	s_branch .LBB56_692
.LBB56_691:
	s_mov_b64 s[52:53], 0
.LBB56_692:
	s_and_b64 vcc, exec, s[52:53]
	s_cbranch_vccz .LBB56_708
; %bb.693:
	v_mov_b32_e32 v3, 27
	v_cmp_lt_i16_sdwa s[52:53], v6, v3 src0_sel:BYTE_0 src1_sel:DWORD
	s_mov_b64 s[48:49], -1
	s_and_b64 vcc, exec, s[52:53]
	s_cbranch_vccnz .LBB56_699
; %bb.694:
	v_cmp_gt_i16_sdwa s[52:53], v6, v3 src0_sel:BYTE_0 src1_sel:DWORD
	s_and_b64 vcc, exec, s[52:53]
	s_cbranch_vccz .LBB56_696
; %bb.695:
	v_lshlrev_b32_e32 v3, 16, v2
	v_cvt_u32_f32_e32 v3, v3
	s_mov_b64 s[48:49], 0
	global_store_dword v[0:1], v3, off
.LBB56_696:
	s_andn2_b64 vcc, exec, s[48:49]
	s_cbranch_vccnz .LBB56_698
; %bb.697:
	v_lshlrev_b32_e32 v3, 16, v2
	v_cvt_u32_f32_e32 v3, v3
	global_store_short v[0:1], v3, off
.LBB56_698:
	s_mov_b64 s[48:49], 0
.LBB56_699:
	s_andn2_b64 vcc, exec, s[48:49]
	s_cbranch_vccnz .LBB56_707
; %bb.700:
	v_lshlrev_b32_e32 v5, 16, v2
	v_and_b32_e32 v4, 0x7fffffff, v5
	s_mov_b32 s48, 0x43800000
	v_cmp_gt_u32_e32 vcc, s48, v4
	v_mov_b32_e32 v10, 0x80
	s_and_saveexec_b64 s[48:49], vcc
	s_cbranch_execz .LBB56_706
; %bb.701:
	s_mov_b32 s52, 0x3bffffff
	v_and_b32_e32 v3, 0xffff, v2
	v_cmp_lt_u32_e32 vcc, s52, v4
	s_mov_b64 s[52:53], 0
                                        ; implicit-def: $vgpr4
	s_and_saveexec_b64 s[54:55], vcc
	s_xor_b64 s[54:55], exec, s[54:55]
	s_cbranch_execz .LBB56_819
; %bb.702:
	v_bfe_u32 v4, v3, 4, 1
	s_mov_b32 s56, 0x487ffff
	v_add3_u32 v4, v5, v4, s56
	s_mov_b64 s[52:53], exec
	v_lshrrev_b32_e32 v4, 20, v4
                                        ; implicit-def: $vgpr5
	s_or_saveexec_b64 s[54:55], s[54:55]
                                        ; implicit-def: $sgpr56
	s_xor_b64 exec, exec, s[54:55]
	s_cbranch_execnz .LBB56_820
.LBB56_703:
	s_or_b64 exec, exec, s[54:55]
	v_mov_b32_e32 v10, s56
	s_and_saveexec_b64 s[54:55], s[52:53]
.LBB56_704:
	v_lshrrev_b32_e32 v3, 8, v3
	s_movk_i32 s52, 0x80
	v_and_or_b32 v10, v3, s52, v4
.LBB56_705:
	s_or_b64 exec, exec, s[54:55]
.LBB56_706:
	s_or_b64 exec, exec, s[48:49]
	global_store_byte v[0:1], v10, off
.LBB56_707:
	s_mov_b64 s[48:49], -1
.LBB56_708:
	s_mov_b64 s[52:53], 0
.LBB56_709:
	s_and_b64 vcc, exec, s[52:53]
	s_cbranch_vccz .LBB56_750
; %bb.710:
	v_mov_b32_e32 v3, 22
	v_cmp_gt_i16_sdwa s[54:55], v6, v3 src0_sel:BYTE_0 src1_sel:DWORD
	s_mov_b64 s[52:53], -1
	s_and_b64 vcc, exec, s[54:55]
	s_cbranch_vccz .LBB56_742
; %bb.711:
	v_mov_b32_e32 v3, 24
	v_cmp_lt_i16_sdwa s[52:53], v6, v3 src0_sel:BYTE_0 src1_sel:DWORD
	s_mov_b64 s[48:49], -1
	s_and_b64 vcc, exec, s[52:53]
	s_cbranch_vccnz .LBB56_731
; %bb.712:
	v_cmp_gt_i16_sdwa s[52:53], v6, v3 src0_sel:BYTE_0 src1_sel:DWORD
	s_and_b64 vcc, exec, s[52:53]
	s_cbranch_vccz .LBB56_720
; %bb.713:
	v_lshlrev_b32_e32 v5, 16, v2
	v_and_b32_e32 v4, 0x7fffffff, v5
	s_mov_b32 s48, 0x47800000
	v_cmp_gt_u32_e32 vcc, s48, v4
	v_mov_b32_e32 v10, 0x80
	s_and_saveexec_b64 s[48:49], vcc
	s_cbranch_execz .LBB56_719
; %bb.714:
	s_mov_b32 s52, 0x37ffffff
	v_and_b32_e32 v3, 0xffff, v2
	v_cmp_lt_u32_e32 vcc, s52, v4
	s_mov_b64 s[52:53], 0
                                        ; implicit-def: $vgpr4
	s_and_saveexec_b64 s[54:55], vcc
	s_xor_b64 s[54:55], exec, s[54:55]
	s_cbranch_execz .LBB56_951
; %bb.715:
	v_bfe_u32 v4, v3, 5, 1
	s_mov_b32 s56, 0x88fffff
	v_add3_u32 v4, v5, v4, s56
	s_mov_b64 s[52:53], exec
	v_lshrrev_b32_e32 v4, 21, v4
                                        ; implicit-def: $vgpr5
	s_or_saveexec_b64 s[54:55], s[54:55]
                                        ; implicit-def: $sgpr56
	s_xor_b64 exec, exec, s[54:55]
	s_cbranch_execnz .LBB56_952
.LBB56_716:
	s_or_b64 exec, exec, s[54:55]
	v_mov_b32_e32 v10, s56
	s_and_saveexec_b64 s[54:55], s[52:53]
.LBB56_717:
	v_lshrrev_b32_e32 v3, 8, v3
	s_movk_i32 s52, 0x80
	v_and_or_b32 v10, v3, s52, v4
.LBB56_718:
	s_or_b64 exec, exec, s[54:55]
.LBB56_719:
	s_or_b64 exec, exec, s[48:49]
	s_mov_b64 s[48:49], 0
	global_store_byte v[0:1], v10, off
.LBB56_720:
	s_and_b64 vcc, exec, s[48:49]
	s_cbranch_vccz .LBB56_730
; %bb.721:
	v_lshlrev_b32_e32 v5, 16, v2
	v_and_b32_e32 v10, 0x7fffffff, v5
	s_mov_b32 s48, 0x43f00000
	v_and_b32_e32 v3, 0xffff, v2
	v_cmp_gt_u32_e32 vcc, s48, v10
                                        ; implicit-def: $vgpr4
	s_and_saveexec_b64 s[48:49], vcc
	s_xor_b64 s[48:49], exec, s[48:49]
	s_cbranch_execz .LBB56_727
; %bb.722:
	s_mov_b32 s52, 0x3c7fffff
	v_cmp_lt_u32_e32 vcc, s52, v10
                                        ; implicit-def: $vgpr4
	s_and_saveexec_b64 s[52:53], vcc
	s_xor_b64 s[52:53], exec, s[52:53]
; %bb.723:
	v_bfe_u32 v4, v3, 4, 1
	s_mov_b32 s54, 0x407ffff
	v_add3_u32 v4, v5, v4, s54
	v_lshrrev_b32_e32 v5, 20, v4
	v_and_b32_e32 v4, 0xff00000, v4
	s_mov_b32 s54, 0x7f00000
	v_mov_b32_e32 v10, 0x7e
	v_cmp_ne_u32_e32 vcc, s54, v4
	v_cndmask_b32_e32 v4, v10, v5, vcc
                                        ; implicit-def: $vgpr5
; %bb.724:
	s_andn2_saveexec_b64 s[52:53], s[52:53]
; %bb.725:
	s_mov_b32 s54, 0x46800000
	v_add_f32_e64 v4, |v5|, s54
; %bb.726:
	s_or_b64 exec, exec, s[52:53]
                                        ; implicit-def: $vgpr10
.LBB56_727:
	s_andn2_saveexec_b64 s[48:49], s[48:49]
; %bb.728:
	s_mov_b32 s52, 0x7f800000
	v_mov_b32_e32 v4, 0x7e
	v_mov_b32_e32 v5, 0x7f
	v_cmp_lt_u32_e32 vcc, s52, v10
	v_cndmask_b32_e32 v4, v4, v5, vcc
; %bb.729:
	s_or_b64 exec, exec, s[48:49]
	v_lshrrev_b32_e32 v3, 8, v3
	s_movk_i32 s48, 0x80
	v_and_or_b32 v3, v3, s48, v4
	global_store_byte v[0:1], v3, off
.LBB56_730:
	s_mov_b64 s[48:49], 0
.LBB56_731:
	s_andn2_b64 vcc, exec, s[48:49]
	s_cbranch_vccnz .LBB56_741
; %bb.732:
	v_lshlrev_b32_e32 v5, 16, v2
	v_and_b32_e32 v10, 0x7fffffff, v5
	s_mov_b32 s48, 0x47800000
	v_and_b32_e32 v3, 0xffff, v2
	v_cmp_gt_u32_e32 vcc, s48, v10
                                        ; implicit-def: $vgpr4
	s_and_saveexec_b64 s[48:49], vcc
	s_xor_b64 s[48:49], exec, s[48:49]
	s_cbranch_execz .LBB56_738
; %bb.733:
	s_mov_b32 s52, 0x387fffff
	v_cmp_lt_u32_e32 vcc, s52, v10
                                        ; implicit-def: $vgpr4
	s_and_saveexec_b64 s[52:53], vcc
	s_xor_b64 s[52:53], exec, s[52:53]
; %bb.734:
	v_bfe_u32 v4, v3, 5, 1
	s_mov_b32 s54, 0x80fffff
	v_add3_u32 v4, v5, v4, s54
	v_lshrrev_b32_e32 v4, 21, v4
                                        ; implicit-def: $vgpr5
; %bb.735:
	s_andn2_saveexec_b64 s[52:53], s[52:53]
; %bb.736:
	s_mov_b32 s54, 0x43000000
	v_add_f32_e64 v4, |v5|, s54
; %bb.737:
	s_or_b64 exec, exec, s[52:53]
                                        ; implicit-def: $vgpr10
.LBB56_738:
	s_andn2_saveexec_b64 s[48:49], s[48:49]
; %bb.739:
	s_mov_b32 s52, 0x7f800000
	v_mov_b32_e32 v4, 0x7c
	v_mov_b32_e32 v5, 0x7f
	v_cmp_lt_u32_e32 vcc, s52, v10
	v_cndmask_b32_e32 v4, v4, v5, vcc
; %bb.740:
	s_or_b64 exec, exec, s[48:49]
	v_lshrrev_b32_e32 v3, 8, v3
	s_movk_i32 s48, 0x80
	v_and_or_b32 v3, v3, s48, v4
	global_store_byte v[0:1], v3, off
.LBB56_741:
	s_mov_b64 s[52:53], 0
	s_mov_b64 s[48:49], -1
.LBB56_742:
	s_andn2_b64 vcc, exec, s[52:53]
	s_cbranch_vccnz .LBB56_750
; %bb.743:
	v_mov_b32_e32 v3, 14
	v_cmp_gt_i16_sdwa s[54:55], v6, v3 src0_sel:BYTE_0 src1_sel:DWORD
	s_mov_b64 s[52:53], -1
	s_and_b64 vcc, exec, s[54:55]
	s_cbranch_vccz .LBB56_747
; %bb.744:
	v_mov_b32_e32 v3, 15
	v_cmp_eq_u16_sdwa s[52:53], v6, v3 src0_sel:BYTE_0 src1_sel:DWORD
	s_mov_b64 s[0:1], -1
	s_and_b64 vcc, exec, s[52:53]
	s_cbranch_vccz .LBB56_746
; %bb.745:
	global_store_short v[0:1], v2, off
	s_mov_b64 s[48:49], -1
	s_mov_b64 s[0:1], 0
.LBB56_746:
	s_mov_b64 s[52:53], 0
.LBB56_747:
	s_and_b64 vcc, exec, s[52:53]
	s_cbranch_vccz .LBB56_750
; %bb.748:
	v_mov_b32_e32 v3, 11
	v_cmp_eq_u16_sdwa s[52:53], v6, v3 src0_sel:BYTE_0 src1_sel:DWORD
	s_mov_b64 s[0:1], -1
	s_and_b64 vcc, exec, s[52:53]
	s_cbranch_vccz .LBB56_750
; %bb.749:
	v_and_b32_e32 v3, 0x7fff, v2
	v_cmp_ne_u16_e32 vcc, 0, v3
	v_cndmask_b32_e64 v3, 0, 1, vcc
	s_mov_b64 s[48:49], -1
	s_mov_b64 s[0:1], 0
	global_store_byte v[0:1], v3, off
.LBB56_750:
	s_mov_b64 s[52:53], 0
.LBB56_751:
	s_and_b64 vcc, exec, s[52:53]
	s_cbranch_vccz .LBB56_790
; %bb.752:
	v_mov_b32_e32 v3, 5
	v_cmp_lt_i16_sdwa s[52:53], v6, v3 src0_sel:BYTE_0 src1_sel:DWORD
	s_mov_b64 s[48:49], -1
	s_and_b64 vcc, exec, s[52:53]
	s_cbranch_vccnz .LBB56_773
; %bb.753:
	v_mov_b32_e32 v3, 8
	v_cmp_lt_i16_sdwa s[52:53], v6, v3 src0_sel:BYTE_0 src1_sel:DWORD
	s_and_b64 vcc, exec, s[52:53]
	s_cbranch_vccnz .LBB56_763
; %bb.754:
	v_mov_b32_e32 v3, 9
	v_cmp_lt_i16_sdwa s[52:53], v6, v3 src0_sel:BYTE_0 src1_sel:DWORD
	s_and_b64 vcc, exec, s[52:53]
	s_cbranch_vccnz .LBB56_760
; %bb.755:
	v_cmp_gt_i16_sdwa s[52:53], v6, v3 src0_sel:BYTE_0 src1_sel:DWORD
	s_and_b64 vcc, exec, s[52:53]
	s_cbranch_vccz .LBB56_757
; %bb.756:
	v_lshlrev_b32_e32 v3, 16, v2
	v_mov_b32_e32 v12, 0
	v_cvt_f64_f32_e32 v[10:11], v3
	v_mov_b32_e32 v13, v12
	s_mov_b64 s[48:49], 0
	global_store_dwordx4 v[0:1], v[10:13], off
.LBB56_757:
	s_andn2_b64 vcc, exec, s[48:49]
	s_cbranch_vccnz .LBB56_759
; %bb.758:
	v_lshlrev_b32_e32 v4, 16, v2
	v_mov_b32_e32 v5, 0
	global_store_dwordx2 v[0:1], v[4:5], off
.LBB56_759:
	s_mov_b64 s[48:49], 0
.LBB56_760:
	s_andn2_b64 vcc, exec, s[48:49]
	s_cbranch_vccnz .LBB56_762
; %bb.761:
	v_lshlrev_b32_e32 v3, 16, v2
	v_cvt_f16_f32_e32 v3, v3
	global_store_dword v[0:1], v3, off
.LBB56_762:
	s_mov_b64 s[48:49], 0
.LBB56_763:
	s_andn2_b64 vcc, exec, s[48:49]
	s_cbranch_vccnz .LBB56_772
; %bb.764:
	v_mov_b32_e32 v3, 6
	v_cmp_lt_i16_sdwa s[52:53], v6, v3 src0_sel:BYTE_0 src1_sel:DWORD
	s_mov_b64 s[48:49], -1
	s_and_b64 vcc, exec, s[52:53]
	s_cbranch_vccnz .LBB56_770
; %bb.765:
	v_cmp_gt_i16_sdwa s[52:53], v6, v3 src0_sel:BYTE_0 src1_sel:DWORD
	s_and_b64 vcc, exec, s[52:53]
	s_cbranch_vccz .LBB56_767
; %bb.766:
	v_lshlrev_b32_e32 v3, 16, v2
	v_cvt_f64_f32_e32 v[4:5], v3
	s_mov_b64 s[48:49], 0
	global_store_dwordx2 v[0:1], v[4:5], off
.LBB56_767:
	s_andn2_b64 vcc, exec, s[48:49]
	s_cbranch_vccnz .LBB56_769
; %bb.768:
	v_lshlrev_b32_e32 v3, 16, v2
	global_store_dword v[0:1], v3, off
.LBB56_769:
	s_mov_b64 s[48:49], 0
.LBB56_770:
	s_andn2_b64 vcc, exec, s[48:49]
	s_cbranch_vccnz .LBB56_772
; %bb.771:
	v_lshlrev_b32_e32 v3, 16, v2
	v_cvt_f16_f32_e32 v3, v3
	global_store_short v[0:1], v3, off
.LBB56_772:
	s_mov_b64 s[48:49], 0
.LBB56_773:
	s_andn2_b64 vcc, exec, s[48:49]
	s_cbranch_vccnz .LBB56_789
; %bb.774:
	v_mov_b32_e32 v3, 2
	v_cmp_lt_i16_sdwa s[52:53], v6, v3 src0_sel:BYTE_0 src1_sel:DWORD
	s_mov_b64 s[48:49], -1
	s_and_b64 vcc, exec, s[52:53]
	s_cbranch_vccnz .LBB56_784
; %bb.775:
	v_mov_b32_e32 v3, 3
	v_cmp_lt_i16_sdwa s[52:53], v6, v3 src0_sel:BYTE_0 src1_sel:DWORD
	s_and_b64 vcc, exec, s[52:53]
	s_cbranch_vccnz .LBB56_781
; %bb.776:
	v_cmp_gt_i16_sdwa s[52:53], v6, v3 src0_sel:BYTE_0 src1_sel:DWORD
	s_and_b64 vcc, exec, s[52:53]
	s_cbranch_vccz .LBB56_778
; %bb.777:
	v_lshlrev_b32_e32 v3, 16, v2
	v_trunc_f32_e32 v3, v3
	s_mov_b32 s48, 0x2f800000
	v_mul_f32_e64 v4, |v3|, s48
	v_floor_f32_e32 v4, v4
	s_mov_b32 s48, 0xcf800000
	v_cvt_u32_f32_e32 v5, v4
	v_fma_f32 v4, v4, s48, |v3|
	v_cvt_u32_f32_e32 v4, v4
	v_ashrrev_i32_e32 v3, 31, v3
	v_xor_b32_e32 v5, v5, v3
	s_mov_b64 s[48:49], 0
	v_xor_b32_e32 v4, v4, v3
	v_sub_co_u32_e32 v4, vcc, v4, v3
	v_subb_co_u32_e32 v5, vcc, v5, v3, vcc
	global_store_dwordx2 v[0:1], v[4:5], off
.LBB56_778:
	s_andn2_b64 vcc, exec, s[48:49]
	s_cbranch_vccnz .LBB56_780
; %bb.779:
	v_lshlrev_b32_e32 v3, 16, v2
	v_cvt_i32_f32_e32 v3, v3
	global_store_dword v[0:1], v3, off
.LBB56_780:
	s_mov_b64 s[48:49], 0
.LBB56_781:
	s_andn2_b64 vcc, exec, s[48:49]
	s_cbranch_vccnz .LBB56_783
; %bb.782:
	v_lshlrev_b32_e32 v3, 16, v2
	v_cvt_i32_f32_e32 v3, v3
	global_store_short v[0:1], v3, off
.LBB56_783:
	s_mov_b64 s[48:49], 0
.LBB56_784:
	s_andn2_b64 vcc, exec, s[48:49]
	s_cbranch_vccnz .LBB56_789
; %bb.785:
	v_mov_b32_e32 v3, 0
	v_cmp_gt_i16_sdwa s[52:53], v6, v3 src0_sel:BYTE_0 src1_sel:DWORD
	s_mov_b64 s[48:49], -1
	s_and_b64 vcc, exec, s[52:53]
	v_lshlrev_b32_e32 v2, 16, v2
	s_cbranch_vccz .LBB56_787
; %bb.786:
	v_cvt_i32_f32_e32 v3, v2
	s_mov_b64 s[48:49], 0
	global_store_byte v[0:1], v3, off
.LBB56_787:
	s_andn2_b64 vcc, exec, s[48:49]
	s_cbranch_vccnz .LBB56_789
; %bb.788:
	v_trunc_f32_e32 v2, v2
	s_mov_b32 s48, 0x2f800000
	v_mul_f32_e64 v3, |v2|, s48
	v_floor_f32_e32 v3, v3
	s_mov_b32 s48, 0xcf800000
	v_fma_f32 v3, v3, s48, |v2|
	v_cvt_u32_f32_e32 v3, v3
	v_ashrrev_i32_e32 v2, 31, v2
	v_xor_b32_e32 v3, v3, v2
	v_sub_u32_e32 v2, v3, v2
	global_store_byte v[0:1], v2, off
.LBB56_789:
	s_mov_b64 s[48:49], -1
.LBB56_790:
	s_andn2_b64 vcc, exec, s[48:49]
	s_cbranch_vccnz .LBB56_814
; %bb.791:
	v_add_u32_e32 v8, 0x80, v8
	s_mov_b64 s[52:53], -1
.LBB56_792:
	s_andn2_b64 s[48:49], s[36:37], exec
	s_and_b64 s[0:1], s[0:1], exec
	s_or_b64 s[48:49], s[48:49], s[0:1]
	s_andn2_b64 s[0:1], s[38:39], exec
	s_and_b64 s[46:47], s[46:47], exec
	s_or_b64 s[46:47], s[0:1], s[46:47]
	;; [unrolled: 3-line block ×3, first 2 shown]
	s_orn2_b64 s[0:1], s[52:53], exec
.LBB56_793:
	s_or_b64 exec, exec, s[50:51]
	s_mov_b64 s[52:53], 0
	s_mov_b64 s[54:55], 0
	s_mov_b64 s[56:57], 0
                                        ; implicit-def: $vgpr3
                                        ; implicit-def: $vgpr4_vgpr5
                                        ; implicit-def: $vgpr2
                                        ; implicit-def: $vgpr0
                                        ; implicit-def: $vgpr1
	s_and_saveexec_b64 s[50:51], s[0:1]
	s_cbranch_execz .LBB56_1288
; %bb.794:
	v_cmp_gt_i32_e32 vcc, s66, v8
	s_mov_b64 s[64:65], -1
	s_mov_b64 s[0:1], s[44:45]
	s_mov_b64 s[56:57], s[46:47]
	s_mov_b64 s[58:59], s[48:49]
	s_and_saveexec_b64 s[52:53], vcc
	s_cbranch_execz .LBB56_1193
; %bb.795:
	s_andn2_b64 vcc, exec, s[20:21]
	s_cbranch_vccnz .LBB56_802
; %bb.796:
	s_andn2_b64 vcc, exec, s[34:35]
	v_mov_b32_e32 v2, 0
	s_waitcnt vmcnt(0)
	v_mov_b32_e32 v4, 0
	v_mov_b32_e32 v0, 0
	s_cbranch_vccnz .LBB56_801
; %bb.797:
	s_add_i32 s0, s69, 1
	s_and_b32 s54, s0, 30
	s_add_u32 s0, s2, 0xffffffec
	s_addc_u32 s1, s3, -1
	v_mov_b32_e32 v0, 0
	v_mov_b32_e32 v1, v8
	;; [unrolled: 1-line block ×4, first 2 shown]
.LBB56_798:                             ; =>This Inner Loop Header: Depth=1
	s_mov_b64 s[64:65], s[0:1]
	s_load_dwordx4 s[56:59], s[64:65], 0x18
	s_load_dwordx2 s[70:71], s[64:65], 0x28
	s_load_dwordx2 s[72:73], s[64:65], 0xe8
	s_load_dwordx4 s[60:63], s[64:65], 0xd8
	s_add_u32 s0, s64, 24
	s_waitcnt lgkmcnt(0)
	v_mul_hi_u32 v3, s57, v1
	v_add_u32_e32 v3, v1, v3
	v_lshrrev_b32_e32 v3, s58, v3
	v_mul_lo_u32 v5, v3, s56
	v_mul_hi_u32 v10, s70, v3
	v_sub_u32_e32 v1, v1, v5
	v_add_u32_e32 v5, v3, v10
	v_mul_lo_u32 v10, v1, s60
	v_mul_lo_u32 v11, v1, s61
	v_mul_lo_u32 v12, v1, s62
	v_lshrrev_b32_e32 v1, s71, v5
	v_mul_lo_u32 v5, v1, s59
	v_sub_u32_e32 v3, v3, v5
	s_addc_u32 s1, s65, 0
	s_add_i32 s54, s54, -2
	v_mul_lo_u32 v5, v3, s63
	v_mul_lo_u32 v13, v3, s72
	;; [unrolled: 1-line block ×3, first 2 shown]
	s_cmp_eq_u32 s54, 0
	v_add3_u32 v0, v10, v0, v5
	v_add3_u32 v2, v12, v2, v3
	;; [unrolled: 1-line block ×3, first 2 shown]
	s_cbranch_scc0 .LBB56_798
; %bb.799:
	s_bitcmp1_b32 s69, 0
	s_cselect_b64 s[54:55], -1, 0
	s_and_b64 vcc, exec, s[54:55]
	s_cbranch_vccnz .LBB56_801
; %bb.800:
	s_load_dwordx2 s[54:55], s[0:1], 0x18
	s_load_dword s56, s[0:1], 0x20
	s_load_dword s57, s[0:1], 0xe0
	s_nop 0
	s_load_dwordx2 s[0:1], s[0:1], 0xd8
	s_waitcnt lgkmcnt(0)
	v_mul_hi_u32 v3, s55, v1
	v_add_u32_e32 v3, v1, v3
	v_lshrrev_b32_e32 v3, s56, v3
	v_mul_lo_u32 v3, v3, s54
	v_sub_u32_e32 v3, v1, v3
	v_mad_u64_u32 v[0:1], s[54:55], v3, s0, v[0:1]
	v_mad_u64_u32 v[4:5], s[0:1], v3, s1, v[4:5]
	;; [unrolled: 1-line block ×3, first 2 shown]
.LBB56_801:
	s_mov_b64 s[0:1], 0
	s_branch .LBB56_803
.LBB56_802:
	s_mov_b64 s[0:1], -1
                                        ; implicit-def: $vgpr2
                                        ; implicit-def: $vgpr4
                                        ; implicit-def: $vgpr0
.LBB56_803:
	s_andn2_b64 vcc, exec, s[0:1]
	s_cbranch_vccnz .LBB56_806
; %bb.804:
	s_waitcnt lgkmcnt(0)
	v_mul_hi_u32 v0, s17, v8
	v_add_u32_e32 v0, v8, v0
	s_waitcnt vmcnt(0)
	v_lshrrev_b32_e32 v1, s18, v0
	v_mul_lo_u32 v0, v1, s16
	v_sub_u32_e32 v3, v8, v0
	v_mul_lo_u32 v0, v3, s12
	v_mul_lo_u32 v2, v3, s14
	s_andn2_b64 vcc, exec, s[30:31]
	v_mul_lo_u32 v4, v3, s13
	s_cbranch_vccnz .LBB56_806
; %bb.805:
	v_mul_hi_u32 v3, s28, v1
	v_add_u32_e32 v3, v1, v3
	v_lshrrev_b32_e32 v3, s29, v3
	v_mul_lo_u32 v3, v3, s19
	v_sub_u32_e32 v3, v1, v3
	v_mad_u64_u32 v[0:1], s[0:1], v3, s15, v[0:1]
	v_mad_u64_u32 v[4:5], s[0:1], v3, s26, v[4:5]
	;; [unrolled: 1-line block ×3, first 2 shown]
.LBB56_806:
	s_waitcnt vmcnt(0) lgkmcnt(0)
	v_mov_b32_e32 v1, s11
	v_add_co_u32_e32 v4, vcc, s10, v4
	v_addc_co_u32_e32 v5, vcc, 0, v1, vcc
	v_mov_b32_e32 v1, 11
	v_cmp_lt_i16_sdwa s[0:1], v9, v1 src0_sel:BYTE_0 src1_sel:DWORD
	s_and_b64 vcc, exec, s[0:1]
	s_cbranch_vccnz .LBB56_813
; %bb.807:
	v_mov_b32_e32 v1, 25
	v_cmp_gt_i16_sdwa s[0:1], v9, v1 src0_sel:BYTE_0 src1_sel:DWORD
	s_and_b64 vcc, exec, s[0:1]
	s_cbranch_vccz .LBB56_815
; %bb.808:
	v_mov_b32_e32 v1, 28
	v_cmp_gt_i16_sdwa s[0:1], v9, v1 src0_sel:BYTE_0 src1_sel:DWORD
	s_and_b64 vcc, exec, s[0:1]
	s_cbranch_vccz .LBB56_816
	;; [unrolled: 5-line block ×4, first 2 shown]
; %bb.811:
	v_mov_b32_e32 v1, 46
	v_cmp_eq_u16_sdwa s[0:1], v9, v1 src0_sel:BYTE_0 src1_sel:DWORD
	s_mov_b64 s[56:57], 0
	s_and_b64 vcc, exec, s[0:1]
	s_cbranch_vccz .LBB56_821
; %bb.812:
	global_load_dword v1, v[4:5], off
	s_mov_b64 s[0:1], -1
	s_mov_b64 s[54:55], 0
	s_branch .LBB56_822
.LBB56_813:
	s_mov_b64 s[56:57], -1
	s_mov_b64 s[0:1], 0
                                        ; implicit-def: $vgpr1
	s_mov_b64 s[54:55], s[44:45]
	s_branch .LBB56_887
.LBB56_814:
	s_mov_b64 s[52:53], 0
	s_branch .LBB56_550
.LBB56_815:
	s_mov_b64 s[56:57], -1
	s_mov_b64 s[0:1], 0
	s_mov_b64 s[54:55], s[44:45]
                                        ; implicit-def: $vgpr1
	s_branch .LBB56_851
.LBB56_816:
	s_mov_b64 s[56:57], -1
	s_mov_b64 s[0:1], 0
	s_mov_b64 s[54:55], s[44:45]
                                        ; implicit-def: $vgpr1
	s_branch .LBB56_832
.LBB56_817:
	s_mov_b64 s[56:57], -1
	s_mov_b64 s[0:1], 0
	s_mov_b64 s[54:55], s[44:45]
                                        ; implicit-def: $vgpr1
	s_branch .LBB56_827
.LBB56_818:
	s_mov_b64 s[56:57], -1
	s_mov_b64 s[0:1], 0
	s_mov_b64 s[54:55], s[44:45]
                                        ; implicit-def: $vgpr1
	s_branch .LBB56_822
.LBB56_819:
	s_or_saveexec_b64 s[54:55], s[54:55]
                                        ; implicit-def: $sgpr56
	s_xor_b64 exec, exec, s[54:55]
	s_cbranch_execz .LBB56_703
.LBB56_820:
	s_mov_b32 s56, 0x46000000
	v_add_f32_e64 v4, |v5|, s56
	v_and_b32_e32 v4, 0xff, v4
	v_cmp_ne_u32_e32 vcc, 0, v4
	s_andn2_b64 s[52:53], s[52:53], exec
	s_and_b64 s[58:59], vcc, exec
	s_mov_b32 s56, 0
	s_or_b64 s[52:53], s[52:53], s[58:59]
	s_or_b64 exec, exec, s[54:55]
	v_mov_b32_e32 v10, s56
	s_and_saveexec_b64 s[54:55], s[52:53]
	s_cbranch_execnz .LBB56_704
	s_branch .LBB56_705
.LBB56_821:
	s_mov_b64 s[54:55], -1
                                        ; implicit-def: $vgpr1
	s_mov_b64 s[0:1], 0
.LBB56_822:
	s_and_b64 vcc, exec, s[56:57]
	s_cbranch_vccz .LBB56_826
; %bb.823:
	s_waitcnt vmcnt(0)
	v_mov_b32_e32 v1, 44
	v_cmp_eq_u16_sdwa s[54:55], v9, v1 src0_sel:BYTE_0 src1_sel:DWORD
	s_and_b64 vcc, exec, s[54:55]
	s_cbranch_vccz .LBB56_825
; %bb.824:
	global_load_ubyte v1, v[4:5], off
	s_movk_i32 s54, 0xff
	v_mov_b32_e32 v3, 0x7f800001
	v_mov_b32_e32 v10, 0x400000
	;; [unrolled: 1-line block ×3, first 2 shown]
	s_mov_b64 s[0:1], -1
	s_waitcnt vmcnt(0)
	v_lshlrev_b32_e32 v12, 23, v1
	v_cmp_ne_u32_e32 vcc, s54, v1
	v_cndmask_b32_e32 v3, v3, v12, vcc
	v_cmp_ne_u32_e32 vcc, 0, v1
	v_cndmask_b32_e32 v1, v10, v3, vcc
	v_add_u32_e32 v3, 0x7fff, v1
	v_lshrrev_b32_e32 v3, 16, v3
	v_cmp_o_f32_e32 vcc, v1, v1
	v_cndmask_b32_e32 v1, v11, v3, vcc
	s_mov_b64 s[54:55], 0
	s_branch .LBB56_826
.LBB56_825:
	s_mov_b64 s[54:55], -1
                                        ; implicit-def: $vgpr1
.LBB56_826:
	s_mov_b64 s[56:57], 0
.LBB56_827:
	s_and_b64 vcc, exec, s[56:57]
	s_cbranch_vccz .LBB56_831
; %bb.828:
	s_waitcnt vmcnt(0)
	v_mov_b32_e32 v1, 29
	v_cmp_eq_u16_sdwa s[54:55], v9, v1 src0_sel:BYTE_0 src1_sel:DWORD
	s_and_b64 vcc, exec, s[54:55]
	s_cbranch_vccz .LBB56_830
; %bb.829:
	global_load_dwordx2 v[10:11], v[4:5], off
	s_movk_i32 s54, 0x7fff
	s_mov_b64 s[0:1], -1
	s_mov_b64 s[56:57], 0
	s_waitcnt vmcnt(0)
	v_ffbh_u32_e32 v1, v11
	v_min_u32_e32 v1, 32, v1
	v_lshlrev_b64 v[10:11], v1, v[10:11]
	v_min_u32_e32 v3, 1, v10
	v_or_b32_e32 v3, v11, v3
	v_cvt_f32_u32_e32 v3, v3
	v_sub_u32_e32 v1, 32, v1
	v_ldexp_f32 v1, v3, v1
	v_bfe_u32 v3, v1, 16, 1
	v_add3_u32 v1, v1, v3, s54
	v_lshrrev_b32_e32 v1, 16, v1
	s_mov_b64 s[54:55], 0
	s_branch .LBB56_832
.LBB56_830:
	s_mov_b64 s[54:55], -1
                                        ; implicit-def: $vgpr1
.LBB56_831:
	s_mov_b64 s[56:57], 0
.LBB56_832:
	s_and_b64 vcc, exec, s[56:57]
	s_cbranch_vccz .LBB56_850
; %bb.833:
	s_waitcnt vmcnt(0)
	v_mov_b32_e32 v1, 27
	v_cmp_lt_i16_sdwa s[0:1], v9, v1 src0_sel:BYTE_0 src1_sel:DWORD
	s_and_b64 vcc, exec, s[0:1]
	s_cbranch_vccnz .LBB56_836
; %bb.834:
	v_cmp_gt_i16_sdwa s[0:1], v9, v1 src0_sel:BYTE_0 src1_sel:DWORD
	s_and_b64 vcc, exec, s[0:1]
	s_cbranch_vccz .LBB56_837
; %bb.835:
	global_load_dword v1, v[4:5], off
	s_movk_i32 s0, 0x7fff
	s_waitcnt vmcnt(0)
	v_cvt_f32_u32_e32 v1, v1
	v_bfe_u32 v3, v1, 16, 1
	v_add3_u32 v1, v1, v3, s0
	v_lshrrev_b32_e32 v1, 16, v1
	s_mov_b64 s[0:1], 0
	s_branch .LBB56_838
.LBB56_836:
	s_mov_b64 s[0:1], -1
                                        ; implicit-def: $vgpr1
	s_branch .LBB56_841
.LBB56_837:
	s_mov_b64 s[0:1], -1
                                        ; implicit-def: $vgpr1
.LBB56_838:
	s_andn2_b64 vcc, exec, s[0:1]
	s_cbranch_vccnz .LBB56_840
; %bb.839:
	global_load_ushort v1, v[4:5], off
	s_movk_i32 s0, 0x7fff
	s_waitcnt vmcnt(0)
	v_cvt_f32_u32_e32 v1, v1
	v_bfe_u32 v3, v1, 16, 1
	v_add3_u32 v1, v1, v3, s0
	v_lshrrev_b32_e32 v1, 16, v1
.LBB56_840:
	s_mov_b64 s[0:1], 0
.LBB56_841:
	s_andn2_b64 vcc, exec, s[0:1]
	s_cbranch_vccnz .LBB56_849
; %bb.842:
	global_load_ubyte v1, v[4:5], off
	s_movk_i32 s0, 0x7f
                                        ; implicit-def: $sgpr60
	s_waitcnt vmcnt(0)
	v_cmp_lt_i16_e32 vcc, s0, v1
	s_mov_b64 s[0:1], 0
	s_and_saveexec_b64 s[56:57], vcc
	s_xor_b64 s[56:57], exec, s[56:57]
	s_cbranch_execz .LBB56_863
; %bb.843:
	s_movk_i32 s0, 0x80
	v_cmp_eq_u16_e32 vcc, s0, v1
	s_mov_b64 s[0:1], -1
                                        ; implicit-def: $sgpr60
	s_and_saveexec_b64 s[58:59], vcc
; %bb.844:
	s_mov_b32 s60, 0x7f800001
	s_xor_b64 s[0:1], exec, -1
; %bb.845:
	s_or_b64 exec, exec, s[58:59]
	s_and_b64 s[0:1], s[0:1], exec
	s_or_saveexec_b64 s[56:57], s[56:57]
	v_mov_b32_e32 v3, s60
	s_xor_b64 exec, exec, s[56:57]
	s_cbranch_execnz .LBB56_864
.LBB56_846:
	s_or_b64 exec, exec, s[56:57]
	s_and_saveexec_b64 s[56:57], s[0:1]
	s_cbranch_execz .LBB56_848
.LBB56_847:
	v_lshlrev_b32_e32 v3, 24, v1
	v_and_b32_e32 v1, 0xffff, v1
	v_and_b32_e32 v10, 7, v1
	v_ffbh_u32_e32 v12, v10
	v_min_u32_e32 v12, 32, v12
	v_subrev_u32_e32 v13, 28, v12
	v_bfe_u32 v11, v1, 3, 4
	v_lshlrev_b32_e32 v1, v13, v1
	v_sub_u32_e32 v12, 29, v12
	v_and_b32_e32 v1, 7, v1
	v_cmp_eq_u32_e32 vcc, 0, v11
	v_cndmask_b32_e32 v11, v11, v12, vcc
	v_cndmask_b32_e32 v1, v10, v1, vcc
	v_mov_b32_e32 v10, 0x3b800000
	v_lshlrev_b32_e32 v1, 20, v1
	v_and_b32_e32 v3, 0x80000000, v3
	v_lshl_add_u32 v10, v11, 23, v10
	v_or3_b32 v3, v3, v10, v1
.LBB56_848:
	s_or_b64 exec, exec, s[56:57]
	v_bfe_u32 v1, v3, 16, 1
	s_movk_i32 s0, 0x7fff
	v_add3_u32 v1, v3, v1, s0
	v_lshrrev_b32_e32 v1, 16, v1
	v_mov_b32_e32 v10, 0x7fc0
	v_cmp_o_f32_e32 vcc, v3, v3
	v_cndmask_b32_e32 v1, v10, v1, vcc
.LBB56_849:
	s_mov_b64 s[0:1], -1
.LBB56_850:
	s_mov_b64 s[56:57], 0
.LBB56_851:
	s_and_b64 vcc, exec, s[56:57]
	s_cbranch_vccz .LBB56_886
; %bb.852:
	s_waitcnt vmcnt(0)
	v_mov_b32_e32 v1, 22
	v_cmp_gt_i16_sdwa s[56:57], v9, v1 src0_sel:BYTE_0 src1_sel:DWORD
	s_and_b64 vcc, exec, s[56:57]
	s_cbranch_vccz .LBB56_862
; %bb.853:
	v_mov_b32_e32 v1, 24
	v_cmp_lt_i16_sdwa s[0:1], v9, v1 src0_sel:BYTE_0 src1_sel:DWORD
	s_and_b64 vcc, exec, s[0:1]
	s_cbranch_vccnz .LBB56_865
; %bb.854:
	v_cmp_gt_i16_sdwa s[0:1], v9, v1 src0_sel:BYTE_0 src1_sel:DWORD
	s_and_b64 vcc, exec, s[0:1]
	s_cbranch_vccz .LBB56_866
; %bb.855:
	global_load_ubyte v1, v[4:5], off
	s_movk_i32 s0, 0x7f
                                        ; implicit-def: $sgpr60
	s_waitcnt vmcnt(0)
	v_cmp_lt_i16_e32 vcc, s0, v1
	s_mov_b64 s[0:1], 0
	s_and_saveexec_b64 s[56:57], vcc
	s_xor_b64 s[56:57], exec, s[56:57]
	s_cbranch_execz .LBB56_878
; %bb.856:
	s_movk_i32 s0, 0x80
	v_cmp_eq_u16_e32 vcc, s0, v1
	s_mov_b64 s[0:1], -1
                                        ; implicit-def: $sgpr60
	s_and_saveexec_b64 s[58:59], vcc
; %bb.857:
	s_mov_b32 s60, 0x7f800001
	s_xor_b64 s[0:1], exec, -1
; %bb.858:
	s_or_b64 exec, exec, s[58:59]
	s_and_b64 s[0:1], s[0:1], exec
	s_or_saveexec_b64 s[56:57], s[56:57]
	v_mov_b32_e32 v3, s60
	s_xor_b64 exec, exec, s[56:57]
	s_cbranch_execnz .LBB56_879
.LBB56_859:
	s_or_b64 exec, exec, s[56:57]
	s_and_saveexec_b64 s[56:57], s[0:1]
	s_cbranch_execz .LBB56_861
.LBB56_860:
	v_lshlrev_b32_e32 v3, 24, v1
	v_and_b32_e32 v1, 0xffff, v1
	v_and_b32_e32 v10, 3, v1
	v_ffbh_u32_e32 v12, v10
	v_min_u32_e32 v12, 32, v12
	v_subrev_u32_e32 v13, 29, v12
	v_bfe_u32 v11, v1, 2, 5
	v_lshlrev_b32_e32 v1, v13, v1
	v_sub_u32_e32 v12, 30, v12
	v_and_b32_e32 v1, 3, v1
	v_cmp_eq_u32_e32 vcc, 0, v11
	v_cndmask_b32_e32 v11, v11, v12, vcc
	v_cndmask_b32_e32 v1, v10, v1, vcc
	v_mov_b32_e32 v10, 0x37800000
	v_lshlrev_b32_e32 v1, 21, v1
	v_and_b32_e32 v3, 0x80000000, v3
	v_lshl_add_u32 v10, v11, 23, v10
	v_or3_b32 v3, v3, v10, v1
.LBB56_861:
	s_or_b64 exec, exec, s[56:57]
	v_bfe_u32 v1, v3, 16, 1
	s_movk_i32 s0, 0x7fff
	v_add3_u32 v1, v3, v1, s0
	v_lshrrev_b32_e32 v1, 16, v1
	v_mov_b32_e32 v10, 0x7fc0
	v_cmp_o_f32_e32 vcc, v3, v3
	v_cndmask_b32_e32 v1, v10, v1, vcc
	s_mov_b64 s[0:1], 0
	s_branch .LBB56_867
.LBB56_862:
	s_mov_b64 s[56:57], -1
                                        ; implicit-def: $vgpr1
	s_branch .LBB56_873
.LBB56_863:
	s_or_saveexec_b64 s[56:57], s[56:57]
	v_mov_b32_e32 v3, s60
	s_xor_b64 exec, exec, s[56:57]
	s_cbranch_execz .LBB56_846
.LBB56_864:
	v_cmp_ne_u16_e32 vcc, 0, v1
	s_andn2_b64 s[0:1], s[0:1], exec
	s_and_b64 s[58:59], vcc, exec
	v_mov_b32_e32 v3, 0
	s_or_b64 s[0:1], s[0:1], s[58:59]
	s_or_b64 exec, exec, s[56:57]
	s_and_saveexec_b64 s[56:57], s[0:1]
	s_cbranch_execnz .LBB56_847
	s_branch .LBB56_848
.LBB56_865:
	s_mov_b64 s[0:1], -1
                                        ; implicit-def: $vgpr1
	s_branch .LBB56_870
.LBB56_866:
	s_mov_b64 s[0:1], -1
                                        ; implicit-def: $vgpr1
.LBB56_867:
	s_and_b64 vcc, exec, s[0:1]
	s_cbranch_vccz .LBB56_869
; %bb.868:
	global_load_ubyte v1, v[4:5], off
	s_mov_b32 s0, 0x7f800000
	s_brev_b32 s1, 1
	s_movk_i32 s56, 0x7fff
	v_mov_b32_e32 v3, 0x7fc0
	s_waitcnt vmcnt(0)
	v_lshlrev_b32_e32 v1, 24, v1
	v_and_b32_e32 v10, 0x7f000000, v1
	v_ffbh_u32_e32 v11, v10
	v_min_u32_e32 v11, 32, v11
	v_sub_u32_e64 v11, v11, 4 clamp
	v_lshlrev_b32_e32 v13, v11, v10
	v_lshlrev_b32_e32 v11, 23, v11
	v_lshrrev_b32_e32 v13, 4, v13
	v_add_u32_e32 v12, 0x1000000, v10
	v_sub_u32_e32 v11, v13, v11
	v_ashrrev_i32_e32 v12, 8, v12
	v_add_u32_e32 v11, 0x3c000000, v11
	v_and_or_b32 v11, v12, s0, v11
	v_cmp_ne_u32_e32 vcc, 0, v10
	v_cndmask_b32_e32 v10, 0, v11, vcc
	v_and_or_b32 v1, v1, s1, v10
	v_bfe_u32 v10, v10, 16, 1
	v_add3_u32 v10, v1, v10, s56
	v_lshrrev_b32_e32 v10, 16, v10
	v_cmp_o_f32_e32 vcc, v1, v1
	v_cndmask_b32_e32 v1, v3, v10, vcc
.LBB56_869:
	s_mov_b64 s[0:1], 0
.LBB56_870:
	s_andn2_b64 vcc, exec, s[0:1]
	s_cbranch_vccnz .LBB56_872
; %bb.871:
	global_load_ubyte v1, v[4:5], off
	s_movk_i32 s0, 0x7f00
	s_brev_b32 s1, 16
	s_brev_b32 s56, 1
	s_movk_i32 s57, 0x7fff
	v_mov_b32_e32 v3, 0x7fc0
	s_waitcnt vmcnt(0)
	v_lshlrev_b16_e32 v10, 8, v1
	v_lshlrev_b32_e32 v1, 25, v1
	v_lshrrev_b32_e32 v11, 4, v1
	v_and_or_b32 v12, v10, s0, 0.5
	v_or_b32_e32 v11, 0x70000000, v11
	v_add_f32_e32 v12, -0.5, v12
	v_mul_f32_e32 v11, 0x7800000, v11
	v_cmp_gt_u32_e32 vcc, s1, v1
	v_bfe_i32 v10, v10, 0, 16
	v_cndmask_b32_e32 v1, v11, v12, vcc
	v_and_or_b32 v10, v10, s56, v1
	v_bfe_u32 v1, v1, 16, 1
	v_add3_u32 v1, v10, v1, s57
	v_lshrrev_b32_e32 v1, 16, v1
	v_cmp_o_f32_e32 vcc, v10, v10
	v_cndmask_b32_e32 v1, v3, v1, vcc
.LBB56_872:
	s_mov_b64 s[56:57], 0
	s_mov_b64 s[0:1], -1
.LBB56_873:
	s_andn2_b64 vcc, exec, s[56:57]
	s_cbranch_vccnz .LBB56_886
; %bb.874:
	v_mov_b32_e32 v1, 14
	v_cmp_gt_i16_sdwa s[56:57], v9, v1 src0_sel:BYTE_0 src1_sel:DWORD
	s_and_b64 vcc, exec, s[56:57]
	s_cbranch_vccz .LBB56_877
; %bb.875:
	v_mov_b32_e32 v1, 15
	v_cmp_eq_u16_sdwa s[54:55], v9, v1 src0_sel:BYTE_0 src1_sel:DWORD
	s_and_b64 vcc, exec, s[54:55]
	s_cbranch_vccz .LBB56_880
; %bb.876:
	global_load_ushort v1, v[4:5], off
	s_mov_b64 s[0:1], -1
	s_mov_b64 s[54:55], 0
	s_branch .LBB56_881
.LBB56_877:
	s_mov_b64 s[56:57], -1
                                        ; implicit-def: $vgpr1
	s_branch .LBB56_882
.LBB56_878:
	s_or_saveexec_b64 s[56:57], s[56:57]
	v_mov_b32_e32 v3, s60
	s_xor_b64 exec, exec, s[56:57]
	s_cbranch_execz .LBB56_859
.LBB56_879:
	v_cmp_ne_u16_e32 vcc, 0, v1
	s_andn2_b64 s[0:1], s[0:1], exec
	s_and_b64 s[58:59], vcc, exec
	v_mov_b32_e32 v3, 0
	s_or_b64 s[0:1], s[0:1], s[58:59]
	s_or_b64 exec, exec, s[56:57]
	s_and_saveexec_b64 s[56:57], s[0:1]
	s_cbranch_execnz .LBB56_860
	s_branch .LBB56_861
.LBB56_880:
	s_mov_b64 s[54:55], -1
                                        ; implicit-def: $vgpr1
.LBB56_881:
	s_mov_b64 s[56:57], 0
.LBB56_882:
	s_and_b64 vcc, exec, s[56:57]
	s_cbranch_vccz .LBB56_886
; %bb.883:
	s_waitcnt vmcnt(0)
	v_mov_b32_e32 v1, 11
	v_cmp_eq_u16_sdwa s[54:55], v9, v1 src0_sel:BYTE_0 src1_sel:DWORD
	s_and_b64 vcc, exec, s[54:55]
	s_cbranch_vccz .LBB56_885
; %bb.884:
	global_load_ubyte v1, v[4:5], off
	s_mov_b64 s[0:1], -1
	s_mov_b64 s[54:55], 0
	s_waitcnt vmcnt(0)
	v_cmp_ne_u16_e32 vcc, 0, v1
	v_cndmask_b32_e64 v1, 0, 1.0, vcc
	v_lshrrev_b32_e32 v1, 16, v1
	s_branch .LBB56_886
.LBB56_885:
	s_mov_b64 s[54:55], -1
                                        ; implicit-def: $vgpr1
.LBB56_886:
	s_mov_b64 s[56:57], 0
.LBB56_887:
	s_and_b64 vcc, exec, s[56:57]
	s_cbranch_vccz .LBB56_936
; %bb.888:
	s_waitcnt vmcnt(0)
	v_mov_b32_e32 v1, 5
	v_cmp_lt_i16_sdwa s[0:1], v9, v1 src0_sel:BYTE_0 src1_sel:DWORD
	s_and_b64 vcc, exec, s[0:1]
	s_cbranch_vccnz .LBB56_893
; %bb.889:
	v_mov_b32_e32 v1, 8
	v_cmp_lt_i16_sdwa s[0:1], v9, v1 src0_sel:BYTE_0 src1_sel:DWORD
	s_and_b64 vcc, exec, s[0:1]
	s_cbranch_vccnz .LBB56_894
; %bb.890:
	;; [unrolled: 5-line block ×3, first 2 shown]
	v_cmp_gt_i16_sdwa s[0:1], v9, v1 src0_sel:BYTE_0 src1_sel:DWORD
	s_and_b64 vcc, exec, s[0:1]
	s_cbranch_vccz .LBB56_896
; %bb.892:
	global_load_dwordx2 v[10:11], v[4:5], off
	s_movk_i32 s0, 0x7fff
	v_mov_b32_e32 v1, 0x7fc0
	s_waitcnt vmcnt(0)
	v_cvt_f32_f64_e32 v3, v[10:11]
	v_bfe_u32 v10, v3, 16, 1
	v_add3_u32 v10, v3, v10, s0
	v_lshrrev_b32_e32 v10, 16, v10
	v_cmp_o_f32_e32 vcc, v3, v3
	v_cndmask_b32_e32 v1, v1, v10, vcc
	s_mov_b64 s[0:1], 0
	s_branch .LBB56_897
.LBB56_893:
	s_mov_b64 s[0:1], -1
                                        ; implicit-def: $vgpr1
	s_branch .LBB56_915
.LBB56_894:
	s_mov_b64 s[0:1], -1
                                        ; implicit-def: $vgpr1
	s_branch .LBB56_903
.LBB56_895:
	s_mov_b64 s[0:1], -1
                                        ; implicit-def: $vgpr1
	s_branch .LBB56_900
.LBB56_896:
	s_mov_b64 s[0:1], -1
                                        ; implicit-def: $vgpr1
.LBB56_897:
	s_andn2_b64 vcc, exec, s[0:1]
	s_cbranch_vccnz .LBB56_899
; %bb.898:
	global_load_dword v1, v[4:5], off
	s_movk_i32 s0, 0x7fff
	v_mov_b32_e32 v3, 0x7fc0
	s_waitcnt vmcnt(0)
	v_bfe_u32 v10, v1, 16, 1
	v_add3_u32 v10, v1, v10, s0
	v_lshrrev_b32_e32 v10, 16, v10
	v_cmp_o_f32_e32 vcc, v1, v1
	v_cndmask_b32_e32 v1, v3, v10, vcc
.LBB56_899:
	s_mov_b64 s[0:1], 0
.LBB56_900:
	s_andn2_b64 vcc, exec, s[0:1]
	s_cbranch_vccnz .LBB56_902
; %bb.901:
	global_load_dword v1, v[4:5], off
	s_movk_i32 s0, 0x7fff
	v_mov_b32_e32 v10, 0x7fc0
	s_waitcnt vmcnt(0)
	v_cvt_f32_f16_e32 v3, v1
	v_cmp_o_f16_e32 vcc, v1, v1
	v_bfe_u32 v11, v3, 16, 1
	v_add3_u32 v3, v3, v11, s0
	v_lshrrev_b32_e32 v3, 16, v3
	v_cndmask_b32_e32 v1, v10, v3, vcc
.LBB56_902:
	s_mov_b64 s[0:1], 0
.LBB56_903:
	s_andn2_b64 vcc, exec, s[0:1]
	s_cbranch_vccnz .LBB56_914
; %bb.904:
	v_mov_b32_e32 v1, 6
	v_cmp_lt_i16_sdwa s[0:1], v9, v1 src0_sel:BYTE_0 src1_sel:DWORD
	s_and_b64 vcc, exec, s[0:1]
	s_cbranch_vccnz .LBB56_907
; %bb.905:
	v_cmp_gt_i16_sdwa s[0:1], v9, v1 src0_sel:BYTE_0 src1_sel:DWORD
	s_and_b64 vcc, exec, s[0:1]
	s_cbranch_vccz .LBB56_908
; %bb.906:
	global_load_dwordx2 v[10:11], v[4:5], off
	s_movk_i32 s0, 0x7fff
	v_mov_b32_e32 v1, 0x7fc0
	s_waitcnt vmcnt(0)
	v_cvt_f32_f64_e32 v3, v[10:11]
	v_bfe_u32 v10, v3, 16, 1
	v_add3_u32 v10, v3, v10, s0
	v_lshrrev_b32_e32 v10, 16, v10
	v_cmp_o_f32_e32 vcc, v3, v3
	v_cndmask_b32_e32 v1, v1, v10, vcc
	s_mov_b64 s[0:1], 0
	s_branch .LBB56_909
.LBB56_907:
	s_mov_b64 s[0:1], -1
                                        ; implicit-def: $vgpr1
	s_branch .LBB56_912
.LBB56_908:
	s_mov_b64 s[0:1], -1
                                        ; implicit-def: $vgpr1
.LBB56_909:
	s_andn2_b64 vcc, exec, s[0:1]
	s_cbranch_vccnz .LBB56_911
; %bb.910:
	global_load_dword v1, v[4:5], off
	s_movk_i32 s0, 0x7fff
	v_mov_b32_e32 v3, 0x7fc0
	s_waitcnt vmcnt(0)
	v_bfe_u32 v10, v1, 16, 1
	v_add3_u32 v10, v1, v10, s0
	v_lshrrev_b32_e32 v10, 16, v10
	v_cmp_o_f32_e32 vcc, v1, v1
	v_cndmask_b32_e32 v1, v3, v10, vcc
.LBB56_911:
	s_mov_b64 s[0:1], 0
.LBB56_912:
	s_andn2_b64 vcc, exec, s[0:1]
	s_cbranch_vccnz .LBB56_914
; %bb.913:
	global_load_ushort v1, v[4:5], off
	s_movk_i32 s0, 0x7fff
	v_mov_b32_e32 v10, 0x7fc0
	s_waitcnt vmcnt(0)
	v_cvt_f32_f16_e32 v3, v1
	v_cmp_o_f16_e32 vcc, v1, v1
	v_bfe_u32 v11, v3, 16, 1
	v_add3_u32 v3, v3, v11, s0
	v_lshrrev_b32_e32 v3, 16, v3
	v_cndmask_b32_e32 v1, v10, v3, vcc
.LBB56_914:
	s_mov_b64 s[0:1], 0
.LBB56_915:
	s_andn2_b64 vcc, exec, s[0:1]
	s_cbranch_vccnz .LBB56_935
; %bb.916:
	v_mov_b32_e32 v1, 2
	v_cmp_lt_i16_sdwa s[0:1], v9, v1 src0_sel:BYTE_0 src1_sel:DWORD
	s_and_b64 vcc, exec, s[0:1]
	s_cbranch_vccnz .LBB56_920
; %bb.917:
	v_mov_b32_e32 v1, 3
	v_cmp_lt_i16_sdwa s[0:1], v9, v1 src0_sel:BYTE_0 src1_sel:DWORD
	s_and_b64 vcc, exec, s[0:1]
	s_cbranch_vccnz .LBB56_921
; %bb.918:
	v_cmp_gt_i16_sdwa s[0:1], v9, v1 src0_sel:BYTE_0 src1_sel:DWORD
	s_and_b64 vcc, exec, s[0:1]
	s_cbranch_vccz .LBB56_922
; %bb.919:
	global_load_dwordx2 v[10:11], v[4:5], off
	s_movk_i32 s0, 0x7fff
	s_waitcnt vmcnt(0)
	v_xor_b32_e32 v3, v10, v11
	v_ffbh_i32_e32 v1, v11
	v_ashrrev_i32_e32 v3, 31, v3
	v_add_u32_e32 v1, -1, v1
	v_add_u32_e32 v3, 32, v3
	v_min_u32_e32 v1, v1, v3
	v_lshlrev_b64 v[10:11], v1, v[10:11]
	v_min_u32_e32 v3, 1, v10
	v_or_b32_e32 v3, v11, v3
	v_cvt_f32_i32_e32 v3, v3
	v_sub_u32_e32 v1, 32, v1
	v_ldexp_f32 v1, v3, v1
	v_bfe_u32 v3, v1, 16, 1
	v_add3_u32 v1, v1, v3, s0
	v_lshrrev_b32_e32 v1, 16, v1
	s_mov_b64 s[0:1], 0
	s_branch .LBB56_923
.LBB56_920:
	s_mov_b64 s[0:1], -1
                                        ; implicit-def: $vgpr1
	s_branch .LBB56_929
.LBB56_921:
	s_mov_b64 s[0:1], -1
                                        ; implicit-def: $vgpr1
	s_branch .LBB56_926
.LBB56_922:
	s_mov_b64 s[0:1], -1
                                        ; implicit-def: $vgpr1
.LBB56_923:
	s_andn2_b64 vcc, exec, s[0:1]
	s_cbranch_vccnz .LBB56_925
; %bb.924:
	global_load_dword v1, v[4:5], off
	s_movk_i32 s0, 0x7fff
	s_waitcnt vmcnt(0)
	v_cvt_f32_i32_e32 v1, v1
	v_bfe_u32 v3, v1, 16, 1
	v_add3_u32 v1, v1, v3, s0
	v_lshrrev_b32_e32 v1, 16, v1
.LBB56_925:
	s_mov_b64 s[0:1], 0
.LBB56_926:
	s_andn2_b64 vcc, exec, s[0:1]
	s_cbranch_vccnz .LBB56_928
; %bb.927:
	global_load_sshort v1, v[4:5], off
	s_movk_i32 s0, 0x7fff
	s_waitcnt vmcnt(0)
	v_cvt_f32_i32_e32 v1, v1
	v_bfe_u32 v3, v1, 16, 1
	v_add3_u32 v1, v1, v3, s0
	v_lshrrev_b32_e32 v1, 16, v1
.LBB56_928:
	s_mov_b64 s[0:1], 0
.LBB56_929:
	s_andn2_b64 vcc, exec, s[0:1]
	s_cbranch_vccnz .LBB56_935
; %bb.930:
	v_mov_b32_e32 v1, 0
	v_cmp_gt_i16_sdwa s[0:1], v9, v1 src0_sel:BYTE_0 src1_sel:DWORD
	s_and_b64 vcc, exec, s[0:1]
	s_cbranch_vccz .LBB56_932
; %bb.931:
	global_load_sbyte v1, v[4:5], off
	s_movk_i32 s0, 0x7fff
	s_waitcnt vmcnt(0)
	v_cvt_f32_i32_e32 v1, v1
	v_bfe_u32 v3, v1, 16, 1
	v_add3_u32 v1, v1, v3, s0
	v_lshrrev_b32_e32 v1, 16, v1
	s_mov_b64 s[0:1], 0
	s_branch .LBB56_933
.LBB56_932:
	s_mov_b64 s[0:1], -1
                                        ; implicit-def: $vgpr1
.LBB56_933:
	s_andn2_b64 vcc, exec, s[0:1]
	s_cbranch_vccnz .LBB56_935
; %bb.934:
	global_load_ubyte v1, v[4:5], off
	s_movk_i32 s0, 0x7fff
	s_waitcnt vmcnt(0)
	v_cvt_f32_ubyte0_e32 v1, v1
	v_bfe_u32 v3, v1, 16, 1
	v_add3_u32 v1, v1, v3, s0
	v_lshrrev_b32_e32 v1, 16, v1
.LBB56_935:
	s_mov_b64 s[0:1], -1
.LBB56_936:
	s_andn2_b64 vcc, exec, s[0:1]
	s_cbranch_vccnz .LBB56_944
; %bb.937:
	v_mov_b32_e32 v3, s25
	v_add_co_u32_e32 v2, vcc, s24, v2
	v_mov_b32_e32 v4, 11
	v_addc_co_u32_e32 v3, vcc, 0, v3, vcc
	v_cmp_lt_i16_sdwa s[0:1], v7, v4 src0_sel:BYTE_0 src1_sel:DWORD
	s_and_b64 vcc, exec, s[0:1]
	s_cbranch_vccnz .LBB56_946
; %bb.938:
	v_mov_b32_e32 v4, 25
	v_cmp_gt_i16_sdwa s[0:1], v7, v4 src0_sel:BYTE_0 src1_sel:DWORD
	s_and_b64 vcc, exec, s[0:1]
	s_cbranch_vccz .LBB56_947
; %bb.939:
	v_mov_b32_e32 v4, 28
	v_cmp_gt_i16_sdwa s[0:1], v7, v4 src0_sel:BYTE_0 src1_sel:DWORD
	s_and_b64 vcc, exec, s[0:1]
	s_cbranch_vccz .LBB56_948
	;; [unrolled: 5-line block ×4, first 2 shown]
; %bb.942:
	v_mov_b32_e32 v4, 46
	v_cmp_eq_u16_sdwa s[0:1], v7, v4 src0_sel:BYTE_0 src1_sel:DWORD
	s_mov_b64 s[58:59], 0
	s_and_b64 vcc, exec, s[0:1]
	s_cbranch_vccz .LBB56_953
; %bb.943:
	global_load_dword v4, v[2:3], off
	s_mov_b64 s[0:1], -1
	s_mov_b64 s[56:57], 0
	s_branch .LBB56_954
.LBB56_944:
	s_mov_b64 s[60:61], 0
	s_mov_b64 s[0:1], s[48:49]
	;; [unrolled: 1-line block ×3, first 2 shown]
.LBB56_945:
                                        ; implicit-def: $vgpr8
	s_branch .LBB56_1192
.LBB56_946:
	s_mov_b64 s[58:59], -1
	s_mov_b64 s[0:1], 0
                                        ; implicit-def: $vgpr4
	s_mov_b64 s[56:57], s[46:47]
	s_branch .LBB56_1019
.LBB56_947:
	s_mov_b64 s[58:59], -1
	s_mov_b64 s[0:1], 0
	s_mov_b64 s[56:57], s[46:47]
                                        ; implicit-def: $vgpr4
	s_branch .LBB56_983
.LBB56_948:
	s_mov_b64 s[58:59], -1
	s_mov_b64 s[0:1], 0
	s_mov_b64 s[56:57], s[46:47]
                                        ; implicit-def: $vgpr4
	s_branch .LBB56_964
.LBB56_949:
	s_mov_b64 s[58:59], -1
	s_mov_b64 s[0:1], 0
	s_mov_b64 s[56:57], s[46:47]
                                        ; implicit-def: $vgpr4
	s_branch .LBB56_959
.LBB56_950:
	s_mov_b64 s[58:59], -1
	s_mov_b64 s[0:1], 0
	s_mov_b64 s[56:57], s[46:47]
                                        ; implicit-def: $vgpr4
	s_branch .LBB56_954
.LBB56_951:
	s_or_saveexec_b64 s[54:55], s[54:55]
                                        ; implicit-def: $sgpr56
	s_xor_b64 exec, exec, s[54:55]
	s_cbranch_execz .LBB56_716
.LBB56_952:
	s_mov_b32 s56, 0x42800000
	v_add_f32_e64 v4, |v5|, s56
	v_and_b32_e32 v4, 0xff, v4
	v_cmp_ne_u32_e32 vcc, 0, v4
	s_andn2_b64 s[52:53], s[52:53], exec
	s_and_b64 s[58:59], vcc, exec
	s_mov_b32 s56, 0
	s_or_b64 s[52:53], s[52:53], s[58:59]
	s_or_b64 exec, exec, s[54:55]
	v_mov_b32_e32 v10, s56
	s_and_saveexec_b64 s[54:55], s[52:53]
	s_cbranch_execnz .LBB56_717
	s_branch .LBB56_718
.LBB56_953:
	s_mov_b64 s[56:57], -1
                                        ; implicit-def: $vgpr4
	s_mov_b64 s[0:1], 0
.LBB56_954:
	s_and_b64 vcc, exec, s[58:59]
	s_cbranch_vccz .LBB56_958
; %bb.955:
	s_waitcnt vmcnt(0)
	v_mov_b32_e32 v4, 44
	v_cmp_eq_u16_sdwa s[56:57], v7, v4 src0_sel:BYTE_0 src1_sel:DWORD
	s_and_b64 vcc, exec, s[56:57]
	s_cbranch_vccz .LBB56_957
; %bb.956:
	global_load_ubyte v4, v[2:3], off
	s_movk_i32 s56, 0xff
	v_mov_b32_e32 v5, 0x7f800001
	v_mov_b32_e32 v10, 0x400000
	;; [unrolled: 1-line block ×3, first 2 shown]
	s_mov_b64 s[0:1], -1
	s_waitcnt vmcnt(0)
	v_lshlrev_b32_e32 v12, 23, v4
	v_cmp_ne_u32_e32 vcc, s56, v4
	v_cndmask_b32_e32 v5, v5, v12, vcc
	v_cmp_ne_u32_e32 vcc, 0, v4
	v_cndmask_b32_e32 v4, v10, v5, vcc
	v_add_u32_e32 v5, 0x7fff, v4
	v_lshrrev_b32_e32 v5, 16, v5
	v_cmp_o_f32_e32 vcc, v4, v4
	v_cndmask_b32_e32 v4, v11, v5, vcc
	s_mov_b64 s[56:57], 0
	s_branch .LBB56_958
.LBB56_957:
	s_mov_b64 s[56:57], -1
                                        ; implicit-def: $vgpr4
.LBB56_958:
	s_mov_b64 s[58:59], 0
.LBB56_959:
	s_and_b64 vcc, exec, s[58:59]
	s_cbranch_vccz .LBB56_963
; %bb.960:
	s_waitcnt vmcnt(0)
	v_mov_b32_e32 v4, 29
	v_cmp_eq_u16_sdwa s[56:57], v7, v4 src0_sel:BYTE_0 src1_sel:DWORD
	s_and_b64 vcc, exec, s[56:57]
	s_cbranch_vccz .LBB56_962
; %bb.961:
	global_load_dwordx2 v[4:5], v[2:3], off
	s_movk_i32 s56, 0x7fff
	s_mov_b64 s[0:1], -1
	s_mov_b64 s[58:59], 0
	s_waitcnt vmcnt(0)
	v_ffbh_u32_e32 v10, v5
	v_min_u32_e32 v10, 32, v10
	v_lshlrev_b64 v[4:5], v10, v[4:5]
	v_min_u32_e32 v4, 1, v4
	v_or_b32_e32 v4, v5, v4
	v_cvt_f32_u32_e32 v4, v4
	v_sub_u32_e32 v5, 32, v10
	v_ldexp_f32 v4, v4, v5
	v_bfe_u32 v5, v4, 16, 1
	v_add3_u32 v4, v4, v5, s56
	v_lshrrev_b32_e32 v4, 16, v4
	s_mov_b64 s[56:57], 0
	s_branch .LBB56_964
.LBB56_962:
	s_mov_b64 s[56:57], -1
                                        ; implicit-def: $vgpr4
.LBB56_963:
	s_mov_b64 s[58:59], 0
.LBB56_964:
	s_and_b64 vcc, exec, s[58:59]
	s_cbranch_vccz .LBB56_982
; %bb.965:
	s_waitcnt vmcnt(0)
	v_mov_b32_e32 v4, 27
	v_cmp_lt_i16_sdwa s[0:1], v7, v4 src0_sel:BYTE_0 src1_sel:DWORD
	s_and_b64 vcc, exec, s[0:1]
	s_cbranch_vccnz .LBB56_968
; %bb.966:
	v_cmp_gt_i16_sdwa s[0:1], v7, v4 src0_sel:BYTE_0 src1_sel:DWORD
	s_and_b64 vcc, exec, s[0:1]
	s_cbranch_vccz .LBB56_969
; %bb.967:
	global_load_dword v4, v[2:3], off
	s_movk_i32 s0, 0x7fff
	s_waitcnt vmcnt(0)
	v_cvt_f32_u32_e32 v4, v4
	v_bfe_u32 v5, v4, 16, 1
	v_add3_u32 v4, v4, v5, s0
	v_lshrrev_b32_e32 v4, 16, v4
	s_mov_b64 s[0:1], 0
	s_branch .LBB56_970
.LBB56_968:
	s_mov_b64 s[0:1], -1
                                        ; implicit-def: $vgpr4
	s_branch .LBB56_973
.LBB56_969:
	s_mov_b64 s[0:1], -1
                                        ; implicit-def: $vgpr4
.LBB56_970:
	s_andn2_b64 vcc, exec, s[0:1]
	s_cbranch_vccnz .LBB56_972
; %bb.971:
	global_load_ushort v4, v[2:3], off
	s_movk_i32 s0, 0x7fff
	s_waitcnt vmcnt(0)
	v_cvt_f32_u32_e32 v4, v4
	v_bfe_u32 v5, v4, 16, 1
	v_add3_u32 v4, v4, v5, s0
	v_lshrrev_b32_e32 v4, 16, v4
.LBB56_972:
	s_mov_b64 s[0:1], 0
.LBB56_973:
	s_andn2_b64 vcc, exec, s[0:1]
	s_cbranch_vccnz .LBB56_981
; %bb.974:
	global_load_ubyte v4, v[2:3], off
	s_movk_i32 s0, 0x7f
                                        ; implicit-def: $sgpr62
	s_waitcnt vmcnt(0)
	v_cmp_lt_i16_e32 vcc, s0, v4
	s_mov_b64 s[0:1], 0
	s_and_saveexec_b64 s[58:59], vcc
	s_xor_b64 s[58:59], exec, s[58:59]
	s_cbranch_execz .LBB56_995
; %bb.975:
	s_movk_i32 s0, 0x80
	v_cmp_eq_u16_e32 vcc, s0, v4
	s_mov_b64 s[0:1], -1
                                        ; implicit-def: $sgpr62
	s_and_saveexec_b64 s[60:61], vcc
; %bb.976:
	s_mov_b32 s62, 0x7f800001
	s_xor_b64 s[0:1], exec, -1
; %bb.977:
	s_or_b64 exec, exec, s[60:61]
	s_and_b64 s[0:1], s[0:1], exec
	s_or_saveexec_b64 s[58:59], s[58:59]
	v_mov_b32_e32 v5, s62
	s_xor_b64 exec, exec, s[58:59]
	s_cbranch_execnz .LBB56_996
.LBB56_978:
	s_or_b64 exec, exec, s[58:59]
	s_and_saveexec_b64 s[58:59], s[0:1]
	s_cbranch_execz .LBB56_980
.LBB56_979:
	v_lshlrev_b32_e32 v5, 24, v4
	v_and_b32_e32 v4, 0xffff, v4
	v_and_b32_e32 v10, 7, v4
	v_ffbh_u32_e32 v12, v10
	v_min_u32_e32 v12, 32, v12
	v_subrev_u32_e32 v13, 28, v12
	v_bfe_u32 v11, v4, 3, 4
	v_lshlrev_b32_e32 v4, v13, v4
	v_sub_u32_e32 v12, 29, v12
	v_and_b32_e32 v4, 7, v4
	v_cmp_eq_u32_e32 vcc, 0, v11
	v_cndmask_b32_e32 v11, v11, v12, vcc
	v_cndmask_b32_e32 v4, v10, v4, vcc
	v_mov_b32_e32 v10, 0x3b800000
	v_lshlrev_b32_e32 v4, 20, v4
	v_and_b32_e32 v5, 0x80000000, v5
	v_lshl_add_u32 v10, v11, 23, v10
	v_or3_b32 v5, v5, v10, v4
.LBB56_980:
	s_or_b64 exec, exec, s[58:59]
	v_bfe_u32 v4, v5, 16, 1
	s_movk_i32 s0, 0x7fff
	v_add3_u32 v4, v5, v4, s0
	v_lshrrev_b32_e32 v4, 16, v4
	v_mov_b32_e32 v10, 0x7fc0
	v_cmp_o_f32_e32 vcc, v5, v5
	v_cndmask_b32_e32 v4, v10, v4, vcc
.LBB56_981:
	s_mov_b64 s[0:1], -1
.LBB56_982:
	s_mov_b64 s[58:59], 0
.LBB56_983:
	s_and_b64 vcc, exec, s[58:59]
	s_cbranch_vccz .LBB56_1018
; %bb.984:
	s_waitcnt vmcnt(0)
	v_mov_b32_e32 v4, 22
	v_cmp_gt_i16_sdwa s[58:59], v7, v4 src0_sel:BYTE_0 src1_sel:DWORD
	s_and_b64 vcc, exec, s[58:59]
	s_cbranch_vccz .LBB56_994
; %bb.985:
	v_mov_b32_e32 v4, 24
	v_cmp_lt_i16_sdwa s[0:1], v7, v4 src0_sel:BYTE_0 src1_sel:DWORD
	s_and_b64 vcc, exec, s[0:1]
	s_cbranch_vccnz .LBB56_997
; %bb.986:
	v_cmp_gt_i16_sdwa s[0:1], v7, v4 src0_sel:BYTE_0 src1_sel:DWORD
	s_and_b64 vcc, exec, s[0:1]
	s_cbranch_vccz .LBB56_998
; %bb.987:
	global_load_ubyte v4, v[2:3], off
	s_movk_i32 s0, 0x7f
                                        ; implicit-def: $sgpr62
	s_waitcnt vmcnt(0)
	v_cmp_lt_i16_e32 vcc, s0, v4
	s_mov_b64 s[0:1], 0
	s_and_saveexec_b64 s[58:59], vcc
	s_xor_b64 s[58:59], exec, s[58:59]
	s_cbranch_execz .LBB56_1010
; %bb.988:
	s_movk_i32 s0, 0x80
	v_cmp_eq_u16_e32 vcc, s0, v4
	s_mov_b64 s[0:1], -1
                                        ; implicit-def: $sgpr62
	s_and_saveexec_b64 s[60:61], vcc
; %bb.989:
	s_mov_b32 s62, 0x7f800001
	s_xor_b64 s[0:1], exec, -1
; %bb.990:
	s_or_b64 exec, exec, s[60:61]
	s_and_b64 s[0:1], s[0:1], exec
	s_or_saveexec_b64 s[58:59], s[58:59]
	v_mov_b32_e32 v5, s62
	s_xor_b64 exec, exec, s[58:59]
	s_cbranch_execnz .LBB56_1011
.LBB56_991:
	s_or_b64 exec, exec, s[58:59]
	s_and_saveexec_b64 s[58:59], s[0:1]
	s_cbranch_execz .LBB56_993
.LBB56_992:
	v_lshlrev_b32_e32 v5, 24, v4
	v_and_b32_e32 v4, 0xffff, v4
	v_and_b32_e32 v10, 3, v4
	v_ffbh_u32_e32 v12, v10
	v_min_u32_e32 v12, 32, v12
	v_subrev_u32_e32 v13, 29, v12
	v_bfe_u32 v11, v4, 2, 5
	v_lshlrev_b32_e32 v4, v13, v4
	v_sub_u32_e32 v12, 30, v12
	v_and_b32_e32 v4, 3, v4
	v_cmp_eq_u32_e32 vcc, 0, v11
	v_cndmask_b32_e32 v11, v11, v12, vcc
	v_cndmask_b32_e32 v4, v10, v4, vcc
	v_mov_b32_e32 v10, 0x37800000
	v_lshlrev_b32_e32 v4, 21, v4
	v_and_b32_e32 v5, 0x80000000, v5
	v_lshl_add_u32 v10, v11, 23, v10
	v_or3_b32 v5, v5, v10, v4
.LBB56_993:
	s_or_b64 exec, exec, s[58:59]
	v_bfe_u32 v4, v5, 16, 1
	s_movk_i32 s0, 0x7fff
	v_add3_u32 v4, v5, v4, s0
	v_lshrrev_b32_e32 v4, 16, v4
	v_mov_b32_e32 v10, 0x7fc0
	v_cmp_o_f32_e32 vcc, v5, v5
	v_cndmask_b32_e32 v4, v10, v4, vcc
	s_mov_b64 s[0:1], 0
	s_branch .LBB56_999
.LBB56_994:
	s_mov_b64 s[58:59], -1
                                        ; implicit-def: $vgpr4
	s_branch .LBB56_1005
.LBB56_995:
	s_or_saveexec_b64 s[58:59], s[58:59]
	v_mov_b32_e32 v5, s62
	s_xor_b64 exec, exec, s[58:59]
	s_cbranch_execz .LBB56_978
.LBB56_996:
	v_cmp_ne_u16_e32 vcc, 0, v4
	s_andn2_b64 s[0:1], s[0:1], exec
	s_and_b64 s[60:61], vcc, exec
	v_mov_b32_e32 v5, 0
	s_or_b64 s[0:1], s[0:1], s[60:61]
	s_or_b64 exec, exec, s[58:59]
	s_and_saveexec_b64 s[58:59], s[0:1]
	s_cbranch_execnz .LBB56_979
	s_branch .LBB56_980
.LBB56_997:
	s_mov_b64 s[0:1], -1
                                        ; implicit-def: $vgpr4
	s_branch .LBB56_1002
.LBB56_998:
	s_mov_b64 s[0:1], -1
                                        ; implicit-def: $vgpr4
.LBB56_999:
	s_and_b64 vcc, exec, s[0:1]
	s_cbranch_vccz .LBB56_1001
; %bb.1000:
	global_load_ubyte v4, v[2:3], off
	s_mov_b32 s0, 0x7f800000
	s_brev_b32 s1, 1
	s_movk_i32 s58, 0x7fff
	v_mov_b32_e32 v5, 0x7fc0
	s_waitcnt vmcnt(0)
	v_lshlrev_b32_e32 v4, 24, v4
	v_and_b32_e32 v10, 0x7f000000, v4
	v_ffbh_u32_e32 v11, v10
	v_min_u32_e32 v11, 32, v11
	v_sub_u32_e64 v11, v11, 4 clamp
	v_lshlrev_b32_e32 v13, v11, v10
	v_lshlrev_b32_e32 v11, 23, v11
	v_lshrrev_b32_e32 v13, 4, v13
	v_add_u32_e32 v12, 0x1000000, v10
	v_sub_u32_e32 v11, v13, v11
	v_ashrrev_i32_e32 v12, 8, v12
	v_add_u32_e32 v11, 0x3c000000, v11
	v_and_or_b32 v11, v12, s0, v11
	v_cmp_ne_u32_e32 vcc, 0, v10
	v_cndmask_b32_e32 v10, 0, v11, vcc
	v_and_or_b32 v4, v4, s1, v10
	v_bfe_u32 v10, v10, 16, 1
	v_add3_u32 v10, v4, v10, s58
	v_lshrrev_b32_e32 v10, 16, v10
	v_cmp_o_f32_e32 vcc, v4, v4
	v_cndmask_b32_e32 v4, v5, v10, vcc
.LBB56_1001:
	s_mov_b64 s[0:1], 0
.LBB56_1002:
	s_andn2_b64 vcc, exec, s[0:1]
	s_cbranch_vccnz .LBB56_1004
; %bb.1003:
	global_load_ubyte v4, v[2:3], off
	s_movk_i32 s0, 0x7f00
	s_brev_b32 s1, 16
	s_brev_b32 s58, 1
	s_movk_i32 s59, 0x7fff
	v_mov_b32_e32 v5, 0x7fc0
	s_waitcnt vmcnt(0)
	v_lshlrev_b16_e32 v10, 8, v4
	v_lshlrev_b32_e32 v4, 25, v4
	v_lshrrev_b32_e32 v11, 4, v4
	v_and_or_b32 v12, v10, s0, 0.5
	v_or_b32_e32 v11, 0x70000000, v11
	v_add_f32_e32 v12, -0.5, v12
	v_mul_f32_e32 v11, 0x7800000, v11
	v_cmp_gt_u32_e32 vcc, s1, v4
	v_bfe_i32 v10, v10, 0, 16
	v_cndmask_b32_e32 v4, v11, v12, vcc
	v_and_or_b32 v10, v10, s58, v4
	v_bfe_u32 v4, v4, 16, 1
	v_add3_u32 v4, v10, v4, s59
	v_lshrrev_b32_e32 v4, 16, v4
	v_cmp_o_f32_e32 vcc, v10, v10
	v_cndmask_b32_e32 v4, v5, v4, vcc
.LBB56_1004:
	s_mov_b64 s[58:59], 0
	s_mov_b64 s[0:1], -1
.LBB56_1005:
	s_andn2_b64 vcc, exec, s[58:59]
	s_cbranch_vccnz .LBB56_1018
; %bb.1006:
	v_mov_b32_e32 v4, 14
	v_cmp_gt_i16_sdwa s[58:59], v7, v4 src0_sel:BYTE_0 src1_sel:DWORD
	s_and_b64 vcc, exec, s[58:59]
	s_cbranch_vccz .LBB56_1009
; %bb.1007:
	v_mov_b32_e32 v4, 15
	v_cmp_eq_u16_sdwa s[56:57], v7, v4 src0_sel:BYTE_0 src1_sel:DWORD
	s_and_b64 vcc, exec, s[56:57]
	s_cbranch_vccz .LBB56_1012
; %bb.1008:
	global_load_ushort v4, v[2:3], off
	s_mov_b64 s[0:1], -1
	s_mov_b64 s[56:57], 0
	s_branch .LBB56_1013
.LBB56_1009:
	s_mov_b64 s[58:59], -1
                                        ; implicit-def: $vgpr4
	s_branch .LBB56_1014
.LBB56_1010:
	s_or_saveexec_b64 s[58:59], s[58:59]
	v_mov_b32_e32 v5, s62
	s_xor_b64 exec, exec, s[58:59]
	s_cbranch_execz .LBB56_991
.LBB56_1011:
	v_cmp_ne_u16_e32 vcc, 0, v4
	s_andn2_b64 s[0:1], s[0:1], exec
	s_and_b64 s[60:61], vcc, exec
	v_mov_b32_e32 v5, 0
	s_or_b64 s[0:1], s[0:1], s[60:61]
	s_or_b64 exec, exec, s[58:59]
	s_and_saveexec_b64 s[58:59], s[0:1]
	s_cbranch_execnz .LBB56_992
	s_branch .LBB56_993
.LBB56_1012:
	s_mov_b64 s[56:57], -1
                                        ; implicit-def: $vgpr4
.LBB56_1013:
	s_mov_b64 s[58:59], 0
.LBB56_1014:
	s_and_b64 vcc, exec, s[58:59]
	s_cbranch_vccz .LBB56_1018
; %bb.1015:
	s_waitcnt vmcnt(0)
	v_mov_b32_e32 v4, 11
	v_cmp_eq_u16_sdwa s[56:57], v7, v4 src0_sel:BYTE_0 src1_sel:DWORD
	s_and_b64 vcc, exec, s[56:57]
	s_cbranch_vccz .LBB56_1017
; %bb.1016:
	global_load_ubyte v4, v[2:3], off
	s_mov_b64 s[0:1], -1
	s_mov_b64 s[56:57], 0
	s_waitcnt vmcnt(0)
	v_cmp_ne_u16_e32 vcc, 0, v4
	v_cndmask_b32_e64 v4, 0, 1.0, vcc
	v_lshrrev_b32_e32 v4, 16, v4
	s_branch .LBB56_1018
.LBB56_1017:
	s_mov_b64 s[56:57], -1
                                        ; implicit-def: $vgpr4
.LBB56_1018:
	s_mov_b64 s[58:59], 0
.LBB56_1019:
	s_and_b64 vcc, exec, s[58:59]
	s_cbranch_vccz .LBB56_1068
; %bb.1020:
	s_waitcnt vmcnt(0)
	v_mov_b32_e32 v4, 5
	v_cmp_lt_i16_sdwa s[0:1], v7, v4 src0_sel:BYTE_0 src1_sel:DWORD
	s_and_b64 vcc, exec, s[0:1]
	s_cbranch_vccnz .LBB56_1025
; %bb.1021:
	v_mov_b32_e32 v4, 8
	v_cmp_lt_i16_sdwa s[0:1], v7, v4 src0_sel:BYTE_0 src1_sel:DWORD
	s_and_b64 vcc, exec, s[0:1]
	s_cbranch_vccnz .LBB56_1026
; %bb.1022:
	;; [unrolled: 5-line block ×3, first 2 shown]
	v_cmp_gt_i16_sdwa s[0:1], v7, v4 src0_sel:BYTE_0 src1_sel:DWORD
	s_and_b64 vcc, exec, s[0:1]
	s_cbranch_vccz .LBB56_1028
; %bb.1024:
	global_load_dwordx2 v[4:5], v[2:3], off
	s_movk_i32 s0, 0x7fff
	v_mov_b32_e32 v10, 0x7fc0
	s_waitcnt vmcnt(0)
	v_cvt_f32_f64_e32 v4, v[4:5]
	v_bfe_u32 v5, v4, 16, 1
	v_add3_u32 v5, v4, v5, s0
	v_lshrrev_b32_e32 v5, 16, v5
	v_cmp_o_f32_e32 vcc, v4, v4
	v_cndmask_b32_e32 v4, v10, v5, vcc
	s_mov_b64 s[0:1], 0
	s_branch .LBB56_1029
.LBB56_1025:
	s_mov_b64 s[0:1], -1
                                        ; implicit-def: $vgpr4
	s_branch .LBB56_1047
.LBB56_1026:
	s_mov_b64 s[0:1], -1
                                        ; implicit-def: $vgpr4
	s_branch .LBB56_1035
.LBB56_1027:
	s_mov_b64 s[0:1], -1
                                        ; implicit-def: $vgpr4
	s_branch .LBB56_1032
.LBB56_1028:
	s_mov_b64 s[0:1], -1
                                        ; implicit-def: $vgpr4
.LBB56_1029:
	s_andn2_b64 vcc, exec, s[0:1]
	s_cbranch_vccnz .LBB56_1031
; %bb.1030:
	global_load_dword v4, v[2:3], off
	s_movk_i32 s0, 0x7fff
	v_mov_b32_e32 v5, 0x7fc0
	s_waitcnt vmcnt(0)
	v_bfe_u32 v10, v4, 16, 1
	v_add3_u32 v10, v4, v10, s0
	v_lshrrev_b32_e32 v10, 16, v10
	v_cmp_o_f32_e32 vcc, v4, v4
	v_cndmask_b32_e32 v4, v5, v10, vcc
.LBB56_1031:
	s_mov_b64 s[0:1], 0
.LBB56_1032:
	s_andn2_b64 vcc, exec, s[0:1]
	s_cbranch_vccnz .LBB56_1034
; %bb.1033:
	global_load_dword v4, v[2:3], off
	s_movk_i32 s0, 0x7fff
	v_mov_b32_e32 v10, 0x7fc0
	s_waitcnt vmcnt(0)
	v_cvt_f32_f16_e32 v5, v4
	v_cmp_o_f16_e32 vcc, v4, v4
	v_bfe_u32 v11, v5, 16, 1
	v_add3_u32 v5, v5, v11, s0
	v_lshrrev_b32_e32 v5, 16, v5
	v_cndmask_b32_e32 v4, v10, v5, vcc
.LBB56_1034:
	s_mov_b64 s[0:1], 0
.LBB56_1035:
	s_andn2_b64 vcc, exec, s[0:1]
	s_cbranch_vccnz .LBB56_1046
; %bb.1036:
	v_mov_b32_e32 v4, 6
	v_cmp_lt_i16_sdwa s[0:1], v7, v4 src0_sel:BYTE_0 src1_sel:DWORD
	s_and_b64 vcc, exec, s[0:1]
	s_cbranch_vccnz .LBB56_1039
; %bb.1037:
	v_cmp_gt_i16_sdwa s[0:1], v7, v4 src0_sel:BYTE_0 src1_sel:DWORD
	s_and_b64 vcc, exec, s[0:1]
	s_cbranch_vccz .LBB56_1040
; %bb.1038:
	global_load_dwordx2 v[4:5], v[2:3], off
	s_movk_i32 s0, 0x7fff
	v_mov_b32_e32 v10, 0x7fc0
	s_waitcnt vmcnt(0)
	v_cvt_f32_f64_e32 v4, v[4:5]
	v_bfe_u32 v5, v4, 16, 1
	v_add3_u32 v5, v4, v5, s0
	v_lshrrev_b32_e32 v5, 16, v5
	v_cmp_o_f32_e32 vcc, v4, v4
	v_cndmask_b32_e32 v4, v10, v5, vcc
	s_mov_b64 s[0:1], 0
	s_branch .LBB56_1041
.LBB56_1039:
	s_mov_b64 s[0:1], -1
                                        ; implicit-def: $vgpr4
	s_branch .LBB56_1044
.LBB56_1040:
	s_mov_b64 s[0:1], -1
                                        ; implicit-def: $vgpr4
.LBB56_1041:
	s_andn2_b64 vcc, exec, s[0:1]
	s_cbranch_vccnz .LBB56_1043
; %bb.1042:
	global_load_dword v4, v[2:3], off
	s_movk_i32 s0, 0x7fff
	v_mov_b32_e32 v5, 0x7fc0
	s_waitcnt vmcnt(0)
	v_bfe_u32 v10, v4, 16, 1
	v_add3_u32 v10, v4, v10, s0
	v_lshrrev_b32_e32 v10, 16, v10
	v_cmp_o_f32_e32 vcc, v4, v4
	v_cndmask_b32_e32 v4, v5, v10, vcc
.LBB56_1043:
	s_mov_b64 s[0:1], 0
.LBB56_1044:
	s_andn2_b64 vcc, exec, s[0:1]
	s_cbranch_vccnz .LBB56_1046
; %bb.1045:
	global_load_ushort v4, v[2:3], off
	s_movk_i32 s0, 0x7fff
	v_mov_b32_e32 v10, 0x7fc0
	s_waitcnt vmcnt(0)
	v_cvt_f32_f16_e32 v5, v4
	v_cmp_o_f16_e32 vcc, v4, v4
	v_bfe_u32 v11, v5, 16, 1
	v_add3_u32 v5, v5, v11, s0
	v_lshrrev_b32_e32 v5, 16, v5
	v_cndmask_b32_e32 v4, v10, v5, vcc
.LBB56_1046:
	s_mov_b64 s[0:1], 0
.LBB56_1047:
	s_andn2_b64 vcc, exec, s[0:1]
	s_cbranch_vccnz .LBB56_1067
; %bb.1048:
	v_mov_b32_e32 v4, 2
	v_cmp_lt_i16_sdwa s[0:1], v7, v4 src0_sel:BYTE_0 src1_sel:DWORD
	s_and_b64 vcc, exec, s[0:1]
	s_cbranch_vccnz .LBB56_1052
; %bb.1049:
	v_mov_b32_e32 v4, 3
	v_cmp_lt_i16_sdwa s[0:1], v7, v4 src0_sel:BYTE_0 src1_sel:DWORD
	s_and_b64 vcc, exec, s[0:1]
	s_cbranch_vccnz .LBB56_1053
; %bb.1050:
	v_cmp_gt_i16_sdwa s[0:1], v7, v4 src0_sel:BYTE_0 src1_sel:DWORD
	s_and_b64 vcc, exec, s[0:1]
	s_cbranch_vccz .LBB56_1054
; %bb.1051:
	global_load_dwordx2 v[4:5], v[2:3], off
	s_movk_i32 s0, 0x7fff
	s_waitcnt vmcnt(0)
	v_xor_b32_e32 v11, v4, v5
	v_ffbh_i32_e32 v10, v5
	v_ashrrev_i32_e32 v11, 31, v11
	v_add_u32_e32 v10, -1, v10
	v_add_u32_e32 v11, 32, v11
	v_min_u32_e32 v10, v10, v11
	v_lshlrev_b64 v[4:5], v10, v[4:5]
	v_min_u32_e32 v4, 1, v4
	v_or_b32_e32 v4, v5, v4
	v_cvt_f32_i32_e32 v4, v4
	v_sub_u32_e32 v5, 32, v10
	v_ldexp_f32 v4, v4, v5
	v_bfe_u32 v5, v4, 16, 1
	v_add3_u32 v4, v4, v5, s0
	v_lshrrev_b32_e32 v4, 16, v4
	s_mov_b64 s[0:1], 0
	s_branch .LBB56_1055
.LBB56_1052:
	s_mov_b64 s[0:1], -1
                                        ; implicit-def: $vgpr4
	s_branch .LBB56_1061
.LBB56_1053:
	s_mov_b64 s[0:1], -1
                                        ; implicit-def: $vgpr4
	s_branch .LBB56_1058
.LBB56_1054:
	s_mov_b64 s[0:1], -1
                                        ; implicit-def: $vgpr4
.LBB56_1055:
	s_andn2_b64 vcc, exec, s[0:1]
	s_cbranch_vccnz .LBB56_1057
; %bb.1056:
	global_load_dword v4, v[2:3], off
	s_movk_i32 s0, 0x7fff
	s_waitcnt vmcnt(0)
	v_cvt_f32_i32_e32 v4, v4
	v_bfe_u32 v5, v4, 16, 1
	v_add3_u32 v4, v4, v5, s0
	v_lshrrev_b32_e32 v4, 16, v4
.LBB56_1057:
	s_mov_b64 s[0:1], 0
.LBB56_1058:
	s_andn2_b64 vcc, exec, s[0:1]
	s_cbranch_vccnz .LBB56_1060
; %bb.1059:
	global_load_sshort v4, v[2:3], off
	s_movk_i32 s0, 0x7fff
	s_waitcnt vmcnt(0)
	v_cvt_f32_i32_e32 v4, v4
	v_bfe_u32 v5, v4, 16, 1
	v_add3_u32 v4, v4, v5, s0
	v_lshrrev_b32_e32 v4, 16, v4
.LBB56_1060:
	s_mov_b64 s[0:1], 0
.LBB56_1061:
	s_andn2_b64 vcc, exec, s[0:1]
	s_cbranch_vccnz .LBB56_1067
; %bb.1062:
	v_mov_b32_e32 v4, 0
	v_cmp_gt_i16_sdwa s[0:1], v7, v4 src0_sel:BYTE_0 src1_sel:DWORD
	s_and_b64 vcc, exec, s[0:1]
	s_cbranch_vccz .LBB56_1064
; %bb.1063:
	global_load_sbyte v4, v[2:3], off
	s_movk_i32 s0, 0x7fff
	s_waitcnt vmcnt(0)
	v_cvt_f32_i32_e32 v4, v4
	v_bfe_u32 v5, v4, 16, 1
	v_add3_u32 v4, v4, v5, s0
	v_lshrrev_b32_e32 v4, 16, v4
	s_mov_b64 s[0:1], 0
	s_branch .LBB56_1065
.LBB56_1064:
	s_mov_b64 s[0:1], -1
                                        ; implicit-def: $vgpr4
.LBB56_1065:
	s_andn2_b64 vcc, exec, s[0:1]
	s_cbranch_vccnz .LBB56_1067
; %bb.1066:
	global_load_ubyte v2, v[2:3], off
	s_movk_i32 s0, 0x7fff
	s_waitcnt vmcnt(0)
	v_cvt_f32_ubyte0_e32 v2, v2
	v_bfe_u32 v3, v2, 16, 1
	v_add3_u32 v2, v2, v3, s0
	v_lshrrev_b32_e32 v4, 16, v2
.LBB56_1067:
	s_mov_b64 s[0:1], -1
.LBB56_1068:
	s_andn2_b64 vcc, exec, s[0:1]
	s_cbranch_vccnz .LBB56_1076
; %bb.1069:
	s_waitcnt vmcnt(0)
	v_lshlrev_b32_e32 v1, 16, v1
	v_lshlrev_b32_e32 v2, 16, v4
	v_div_scale_f32 v3, s[0:1], v2, v2, v1
	v_rcp_f32_e32 v4, v3
	s_movk_i32 s0, 0x7fff
	v_fma_f32 v5, -v3, v4, 1.0
	v_fmac_f32_e32 v4, v5, v4
	v_div_scale_f32 v5, vcc, v1, v2, v1
	v_mul_f32_e32 v10, v5, v4
	v_fma_f32 v11, -v3, v10, v5
	v_fmac_f32_e32 v10, v11, v4
	v_fma_f32 v3, -v3, v10, v5
	v_div_fmas_f32 v3, v3, v4, v10
	v_div_fixup_f32 v1, v3, v2, v1
	v_bfe_u32 v2, v1, 16, 1
	v_add3_u32 v2, v1, v2, s0
	v_lshrrev_b32_e32 v2, 16, v2
	v_mov_b32_e32 v3, 0x7fc0
	v_cmp_o_f32_e32 vcc, v1, v1
	v_cndmask_b32_e32 v1, v3, v2, vcc
	v_lshlrev_b32_e32 v2, 16, v1
	s_mov_b32 s0, 0x800000
	v_mov_b32_e32 v3, 0x80
	v_cmp_ngt_f32_e32 vcc, s0, v2
	v_cndmask_b32_e32 v1, v3, v1, vcc
	v_lshlrev_b32_e32 v2, 16, v1
	s_mov_b32 s0, 0x3f7e0000
	v_mov_b32_e32 v3, 0x3f7e
	v_cmp_nlt_f32_e32 vcc, s0, v2
	v_cndmask_b32_e32 v2, v3, v1, vcc
	v_mov_b32_e32 v1, s9
	v_add_co_u32_e32 v0, vcc, s8, v0
	v_mov_b32_e32 v3, 11
	v_addc_co_u32_e32 v1, vcc, 0, v1, vcc
	v_cmp_lt_i16_sdwa s[0:1], v6, v3 src0_sel:BYTE_0 src1_sel:DWORD
	s_and_b64 vcc, exec, s[0:1]
	s_cbranch_vccnz .LBB56_1077
; %bb.1070:
	v_mov_b32_e32 v3, 25
	v_cmp_gt_i16_sdwa s[0:1], v6, v3 src0_sel:BYTE_0 src1_sel:DWORD
	s_and_b64 vcc, exec, s[0:1]
	s_cbranch_vccz .LBB56_1078
; %bb.1071:
	v_mov_b32_e32 v3, 28
	v_cmp_gt_i16_sdwa s[0:1], v6, v3 src0_sel:BYTE_0 src1_sel:DWORD
	s_and_b64 vcc, exec, s[0:1]
	s_cbranch_vccz .LBB56_1079
	;; [unrolled: 5-line block ×4, first 2 shown]
; %bb.1074:
	v_mov_b32_e32 v3, 46
	v_cmp_eq_u16_sdwa s[58:59], v6, v3 src0_sel:BYTE_0 src1_sel:DWORD
	s_mov_b64 s[60:61], 0
	s_mov_b64 s[0:1], -1
	s_and_b64 vcc, exec, s[58:59]
	s_mov_b64 s[58:59], 0
	s_cbranch_vccz .LBB56_1082
; %bb.1075:
	v_and_b32_e32 v3, 0xffff, v2
	global_store_dword v[0:1], v3, off
	s_mov_b64 s[58:59], -1
	s_mov_b64 s[0:1], 0
	s_branch .LBB56_1082
.LBB56_1076:
	s_mov_b64 s[60:61], 0
                                        ; implicit-def: $vgpr8
	s_mov_b64 s[0:1], s[48:49]
	s_branch .LBB56_1192
.LBB56_1077:
	s_mov_b64 s[60:61], -1
	s_mov_b64 s[58:59], 0
	s_mov_b64 s[0:1], s[48:49]
	s_branch .LBB56_1151
.LBB56_1078:
	s_mov_b64 s[60:61], -1
	s_mov_b64 s[58:59], 0
	s_mov_b64 s[0:1], s[48:49]
	s_branch .LBB56_1109
.LBB56_1079:
	s_mov_b64 s[60:61], -1
	s_mov_b64 s[58:59], 0
	s_mov_b64 s[0:1], s[48:49]
	s_branch .LBB56_1092
.LBB56_1080:
	s_mov_b64 s[60:61], -1
	s_mov_b64 s[58:59], 0
	s_mov_b64 s[0:1], s[48:49]
	s_branch .LBB56_1088
.LBB56_1081:
	s_mov_b64 s[60:61], -1
	s_mov_b64 s[58:59], 0
	s_mov_b64 s[0:1], s[48:49]
.LBB56_1082:
	s_and_b64 vcc, exec, s[60:61]
	s_cbranch_vccz .LBB56_1087
; %bb.1083:
	v_mov_b32_e32 v3, 44
	v_cmp_eq_u16_sdwa s[60:61], v6, v3 src0_sel:BYTE_0 src1_sel:DWORD
	s_mov_b64 s[0:1], -1
	s_and_b64 vcc, exec, s[60:61]
	s_cbranch_vccz .LBB56_1087
; %bb.1084:
	v_and_b32_e32 v4, 0xffff, v2
	v_bfe_u32 v3, v4, 7, 8
	s_movk_i32 s0, 0xff
	v_cmp_ne_u32_e32 vcc, s0, v3
	v_mov_b32_e32 v5, 0xff
	s_and_saveexec_b64 s[58:59], vcc
; %bb.1085:
	v_lshlrev_b32_e32 v10, 16, v4
	s_mov_b32 s0, 0x3f0000
	v_lshrrev_b32_e32 v5, 7, v4
	v_and_b32_e32 v4, 64, v4
	v_and_or_b32 v3, v10, s0, v3
	v_cmp_ne_u32_e32 vcc, 0, v4
	v_cmp_ne_u32_e64 s[0:1], 0, v3
	s_and_b64 s[0:1], vcc, s[0:1]
	v_cndmask_b32_e64 v3, 0, 1, s[0:1]
	v_add_u32_e32 v5, v5, v3
; %bb.1086:
	s_or_b64 exec, exec, s[58:59]
	s_mov_b64 s[58:59], -1
	s_mov_b64 s[0:1], 0
	global_store_byte v[0:1], v5, off
.LBB56_1087:
	s_mov_b64 s[60:61], 0
.LBB56_1088:
	s_and_b64 vcc, exec, s[60:61]
	s_cbranch_vccz .LBB56_1091
; %bb.1089:
	v_mov_b32_e32 v3, 29
	v_cmp_eq_u16_sdwa s[60:61], v6, v3 src0_sel:BYTE_0 src1_sel:DWORD
	s_mov_b64 s[0:1], -1
	s_and_b64 vcc, exec, s[60:61]
	s_cbranch_vccz .LBB56_1091
; %bb.1090:
	v_lshlrev_b32_e32 v3, 16, v2
	v_trunc_f32_e32 v3, v3
	v_mul_f32_e32 v4, 0x2f800000, v3
	v_floor_f32_e32 v4, v4
	v_fmac_f32_e32 v3, 0xcf800000, v4
	v_cvt_u32_f32_e32 v5, v4
	v_cvt_u32_f32_e32 v4, v3
	s_mov_b64 s[58:59], -1
	s_mov_b64 s[0:1], 0
	s_mov_b64 s[60:61], 0
	global_store_dwordx2 v[0:1], v[4:5], off
	s_branch .LBB56_1092
.LBB56_1091:
	s_mov_b64 s[60:61], 0
.LBB56_1092:
	s_and_b64 vcc, exec, s[60:61]
	s_cbranch_vccz .LBB56_1108
; %bb.1093:
	v_mov_b32_e32 v3, 27
	v_cmp_lt_i16_sdwa s[60:61], v6, v3 src0_sel:BYTE_0 src1_sel:DWORD
	s_mov_b64 s[58:59], -1
	s_and_b64 vcc, exec, s[60:61]
	s_cbranch_vccnz .LBB56_1099
; %bb.1094:
	v_cmp_gt_i16_sdwa s[60:61], v6, v3 src0_sel:BYTE_0 src1_sel:DWORD
	s_and_b64 vcc, exec, s[60:61]
	s_cbranch_vccz .LBB56_1096
; %bb.1095:
	v_lshlrev_b32_e32 v3, 16, v2
	v_cvt_u32_f32_e32 v3, v3
	s_mov_b64 s[58:59], 0
	global_store_dword v[0:1], v3, off
.LBB56_1096:
	s_andn2_b64 vcc, exec, s[58:59]
	s_cbranch_vccnz .LBB56_1098
; %bb.1097:
	v_lshlrev_b32_e32 v3, 16, v2
	v_cvt_u32_f32_e32 v3, v3
	global_store_short v[0:1], v3, off
.LBB56_1098:
	s_mov_b64 s[58:59], 0
.LBB56_1099:
	s_andn2_b64 vcc, exec, s[58:59]
	s_cbranch_vccnz .LBB56_1107
; %bb.1100:
	v_lshlrev_b32_e32 v5, 16, v2
	v_and_b32_e32 v4, 0x7fffffff, v5
	s_mov_b32 s58, 0x43800000
	v_cmp_gt_u32_e32 vcc, s58, v4
	v_mov_b32_e32 v10, 0x80
	s_and_saveexec_b64 s[58:59], vcc
	s_cbranch_execz .LBB56_1106
; %bb.1101:
	s_mov_b32 s60, 0x3bffffff
	v_and_b32_e32 v3, 0xffff, v2
	v_cmp_lt_u32_e32 vcc, s60, v4
	s_mov_b64 s[60:61], 0
                                        ; implicit-def: $vgpr4
	s_and_saveexec_b64 s[62:63], vcc
	s_xor_b64 s[62:63], exec, s[62:63]
	s_cbranch_execz .LBB56_1219
; %bb.1102:
	v_bfe_u32 v4, v3, 4, 1
	s_mov_b32 s64, 0x487ffff
	v_add3_u32 v4, v5, v4, s64
	s_mov_b64 s[60:61], exec
	v_lshrrev_b32_e32 v4, 20, v4
                                        ; implicit-def: $vgpr5
	s_or_saveexec_b64 s[62:63], s[62:63]
                                        ; implicit-def: $sgpr64
	s_xor_b64 exec, exec, s[62:63]
	s_cbranch_execnz .LBB56_1220
.LBB56_1103:
	s_or_b64 exec, exec, s[62:63]
	v_mov_b32_e32 v10, s64
	s_and_saveexec_b64 s[62:63], s[60:61]
.LBB56_1104:
	v_lshrrev_b32_e32 v3, 8, v3
	s_movk_i32 s60, 0x80
	v_and_or_b32 v10, v3, s60, v4
.LBB56_1105:
	s_or_b64 exec, exec, s[62:63]
.LBB56_1106:
	s_or_b64 exec, exec, s[58:59]
	global_store_byte v[0:1], v10, off
.LBB56_1107:
	s_mov_b64 s[58:59], -1
.LBB56_1108:
	s_mov_b64 s[60:61], 0
.LBB56_1109:
	s_and_b64 vcc, exec, s[60:61]
	s_cbranch_vccz .LBB56_1150
; %bb.1110:
	v_mov_b32_e32 v3, 22
	v_cmp_gt_i16_sdwa s[62:63], v6, v3 src0_sel:BYTE_0 src1_sel:DWORD
	s_mov_b64 s[60:61], -1
	s_and_b64 vcc, exec, s[62:63]
	s_cbranch_vccz .LBB56_1142
; %bb.1111:
	v_mov_b32_e32 v3, 24
	v_cmp_lt_i16_sdwa s[60:61], v6, v3 src0_sel:BYTE_0 src1_sel:DWORD
	s_mov_b64 s[58:59], -1
	s_and_b64 vcc, exec, s[60:61]
	s_cbranch_vccnz .LBB56_1131
; %bb.1112:
	v_cmp_gt_i16_sdwa s[60:61], v6, v3 src0_sel:BYTE_0 src1_sel:DWORD
	s_and_b64 vcc, exec, s[60:61]
	s_cbranch_vccz .LBB56_1120
; %bb.1113:
	v_lshlrev_b32_e32 v5, 16, v2
	v_and_b32_e32 v4, 0x7fffffff, v5
	s_mov_b32 s58, 0x47800000
	v_cmp_gt_u32_e32 vcc, s58, v4
	v_mov_b32_e32 v10, 0x80
	s_and_saveexec_b64 s[58:59], vcc
	s_cbranch_execz .LBB56_1119
; %bb.1114:
	s_mov_b32 s60, 0x37ffffff
	v_and_b32_e32 v3, 0xffff, v2
	v_cmp_lt_u32_e32 vcc, s60, v4
	s_mov_b64 s[60:61], 0
                                        ; implicit-def: $vgpr4
	s_and_saveexec_b64 s[62:63], vcc
	s_xor_b64 s[62:63], exec, s[62:63]
	s_cbranch_execz .LBB56_2280
; %bb.1115:
	v_bfe_u32 v4, v3, 5, 1
	s_mov_b32 s64, 0x88fffff
	v_add3_u32 v4, v5, v4, s64
	s_mov_b64 s[60:61], exec
	v_lshrrev_b32_e32 v4, 21, v4
                                        ; implicit-def: $vgpr5
	s_or_saveexec_b64 s[62:63], s[62:63]
                                        ; implicit-def: $sgpr64
	s_xor_b64 exec, exec, s[62:63]
	s_cbranch_execnz .LBB56_2281
.LBB56_1116:
	s_or_b64 exec, exec, s[62:63]
	v_mov_b32_e32 v10, s64
	s_and_saveexec_b64 s[62:63], s[60:61]
.LBB56_1117:
	v_lshrrev_b32_e32 v3, 8, v3
	s_movk_i32 s60, 0x80
	v_and_or_b32 v10, v3, s60, v4
.LBB56_1118:
	s_or_b64 exec, exec, s[62:63]
.LBB56_1119:
	s_or_b64 exec, exec, s[58:59]
	s_mov_b64 s[58:59], 0
	global_store_byte v[0:1], v10, off
.LBB56_1120:
	s_and_b64 vcc, exec, s[58:59]
	s_cbranch_vccz .LBB56_1130
; %bb.1121:
	v_lshlrev_b32_e32 v5, 16, v2
	v_and_b32_e32 v10, 0x7fffffff, v5
	s_mov_b32 s58, 0x43f00000
	v_and_b32_e32 v3, 0xffff, v2
	v_cmp_gt_u32_e32 vcc, s58, v10
                                        ; implicit-def: $vgpr4
	s_and_saveexec_b64 s[58:59], vcc
	s_xor_b64 s[58:59], exec, s[58:59]
	s_cbranch_execz .LBB56_1127
; %bb.1122:
	s_mov_b32 s60, 0x3c7fffff
	v_cmp_lt_u32_e32 vcc, s60, v10
                                        ; implicit-def: $vgpr4
	s_and_saveexec_b64 s[60:61], vcc
	s_xor_b64 s[60:61], exec, s[60:61]
; %bb.1123:
	v_bfe_u32 v4, v3, 4, 1
	s_mov_b32 s62, 0x407ffff
	v_add3_u32 v4, v5, v4, s62
	v_lshrrev_b32_e32 v5, 20, v4
	v_and_b32_e32 v4, 0xff00000, v4
	s_mov_b32 s62, 0x7f00000
	v_mov_b32_e32 v10, 0x7e
	v_cmp_ne_u32_e32 vcc, s62, v4
	v_cndmask_b32_e32 v4, v10, v5, vcc
                                        ; implicit-def: $vgpr5
; %bb.1124:
	s_andn2_saveexec_b64 s[60:61], s[60:61]
; %bb.1125:
	s_mov_b32 s62, 0x46800000
	v_add_f32_e64 v4, |v5|, s62
; %bb.1126:
	s_or_b64 exec, exec, s[60:61]
                                        ; implicit-def: $vgpr10
.LBB56_1127:
	s_andn2_saveexec_b64 s[58:59], s[58:59]
; %bb.1128:
	s_mov_b32 s60, 0x7f800000
	v_mov_b32_e32 v4, 0x7e
	v_mov_b32_e32 v5, 0x7f
	v_cmp_lt_u32_e32 vcc, s60, v10
	v_cndmask_b32_e32 v4, v4, v5, vcc
; %bb.1129:
	s_or_b64 exec, exec, s[58:59]
	v_lshrrev_b32_e32 v3, 8, v3
	s_movk_i32 s58, 0x80
	v_and_or_b32 v3, v3, s58, v4
	global_store_byte v[0:1], v3, off
.LBB56_1130:
	s_mov_b64 s[58:59], 0
.LBB56_1131:
	s_andn2_b64 vcc, exec, s[58:59]
	s_cbranch_vccnz .LBB56_1141
; %bb.1132:
	v_lshlrev_b32_e32 v5, 16, v2
	v_and_b32_e32 v10, 0x7fffffff, v5
	s_mov_b32 s58, 0x47800000
	v_and_b32_e32 v3, 0xffff, v2
	v_cmp_gt_u32_e32 vcc, s58, v10
                                        ; implicit-def: $vgpr4
	s_and_saveexec_b64 s[58:59], vcc
	s_xor_b64 s[58:59], exec, s[58:59]
	s_cbranch_execz .LBB56_1138
; %bb.1133:
	s_mov_b32 s60, 0x387fffff
	v_cmp_lt_u32_e32 vcc, s60, v10
                                        ; implicit-def: $vgpr4
	s_and_saveexec_b64 s[60:61], vcc
	s_xor_b64 s[60:61], exec, s[60:61]
; %bb.1134:
	v_bfe_u32 v4, v3, 5, 1
	s_mov_b32 s62, 0x80fffff
	v_add3_u32 v4, v5, v4, s62
	v_lshrrev_b32_e32 v4, 21, v4
                                        ; implicit-def: $vgpr5
; %bb.1135:
	s_andn2_saveexec_b64 s[60:61], s[60:61]
; %bb.1136:
	s_mov_b32 s62, 0x43000000
	v_add_f32_e64 v4, |v5|, s62
; %bb.1137:
	s_or_b64 exec, exec, s[60:61]
                                        ; implicit-def: $vgpr10
.LBB56_1138:
	s_andn2_saveexec_b64 s[58:59], s[58:59]
; %bb.1139:
	s_mov_b32 s60, 0x7f800000
	v_mov_b32_e32 v4, 0x7c
	v_mov_b32_e32 v5, 0x7f
	v_cmp_lt_u32_e32 vcc, s60, v10
	v_cndmask_b32_e32 v4, v4, v5, vcc
; %bb.1140:
	s_or_b64 exec, exec, s[58:59]
	v_lshrrev_b32_e32 v3, 8, v3
	s_movk_i32 s58, 0x80
	v_and_or_b32 v3, v3, s58, v4
	global_store_byte v[0:1], v3, off
.LBB56_1141:
	s_mov_b64 s[60:61], 0
	s_mov_b64 s[58:59], -1
.LBB56_1142:
	s_andn2_b64 vcc, exec, s[60:61]
	s_cbranch_vccnz .LBB56_1150
; %bb.1143:
	v_mov_b32_e32 v3, 14
	v_cmp_gt_i16_sdwa s[62:63], v6, v3 src0_sel:BYTE_0 src1_sel:DWORD
	s_mov_b64 s[60:61], -1
	s_and_b64 vcc, exec, s[62:63]
	s_cbranch_vccz .LBB56_1147
; %bb.1144:
	v_mov_b32_e32 v3, 15
	v_cmp_eq_u16_sdwa s[60:61], v6, v3 src0_sel:BYTE_0 src1_sel:DWORD
	s_mov_b64 s[0:1], -1
	s_and_b64 vcc, exec, s[60:61]
	s_cbranch_vccz .LBB56_1146
; %bb.1145:
	global_store_short v[0:1], v2, off
	s_mov_b64 s[58:59], -1
	s_mov_b64 s[0:1], 0
.LBB56_1146:
	s_mov_b64 s[60:61], 0
.LBB56_1147:
	s_and_b64 vcc, exec, s[60:61]
	s_cbranch_vccz .LBB56_1150
; %bb.1148:
	v_mov_b32_e32 v3, 11
	v_cmp_eq_u16_sdwa s[60:61], v6, v3 src0_sel:BYTE_0 src1_sel:DWORD
	s_mov_b64 s[0:1], -1
	s_and_b64 vcc, exec, s[60:61]
	s_cbranch_vccz .LBB56_1150
; %bb.1149:
	v_and_b32_e32 v3, 0x7fff, v2
	v_cmp_ne_u16_e32 vcc, 0, v3
	v_cndmask_b32_e64 v3, 0, 1, vcc
	s_mov_b64 s[58:59], -1
	s_mov_b64 s[0:1], 0
	global_store_byte v[0:1], v3, off
.LBB56_1150:
	s_mov_b64 s[60:61], 0
.LBB56_1151:
	s_and_b64 vcc, exec, s[60:61]
	s_cbranch_vccz .LBB56_1190
; %bb.1152:
	v_mov_b32_e32 v3, 5
	v_cmp_lt_i16_sdwa s[60:61], v6, v3 src0_sel:BYTE_0 src1_sel:DWORD
	s_mov_b64 s[58:59], -1
	s_and_b64 vcc, exec, s[60:61]
	s_cbranch_vccnz .LBB56_1173
; %bb.1153:
	v_mov_b32_e32 v3, 8
	v_cmp_lt_i16_sdwa s[60:61], v6, v3 src0_sel:BYTE_0 src1_sel:DWORD
	s_and_b64 vcc, exec, s[60:61]
	s_cbranch_vccnz .LBB56_1163
; %bb.1154:
	v_mov_b32_e32 v3, 9
	v_cmp_lt_i16_sdwa s[60:61], v6, v3 src0_sel:BYTE_0 src1_sel:DWORD
	s_and_b64 vcc, exec, s[60:61]
	s_cbranch_vccnz .LBB56_1160
; %bb.1155:
	v_cmp_gt_i16_sdwa s[60:61], v6, v3 src0_sel:BYTE_0 src1_sel:DWORD
	s_and_b64 vcc, exec, s[60:61]
	s_cbranch_vccz .LBB56_1157
; %bb.1156:
	v_lshlrev_b32_e32 v3, 16, v2
	v_mov_b32_e32 v12, 0
	v_cvt_f64_f32_e32 v[10:11], v3
	v_mov_b32_e32 v13, v12
	s_mov_b64 s[58:59], 0
	global_store_dwordx4 v[0:1], v[10:13], off
.LBB56_1157:
	s_andn2_b64 vcc, exec, s[58:59]
	s_cbranch_vccnz .LBB56_1159
; %bb.1158:
	v_lshlrev_b32_e32 v4, 16, v2
	v_mov_b32_e32 v5, 0
	global_store_dwordx2 v[0:1], v[4:5], off
.LBB56_1159:
	s_mov_b64 s[58:59], 0
.LBB56_1160:
	s_andn2_b64 vcc, exec, s[58:59]
	s_cbranch_vccnz .LBB56_1162
; %bb.1161:
	v_lshlrev_b32_e32 v3, 16, v2
	v_cvt_f16_f32_e32 v3, v3
	global_store_dword v[0:1], v3, off
.LBB56_1162:
	s_mov_b64 s[58:59], 0
.LBB56_1163:
	s_andn2_b64 vcc, exec, s[58:59]
	s_cbranch_vccnz .LBB56_1172
; %bb.1164:
	v_mov_b32_e32 v3, 6
	v_cmp_lt_i16_sdwa s[60:61], v6, v3 src0_sel:BYTE_0 src1_sel:DWORD
	s_mov_b64 s[58:59], -1
	s_and_b64 vcc, exec, s[60:61]
	s_cbranch_vccnz .LBB56_1170
; %bb.1165:
	v_cmp_gt_i16_sdwa s[60:61], v6, v3 src0_sel:BYTE_0 src1_sel:DWORD
	s_and_b64 vcc, exec, s[60:61]
	s_cbranch_vccz .LBB56_1167
; %bb.1166:
	v_lshlrev_b32_e32 v3, 16, v2
	v_cvt_f64_f32_e32 v[4:5], v3
	s_mov_b64 s[58:59], 0
	global_store_dwordx2 v[0:1], v[4:5], off
.LBB56_1167:
	s_andn2_b64 vcc, exec, s[58:59]
	s_cbranch_vccnz .LBB56_1169
; %bb.1168:
	v_lshlrev_b32_e32 v3, 16, v2
	global_store_dword v[0:1], v3, off
.LBB56_1169:
	s_mov_b64 s[58:59], 0
.LBB56_1170:
	s_andn2_b64 vcc, exec, s[58:59]
	s_cbranch_vccnz .LBB56_1172
; %bb.1171:
	v_lshlrev_b32_e32 v3, 16, v2
	v_cvt_f16_f32_e32 v3, v3
	global_store_short v[0:1], v3, off
.LBB56_1172:
	s_mov_b64 s[58:59], 0
.LBB56_1173:
	s_andn2_b64 vcc, exec, s[58:59]
	s_cbranch_vccnz .LBB56_1189
; %bb.1174:
	v_mov_b32_e32 v3, 2
	v_cmp_lt_i16_sdwa s[60:61], v6, v3 src0_sel:BYTE_0 src1_sel:DWORD
	s_mov_b64 s[58:59], -1
	s_and_b64 vcc, exec, s[60:61]
	s_cbranch_vccnz .LBB56_1184
; %bb.1175:
	v_mov_b32_e32 v3, 3
	v_cmp_lt_i16_sdwa s[60:61], v6, v3 src0_sel:BYTE_0 src1_sel:DWORD
	s_and_b64 vcc, exec, s[60:61]
	s_cbranch_vccnz .LBB56_1181
; %bb.1176:
	v_cmp_gt_i16_sdwa s[60:61], v6, v3 src0_sel:BYTE_0 src1_sel:DWORD
	s_and_b64 vcc, exec, s[60:61]
	s_cbranch_vccz .LBB56_1178
; %bb.1177:
	v_lshlrev_b32_e32 v3, 16, v2
	v_trunc_f32_e32 v3, v3
	s_mov_b32 s58, 0x2f800000
	v_mul_f32_e64 v4, |v3|, s58
	v_floor_f32_e32 v4, v4
	s_mov_b32 s58, 0xcf800000
	v_cvt_u32_f32_e32 v5, v4
	v_fma_f32 v4, v4, s58, |v3|
	v_cvt_u32_f32_e32 v4, v4
	v_ashrrev_i32_e32 v3, 31, v3
	v_xor_b32_e32 v5, v5, v3
	s_mov_b64 s[58:59], 0
	v_xor_b32_e32 v4, v4, v3
	v_sub_co_u32_e32 v4, vcc, v4, v3
	v_subb_co_u32_e32 v5, vcc, v5, v3, vcc
	global_store_dwordx2 v[0:1], v[4:5], off
.LBB56_1178:
	s_andn2_b64 vcc, exec, s[58:59]
	s_cbranch_vccnz .LBB56_1180
; %bb.1179:
	v_lshlrev_b32_e32 v3, 16, v2
	v_cvt_i32_f32_e32 v3, v3
	global_store_dword v[0:1], v3, off
.LBB56_1180:
	s_mov_b64 s[58:59], 0
.LBB56_1181:
	s_andn2_b64 vcc, exec, s[58:59]
	s_cbranch_vccnz .LBB56_1183
; %bb.1182:
	v_lshlrev_b32_e32 v3, 16, v2
	v_cvt_i32_f32_e32 v3, v3
	global_store_short v[0:1], v3, off
.LBB56_1183:
	s_mov_b64 s[58:59], 0
.LBB56_1184:
	s_andn2_b64 vcc, exec, s[58:59]
	s_cbranch_vccnz .LBB56_1189
; %bb.1185:
	v_mov_b32_e32 v3, 0
	v_cmp_gt_i16_sdwa s[60:61], v6, v3 src0_sel:BYTE_0 src1_sel:DWORD
	s_mov_b64 s[58:59], -1
	s_and_b64 vcc, exec, s[60:61]
	v_lshlrev_b32_e32 v2, 16, v2
	s_cbranch_vccz .LBB56_1187
; %bb.1186:
	v_cvt_i32_f32_e32 v3, v2
	s_mov_b64 s[58:59], 0
	global_store_byte v[0:1], v3, off
.LBB56_1187:
	s_andn2_b64 vcc, exec, s[58:59]
	s_cbranch_vccnz .LBB56_1189
; %bb.1188:
	v_trunc_f32_e32 v2, v2
	s_mov_b32 s58, 0x2f800000
	v_mul_f32_e64 v3, |v2|, s58
	v_floor_f32_e32 v3, v3
	s_mov_b32 s58, 0xcf800000
	v_fma_f32 v3, v3, s58, |v2|
	v_cvt_u32_f32_e32 v3, v3
	v_ashrrev_i32_e32 v2, 31, v2
	v_xor_b32_e32 v3, v3, v2
	v_sub_u32_e32 v2, v3, v2
	global_store_byte v[0:1], v2, off
.LBB56_1189:
	s_mov_b64 s[58:59], -1
.LBB56_1190:
	s_andn2_b64 vcc, exec, s[58:59]
	s_cbranch_vccnz .LBB56_1214
; %bb.1191:
	v_add_u32_e32 v8, 0x80, v8
	s_mov_b64 s[60:61], -1
.LBB56_1192:
	s_andn2_b64 s[58:59], s[48:49], exec
	s_and_b64 s[0:1], s[0:1], exec
	s_or_b64 s[58:59], s[58:59], s[0:1]
	s_andn2_b64 s[0:1], s[46:47], exec
	s_and_b64 s[56:57], s[56:57], exec
	s_or_b64 s[56:57], s[0:1], s[56:57]
	;; [unrolled: 3-line block ×3, first 2 shown]
	s_orn2_b64 s[64:65], s[60:61], exec
.LBB56_1193:
	s_or_b64 exec, exec, s[52:53]
	s_mov_b64 s[60:61], 0
	s_mov_b64 s[54:55], 0
	;; [unrolled: 1-line block ×3, first 2 shown]
                                        ; implicit-def: $vgpr3
                                        ; implicit-def: $vgpr4_vgpr5
                                        ; implicit-def: $vgpr2
                                        ; implicit-def: $vgpr0
                                        ; implicit-def: $vgpr1
	s_and_saveexec_b64 s[52:53], s[64:65]
	s_cbranch_execz .LBB56_1287
; %bb.1194:
	v_cmp_gt_i32_e32 vcc, s66, v8
	s_mov_b64 s[64:65], s[0:1]
	s_mov_b64 s[66:67], 0
                                        ; implicit-def: $vgpr3
                                        ; implicit-def: $vgpr4_vgpr5
                                        ; implicit-def: $vgpr2
                                        ; implicit-def: $vgpr0
                                        ; implicit-def: $vgpr1
	s_and_saveexec_b64 s[54:55], vcc
	s_cbranch_execz .LBB56_1286
; %bb.1195:
	s_andn2_b64 vcc, exec, s[20:21]
	s_cbranch_vccnz .LBB56_1202
; %bb.1196:
	s_andn2_b64 vcc, exec, s[34:35]
	v_mov_b32_e32 v2, 0
	s_waitcnt vmcnt(0)
	v_mov_b32_e32 v4, 0
	v_mov_b32_e32 v0, 0
	s_cbranch_vccnz .LBB56_1201
; %bb.1197:
	s_add_i32 s34, s69, 1
	s_and_b32 s60, s34, 30
	s_add_u32 s34, s2, 0xffffffec
	s_addc_u32 s35, s3, -1
	v_mov_b32_e32 v0, 0
	v_mov_b32_e32 v1, v8
	;; [unrolled: 1-line block ×4, first 2 shown]
.LBB56_1198:                            ; =>This Inner Loop Header: Depth=1
	s_mov_b64 s[62:63], s[34:35]
	s_load_dwordx4 s[64:67], s[62:63], 0x18
	s_load_dwordx2 s[70:71], s[62:63], 0x28
	s_load_dwordx2 s[76:77], s[62:63], 0xe8
	s_load_dwordx4 s[72:75], s[62:63], 0xd8
	s_add_u32 s34, s62, 24
	s_waitcnt lgkmcnt(0)
	v_mul_hi_u32 v3, s65, v1
	v_add_u32_e32 v3, v1, v3
	v_lshrrev_b32_e32 v3, s66, v3
	v_mul_lo_u32 v5, v3, s64
	v_mul_hi_u32 v10, s70, v3
	v_sub_u32_e32 v1, v1, v5
	v_add_u32_e32 v5, v3, v10
	v_mul_lo_u32 v10, v1, s72
	v_mul_lo_u32 v11, v1, s73
	;; [unrolled: 1-line block ×3, first 2 shown]
	v_lshrrev_b32_e32 v1, s71, v5
	v_mul_lo_u32 v5, v1, s67
	v_sub_u32_e32 v3, v3, v5
	s_addc_u32 s35, s63, 0
	s_add_i32 s60, s60, -2
	v_mul_lo_u32 v5, v3, s75
	v_mul_lo_u32 v13, v3, s76
	;; [unrolled: 1-line block ×3, first 2 shown]
	s_cmp_eq_u32 s60, 0
	v_add3_u32 v0, v10, v0, v5
	v_add3_u32 v2, v12, v2, v3
	;; [unrolled: 1-line block ×3, first 2 shown]
	s_cbranch_scc0 .LBB56_1198
; %bb.1199:
	s_bitcmp1_b32 s69, 0
	s_cselect_b64 s[60:61], -1, 0
	s_and_b64 vcc, exec, s[60:61]
	s_cbranch_vccnz .LBB56_1201
; %bb.1200:
	s_load_dwordx2 s[60:61], s[34:35], 0x18
	s_load_dword s62, s[34:35], 0x20
	s_load_dword s63, s[34:35], 0xe0
	s_nop 0
	s_load_dwordx2 s[34:35], s[34:35], 0xd8
	s_waitcnt lgkmcnt(0)
	v_mul_hi_u32 v3, s61, v1
	v_add_u32_e32 v3, v1, v3
	v_lshrrev_b32_e32 v3, s62, v3
	v_mul_lo_u32 v3, v3, s60
	v_sub_u32_e32 v3, v1, v3
	v_mad_u64_u32 v[0:1], s[60:61], v3, s34, v[0:1]
	v_mad_u64_u32 v[4:5], s[34:35], v3, s35, v[4:5]
	;; [unrolled: 1-line block ×3, first 2 shown]
.LBB56_1201:
	s_mov_b64 s[34:35], 0
	s_branch .LBB56_1203
.LBB56_1202:
	s_mov_b64 s[34:35], -1
                                        ; implicit-def: $vgpr2
                                        ; implicit-def: $vgpr4
                                        ; implicit-def: $vgpr0
.LBB56_1203:
	s_andn2_b64 vcc, exec, s[34:35]
	s_cbranch_vccnz .LBB56_1206
; %bb.1204:
	s_waitcnt lgkmcnt(0)
	v_mul_hi_u32 v0, s17, v8
	v_add_u32_e32 v0, v8, v0
	s_waitcnt vmcnt(0)
	v_lshrrev_b32_e32 v1, s18, v0
	v_mul_lo_u32 v0, v1, s16
	v_sub_u32_e32 v3, v8, v0
	v_mul_lo_u32 v0, v3, s12
	v_mul_lo_u32 v2, v3, s14
	s_andn2_b64 vcc, exec, s[30:31]
	v_mul_lo_u32 v4, v3, s13
	s_cbranch_vccnz .LBB56_1206
; %bb.1205:
	v_mul_hi_u32 v3, s28, v1
	v_add_u32_e32 v3, v1, v3
	v_lshrrev_b32_e32 v3, s29, v3
	v_mul_lo_u32 v3, v3, s19
	v_sub_u32_e32 v3, v1, v3
	v_mad_u64_u32 v[0:1], s[12:13], v3, s15, v[0:1]
	v_mad_u64_u32 v[4:5], s[12:13], v3, s26, v[4:5]
	v_mad_u64_u32 v[2:3], s[12:13], v3, s27, v[2:3]
.LBB56_1206:
	s_waitcnt vmcnt(0) lgkmcnt(0)
	v_mov_b32_e32 v1, s11
	v_add_co_u32_e32 v4, vcc, s10, v4
	v_addc_co_u32_e32 v5, vcc, 0, v1, vcc
	v_and_b32_e32 v3, 0xff, v9
	v_cmp_gt_i16_e32 vcc, 11, v3
	s_cbranch_vccnz .LBB56_1213
; %bb.1207:
	v_cmp_lt_i16_e32 vcc, 25, v3
	s_mov_b64 s[12:13], 0
	s_cbranch_vccz .LBB56_1215
; %bb.1208:
	v_cmp_lt_i16_e32 vcc, 28, v3
	s_cbranch_vccz .LBB56_1216
; %bb.1209:
	v_cmp_lt_i16_e32 vcc, 43, v3
	;; [unrolled: 3-line block ×3, first 2 shown]
	s_cbranch_vccz .LBB56_1218
; %bb.1211:
	v_cmp_eq_u16_e32 vcc, 46, v3
	s_mov_b64 s[16:17], 0
	s_cbranch_vccz .LBB56_1221
; %bb.1212:
	global_load_dword v1, v[4:5], off
	s_mov_b64 s[10:11], 0
	s_mov_b64 s[14:15], -1
	s_branch .LBB56_1222
.LBB56_1213:
	s_mov_b64 s[16:17], -1
	s_mov_b64 s[14:15], 0
	s_mov_b64 s[12:13], 0
	;; [unrolled: 1-line block ×3, first 2 shown]
                                        ; implicit-def: $vgpr1
	s_branch .LBB56_1285
.LBB56_1214:
	s_mov_b64 s[60:61], 0
	s_branch .LBB56_945
.LBB56_1215:
	s_mov_b64 s[16:17], -1
	s_mov_b64 s[14:15], 0
	s_mov_b64 s[10:11], s[0:1]
                                        ; implicit-def: $vgpr1
	s_branch .LBB56_1251
.LBB56_1216:
	s_mov_b64 s[16:17], -1
	s_mov_b64 s[14:15], 0
	s_mov_b64 s[10:11], s[0:1]
                                        ; implicit-def: $vgpr1
	s_branch .LBB56_1232
.LBB56_1217:
	s_mov_b64 s[16:17], -1
	s_mov_b64 s[14:15], 0
	s_mov_b64 s[10:11], s[0:1]
                                        ; implicit-def: $vgpr1
	s_branch .LBB56_1227
.LBB56_1218:
	s_mov_b64 s[16:17], -1
	s_mov_b64 s[14:15], 0
	s_mov_b64 s[10:11], s[0:1]
                                        ; implicit-def: $vgpr1
	s_branch .LBB56_1222
.LBB56_1219:
	s_or_saveexec_b64 s[62:63], s[62:63]
                                        ; implicit-def: $sgpr64
	s_xor_b64 exec, exec, s[62:63]
	s_cbranch_execz .LBB56_1103
.LBB56_1220:
	s_mov_b32 s64, 0x46000000
	v_add_f32_e64 v4, |v5|, s64
	v_and_b32_e32 v4, 0xff, v4
	v_cmp_ne_u32_e32 vcc, 0, v4
	s_andn2_b64 s[60:61], s[60:61], exec
	s_and_b64 s[70:71], vcc, exec
	s_mov_b32 s64, 0
	s_or_b64 s[60:61], s[60:61], s[70:71]
	s_or_b64 exec, exec, s[62:63]
	v_mov_b32_e32 v10, s64
	s_and_saveexec_b64 s[62:63], s[60:61]
	s_cbranch_execnz .LBB56_1104
	s_branch .LBB56_1105
.LBB56_1221:
	s_mov_b64 s[10:11], -1
                                        ; implicit-def: $vgpr1
	s_mov_b64 s[14:15], 0
.LBB56_1222:
	s_and_b64 vcc, exec, s[16:17]
	s_cbranch_vccz .LBB56_1226
; %bb.1223:
	v_cmp_eq_u16_e32 vcc, 44, v3
	s_cbranch_vccz .LBB56_1225
; %bb.1224:
	global_load_ubyte v1, v[4:5], off
	s_movk_i32 s14, 0xff
	v_mov_b32_e32 v8, 0x7f800001
	v_mov_b32_e32 v9, 0x400000
	;; [unrolled: 1-line block ×3, first 2 shown]
	s_mov_b64 s[10:11], 0
	s_waitcnt vmcnt(0)
	v_lshlrev_b32_e32 v11, 23, v1
	v_cmp_ne_u32_e32 vcc, s14, v1
	v_cndmask_b32_e32 v8, v8, v11, vcc
	v_cmp_ne_u32_e32 vcc, 0, v1
	v_cndmask_b32_e32 v1, v9, v8, vcc
	v_add_u32_e32 v8, 0x7fff, v1
	v_lshrrev_b32_e32 v8, 16, v8
	v_cmp_o_f32_e32 vcc, v1, v1
	v_cndmask_b32_e32 v1, v10, v8, vcc
	s_mov_b64 s[14:15], -1
	s_branch .LBB56_1226
.LBB56_1225:
	s_mov_b64 s[10:11], -1
                                        ; implicit-def: $vgpr1
.LBB56_1226:
	s_mov_b64 s[16:17], 0
.LBB56_1227:
	s_and_b64 vcc, exec, s[16:17]
	s_cbranch_vccz .LBB56_1231
; %bb.1228:
	v_cmp_eq_u16_e32 vcc, 29, v3
	s_cbranch_vccz .LBB56_1230
; %bb.1229:
	global_load_dwordx2 v[8:9], v[4:5], off
	s_movk_i32 s14, 0x7fff
	s_mov_b64 s[10:11], 0
	s_mov_b64 s[16:17], 0
	s_waitcnt vmcnt(0)
	v_ffbh_u32_e32 v1, v9
	v_min_u32_e32 v1, 32, v1
	v_lshlrev_b64 v[8:9], v1, v[8:9]
	v_min_u32_e32 v8, 1, v8
	v_or_b32_e32 v8, v9, v8
	v_cvt_f32_u32_e32 v8, v8
	v_sub_u32_e32 v1, 32, v1
	v_ldexp_f32 v1, v8, v1
	v_bfe_u32 v8, v1, 16, 1
	v_add3_u32 v1, v1, v8, s14
	v_lshrrev_b32_e32 v1, 16, v1
	s_mov_b64 s[14:15], -1
	s_branch .LBB56_1232
.LBB56_1230:
	s_mov_b64 s[10:11], -1
                                        ; implicit-def: $vgpr1
.LBB56_1231:
	s_mov_b64 s[16:17], 0
.LBB56_1232:
	s_and_b64 vcc, exec, s[16:17]
	s_cbranch_vccz .LBB56_1250
; %bb.1233:
	v_cmp_gt_i16_e32 vcc, 27, v3
	s_cbranch_vccnz .LBB56_1236
; %bb.1234:
	v_cmp_lt_i16_e32 vcc, 27, v3
	s_cbranch_vccz .LBB56_1237
; %bb.1235:
	global_load_dword v1, v[4:5], off
	s_movk_i32 s14, 0x7fff
	s_waitcnt vmcnt(0)
	v_cvt_f32_u32_e32 v1, v1
	v_bfe_u32 v8, v1, 16, 1
	v_add3_u32 v1, v1, v8, s14
	v_lshrrev_b32_e32 v1, 16, v1
	s_mov_b64 s[14:15], 0
	s_branch .LBB56_1238
.LBB56_1236:
	s_mov_b64 s[14:15], -1
                                        ; implicit-def: $vgpr1
	s_branch .LBB56_1241
.LBB56_1237:
	s_mov_b64 s[14:15], -1
                                        ; implicit-def: $vgpr1
.LBB56_1238:
	s_andn2_b64 vcc, exec, s[14:15]
	s_cbranch_vccnz .LBB56_1240
; %bb.1239:
	global_load_ushort v1, v[4:5], off
	s_movk_i32 s14, 0x7fff
	s_waitcnt vmcnt(0)
	v_cvt_f32_u32_e32 v1, v1
	v_bfe_u32 v8, v1, 16, 1
	v_add3_u32 v1, v1, v8, s14
	v_lshrrev_b32_e32 v1, 16, v1
.LBB56_1240:
	s_mov_b64 s[14:15], 0
.LBB56_1241:
	s_andn2_b64 vcc, exec, s[14:15]
	s_cbranch_vccnz .LBB56_1249
; %bb.1242:
	global_load_ubyte v1, v[4:5], off
	s_movk_i32 s14, 0x7f
                                        ; implicit-def: $sgpr26
	s_waitcnt vmcnt(0)
	v_cmp_lt_i16_e32 vcc, s14, v1
	s_mov_b64 s[14:15], 0
	s_and_saveexec_b64 s[16:17], vcc
	s_xor_b64 s[16:17], exec, s[16:17]
	s_cbranch_execz .LBB56_1263
; %bb.1243:
	s_movk_i32 s14, 0x80
	v_cmp_eq_u16_e32 vcc, s14, v1
	s_mov_b64 s[14:15], -1
                                        ; implicit-def: $sgpr26
	s_and_saveexec_b64 s[18:19], vcc
; %bb.1244:
	s_mov_b32 s26, 0x7f800001
	s_xor_b64 s[14:15], exec, -1
; %bb.1245:
	s_or_b64 exec, exec, s[18:19]
	s_and_b64 s[14:15], s[14:15], exec
	s_or_saveexec_b64 s[16:17], s[16:17]
	v_mov_b32_e32 v8, s26
	s_xor_b64 exec, exec, s[16:17]
	s_cbranch_execnz .LBB56_1264
.LBB56_1246:
	s_or_b64 exec, exec, s[16:17]
	s_and_saveexec_b64 s[16:17], s[14:15]
	s_cbranch_execz .LBB56_1248
.LBB56_1247:
	v_lshlrev_b32_e32 v8, 24, v1
	v_and_b32_e32 v1, 0xffff, v1
	v_and_b32_e32 v9, 7, v1
	v_ffbh_u32_e32 v11, v9
	v_min_u32_e32 v11, 32, v11
	v_subrev_u32_e32 v12, 28, v11
	v_bfe_u32 v10, v1, 3, 4
	v_lshlrev_b32_e32 v1, v12, v1
	v_sub_u32_e32 v11, 29, v11
	v_and_b32_e32 v1, 7, v1
	v_cmp_eq_u32_e32 vcc, 0, v10
	v_cndmask_b32_e32 v10, v10, v11, vcc
	v_cndmask_b32_e32 v1, v9, v1, vcc
	v_mov_b32_e32 v9, 0x3b800000
	v_lshlrev_b32_e32 v1, 20, v1
	v_and_b32_e32 v8, 0x80000000, v8
	v_lshl_add_u32 v9, v10, 23, v9
	v_or3_b32 v8, v8, v9, v1
.LBB56_1248:
	s_or_b64 exec, exec, s[16:17]
	v_bfe_u32 v1, v8, 16, 1
	s_movk_i32 s14, 0x7fff
	v_add3_u32 v1, v8, v1, s14
	v_lshrrev_b32_e32 v1, 16, v1
	v_mov_b32_e32 v9, 0x7fc0
	v_cmp_o_f32_e32 vcc, v8, v8
	v_cndmask_b32_e32 v1, v9, v1, vcc
.LBB56_1249:
	s_mov_b64 s[14:15], -1
.LBB56_1250:
	s_mov_b64 s[16:17], 0
.LBB56_1251:
	s_and_b64 vcc, exec, s[16:17]
	s_cbranch_vccz .LBB56_1284
; %bb.1252:
	v_cmp_lt_i16_e32 vcc, 22, v3
	s_cbranch_vccz .LBB56_1262
; %bb.1253:
	v_cmp_gt_i16_e32 vcc, 24, v3
	s_cbranch_vccnz .LBB56_1265
; %bb.1254:
	v_cmp_lt_i16_e32 vcc, 24, v3
	s_cbranch_vccz .LBB56_1266
; %bb.1255:
	global_load_ubyte v1, v[4:5], off
	s_movk_i32 s12, 0x7f
                                        ; implicit-def: $sgpr18
	s_waitcnt vmcnt(0)
	v_cmp_lt_i16_e32 vcc, s12, v1
	s_mov_b64 s[12:13], 0
	s_and_saveexec_b64 s[14:15], vcc
	s_xor_b64 s[14:15], exec, s[14:15]
	s_cbranch_execz .LBB56_1278
; %bb.1256:
	s_movk_i32 s12, 0x80
	v_cmp_eq_u16_e32 vcc, s12, v1
	s_mov_b64 s[12:13], -1
                                        ; implicit-def: $sgpr18
	s_and_saveexec_b64 s[16:17], vcc
; %bb.1257:
	s_mov_b32 s18, 0x7f800001
	s_xor_b64 s[12:13], exec, -1
; %bb.1258:
	s_or_b64 exec, exec, s[16:17]
	s_and_b64 s[12:13], s[12:13], exec
	s_or_saveexec_b64 s[14:15], s[14:15]
	v_mov_b32_e32 v8, s18
	s_xor_b64 exec, exec, s[14:15]
	s_cbranch_execnz .LBB56_1279
.LBB56_1259:
	s_or_b64 exec, exec, s[14:15]
	s_and_saveexec_b64 s[14:15], s[12:13]
	s_cbranch_execz .LBB56_1261
.LBB56_1260:
	v_lshlrev_b32_e32 v8, 24, v1
	v_and_b32_e32 v1, 0xffff, v1
	v_and_b32_e32 v9, 3, v1
	v_ffbh_u32_e32 v11, v9
	v_min_u32_e32 v11, 32, v11
	v_subrev_u32_e32 v12, 29, v11
	v_bfe_u32 v10, v1, 2, 5
	v_lshlrev_b32_e32 v1, v12, v1
	v_sub_u32_e32 v11, 30, v11
	v_and_b32_e32 v1, 3, v1
	v_cmp_eq_u32_e32 vcc, 0, v10
	v_cndmask_b32_e32 v10, v10, v11, vcc
	v_cndmask_b32_e32 v1, v9, v1, vcc
	v_mov_b32_e32 v9, 0x37800000
	v_lshlrev_b32_e32 v1, 21, v1
	v_and_b32_e32 v8, 0x80000000, v8
	v_lshl_add_u32 v9, v10, 23, v9
	v_or3_b32 v8, v8, v9, v1
.LBB56_1261:
	s_or_b64 exec, exec, s[14:15]
	v_bfe_u32 v1, v8, 16, 1
	s_movk_i32 s12, 0x7fff
	v_add3_u32 v1, v8, v1, s12
	v_lshrrev_b32_e32 v1, 16, v1
	v_mov_b32_e32 v9, 0x7fc0
	v_cmp_o_f32_e32 vcc, v8, v8
	v_cndmask_b32_e32 v1, v9, v1, vcc
	s_mov_b64 s[12:13], 0
	s_branch .LBB56_1267
.LBB56_1262:
	s_mov_b64 s[12:13], -1
                                        ; implicit-def: $vgpr1
	s_branch .LBB56_1273
.LBB56_1263:
	s_or_saveexec_b64 s[16:17], s[16:17]
	v_mov_b32_e32 v8, s26
	s_xor_b64 exec, exec, s[16:17]
	s_cbranch_execz .LBB56_1246
.LBB56_1264:
	v_cmp_ne_u16_e32 vcc, 0, v1
	s_andn2_b64 s[14:15], s[14:15], exec
	s_and_b64 s[18:19], vcc, exec
	v_mov_b32_e32 v8, 0
	s_or_b64 s[14:15], s[14:15], s[18:19]
	s_or_b64 exec, exec, s[16:17]
	s_and_saveexec_b64 s[16:17], s[14:15]
	s_cbranch_execnz .LBB56_1247
	s_branch .LBB56_1248
.LBB56_1265:
	s_mov_b64 s[12:13], -1
                                        ; implicit-def: $vgpr1
	s_branch .LBB56_1270
.LBB56_1266:
	s_mov_b64 s[12:13], -1
                                        ; implicit-def: $vgpr1
.LBB56_1267:
	s_and_b64 vcc, exec, s[12:13]
	s_cbranch_vccz .LBB56_1269
; %bb.1268:
	global_load_ubyte v1, v[4:5], off
	s_mov_b32 s12, 0x7f800000
	s_brev_b32 s13, 1
	s_movk_i32 s14, 0x7fff
	v_mov_b32_e32 v8, 0x7fc0
	s_waitcnt vmcnt(0)
	v_lshlrev_b32_e32 v1, 24, v1
	v_and_b32_e32 v9, 0x7f000000, v1
	v_ffbh_u32_e32 v10, v9
	v_min_u32_e32 v10, 32, v10
	v_sub_u32_e64 v10, v10, 4 clamp
	v_lshlrev_b32_e32 v12, v10, v9
	v_lshlrev_b32_e32 v10, 23, v10
	v_lshrrev_b32_e32 v12, 4, v12
	v_add_u32_e32 v11, 0x1000000, v9
	v_sub_u32_e32 v10, v12, v10
	v_ashrrev_i32_e32 v11, 8, v11
	v_add_u32_e32 v10, 0x3c000000, v10
	v_and_or_b32 v10, v11, s12, v10
	v_cmp_ne_u32_e32 vcc, 0, v9
	v_cndmask_b32_e32 v9, 0, v10, vcc
	v_and_or_b32 v1, v1, s13, v9
	v_bfe_u32 v9, v9, 16, 1
	v_add3_u32 v9, v1, v9, s14
	v_lshrrev_b32_e32 v9, 16, v9
	v_cmp_o_f32_e32 vcc, v1, v1
	v_cndmask_b32_e32 v1, v8, v9, vcc
.LBB56_1269:
	s_mov_b64 s[12:13], 0
.LBB56_1270:
	s_andn2_b64 vcc, exec, s[12:13]
	s_cbranch_vccnz .LBB56_1272
; %bb.1271:
	global_load_ubyte v1, v[4:5], off
	s_movk_i32 s12, 0x7f00
	s_brev_b32 s13, 16
	s_brev_b32 s14, 1
	s_movk_i32 s15, 0x7fff
	v_mov_b32_e32 v8, 0x7fc0
	s_waitcnt vmcnt(0)
	v_lshlrev_b16_e32 v9, 8, v1
	v_lshlrev_b32_e32 v1, 25, v1
	v_lshrrev_b32_e32 v10, 4, v1
	v_and_or_b32 v11, v9, s12, 0.5
	v_or_b32_e32 v10, 0x70000000, v10
	v_add_f32_e32 v11, -0.5, v11
	v_mul_f32_e32 v10, 0x7800000, v10
	v_cmp_gt_u32_e32 vcc, s13, v1
	v_bfe_i32 v9, v9, 0, 16
	v_cndmask_b32_e32 v1, v10, v11, vcc
	v_and_or_b32 v9, v9, s14, v1
	v_bfe_u32 v1, v1, 16, 1
	v_add3_u32 v1, v9, v1, s15
	v_lshrrev_b32_e32 v1, 16, v1
	v_cmp_o_f32_e32 vcc, v9, v9
	v_cndmask_b32_e32 v1, v8, v1, vcc
.LBB56_1272:
	s_mov_b64 s[12:13], 0
	s_mov_b64 s[14:15], -1
.LBB56_1273:
	s_andn2_b64 vcc, exec, s[12:13]
	s_mov_b64 s[12:13], 0
	s_cbranch_vccnz .LBB56_1284
; %bb.1274:
	v_cmp_lt_i16_e32 vcc, 14, v3
	s_cbranch_vccz .LBB56_1277
; %bb.1275:
	v_cmp_eq_u16_e32 vcc, 15, v3
	s_cbranch_vccz .LBB56_1280
; %bb.1276:
	global_load_ushort v1, v[4:5], off
	s_mov_b64 s[10:11], 0
	s_mov_b64 s[14:15], -1
	s_branch .LBB56_1281
.LBB56_1277:
	s_mov_b64 s[16:17], -1
                                        ; implicit-def: $vgpr1
	s_branch .LBB56_1282
.LBB56_1278:
	s_or_saveexec_b64 s[14:15], s[14:15]
	v_mov_b32_e32 v8, s18
	s_xor_b64 exec, exec, s[14:15]
	s_cbranch_execz .LBB56_1259
.LBB56_1279:
	v_cmp_ne_u16_e32 vcc, 0, v1
	s_andn2_b64 s[12:13], s[12:13], exec
	s_and_b64 s[16:17], vcc, exec
	v_mov_b32_e32 v8, 0
	s_or_b64 s[12:13], s[12:13], s[16:17]
	s_or_b64 exec, exec, s[14:15]
	s_and_saveexec_b64 s[14:15], s[12:13]
	s_cbranch_execnz .LBB56_1260
	s_branch .LBB56_1261
.LBB56_1280:
	s_mov_b64 s[10:11], -1
                                        ; implicit-def: $vgpr1
.LBB56_1281:
	s_mov_b64 s[16:17], 0
.LBB56_1282:
	s_and_b64 vcc, exec, s[16:17]
	s_cbranch_vccz .LBB56_1284
; %bb.1283:
	v_cmp_ne_u16_e32 vcc, 11, v3
	s_andn2_b64 s[10:11], s[10:11], exec
	s_and_b64 s[16:17], vcc, exec
	s_mov_b64 s[12:13], -1
	s_or_b64 s[10:11], s[10:11], s[16:17]
                                        ; implicit-def: $vgpr1
.LBB56_1284:
	s_mov_b64 s[16:17], 0
.LBB56_1285:
	s_and_b64 s[60:61], s[12:13], exec
	s_andn2_b64 s[12:13], s[0:1], exec
	s_and_b64 s[10:11], s[10:11], exec
	s_and_b64 s[62:63], s[14:15], exec
	;; [unrolled: 1-line block ×3, first 2 shown]
	s_or_b64 s[64:65], s[12:13], s[10:11]
.LBB56_1286:
	s_or_b64 exec, exec, s[54:55]
	s_andn2_b64 s[0:1], s[0:1], exec
	s_waitcnt lgkmcnt(0)
	s_and_b64 s[10:11], s[64:65], exec
	s_and_b64 s[62:63], s[62:63], exec
	s_and_b64 s[54:55], s[66:67], exec
	s_and_b64 s[60:61], s[60:61], exec
	s_or_b64 s[0:1], s[0:1], s[10:11]
.LBB56_1287:
	s_or_b64 exec, exec, s[52:53]
	s_waitcnt lgkmcnt(0)
	s_andn2_b64 s[10:11], s[48:49], exec
	s_and_b64 s[12:13], s[58:59], exec
	s_or_b64 s[48:49], s[10:11], s[12:13]
	s_andn2_b64 s[10:11], s[46:47], exec
	s_and_b64 s[12:13], s[56:57], exec
	s_or_b64 s[46:47], s[10:11], s[12:13]
	s_andn2_b64 s[10:11], s[44:45], exec
	s_and_b64 s[0:1], s[0:1], exec
	s_and_b64 s[56:57], s[62:63], exec
	;; [unrolled: 1-line block ×4, first 2 shown]
	s_or_b64 s[44:45], s[10:11], s[0:1]
.LBB56_1288:
	s_or_b64 exec, exec, s[50:51]
	s_andn2_b64 s[0:1], s[36:37], exec
	s_waitcnt lgkmcnt(0)
	s_and_b64 s[10:11], s[48:49], exec
	s_or_b64 s[36:37], s[0:1], s[10:11]
	s_andn2_b64 s[0:1], s[38:39], exec
	s_and_b64 s[10:11], s[46:47], exec
	s_or_b64 s[38:39], s[0:1], s[10:11]
	s_andn2_b64 s[0:1], s[40:41], exec
	s_and_b64 s[10:11], s[44:45], exec
	s_and_b64 s[48:49], s[56:57], exec
	;; [unrolled: 1-line block ×4, first 2 shown]
	s_or_b64 s[40:41], s[0:1], s[10:11]
	s_or_b64 exec, exec, s[42:43]
	s_mov_b64 s[10:11], 0
	s_and_saveexec_b64 s[0:1], s[40:41]
	s_cbranch_execz .LBB56_403
.LBB56_1289:
	s_mov_b64 s[10:11], exec
	s_andn2_b64 s[46:47], s[46:47], exec
	s_trap 2
                                        ; implicit-def: $vgpr1
	s_or_b64 exec, exec, s[0:1]
	s_and_saveexec_b64 s[0:1], s[46:47]
	s_xor_b64 s[0:1], exec, s[0:1]
	s_cbranch_execnz .LBB56_404
.LBB56_1290:
	s_or_b64 exec, exec, s[0:1]
	s_and_saveexec_b64 s[0:1], s[50:51]
	s_cbranch_execz .LBB56_1336
.LBB56_1291:
	v_cmp_gt_i16_e32 vcc, 5, v3
	s_cbranch_vccnz .LBB56_1296
; %bb.1292:
	v_cmp_gt_i16_e32 vcc, 8, v3
	s_cbranch_vccnz .LBB56_1297
; %bb.1293:
	;; [unrolled: 3-line block ×3, first 2 shown]
	v_cmp_lt_i16_e32 vcc, 9, v3
	s_cbranch_vccz .LBB56_1299
; %bb.1295:
	s_waitcnt vmcnt(0)
	global_load_dwordx2 v[8:9], v[4:5], off
	s_movk_i32 s12, 0x7fff
	v_mov_b32_e32 v1, 0x7fc0
	s_waitcnt vmcnt(0)
	v_cvt_f32_f64_e32 v8, v[8:9]
	v_bfe_u32 v9, v8, 16, 1
	v_add3_u32 v9, v8, v9, s12
	v_lshrrev_b32_e32 v9, 16, v9
	v_cmp_o_f32_e32 vcc, v8, v8
	v_cndmask_b32_e32 v1, v1, v9, vcc
	s_mov_b64 s[12:13], 0
	s_branch .LBB56_1300
.LBB56_1296:
                                        ; implicit-def: $vgpr1
	s_branch .LBB56_1317
.LBB56_1297:
                                        ; implicit-def: $vgpr1
	s_branch .LBB56_1306
.LBB56_1298:
	s_mov_b64 s[12:13], -1
                                        ; implicit-def: $vgpr1
	s_branch .LBB56_1303
.LBB56_1299:
	s_mov_b64 s[12:13], -1
                                        ; implicit-def: $vgpr1
.LBB56_1300:
	s_andn2_b64 vcc, exec, s[12:13]
	s_cbranch_vccnz .LBB56_1302
; %bb.1301:
	s_waitcnt vmcnt(0)
	global_load_dword v1, v[4:5], off
	s_movk_i32 s12, 0x7fff
	v_mov_b32_e32 v8, 0x7fc0
	s_waitcnt vmcnt(0)
	v_bfe_u32 v9, v1, 16, 1
	v_add3_u32 v9, v1, v9, s12
	v_lshrrev_b32_e32 v9, 16, v9
	v_cmp_o_f32_e32 vcc, v1, v1
	v_cndmask_b32_e32 v1, v8, v9, vcc
.LBB56_1302:
	s_mov_b64 s[12:13], 0
.LBB56_1303:
	s_andn2_b64 vcc, exec, s[12:13]
	s_cbranch_vccnz .LBB56_1305
; %bb.1304:
	s_waitcnt vmcnt(0)
	global_load_dword v1, v[4:5], off
	s_movk_i32 s12, 0x7fff
	v_mov_b32_e32 v9, 0x7fc0
	s_waitcnt vmcnt(0)
	v_cvt_f32_f16_e32 v8, v1
	v_cmp_o_f16_e32 vcc, v1, v1
	v_bfe_u32 v10, v8, 16, 1
	v_add3_u32 v8, v8, v10, s12
	v_lshrrev_b32_e32 v8, 16, v8
	v_cndmask_b32_e32 v1, v9, v8, vcc
.LBB56_1305:
	s_cbranch_execnz .LBB56_1316
.LBB56_1306:
	v_cmp_gt_i16_e32 vcc, 6, v3
	s_cbranch_vccnz .LBB56_1309
; %bb.1307:
	v_cmp_lt_i16_e32 vcc, 6, v3
	s_cbranch_vccz .LBB56_1310
; %bb.1308:
	s_waitcnt vmcnt(0)
	global_load_dwordx2 v[8:9], v[4:5], off
	s_movk_i32 s12, 0x7fff
	v_mov_b32_e32 v1, 0x7fc0
	s_waitcnt vmcnt(0)
	v_cvt_f32_f64_e32 v8, v[8:9]
	v_bfe_u32 v9, v8, 16, 1
	v_add3_u32 v9, v8, v9, s12
	v_lshrrev_b32_e32 v9, 16, v9
	v_cmp_o_f32_e32 vcc, v8, v8
	v_cndmask_b32_e32 v1, v1, v9, vcc
	s_mov_b64 s[12:13], 0
	s_branch .LBB56_1311
.LBB56_1309:
	s_mov_b64 s[12:13], -1
                                        ; implicit-def: $vgpr1
	s_branch .LBB56_1314
.LBB56_1310:
	s_mov_b64 s[12:13], -1
                                        ; implicit-def: $vgpr1
.LBB56_1311:
	s_andn2_b64 vcc, exec, s[12:13]
	s_cbranch_vccnz .LBB56_1313
; %bb.1312:
	s_waitcnt vmcnt(0)
	global_load_dword v1, v[4:5], off
	s_movk_i32 s12, 0x7fff
	v_mov_b32_e32 v8, 0x7fc0
	s_waitcnt vmcnt(0)
	v_bfe_u32 v9, v1, 16, 1
	v_add3_u32 v9, v1, v9, s12
	v_lshrrev_b32_e32 v9, 16, v9
	v_cmp_o_f32_e32 vcc, v1, v1
	v_cndmask_b32_e32 v1, v8, v9, vcc
.LBB56_1313:
	s_mov_b64 s[12:13], 0
.LBB56_1314:
	s_andn2_b64 vcc, exec, s[12:13]
	s_cbranch_vccnz .LBB56_1316
; %bb.1315:
	s_waitcnt vmcnt(0)
	global_load_ushort v1, v[4:5], off
	s_movk_i32 s12, 0x7fff
	v_mov_b32_e32 v9, 0x7fc0
	s_waitcnt vmcnt(0)
	v_cvt_f32_f16_e32 v8, v1
	v_cmp_o_f16_e32 vcc, v1, v1
	v_bfe_u32 v10, v8, 16, 1
	v_add3_u32 v8, v8, v10, s12
	v_lshrrev_b32_e32 v8, 16, v8
	v_cndmask_b32_e32 v1, v9, v8, vcc
.LBB56_1316:
	s_cbranch_execnz .LBB56_1335
.LBB56_1317:
	v_cmp_gt_i16_e32 vcc, 2, v3
	s_cbranch_vccnz .LBB56_1321
; %bb.1318:
	v_cmp_gt_i16_e32 vcc, 3, v3
	s_cbranch_vccnz .LBB56_1322
; %bb.1319:
	v_cmp_lt_i16_e32 vcc, 3, v3
	s_cbranch_vccz .LBB56_1323
; %bb.1320:
	s_waitcnt vmcnt(0)
	global_load_dwordx2 v[8:9], v[4:5], off
	s_movk_i32 s12, 0x7fff
	s_waitcnt vmcnt(0)
	v_xor_b32_e32 v10, v8, v9
	v_ffbh_i32_e32 v1, v9
	v_ashrrev_i32_e32 v10, 31, v10
	v_add_u32_e32 v1, -1, v1
	v_add_u32_e32 v10, 32, v10
	v_min_u32_e32 v1, v1, v10
	v_lshlrev_b64 v[8:9], v1, v[8:9]
	v_min_u32_e32 v8, 1, v8
	v_or_b32_e32 v8, v9, v8
	v_cvt_f32_i32_e32 v8, v8
	v_sub_u32_e32 v1, 32, v1
	v_ldexp_f32 v1, v8, v1
	v_bfe_u32 v8, v1, 16, 1
	v_add3_u32 v1, v1, v8, s12
	v_lshrrev_b32_e32 v1, 16, v1
	s_mov_b64 s[12:13], 0
	s_branch .LBB56_1324
.LBB56_1321:
                                        ; implicit-def: $vgpr1
	s_branch .LBB56_1330
.LBB56_1322:
	s_mov_b64 s[12:13], -1
                                        ; implicit-def: $vgpr1
	s_branch .LBB56_1327
.LBB56_1323:
	s_mov_b64 s[12:13], -1
                                        ; implicit-def: $vgpr1
.LBB56_1324:
	s_andn2_b64 vcc, exec, s[12:13]
	s_cbranch_vccnz .LBB56_1326
; %bb.1325:
	s_waitcnt vmcnt(0)
	global_load_dword v1, v[4:5], off
	s_movk_i32 s12, 0x7fff
	s_waitcnt vmcnt(0)
	v_cvt_f32_i32_e32 v1, v1
	v_bfe_u32 v8, v1, 16, 1
	v_add3_u32 v1, v1, v8, s12
	v_lshrrev_b32_e32 v1, 16, v1
.LBB56_1326:
	s_mov_b64 s[12:13], 0
.LBB56_1327:
	s_andn2_b64 vcc, exec, s[12:13]
	s_cbranch_vccnz .LBB56_1329
; %bb.1328:
	s_waitcnt vmcnt(0)
	global_load_sshort v1, v[4:5], off
	s_movk_i32 s12, 0x7fff
	s_waitcnt vmcnt(0)
	v_cvt_f32_i32_e32 v1, v1
	v_bfe_u32 v8, v1, 16, 1
	v_add3_u32 v1, v1, v8, s12
	v_lshrrev_b32_e32 v1, 16, v1
.LBB56_1329:
	s_cbranch_execnz .LBB56_1335
.LBB56_1330:
	v_cmp_lt_i16_e32 vcc, 0, v3
	s_cbranch_vccz .LBB56_1332
; %bb.1331:
	s_waitcnt vmcnt(0)
	global_load_sbyte v1, v[4:5], off
	s_movk_i32 s12, 0x7fff
	s_waitcnt vmcnt(0)
	v_cvt_f32_i32_e32 v1, v1
	v_bfe_u32 v3, v1, 16, 1
	v_add3_u32 v1, v1, v3, s12
	v_lshrrev_b32_e32 v1, 16, v1
	s_mov_b64 s[12:13], 0
	s_branch .LBB56_1333
.LBB56_1332:
	s_mov_b64 s[12:13], -1
                                        ; implicit-def: $vgpr1
.LBB56_1333:
	s_andn2_b64 vcc, exec, s[12:13]
	s_cbranch_vccnz .LBB56_1335
; %bb.1334:
	s_waitcnt vmcnt(0)
	global_load_ubyte v1, v[4:5], off
	s_movk_i32 s12, 0x7fff
	s_waitcnt vmcnt(0)
	v_cvt_f32_ubyte0_e32 v1, v1
	v_bfe_u32 v3, v1, 16, 1
	v_add3_u32 v1, v1, v3, s12
	v_lshrrev_b32_e32 v1, 16, v1
.LBB56_1335:
	s_or_b64 s[48:49], s[48:49], exec
.LBB56_1336:
	s_or_b64 exec, exec, s[0:1]
	s_mov_b64 s[16:17], 0
	s_mov_b64 s[18:19], 0
	;; [unrolled: 1-line block ×3, first 2 shown]
                                        ; implicit-def: $vgpr3
                                        ; implicit-def: $vgpr4_vgpr5
                                        ; implicit-def: $vgpr8
	s_and_saveexec_b64 s[0:1], s[48:49]
	s_cbranch_execz .LBB56_1344
; %bb.1337:
	v_mov_b32_e32 v3, s25
	s_waitcnt vmcnt(0)
	v_add_co_u32_e32 v4, vcc, s24, v2
	v_addc_co_u32_e32 v5, vcc, 0, v3, vcc
	v_and_b32_e32 v3, 0xff, v7
	v_cmp_gt_i16_e32 vcc, 11, v3
	s_cbranch_vccnz .LBB56_1347
; %bb.1338:
	v_cmp_lt_i16_e32 vcc, 25, v3
	s_cbranch_vccz .LBB56_1348
; %bb.1339:
	v_cmp_lt_i16_e32 vcc, 28, v3
	s_cbranch_vccz .LBB56_1349
	;; [unrolled: 3-line block ×4, first 2 shown]
; %bb.1342:
	v_cmp_eq_u16_e32 vcc, 46, v3
	s_cbranch_vccz .LBB56_1352
; %bb.1343:
	global_load_dword v8, v[4:5], off
	s_mov_b64 s[12:13], 0
	s_mov_b64 s[14:15], -1
	s_branch .LBB56_1354
.LBB56_1344:
	s_or_b64 exec, exec, s[0:1]
	s_and_saveexec_b64 s[0:1], s[38:39]
	s_cbranch_execnz .LBB56_1417
.LBB56_1345:
	s_or_b64 exec, exec, s[0:1]
	s_and_saveexec_b64 s[0:1], s[16:17]
	s_xor_b64 s[0:1], exec, s[0:1]
	s_cbranch_execz .LBB56_1418
.LBB56_1346:
	s_waitcnt vmcnt(0)
	global_load_ubyte v2, v[4:5], off
	s_or_b64 s[14:15], s[14:15], exec
	s_waitcnt vmcnt(0)
	v_cmp_ne_u16_e32 vcc, 0, v2
	v_cndmask_b32_e64 v2, 0, 1.0, vcc
	v_lshrrev_b32_e32 v8, 16, v2
	s_or_b64 exec, exec, s[0:1]
	s_and_saveexec_b64 s[0:1], s[18:19]
	s_cbranch_execz .LBB56_1464
	s_branch .LBB56_1419
.LBB56_1347:
	s_mov_b64 s[18:19], -1
                                        ; implicit-def: $vgpr8
	s_mov_b64 s[12:13], s[38:39]
	s_branch .LBB56_1416
.LBB56_1348:
	s_mov_b64 s[12:13], s[38:39]
                                        ; implicit-def: $vgpr8
	s_cbranch_execnz .LBB56_1383
	s_branch .LBB56_1415
.LBB56_1349:
	s_mov_b64 s[18:19], -1
	s_mov_b64 s[12:13], s[38:39]
                                        ; implicit-def: $vgpr8
	s_branch .LBB56_1364
.LBB56_1350:
	s_mov_b64 s[18:19], -1
	s_mov_b64 s[12:13], s[38:39]
                                        ; implicit-def: $vgpr8
	s_branch .LBB56_1359
.LBB56_1351:
	s_mov_b64 s[18:19], -1
	s_mov_b64 s[12:13], s[38:39]
	s_branch .LBB56_1353
.LBB56_1352:
	s_mov_b64 s[12:13], -1
.LBB56_1353:
                                        ; implicit-def: $vgpr8
.LBB56_1354:
	s_and_b64 vcc, exec, s[18:19]
	s_cbranch_vccz .LBB56_1358
; %bb.1355:
	v_cmp_eq_u16_e32 vcc, 44, v3
	s_cbranch_vccz .LBB56_1357
; %bb.1356:
	global_load_ubyte v2, v[4:5], off
	s_movk_i32 s14, 0xff
	v_mov_b32_e32 v7, 0x7f800001
	s_waitcnt vmcnt(1)
	v_mov_b32_e32 v8, 0x400000
	v_mov_b32_e32 v9, 0x7fc0
	s_mov_b64 s[12:13], 0
	s_waitcnt vmcnt(0)
	v_lshlrev_b32_e32 v10, 23, v2
	v_cmp_ne_u32_e32 vcc, s14, v2
	v_cndmask_b32_e32 v7, v7, v10, vcc
	v_cmp_ne_u32_e32 vcc, 0, v2
	v_cndmask_b32_e32 v2, v8, v7, vcc
	v_add_u32_e32 v7, 0x7fff, v2
	v_lshrrev_b32_e32 v7, 16, v7
	v_cmp_o_f32_e32 vcc, v2, v2
	v_cndmask_b32_e32 v8, v9, v7, vcc
	s_mov_b64 s[14:15], -1
	s_branch .LBB56_1358
.LBB56_1357:
	s_mov_b64 s[12:13], -1
                                        ; implicit-def: $vgpr8
.LBB56_1358:
	s_mov_b64 s[18:19], 0
.LBB56_1359:
	s_and_b64 vcc, exec, s[18:19]
	s_cbranch_vccz .LBB56_1363
; %bb.1360:
	v_cmp_eq_u16_e32 vcc, 29, v3
	s_cbranch_vccz .LBB56_1362
; %bb.1361:
	global_load_dwordx2 v[8:9], v[4:5], off
	s_movk_i32 s14, 0x7fff
	s_mov_b64 s[12:13], 0
	s_mov_b64 s[18:19], 0
	s_waitcnt vmcnt(0)
	v_ffbh_u32_e32 v2, v9
	v_min_u32_e32 v2, 32, v2
	v_lshlrev_b64 v[8:9], v2, v[8:9]
	v_min_u32_e32 v7, 1, v8
	v_or_b32_e32 v7, v9, v7
	v_cvt_f32_u32_e32 v7, v7
	v_sub_u32_e32 v2, 32, v2
	v_ldexp_f32 v2, v7, v2
	v_bfe_u32 v7, v2, 16, 1
	v_add3_u32 v2, v2, v7, s14
	v_lshrrev_b32_e32 v8, 16, v2
	s_mov_b64 s[14:15], -1
	s_branch .LBB56_1364
.LBB56_1362:
	s_mov_b64 s[12:13], -1
                                        ; implicit-def: $vgpr8
.LBB56_1363:
	s_mov_b64 s[18:19], 0
.LBB56_1364:
	s_and_b64 vcc, exec, s[18:19]
	s_cbranch_vccz .LBB56_1382
; %bb.1365:
	v_cmp_gt_i16_e32 vcc, 27, v3
	s_cbranch_vccnz .LBB56_1368
; %bb.1366:
	v_cmp_lt_i16_e32 vcc, 27, v3
	s_cbranch_vccz .LBB56_1369
; %bb.1367:
	global_load_dword v2, v[4:5], off
	s_movk_i32 s14, 0x7fff
	s_waitcnt vmcnt(0)
	v_cvt_f32_u32_e32 v2, v2
	v_bfe_u32 v7, v2, 16, 1
	v_add3_u32 v2, v2, v7, s14
	v_lshrrev_b32_e32 v8, 16, v2
	s_mov_b64 s[14:15], 0
	s_branch .LBB56_1370
.LBB56_1368:
	s_mov_b64 s[14:15], -1
                                        ; implicit-def: $vgpr8
	s_branch .LBB56_1373
.LBB56_1369:
	s_mov_b64 s[14:15], -1
                                        ; implicit-def: $vgpr8
.LBB56_1370:
	s_andn2_b64 vcc, exec, s[14:15]
	s_cbranch_vccnz .LBB56_1372
; %bb.1371:
	global_load_ushort v2, v[4:5], off
	s_movk_i32 s14, 0x7fff
	s_waitcnt vmcnt(0)
	v_cvt_f32_u32_e32 v2, v2
	v_bfe_u32 v7, v2, 16, 1
	v_add3_u32 v2, v2, v7, s14
	v_lshrrev_b32_e32 v8, 16, v2
.LBB56_1372:
	s_mov_b64 s[14:15], 0
.LBB56_1373:
	s_andn2_b64 vcc, exec, s[14:15]
	s_cbranch_vccnz .LBB56_1381
; %bb.1374:
	global_load_ubyte v2, v[4:5], off
	s_movk_i32 s14, 0x7f
                                        ; implicit-def: $sgpr26
	s_waitcnt vmcnt(0)
	v_cmp_lt_i16_e32 vcc, s14, v2
	s_mov_b64 s[14:15], 0
	s_and_saveexec_b64 s[18:19], vcc
	s_xor_b64 s[18:19], exec, s[18:19]
	s_cbranch_execz .LBB56_1394
; %bb.1375:
	s_movk_i32 s14, 0x80
	v_cmp_eq_u16_e32 vcc, s14, v2
	s_mov_b64 s[14:15], -1
                                        ; implicit-def: $sgpr26
	s_and_saveexec_b64 s[24:25], vcc
; %bb.1376:
	s_mov_b32 s26, 0x7f800001
	s_xor_b64 s[14:15], exec, -1
; %bb.1377:
	s_or_b64 exec, exec, s[24:25]
	s_and_b64 s[14:15], s[14:15], exec
	s_or_saveexec_b64 s[18:19], s[18:19]
	v_mov_b32_e32 v7, s26
	s_xor_b64 exec, exec, s[18:19]
	s_cbranch_execnz .LBB56_1395
.LBB56_1378:
	s_or_b64 exec, exec, s[18:19]
	s_and_saveexec_b64 s[18:19], s[14:15]
	s_cbranch_execz .LBB56_1380
.LBB56_1379:
	v_lshlrev_b32_e32 v7, 24, v2
	v_and_b32_e32 v2, 0xffff, v2
	v_and_b32_e32 v8, 7, v2
	v_ffbh_u32_e32 v10, v8
	v_min_u32_e32 v10, 32, v10
	v_subrev_u32_e32 v11, 28, v10
	v_bfe_u32 v9, v2, 3, 4
	v_lshlrev_b32_e32 v2, v11, v2
	v_sub_u32_e32 v10, 29, v10
	v_and_b32_e32 v2, 7, v2
	v_cmp_eq_u32_e32 vcc, 0, v9
	v_cndmask_b32_e32 v9, v9, v10, vcc
	v_cndmask_b32_e32 v2, v8, v2, vcc
	v_mov_b32_e32 v8, 0x3b800000
	v_lshlrev_b32_e32 v2, 20, v2
	v_and_b32_e32 v7, 0x80000000, v7
	v_lshl_add_u32 v8, v9, 23, v8
	v_or3_b32 v7, v7, v8, v2
.LBB56_1380:
	s_or_b64 exec, exec, s[18:19]
	v_bfe_u32 v2, v7, 16, 1
	s_movk_i32 s14, 0x7fff
	v_add3_u32 v2, v7, v2, s14
	v_lshrrev_b32_e32 v2, 16, v2
	v_mov_b32_e32 v8, 0x7fc0
	v_cmp_o_f32_e32 vcc, v7, v7
	v_cndmask_b32_e32 v8, v8, v2, vcc
.LBB56_1381:
	s_mov_b64 s[14:15], -1
.LBB56_1382:
	s_branch .LBB56_1415
.LBB56_1383:
	v_cmp_lt_i16_e32 vcc, 22, v3
	s_cbranch_vccz .LBB56_1393
; %bb.1384:
	v_cmp_gt_i16_e32 vcc, 24, v3
	s_cbranch_vccnz .LBB56_1396
; %bb.1385:
	v_cmp_lt_i16_e32 vcc, 24, v3
	s_cbranch_vccz .LBB56_1397
; %bb.1386:
	global_load_ubyte v2, v[4:5], off
	s_movk_i32 s14, 0x7f
                                        ; implicit-def: $sgpr24
	s_waitcnt vmcnt(0)
	v_cmp_lt_i16_e32 vcc, s14, v2
	s_mov_b64 s[14:15], 0
	s_and_saveexec_b64 s[16:17], vcc
	s_xor_b64 s[16:17], exec, s[16:17]
	s_cbranch_execz .LBB56_1409
; %bb.1387:
	s_movk_i32 s14, 0x80
	v_cmp_eq_u16_e32 vcc, s14, v2
	s_mov_b64 s[14:15], -1
                                        ; implicit-def: $sgpr24
	s_and_saveexec_b64 s[18:19], vcc
; %bb.1388:
	s_mov_b32 s24, 0x7f800001
	s_xor_b64 s[14:15], exec, -1
; %bb.1389:
	s_or_b64 exec, exec, s[18:19]
	s_and_b64 s[14:15], s[14:15], exec
	s_or_saveexec_b64 s[16:17], s[16:17]
	v_mov_b32_e32 v7, s24
	s_xor_b64 exec, exec, s[16:17]
	s_cbranch_execnz .LBB56_1410
.LBB56_1390:
	s_or_b64 exec, exec, s[16:17]
	s_and_saveexec_b64 s[16:17], s[14:15]
	s_cbranch_execz .LBB56_1392
.LBB56_1391:
	v_lshlrev_b32_e32 v7, 24, v2
	v_and_b32_e32 v2, 0xffff, v2
	v_and_b32_e32 v8, 3, v2
	v_ffbh_u32_e32 v10, v8
	v_min_u32_e32 v10, 32, v10
	v_subrev_u32_e32 v11, 29, v10
	v_bfe_u32 v9, v2, 2, 5
	v_lshlrev_b32_e32 v2, v11, v2
	v_sub_u32_e32 v10, 30, v10
	v_and_b32_e32 v2, 3, v2
	v_cmp_eq_u32_e32 vcc, 0, v9
	v_cndmask_b32_e32 v9, v9, v10, vcc
	v_cndmask_b32_e32 v2, v8, v2, vcc
	v_mov_b32_e32 v8, 0x37800000
	v_lshlrev_b32_e32 v2, 21, v2
	v_and_b32_e32 v7, 0x80000000, v7
	v_lshl_add_u32 v8, v9, 23, v8
	v_or3_b32 v7, v7, v8, v2
.LBB56_1392:
	s_or_b64 exec, exec, s[16:17]
	v_bfe_u32 v2, v7, 16, 1
	s_movk_i32 s14, 0x7fff
	v_add3_u32 v2, v7, v2, s14
	v_lshrrev_b32_e32 v2, 16, v2
	v_mov_b32_e32 v8, 0x7fc0
	v_cmp_o_f32_e32 vcc, v7, v7
	v_cndmask_b32_e32 v8, v8, v2, vcc
	s_mov_b64 s[14:15], 0
	s_branch .LBB56_1398
.LBB56_1393:
	s_mov_b64 s[16:17], -1
                                        ; implicit-def: $vgpr8
	s_branch .LBB56_1404
.LBB56_1394:
	s_or_saveexec_b64 s[18:19], s[18:19]
	v_mov_b32_e32 v7, s26
	s_xor_b64 exec, exec, s[18:19]
	s_cbranch_execz .LBB56_1378
.LBB56_1395:
	v_cmp_ne_u16_e32 vcc, 0, v2
	s_andn2_b64 s[14:15], s[14:15], exec
	s_and_b64 s[24:25], vcc, exec
	v_mov_b32_e32 v7, 0
	s_or_b64 s[14:15], s[14:15], s[24:25]
	s_or_b64 exec, exec, s[18:19]
	s_and_saveexec_b64 s[18:19], s[14:15]
	s_cbranch_execnz .LBB56_1379
	s_branch .LBB56_1380
.LBB56_1396:
	s_mov_b64 s[14:15], -1
                                        ; implicit-def: $vgpr8
	s_branch .LBB56_1401
.LBB56_1397:
	s_mov_b64 s[14:15], -1
                                        ; implicit-def: $vgpr8
.LBB56_1398:
	s_and_b64 vcc, exec, s[14:15]
	s_cbranch_vccz .LBB56_1400
; %bb.1399:
	global_load_ubyte v2, v[4:5], off
	s_mov_b32 s14, 0x7f800000
	s_brev_b32 s15, 1
	s_movk_i32 s16, 0x7fff
	v_mov_b32_e32 v7, 0x7fc0
	s_waitcnt vmcnt(0)
	v_lshlrev_b32_e32 v2, 24, v2
	v_and_b32_e32 v8, 0x7f000000, v2
	v_ffbh_u32_e32 v9, v8
	v_min_u32_e32 v9, 32, v9
	v_sub_u32_e64 v9, v9, 4 clamp
	v_lshlrev_b32_e32 v11, v9, v8
	v_lshlrev_b32_e32 v9, 23, v9
	v_lshrrev_b32_e32 v11, 4, v11
	v_add_u32_e32 v10, 0x1000000, v8
	v_sub_u32_e32 v9, v11, v9
	v_ashrrev_i32_e32 v10, 8, v10
	v_add_u32_e32 v9, 0x3c000000, v9
	v_and_or_b32 v9, v10, s14, v9
	v_cmp_ne_u32_e32 vcc, 0, v8
	v_cndmask_b32_e32 v8, 0, v9, vcc
	v_and_or_b32 v2, v2, s15, v8
	v_bfe_u32 v8, v8, 16, 1
	v_add3_u32 v8, v2, v8, s16
	v_lshrrev_b32_e32 v8, 16, v8
	v_cmp_o_f32_e32 vcc, v2, v2
	v_cndmask_b32_e32 v8, v7, v8, vcc
.LBB56_1400:
	s_mov_b64 s[14:15], 0
.LBB56_1401:
	s_andn2_b64 vcc, exec, s[14:15]
	s_cbranch_vccnz .LBB56_1403
; %bb.1402:
	global_load_ubyte v2, v[4:5], off
	s_movk_i32 s14, 0x7f00
	s_brev_b32 s15, 16
	s_brev_b32 s16, 1
	s_movk_i32 s17, 0x7fff
	v_mov_b32_e32 v7, 0x7fc0
	s_waitcnt vmcnt(0)
	v_lshlrev_b16_e32 v8, 8, v2
	v_lshlrev_b32_e32 v2, 25, v2
	v_lshrrev_b32_e32 v9, 4, v2
	v_and_or_b32 v10, v8, s14, 0.5
	v_or_b32_e32 v9, 0x70000000, v9
	v_add_f32_e32 v10, -0.5, v10
	v_mul_f32_e32 v9, 0x7800000, v9
	v_cmp_gt_u32_e32 vcc, s15, v2
	v_bfe_i32 v8, v8, 0, 16
	v_cndmask_b32_e32 v2, v9, v10, vcc
	v_and_or_b32 v8, v8, s16, v2
	v_bfe_u32 v2, v2, 16, 1
	v_add3_u32 v2, v8, v2, s17
	v_lshrrev_b32_e32 v2, 16, v2
	v_cmp_o_f32_e32 vcc, v8, v8
	v_cndmask_b32_e32 v8, v7, v2, vcc
.LBB56_1403:
	s_mov_b64 s[16:17], 0
	s_mov_b64 s[14:15], -1
.LBB56_1404:
	s_andn2_b64 vcc, exec, s[16:17]
	s_mov_b64 s[16:17], 0
	s_cbranch_vccnz .LBB56_1415
; %bb.1405:
	v_cmp_lt_i16_e32 vcc, 14, v3
	s_cbranch_vccz .LBB56_1408
; %bb.1406:
	v_cmp_eq_u16_e32 vcc, 15, v3
	s_cbranch_vccz .LBB56_1411
; %bb.1407:
	global_load_ushort v8, v[4:5], off
	s_mov_b64 s[12:13], 0
	s_mov_b64 s[14:15], -1
	s_branch .LBB56_1412
.LBB56_1408:
	s_mov_b64 s[18:19], -1
                                        ; implicit-def: $vgpr8
	s_branch .LBB56_1413
.LBB56_1409:
	s_or_saveexec_b64 s[16:17], s[16:17]
	v_mov_b32_e32 v7, s24
	s_xor_b64 exec, exec, s[16:17]
	s_cbranch_execz .LBB56_1390
.LBB56_1410:
	v_cmp_ne_u16_e32 vcc, 0, v2
	s_andn2_b64 s[14:15], s[14:15], exec
	s_and_b64 s[18:19], vcc, exec
	v_mov_b32_e32 v7, 0
	s_or_b64 s[14:15], s[14:15], s[18:19]
	s_or_b64 exec, exec, s[16:17]
	s_and_saveexec_b64 s[16:17], s[14:15]
	s_cbranch_execnz .LBB56_1391
	s_branch .LBB56_1392
.LBB56_1411:
	s_mov_b64 s[12:13], -1
                                        ; implicit-def: $vgpr8
.LBB56_1412:
	s_mov_b64 s[18:19], 0
.LBB56_1413:
	s_and_b64 vcc, exec, s[18:19]
	s_cbranch_vccz .LBB56_1415
; %bb.1414:
	v_cmp_ne_u16_e32 vcc, 11, v3
	s_andn2_b64 s[12:13], s[12:13], exec
	s_and_b64 s[18:19], vcc, exec
	s_mov_b64 s[16:17], -1
	s_or_b64 s[12:13], s[12:13], s[18:19]
                                        ; implicit-def: $vgpr8
.LBB56_1415:
	s_mov_b64 s[18:19], 0
.LBB56_1416:
	s_andn2_b64 s[24:25], s[38:39], exec
	s_and_b64 s[12:13], s[12:13], exec
	s_and_b64 s[14:15], s[14:15], exec
	;; [unrolled: 1-line block ×4, first 2 shown]
	s_or_b64 s[38:39], s[24:25], s[12:13]
	s_or_b64 exec, exec, s[0:1]
	s_and_saveexec_b64 s[0:1], s[38:39]
	s_cbranch_execz .LBB56_1345
.LBB56_1417:
	s_or_b64 s[10:11], s[10:11], exec
	s_andn2_b64 s[16:17], s[16:17], exec
	s_trap 2
                                        ; implicit-def: $vgpr8
	s_or_b64 exec, exec, s[0:1]
	s_and_saveexec_b64 s[0:1], s[16:17]
	s_xor_b64 s[0:1], exec, s[0:1]
	s_cbranch_execnz .LBB56_1346
.LBB56_1418:
	s_or_b64 exec, exec, s[0:1]
	s_and_saveexec_b64 s[0:1], s[18:19]
	s_cbranch_execz .LBB56_1464
.LBB56_1419:
	v_cmp_gt_i16_e32 vcc, 5, v3
	s_cbranch_vccnz .LBB56_1424
; %bb.1420:
	v_cmp_gt_i16_e32 vcc, 8, v3
	s_cbranch_vccnz .LBB56_1425
; %bb.1421:
	;; [unrolled: 3-line block ×3, first 2 shown]
	v_cmp_lt_i16_e32 vcc, 9, v3
	s_cbranch_vccz .LBB56_1427
; %bb.1423:
	s_waitcnt vmcnt(0)
	global_load_dwordx2 v[8:9], v[4:5], off
	s_movk_i32 s12, 0x7fff
	v_mov_b32_e32 v2, 0x7fc0
	s_waitcnt vmcnt(0)
	v_cvt_f32_f64_e32 v7, v[8:9]
	v_bfe_u32 v8, v7, 16, 1
	v_add3_u32 v8, v7, v8, s12
	v_lshrrev_b32_e32 v8, 16, v8
	v_cmp_o_f32_e32 vcc, v7, v7
	v_cndmask_b32_e32 v8, v2, v8, vcc
	s_mov_b64 s[12:13], 0
	s_branch .LBB56_1428
.LBB56_1424:
                                        ; implicit-def: $vgpr8
	s_branch .LBB56_1445
.LBB56_1425:
                                        ; implicit-def: $vgpr8
	s_branch .LBB56_1434
.LBB56_1426:
	s_mov_b64 s[12:13], -1
                                        ; implicit-def: $vgpr8
	s_branch .LBB56_1431
.LBB56_1427:
	s_mov_b64 s[12:13], -1
                                        ; implicit-def: $vgpr8
.LBB56_1428:
	s_andn2_b64 vcc, exec, s[12:13]
	s_cbranch_vccnz .LBB56_1430
; %bb.1429:
	s_waitcnt vmcnt(0)
	global_load_dword v2, v[4:5], off
	s_movk_i32 s12, 0x7fff
	v_mov_b32_e32 v7, 0x7fc0
	s_waitcnt vmcnt(0)
	v_bfe_u32 v8, v2, 16, 1
	v_add3_u32 v8, v2, v8, s12
	v_lshrrev_b32_e32 v8, 16, v8
	v_cmp_o_f32_e32 vcc, v2, v2
	v_cndmask_b32_e32 v8, v7, v8, vcc
.LBB56_1430:
	s_mov_b64 s[12:13], 0
.LBB56_1431:
	s_andn2_b64 vcc, exec, s[12:13]
	s_cbranch_vccnz .LBB56_1433
; %bb.1432:
	s_waitcnt vmcnt(0)
	global_load_dword v2, v[4:5], off
	s_movk_i32 s12, 0x7fff
	v_mov_b32_e32 v8, 0x7fc0
	s_waitcnt vmcnt(0)
	v_cvt_f32_f16_e32 v7, v2
	v_cmp_o_f16_e32 vcc, v2, v2
	v_bfe_u32 v9, v7, 16, 1
	v_add3_u32 v7, v7, v9, s12
	v_lshrrev_b32_e32 v7, 16, v7
	v_cndmask_b32_e32 v8, v8, v7, vcc
.LBB56_1433:
	s_cbranch_execnz .LBB56_1444
.LBB56_1434:
	v_cmp_gt_i16_e32 vcc, 6, v3
	s_cbranch_vccnz .LBB56_1437
; %bb.1435:
	v_cmp_lt_i16_e32 vcc, 6, v3
	s_cbranch_vccz .LBB56_1438
; %bb.1436:
	s_waitcnt vmcnt(0)
	global_load_dwordx2 v[8:9], v[4:5], off
	s_movk_i32 s12, 0x7fff
	v_mov_b32_e32 v2, 0x7fc0
	s_waitcnt vmcnt(0)
	v_cvt_f32_f64_e32 v7, v[8:9]
	v_bfe_u32 v8, v7, 16, 1
	v_add3_u32 v8, v7, v8, s12
	v_lshrrev_b32_e32 v8, 16, v8
	v_cmp_o_f32_e32 vcc, v7, v7
	v_cndmask_b32_e32 v8, v2, v8, vcc
	s_mov_b64 s[12:13], 0
	s_branch .LBB56_1439
.LBB56_1437:
	s_mov_b64 s[12:13], -1
                                        ; implicit-def: $vgpr8
	s_branch .LBB56_1442
.LBB56_1438:
	s_mov_b64 s[12:13], -1
                                        ; implicit-def: $vgpr8
.LBB56_1439:
	s_andn2_b64 vcc, exec, s[12:13]
	s_cbranch_vccnz .LBB56_1441
; %bb.1440:
	s_waitcnt vmcnt(0)
	global_load_dword v2, v[4:5], off
	s_movk_i32 s12, 0x7fff
	v_mov_b32_e32 v7, 0x7fc0
	s_waitcnt vmcnt(0)
	v_bfe_u32 v8, v2, 16, 1
	v_add3_u32 v8, v2, v8, s12
	v_lshrrev_b32_e32 v8, 16, v8
	v_cmp_o_f32_e32 vcc, v2, v2
	v_cndmask_b32_e32 v8, v7, v8, vcc
.LBB56_1441:
	s_mov_b64 s[12:13], 0
.LBB56_1442:
	s_andn2_b64 vcc, exec, s[12:13]
	s_cbranch_vccnz .LBB56_1444
; %bb.1443:
	s_waitcnt vmcnt(0)
	global_load_ushort v2, v[4:5], off
	s_movk_i32 s12, 0x7fff
	v_mov_b32_e32 v8, 0x7fc0
	s_waitcnt vmcnt(0)
	v_cvt_f32_f16_e32 v7, v2
	v_cmp_o_f16_e32 vcc, v2, v2
	v_bfe_u32 v9, v7, 16, 1
	v_add3_u32 v7, v7, v9, s12
	v_lshrrev_b32_e32 v7, 16, v7
	v_cndmask_b32_e32 v8, v8, v7, vcc
.LBB56_1444:
	s_cbranch_execnz .LBB56_1463
.LBB56_1445:
	v_cmp_gt_i16_e32 vcc, 2, v3
	s_cbranch_vccnz .LBB56_1449
; %bb.1446:
	v_cmp_gt_i16_e32 vcc, 3, v3
	s_cbranch_vccnz .LBB56_1450
; %bb.1447:
	v_cmp_lt_i16_e32 vcc, 3, v3
	s_cbranch_vccz .LBB56_1451
; %bb.1448:
	s_waitcnt vmcnt(0)
	global_load_dwordx2 v[8:9], v[4:5], off
	s_movk_i32 s12, 0x7fff
	s_waitcnt vmcnt(0)
	v_xor_b32_e32 v7, v8, v9
	v_ffbh_i32_e32 v2, v9
	v_ashrrev_i32_e32 v7, 31, v7
	v_add_u32_e32 v2, -1, v2
	v_add_u32_e32 v7, 32, v7
	v_min_u32_e32 v2, v2, v7
	v_lshlrev_b64 v[8:9], v2, v[8:9]
	v_min_u32_e32 v7, 1, v8
	v_or_b32_e32 v7, v9, v7
	v_cvt_f32_i32_e32 v7, v7
	v_sub_u32_e32 v2, 32, v2
	v_ldexp_f32 v2, v7, v2
	v_bfe_u32 v7, v2, 16, 1
	v_add3_u32 v2, v2, v7, s12
	v_lshrrev_b32_e32 v8, 16, v2
	s_mov_b64 s[12:13], 0
	s_branch .LBB56_1452
.LBB56_1449:
                                        ; implicit-def: $vgpr8
	s_branch .LBB56_1458
.LBB56_1450:
	s_mov_b64 s[12:13], -1
                                        ; implicit-def: $vgpr8
	s_branch .LBB56_1455
.LBB56_1451:
	s_mov_b64 s[12:13], -1
                                        ; implicit-def: $vgpr8
.LBB56_1452:
	s_andn2_b64 vcc, exec, s[12:13]
	s_cbranch_vccnz .LBB56_1454
; %bb.1453:
	s_waitcnt vmcnt(0)
	global_load_dword v2, v[4:5], off
	s_movk_i32 s12, 0x7fff
	s_waitcnt vmcnt(0)
	v_cvt_f32_i32_e32 v2, v2
	v_bfe_u32 v7, v2, 16, 1
	v_add3_u32 v2, v2, v7, s12
	v_lshrrev_b32_e32 v8, 16, v2
.LBB56_1454:
	s_mov_b64 s[12:13], 0
.LBB56_1455:
	s_andn2_b64 vcc, exec, s[12:13]
	s_cbranch_vccnz .LBB56_1457
; %bb.1456:
	s_waitcnt vmcnt(0)
	global_load_sshort v2, v[4:5], off
	s_movk_i32 s12, 0x7fff
	s_waitcnt vmcnt(0)
	v_cvt_f32_i32_e32 v2, v2
	v_bfe_u32 v7, v2, 16, 1
	v_add3_u32 v2, v2, v7, s12
	v_lshrrev_b32_e32 v8, 16, v2
.LBB56_1457:
	s_cbranch_execnz .LBB56_1463
.LBB56_1458:
	v_cmp_lt_i16_e32 vcc, 0, v3
	s_cbranch_vccz .LBB56_1460
; %bb.1459:
	s_waitcnt vmcnt(0)
	global_load_sbyte v2, v[4:5], off
	s_movk_i32 s12, 0x7fff
	s_waitcnt vmcnt(0)
	v_cvt_f32_i32_e32 v2, v2
	v_bfe_u32 v3, v2, 16, 1
	v_add3_u32 v2, v2, v3, s12
	v_lshrrev_b32_e32 v8, 16, v2
	s_mov_b64 s[12:13], 0
	s_branch .LBB56_1461
.LBB56_1460:
	s_mov_b64 s[12:13], -1
                                        ; implicit-def: $vgpr8
.LBB56_1461:
	s_andn2_b64 vcc, exec, s[12:13]
	s_cbranch_vccnz .LBB56_1463
; %bb.1462:
	s_waitcnt vmcnt(0)
	global_load_ubyte v2, v[4:5], off
	s_movk_i32 s12, 0x7fff
	s_waitcnt vmcnt(0)
	v_cvt_f32_ubyte0_e32 v2, v2
	v_bfe_u32 v3, v2, 16, 1
	v_add3_u32 v2, v2, v3, s12
	v_lshrrev_b32_e32 v8, 16, v2
.LBB56_1463:
	s_or_b64 s[14:15], s[14:15], exec
.LBB56_1464:
	s_or_b64 exec, exec, s[0:1]
	s_mov_b64 s[18:19], 0
	s_mov_b64 s[16:17], 0
                                        ; implicit-def: $vgpr5
                                        ; implicit-def: $vgpr2_vgpr3
                                        ; implicit-def: $vgpr4
	s_and_saveexec_b64 s[12:13], s[14:15]
	s_cbranch_execz .LBB56_1482
; %bb.1465:
	s_waitcnt vmcnt(0)
	v_lshlrev_b32_e32 v1, 16, v1
	v_lshlrev_b32_e32 v2, 16, v8
	v_div_scale_f32 v3, s[0:1], v2, v2, v1
	v_rcp_f32_e32 v4, v3
	s_movk_i32 s0, 0x7fff
	v_fma_f32 v5, -v3, v4, 1.0
	v_fmac_f32_e32 v4, v5, v4
	v_div_scale_f32 v5, vcc, v1, v2, v1
	v_mul_f32_e32 v7, v5, v4
	v_fma_f32 v8, -v3, v7, v5
	v_fmac_f32_e32 v7, v8, v4
	v_fma_f32 v3, -v3, v7, v5
	v_div_fmas_f32 v3, v3, v4, v7
	v_div_fixup_f32 v1, v3, v2, v1
	v_bfe_u32 v2, v1, 16, 1
	v_add3_u32 v2, v1, v2, s0
	v_lshrrev_b32_e32 v2, 16, v2
	v_mov_b32_e32 v3, 0x7fc0
	v_cmp_o_f32_e32 vcc, v1, v1
	v_cndmask_b32_e32 v1, v3, v2, vcc
	v_lshlrev_b32_e32 v2, 16, v1
	s_mov_b32 s0, 0x800000
	v_mov_b32_e32 v3, 0x80
	v_cmp_ngt_f32_e32 vcc, s0, v2
	v_cndmask_b32_e32 v1, v3, v1, vcc
	v_lshlrev_b32_e32 v2, 16, v1
	s_mov_b32 s0, 0x3f7e0000
	v_mov_b32_e32 v3, 0x3f7e
	v_cmp_nlt_f32_e32 vcc, s0, v2
	v_cndmask_b32_e32 v4, v3, v1, vcc
	v_mov_b32_e32 v1, s9
	v_add_co_u32_e32 v2, vcc, s8, v0
	v_addc_co_u32_e32 v3, vcc, 0, v1, vcc
	v_and_b32_e32 v5, 0xff, v6
	v_cmp_gt_i16_e32 vcc, 11, v5
	s_cbranch_vccnz .LBB56_1485
; %bb.1466:
	v_cmp_lt_i16_e32 vcc, 25, v5
	s_mov_b64 s[14:15], -1
	s_mov_b64 s[0:1], s[36:37]
	s_cbranch_vccz .LBB56_1503
; %bb.1467:
	v_cmp_lt_i16_e32 vcc, 28, v5
	s_mov_b64 s[8:9], -1
	s_mov_b64 s[0:1], s[36:37]
	s_cbranch_vccz .LBB56_1487
; %bb.1468:
	v_cmp_lt_i16_e32 vcc, 43, v5
	s_mov_b64 s[0:1], s[36:37]
	s_cbranch_vccz .LBB56_1479
; %bb.1469:
	v_cmp_lt_i16_e32 vcc, 45, v5
	s_mov_b64 s[0:1], s[36:37]
	s_cbranch_vccz .LBB56_1473
; %bb.1470:
	v_cmp_eq_u16_e32 vcc, 46, v5
	s_mov_b64 s[0:1], -1
	s_cbranch_vccz .LBB56_1472
; %bb.1471:
	v_and_b32_e32 v0, 0xffff, v4
	global_store_dword v[2:3], v0, off
	s_mov_b64 s[0:1], 0
.LBB56_1472:
	s_mov_b64 s[8:9], 0
.LBB56_1473:
	s_and_b64 vcc, exec, s[8:9]
	s_cbranch_vccz .LBB56_1478
; %bb.1474:
	v_cmp_eq_u16_e32 vcc, 44, v5
	s_mov_b64 s[0:1], -1
	s_cbranch_vccz .LBB56_1478
; %bb.1475:
	v_and_b32_e32 v1, 0xffff, v4
	v_bfe_u32 v0, v1, 7, 8
	s_movk_i32 s0, 0xff
	v_cmp_ne_u32_e32 vcc, s0, v0
	v_mov_b32_e32 v6, 0xff
	s_and_saveexec_b64 s[8:9], vcc
; %bb.1476:
	v_lshlrev_b32_e32 v7, 16, v1
	s_mov_b32 s0, 0x3f0000
	v_lshrrev_b32_e32 v6, 7, v1
	v_and_b32_e32 v1, 64, v1
	v_and_or_b32 v0, v7, s0, v0
	v_cmp_ne_u32_e32 vcc, 0, v1
	v_cmp_ne_u32_e64 s[0:1], 0, v0
	s_and_b64 s[0:1], vcc, s[0:1]
	v_cndmask_b32_e64 v0, 0, 1, s[0:1]
	v_add_u32_e32 v6, v6, v0
; %bb.1477:
	s_or_b64 exec, exec, s[8:9]
	s_mov_b64 s[0:1], 0
	global_store_byte v[2:3], v6, off
.LBB56_1478:
	s_mov_b64 s[8:9], 0
.LBB56_1479:
	s_and_b64 vcc, exec, s[8:9]
	s_cbranch_vccz .LBB56_1486
; %bb.1480:
	v_cmp_eq_u16_e32 vcc, 29, v5
	s_mov_b64 s[0:1], -1
	s_cbranch_vccz .LBB56_1486
; %bb.1481:
	v_lshlrev_b32_e32 v0, 16, v4
	v_trunc_f32_e32 v0, v0
	v_mul_f32_e32 v1, 0x2f800000, v0
	v_floor_f32_e32 v6, v1
	v_fmac_f32_e32 v0, 0xcf800000, v6
	v_cvt_u32_f32_e32 v1, v6
	v_cvt_u32_f32_e32 v0, v0
	s_mov_b64 s[0:1], 0
	s_mov_b64 s[8:9], 0
	global_store_dwordx2 v[2:3], v[0:1], off
	s_branch .LBB56_1487
.LBB56_1482:
	s_or_b64 exec, exec, s[12:13]
	s_and_saveexec_b64 s[0:1], s[36:37]
	s_cbranch_execnz .LBB56_1545
.LBB56_1483:
	s_or_b64 exec, exec, s[0:1]
	s_and_saveexec_b64 s[0:1], s[18:19]
	s_xor_b64 s[0:1], exec, s[0:1]
	s_cbranch_execz .LBB56_1546
.LBB56_1484:
	s_waitcnt vmcnt(0)
	v_and_b32_e32 v0, 0x7fff, v4
	v_cmp_ne_u16_e32 vcc, 0, v0
	v_cndmask_b32_e64 v0, 0, 1, vcc
	global_store_byte v[2:3], v0, off
	s_or_b64 exec, exec, s[0:1]
	s_and_saveexec_b64 s[0:1], s[16:17]
	s_xor_b64 s[0:1], exec, s[0:1]
	s_cbranch_execz .LBB56_1584
	s_branch .LBB56_1547
.LBB56_1485:
	s_mov_b64 s[14:15], 0
	s_mov_b64 s[8:9], -1
	s_mov_b64 s[0:1], s[36:37]
	s_branch .LBB56_1544
.LBB56_1486:
	s_mov_b64 s[8:9], 0
.LBB56_1487:
	s_and_b64 vcc, exec, s[8:9]
	s_cbranch_vccz .LBB56_1502
; %bb.1488:
	v_cmp_gt_i16_e32 vcc, 27, v5
	s_mov_b64 s[8:9], -1
	s_cbranch_vccnz .LBB56_1494
; %bb.1489:
	v_cmp_lt_i16_e32 vcc, 27, v5
	s_cbranch_vccz .LBB56_1491
; %bb.1490:
	v_lshlrev_b32_e32 v0, 16, v4
	v_cvt_u32_f32_e32 v0, v0
	s_mov_b64 s[8:9], 0
	global_store_dword v[2:3], v0, off
.LBB56_1491:
	s_andn2_b64 vcc, exec, s[8:9]
	s_cbranch_vccnz .LBB56_1493
; %bb.1492:
	v_lshlrev_b32_e32 v0, 16, v4
	v_cvt_u32_f32_e32 v0, v0
	global_store_short v[2:3], v0, off
.LBB56_1493:
	s_mov_b64 s[8:9], 0
.LBB56_1494:
	s_andn2_b64 vcc, exec, s[8:9]
	s_cbranch_vccnz .LBB56_1502
; %bb.1495:
	v_lshlrev_b32_e32 v6, 16, v4
	v_and_b32_e32 v1, 0x7fffffff, v6
	s_mov_b32 s8, 0x43800000
	v_cmp_gt_u32_e32 vcc, s8, v1
	v_mov_b32_e32 v7, 0x80
	s_and_saveexec_b64 s[8:9], vcc
	s_cbranch_execz .LBB56_1501
; %bb.1496:
	s_mov_b32 s14, 0x3bffffff
	v_and_b32_e32 v0, 0xffff, v4
	v_cmp_lt_u32_e32 vcc, s14, v1
	s_mov_b64 s[14:15], 0
                                        ; implicit-def: $vgpr1
	s_and_saveexec_b64 s[16:17], vcc
	s_xor_b64 s[16:17], exec, s[16:17]
	s_cbranch_execz .LBB56_1639
; %bb.1497:
	v_bfe_u32 v1, v0, 4, 1
	s_mov_b32 s18, 0x487ffff
	v_add3_u32 v1, v6, v1, s18
	s_mov_b64 s[14:15], exec
	v_lshrrev_b32_e32 v1, 20, v1
                                        ; implicit-def: $vgpr6
	s_or_saveexec_b64 s[16:17], s[16:17]
                                        ; implicit-def: $sgpr18
	s_xor_b64 exec, exec, s[16:17]
	s_cbranch_execnz .LBB56_1640
.LBB56_1498:
	s_or_b64 exec, exec, s[16:17]
	v_mov_b32_e32 v7, s18
	s_and_saveexec_b64 s[16:17], s[14:15]
.LBB56_1499:
	v_lshrrev_b32_e32 v0, 8, v0
	s_movk_i32 s14, 0x80
	v_and_or_b32 v7, v0, s14, v1
.LBB56_1500:
	s_or_b64 exec, exec, s[16:17]
.LBB56_1501:
	s_or_b64 exec, exec, s[8:9]
	global_store_byte v[2:3], v7, off
.LBB56_1502:
	s_mov_b64 s[14:15], 0
.LBB56_1503:
	s_mov_b64 s[8:9], 0
	s_and_b64 vcc, exec, s[14:15]
	s_cbranch_vccz .LBB56_1543
; %bb.1504:
	v_cmp_lt_i16_e32 vcc, 22, v5
	s_mov_b64 s[14:15], -1
	s_cbranch_vccz .LBB56_1536
; %bb.1505:
	v_cmp_gt_i16_e32 vcc, 24, v5
	s_cbranch_vccnz .LBB56_1525
; %bb.1506:
	v_cmp_lt_i16_e32 vcc, 24, v5
	s_cbranch_vccz .LBB56_1514
; %bb.1507:
	v_lshlrev_b32_e32 v6, 16, v4
	v_and_b32_e32 v1, 0x7fffffff, v6
	s_mov_b32 s14, 0x47800000
	v_cmp_gt_u32_e32 vcc, s14, v1
	v_mov_b32_e32 v7, 0x80
	s_and_saveexec_b64 s[14:15], vcc
	s_cbranch_execz .LBB56_1513
; %bb.1508:
	s_mov_b32 s16, 0x37ffffff
	v_and_b32_e32 v0, 0xffff, v4
	v_cmp_lt_u32_e32 vcc, s16, v1
	s_mov_b64 s[16:17], 0
                                        ; implicit-def: $vgpr1
	s_and_saveexec_b64 s[18:19], vcc
	s_xor_b64 s[18:19], exec, s[18:19]
	s_cbranch_execz .LBB56_1763
; %bb.1509:
	v_bfe_u32 v1, v0, 5, 1
	s_mov_b32 s24, 0x88fffff
	v_add3_u32 v1, v6, v1, s24
	s_mov_b64 s[16:17], exec
	v_lshrrev_b32_e32 v1, 21, v1
                                        ; implicit-def: $vgpr6
	s_or_saveexec_b64 s[18:19], s[18:19]
                                        ; implicit-def: $sgpr24
	s_xor_b64 exec, exec, s[18:19]
	s_cbranch_execnz .LBB56_1764
.LBB56_1510:
	s_or_b64 exec, exec, s[18:19]
	v_mov_b32_e32 v7, s24
	s_and_saveexec_b64 s[18:19], s[16:17]
.LBB56_1511:
	v_lshrrev_b32_e32 v0, 8, v0
	s_movk_i32 s16, 0x80
	v_and_or_b32 v7, v0, s16, v1
.LBB56_1512:
	s_or_b64 exec, exec, s[18:19]
.LBB56_1513:
	s_or_b64 exec, exec, s[14:15]
	s_mov_b64 s[14:15], 0
	global_store_byte v[2:3], v7, off
.LBB56_1514:
	s_and_b64 vcc, exec, s[14:15]
	s_cbranch_vccz .LBB56_1524
; %bb.1515:
	v_lshlrev_b32_e32 v6, 16, v4
	v_and_b32_e32 v7, 0x7fffffff, v6
	s_mov_b32 s14, 0x43f00000
	v_and_b32_e32 v0, 0xffff, v4
	v_cmp_gt_u32_e32 vcc, s14, v7
                                        ; implicit-def: $vgpr1
	s_and_saveexec_b64 s[14:15], vcc
	s_xor_b64 s[14:15], exec, s[14:15]
	s_cbranch_execz .LBB56_1521
; %bb.1516:
	s_mov_b32 s16, 0x3c7fffff
	v_cmp_lt_u32_e32 vcc, s16, v7
                                        ; implicit-def: $vgpr1
	s_and_saveexec_b64 s[16:17], vcc
	s_xor_b64 s[16:17], exec, s[16:17]
; %bb.1517:
	v_bfe_u32 v1, v0, 4, 1
	s_mov_b32 s18, 0x407ffff
	v_add3_u32 v1, v6, v1, s18
	v_lshrrev_b32_e32 v6, 20, v1
	v_and_b32_e32 v1, 0xff00000, v1
	s_mov_b32 s18, 0x7f00000
	v_mov_b32_e32 v7, 0x7e
	v_cmp_ne_u32_e32 vcc, s18, v1
	v_cndmask_b32_e32 v1, v7, v6, vcc
                                        ; implicit-def: $vgpr6
; %bb.1518:
	s_andn2_saveexec_b64 s[16:17], s[16:17]
; %bb.1519:
	s_mov_b32 s18, 0x46800000
	v_add_f32_e64 v1, |v6|, s18
; %bb.1520:
	s_or_b64 exec, exec, s[16:17]
                                        ; implicit-def: $vgpr7
.LBB56_1521:
	s_andn2_saveexec_b64 s[14:15], s[14:15]
; %bb.1522:
	s_mov_b32 s16, 0x7f800000
	v_mov_b32_e32 v1, 0x7e
	v_mov_b32_e32 v6, 0x7f
	v_cmp_lt_u32_e32 vcc, s16, v7
	v_cndmask_b32_e32 v1, v1, v6, vcc
; %bb.1523:
	s_or_b64 exec, exec, s[14:15]
	v_lshrrev_b32_e32 v0, 8, v0
	s_movk_i32 s14, 0x80
	v_and_or_b32 v0, v0, s14, v1
	global_store_byte v[2:3], v0, off
.LBB56_1524:
	s_mov_b64 s[14:15], 0
.LBB56_1525:
	s_andn2_b64 vcc, exec, s[14:15]
	s_cbranch_vccnz .LBB56_1535
; %bb.1526:
	v_lshlrev_b32_e32 v6, 16, v4
	v_and_b32_e32 v7, 0x7fffffff, v6
	s_mov_b32 s14, 0x47800000
	v_and_b32_e32 v0, 0xffff, v4
	v_cmp_gt_u32_e32 vcc, s14, v7
                                        ; implicit-def: $vgpr1
	s_and_saveexec_b64 s[14:15], vcc
	s_xor_b64 s[14:15], exec, s[14:15]
	s_cbranch_execz .LBB56_1532
; %bb.1527:
	s_mov_b32 s16, 0x387fffff
	v_cmp_lt_u32_e32 vcc, s16, v7
                                        ; implicit-def: $vgpr1
	s_and_saveexec_b64 s[16:17], vcc
	s_xor_b64 s[16:17], exec, s[16:17]
; %bb.1528:
	v_bfe_u32 v1, v0, 5, 1
	s_mov_b32 s18, 0x80fffff
	v_add3_u32 v1, v6, v1, s18
	v_lshrrev_b32_e32 v1, 21, v1
                                        ; implicit-def: $vgpr6
; %bb.1529:
	s_andn2_saveexec_b64 s[16:17], s[16:17]
; %bb.1530:
	s_mov_b32 s18, 0x43000000
	v_add_f32_e64 v1, |v6|, s18
; %bb.1531:
	s_or_b64 exec, exec, s[16:17]
                                        ; implicit-def: $vgpr7
.LBB56_1532:
	s_andn2_saveexec_b64 s[14:15], s[14:15]
; %bb.1533:
	s_mov_b32 s16, 0x7f800000
	v_mov_b32_e32 v1, 0x7c
	v_mov_b32_e32 v6, 0x7f
	v_cmp_lt_u32_e32 vcc, s16, v7
	v_cndmask_b32_e32 v1, v1, v6, vcc
; %bb.1534:
	s_or_b64 exec, exec, s[14:15]
	v_lshrrev_b32_e32 v0, 8, v0
	s_movk_i32 s14, 0x80
	v_and_or_b32 v0, v0, s14, v1
	global_store_byte v[2:3], v0, off
.LBB56_1535:
	s_mov_b64 s[14:15], 0
.LBB56_1536:
	s_andn2_b64 vcc, exec, s[14:15]
	s_mov_b64 s[14:15], 0
	s_cbranch_vccnz .LBB56_1544
; %bb.1537:
	v_cmp_lt_i16_e32 vcc, 14, v5
	s_mov_b64 s[16:17], -1
	s_cbranch_vccz .LBB56_1541
; %bb.1538:
	v_cmp_eq_u16_e32 vcc, 15, v5
	s_mov_b64 s[0:1], -1
	s_cbranch_vccz .LBB56_1540
; %bb.1539:
	global_store_short v[2:3], v4, off
	s_mov_b64 s[0:1], 0
.LBB56_1540:
	s_mov_b64 s[16:17], 0
.LBB56_1541:
	s_and_b64 vcc, exec, s[16:17]
	s_cbranch_vccz .LBB56_1544
; %bb.1542:
	v_cmp_ne_u16_e32 vcc, 11, v5
	s_andn2_b64 s[0:1], s[0:1], exec
	s_and_b64 s[16:17], vcc, exec
	s_mov_b64 s[14:15], -1
	s_or_b64 s[0:1], s[0:1], s[16:17]
	s_branch .LBB56_1544
.LBB56_1543:
	s_mov_b64 s[14:15], 0
.LBB56_1544:
	s_and_b64 s[16:17], s[8:9], exec
	s_andn2_b64 s[8:9], s[36:37], exec
	s_and_b64 s[0:1], s[0:1], exec
	s_and_b64 s[18:19], s[14:15], exec
	s_or_b64 s[36:37], s[8:9], s[0:1]
	s_or_b64 exec, exec, s[12:13]
	s_and_saveexec_b64 s[0:1], s[36:37]
	s_cbranch_execz .LBB56_1483
.LBB56_1545:
	s_or_b64 s[10:11], s[10:11], exec
	s_andn2_b64 s[18:19], s[18:19], exec
	s_trap 2
	s_or_b64 exec, exec, s[0:1]
	s_and_saveexec_b64 s[0:1], s[18:19]
	s_xor_b64 s[0:1], exec, s[0:1]
	s_cbranch_execnz .LBB56_1484
.LBB56_1546:
	s_or_b64 exec, exec, s[0:1]
	s_and_saveexec_b64 s[0:1], s[16:17]
	s_xor_b64 s[0:1], exec, s[0:1]
	s_cbranch_execz .LBB56_1584
.LBB56_1547:
	v_cmp_gt_i16_e32 vcc, 5, v5
	s_mov_b64 s[8:9], -1
	s_cbranch_vccnz .LBB56_1568
; %bb.1548:
	v_cmp_gt_i16_e32 vcc, 8, v5
	s_cbranch_vccnz .LBB56_1558
; %bb.1549:
	v_cmp_gt_i16_e32 vcc, 9, v5
	s_cbranch_vccnz .LBB56_1555
; %bb.1550:
	v_cmp_lt_i16_e32 vcc, 9, v5
	s_cbranch_vccz .LBB56_1552
; %bb.1551:
	s_waitcnt vmcnt(0)
	v_lshlrev_b32_e32 v0, 16, v4
	v_mov_b32_e32 v8, 0
	v_cvt_f64_f32_e32 v[6:7], v0
	v_mov_b32_e32 v9, v8
	s_mov_b64 s[8:9], 0
	global_store_dwordx4 v[2:3], v[6:9], off
.LBB56_1552:
	s_andn2_b64 vcc, exec, s[8:9]
	s_cbranch_vccnz .LBB56_1554
; %bb.1553:
	s_waitcnt vmcnt(0)
	v_lshlrev_b32_e32 v0, 16, v4
	v_mov_b32_e32 v1, 0
	global_store_dwordx2 v[2:3], v[0:1], off
.LBB56_1554:
	s_mov_b64 s[8:9], 0
.LBB56_1555:
	s_andn2_b64 vcc, exec, s[8:9]
	s_cbranch_vccnz .LBB56_1557
; %bb.1556:
	s_waitcnt vmcnt(0)
	v_lshlrev_b32_e32 v0, 16, v4
	v_cvt_f16_f32_e32 v0, v0
	global_store_dword v[2:3], v0, off
.LBB56_1557:
	s_mov_b64 s[8:9], 0
.LBB56_1558:
	s_andn2_b64 vcc, exec, s[8:9]
	s_cbranch_vccnz .LBB56_1567
; %bb.1559:
	v_cmp_gt_i16_e32 vcc, 6, v5
	s_mov_b64 s[8:9], -1
	s_cbranch_vccnz .LBB56_1565
; %bb.1560:
	v_cmp_lt_i16_e32 vcc, 6, v5
	s_cbranch_vccz .LBB56_1562
; %bb.1561:
	s_waitcnt vmcnt(0)
	v_lshlrev_b32_e32 v0, 16, v4
	v_cvt_f64_f32_e32 v[0:1], v0
	s_mov_b64 s[8:9], 0
	global_store_dwordx2 v[2:3], v[0:1], off
.LBB56_1562:
	s_andn2_b64 vcc, exec, s[8:9]
	s_cbranch_vccnz .LBB56_1564
; %bb.1563:
	s_waitcnt vmcnt(0)
	v_lshlrev_b32_e32 v0, 16, v4
	global_store_dword v[2:3], v0, off
.LBB56_1564:
	s_mov_b64 s[8:9], 0
.LBB56_1565:
	s_andn2_b64 vcc, exec, s[8:9]
	s_cbranch_vccnz .LBB56_1567
; %bb.1566:
	s_waitcnt vmcnt(0)
	v_lshlrev_b32_e32 v0, 16, v4
	v_cvt_f16_f32_e32 v0, v0
	global_store_short v[2:3], v0, off
.LBB56_1567:
	s_mov_b64 s[8:9], 0
.LBB56_1568:
	s_andn2_b64 vcc, exec, s[8:9]
	s_cbranch_vccnz .LBB56_1584
; %bb.1569:
	v_cmp_gt_i16_e32 vcc, 2, v5
	s_mov_b64 s[8:9], -1
	s_cbranch_vccnz .LBB56_1579
; %bb.1570:
	v_cmp_gt_i16_e32 vcc, 3, v5
	s_cbranch_vccnz .LBB56_1576
; %bb.1571:
	v_cmp_lt_i16_e32 vcc, 3, v5
	s_cbranch_vccz .LBB56_1573
; %bb.1572:
	s_waitcnt vmcnt(0)
	v_lshlrev_b32_e32 v0, 16, v4
	v_trunc_f32_e32 v0, v0
	s_mov_b32 s8, 0x2f800000
	v_mul_f32_e64 v1, |v0|, s8
	v_floor_f32_e32 v1, v1
	s_mov_b32 s8, 0xcf800000
	v_cvt_u32_f32_e32 v6, v1
	v_fma_f32 v1, v1, s8, |v0|
	v_cvt_u32_f32_e32 v1, v1
	v_ashrrev_i32_e32 v7, 31, v0
	v_xor_b32_e32 v6, v6, v7
	s_mov_b64 s[8:9], 0
	v_xor_b32_e32 v0, v1, v7
	v_sub_co_u32_e32 v0, vcc, v0, v7
	v_subb_co_u32_e32 v1, vcc, v6, v7, vcc
	global_store_dwordx2 v[2:3], v[0:1], off
.LBB56_1573:
	s_andn2_b64 vcc, exec, s[8:9]
	s_cbranch_vccnz .LBB56_1575
; %bb.1574:
	s_waitcnt vmcnt(0)
	v_lshlrev_b32_e32 v0, 16, v4
	v_cvt_i32_f32_e32 v0, v0
	global_store_dword v[2:3], v0, off
.LBB56_1575:
	s_mov_b64 s[8:9], 0
.LBB56_1576:
	s_andn2_b64 vcc, exec, s[8:9]
	s_cbranch_vccnz .LBB56_1578
; %bb.1577:
	s_waitcnt vmcnt(0)
	v_lshlrev_b32_e32 v0, 16, v4
	v_cvt_i32_f32_e32 v0, v0
	global_store_short v[2:3], v0, off
.LBB56_1578:
	s_mov_b64 s[8:9], 0
.LBB56_1579:
	s_andn2_b64 vcc, exec, s[8:9]
	s_cbranch_vccnz .LBB56_1584
; %bb.1580:
	v_cmp_lt_i16_e32 vcc, 0, v5
	s_mov_b64 s[8:9], -1
	s_waitcnt vmcnt(0)
	v_lshlrev_b32_e32 v0, 16, v4
	s_cbranch_vccz .LBB56_1582
; %bb.1581:
	v_cvt_i32_f32_e32 v1, v0
	s_mov_b64 s[8:9], 0
	global_store_byte v[2:3], v1, off
.LBB56_1582:
	s_andn2_b64 vcc, exec, s[8:9]
	s_cbranch_vccnz .LBB56_1584
; %bb.1583:
	v_trunc_f32_e32 v0, v0
	s_mov_b32 s8, 0x2f800000
	v_mul_f32_e64 v1, |v0|, s8
	v_floor_f32_e32 v1, v1
	s_mov_b32 s8, 0xcf800000
	v_fma_f32 v1, v1, s8, |v0|
	v_cvt_u32_f32_e32 v1, v1
	v_ashrrev_i32_e32 v0, 31, v0
	v_xor_b32_e32 v1, v1, v0
	v_sub_u32_e32 v0, v1, v0
	global_store_byte v[2:3], v0, off
.LBB56_1584:
	s_or_b64 exec, exec, s[0:1]
	s_and_b64 s[12:13], s[10:11], exec
                                        ; implicit-def: $vgpr24
                                        ; implicit-def: $vgpr8
.LBB56_1585:
	s_or_saveexec_b64 s[14:15], s[22:23]
	s_mov_b64 s[0:1], 0
                                        ; implicit-def: $vgpr0_vgpr1
                                        ; implicit-def: $vgpr3
                                        ; implicit-def: $vgpr2
	s_xor_b64 exec, exec, s[14:15]
	s_cbranch_execz .LBB56_3114
; %bb.1586:
	v_cndmask_b32_e64 v0, 0, 1, s[20:21]
	v_cmp_ne_u32_e64 s[0:1], 1, v0
	s_andn2_b64 vcc, exec, s[20:21]
	s_cbranch_vccnz .LBB56_1592
; %bb.1587:
	s_cmp_lg_u32 s33, 0
	v_mov_b32_e32 v20, 0
	v_mov_b32_e32 v22, 0
	;; [unrolled: 1-line block ×3, first 2 shown]
	s_cbranch_scc0 .LBB56_1593
; %bb.1588:
	s_min_u32 s8, s68, 15
	s_add_i32 s6, s8, 1
	s_and_b32 s9, s6, 30
	s_add_u32 s6, s2, 0xffffffec
	s_addc_u32 s7, s3, -1
	v_mov_b32_e32 v6, 0
	s_waitcnt vmcnt(0)
	v_mov_b32_e32 v0, v8
	v_mov_b32_e32 v22, 0
	;; [unrolled: 1-line block ×3, first 2 shown]
.LBB56_1589:                            ; =>This Inner Loop Header: Depth=1
	s_mov_b64 s[10:11], s[6:7]
	s_load_dwordx4 s[16:19], s[10:11], 0x18
	s_load_dwordx2 s[24:25], s[10:11], 0x28
	s_load_dwordx2 s[26:27], s[10:11], 0xe8
	s_load_dwordx4 s[20:23], s[10:11], 0xd8
	s_add_u32 s6, s10, 24
	s_waitcnt lgkmcnt(0)
	v_mul_hi_u32 v1, s17, v0
	v_add_u32_e32 v1, v0, v1
	v_lshrrev_b32_e32 v1, s18, v1
	v_mul_lo_u32 v2, v1, s16
	v_mul_hi_u32 v3, s24, v1
	v_sub_u32_e32 v0, v0, v2
	v_add_u32_e32 v2, v1, v3
	v_mul_lo_u32 v3, v0, s20
	v_mul_lo_u32 v4, v0, s21
	;; [unrolled: 1-line block ×3, first 2 shown]
	v_lshrrev_b32_e32 v0, s25, v2
	v_mul_lo_u32 v2, v0, s19
	v_sub_u32_e32 v1, v1, v2
	s_addc_u32 s7, s11, 0
	s_add_i32 s9, s9, -2
	v_mul_lo_u32 v2, v1, s23
	v_mul_lo_u32 v7, v1, s26
	;; [unrolled: 1-line block ×3, first 2 shown]
	s_cmp_lg_u32 s9, 0
	v_add3_u32 v6, v3, v6, v2
	v_add3_u32 v20, v5, v20, v1
	;; [unrolled: 1-line block ×3, first 2 shown]
	s_cbranch_scc1 .LBB56_1589
; %bb.1590:
	s_bitcmp1_b32 s8, 0
	s_cselect_b64 s[8:9], -1, 0
	s_and_b64 vcc, exec, s[8:9]
	s_cbranch_vccnz .LBB56_1593
; %bb.1591:
	s_load_dwordx2 s[8:9], s[6:7], 0x18
	s_load_dword s16, s[6:7], 0x20
	s_load_dword s17, s[6:7], 0xe0
	s_load_dwordx2 s[10:11], s[6:7], 0xd8
	s_waitcnt lgkmcnt(0)
	v_mul_hi_u32 v1, s9, v0
	v_add_u32_e32 v1, v0, v1
	v_lshrrev_b32_e32 v1, s16, v1
	v_mul_lo_u32 v1, v1, s8
	v_sub_u32_e32 v0, v0, v1
	v_mad_u64_u32 v[6:7], s[6:7], v0, s10, v[6:7]
	v_mad_u64_u32 v[22:23], s[6:7], v0, s11, v[22:23]
	;; [unrolled: 1-line block ×3, first 2 shown]
	s_cbranch_execz .LBB56_1594
	s_branch .LBB56_1596
.LBB56_1592:
                                        ; implicit-def: $vgpr20
                                        ; implicit-def: $vgpr22
                                        ; implicit-def: $vgpr6
	s_branch .LBB56_1594
.LBB56_1593:
	s_cbranch_execnz .LBB56_1596
.LBB56_1594:
	s_load_dwordx4 s[8:11], s[2:3], 0x4
	s_load_dwordx4 s[16:19], s[2:3], 0xc4
	s_cmp_lt_u32 s33, 2
	s_waitcnt vmcnt(0) lgkmcnt(0)
	v_mul_hi_u32 v0, s9, v8
	v_add_u32_e32 v0, v8, v0
	v_lshrrev_b32_e32 v0, s10, v0
	v_mul_lo_u32 v1, v0, s8
	v_sub_u32_e32 v1, v8, v1
	v_mul_lo_u32 v6, v1, s16
	v_mul_lo_u32 v20, v1, s18
	;; [unrolled: 1-line block ×3, first 2 shown]
	s_cbranch_scc1 .LBB56_1596
; %bb.1595:
	s_load_dwordx4 s[8:11], s[2:3], 0x10
	s_load_dwordx4 s[16:19], s[2:3], 0xd0
	s_waitcnt lgkmcnt(0)
	v_mul_hi_u32 v1, s9, v0
	v_add_u32_e32 v1, v0, v1
	v_lshrrev_b32_e32 v1, s10, v1
	v_mul_lo_u32 v1, v1, s8
	v_sub_u32_e32 v0, v0, v1
	v_mad_u64_u32 v[6:7], s[6:7], v0, s16, v[6:7]
	v_mad_u64_u32 v[22:23], s[6:7], v0, s17, v[22:23]
	;; [unrolled: 1-line block ×3, first 2 shown]
.LBB56_1596:
	s_and_b64 vcc, exec, s[0:1]
	s_waitcnt vmcnt(0)
	v_add_u32_e32 v0, 0x80, v8
	s_cbranch_vccnz .LBB56_1602
; %bb.1597:
	s_cmp_lg_u32 s33, 0
	v_mov_b32_e32 v16, 0
	v_mov_b32_e32 v18, 0
	;; [unrolled: 1-line block ×3, first 2 shown]
	s_cbranch_scc0 .LBB56_1603
; %bb.1598:
	s_min_u32 s8, s68, 15
	s_add_i32 s6, s8, 1
	s_and_b32 s9, s6, 30
	s_add_u32 s6, s2, 0xffffffec
	s_addc_u32 s7, s3, -1
	v_mov_b32_e32 v4, 0
	v_mov_b32_e32 v1, v0
	;; [unrolled: 1-line block ×4, first 2 shown]
.LBB56_1599:                            ; =>This Inner Loop Header: Depth=1
	s_mov_b64 s[10:11], s[6:7]
	s_load_dwordx4 s[16:19], s[10:11], 0x18
	s_load_dwordx2 s[24:25], s[10:11], 0x28
	s_load_dwordx2 s[26:27], s[10:11], 0xe8
	s_load_dwordx4 s[20:23], s[10:11], 0xd8
	s_add_u32 s6, s10, 24
	s_waitcnt lgkmcnt(0)
	v_mul_hi_u32 v2, s17, v1
	v_add_u32_e32 v2, v1, v2
	v_lshrrev_b32_e32 v2, s18, v2
	v_mul_lo_u32 v3, v2, s16
	v_mul_hi_u32 v5, s24, v2
	v_sub_u32_e32 v1, v1, v3
	v_add_u32_e32 v3, v2, v5
	v_mul_lo_u32 v5, v1, s20
	v_mul_lo_u32 v7, v1, s21
	;; [unrolled: 1-line block ×3, first 2 shown]
	v_lshrrev_b32_e32 v1, s25, v3
	v_mul_lo_u32 v3, v1, s19
	v_sub_u32_e32 v2, v2, v3
	s_addc_u32 s7, s11, 0
	s_add_i32 s9, s9, -2
	v_mul_lo_u32 v3, v2, s23
	v_mul_lo_u32 v10, v2, s26
	;; [unrolled: 1-line block ×3, first 2 shown]
	s_cmp_lg_u32 s9, 0
	v_add3_u32 v4, v5, v4, v3
	v_add3_u32 v16, v9, v16, v2
	;; [unrolled: 1-line block ×3, first 2 shown]
	s_cbranch_scc1 .LBB56_1599
; %bb.1600:
	s_bitcmp1_b32 s8, 0
	s_cselect_b64 s[8:9], -1, 0
	s_and_b64 vcc, exec, s[8:9]
	s_cbranch_vccnz .LBB56_1603
; %bb.1601:
	s_load_dwordx2 s[8:9], s[6:7], 0x18
	s_load_dword s16, s[6:7], 0x20
	s_load_dword s17, s[6:7], 0xe0
	s_load_dwordx2 s[10:11], s[6:7], 0xd8
	s_waitcnt lgkmcnt(0)
	v_mul_hi_u32 v2, s9, v1
	v_add_u32_e32 v2, v1, v2
	v_lshrrev_b32_e32 v2, s16, v2
	v_mul_lo_u32 v2, v2, s8
	v_sub_u32_e32 v1, v1, v2
	v_mad_u64_u32 v[4:5], s[6:7], v1, s10, v[4:5]
	v_mad_u64_u32 v[18:19], s[6:7], v1, s11, v[18:19]
	;; [unrolled: 1-line block ×3, first 2 shown]
	s_cbranch_execz .LBB56_1604
	s_branch .LBB56_1606
.LBB56_1602:
                                        ; implicit-def: $vgpr16
                                        ; implicit-def: $vgpr18
                                        ; implicit-def: $vgpr4
	s_branch .LBB56_1604
.LBB56_1603:
	s_cbranch_execnz .LBB56_1606
.LBB56_1604:
	s_load_dwordx4 s[8:11], s[2:3], 0x4
	s_load_dwordx4 s[16:19], s[2:3], 0xc4
	s_cmp_lt_u32 s33, 2
	s_waitcnt lgkmcnt(0)
	v_mul_hi_u32 v1, s9, v0
	v_add_u32_e32 v1, v0, v1
	v_lshrrev_b32_e32 v1, s10, v1
	v_mul_lo_u32 v2, v1, s8
	v_sub_u32_e32 v0, v0, v2
	v_mul_lo_u32 v4, v0, s16
	v_mul_lo_u32 v16, v0, s18
	;; [unrolled: 1-line block ×3, first 2 shown]
	s_cbranch_scc1 .LBB56_1606
; %bb.1605:
	s_load_dwordx4 s[8:11], s[2:3], 0x10
	s_load_dwordx4 s[16:19], s[2:3], 0xd0
	s_waitcnt lgkmcnt(0)
	v_mul_hi_u32 v0, s9, v1
	v_add_u32_e32 v0, v1, v0
	v_lshrrev_b32_e32 v0, s10, v0
	v_mul_lo_u32 v0, v0, s8
	v_sub_u32_e32 v0, v1, v0
	v_mad_u64_u32 v[4:5], s[6:7], v0, s16, v[4:5]
	v_mad_u64_u32 v[18:19], s[6:7], v0, s17, v[18:19]
	;; [unrolled: 1-line block ×3, first 2 shown]
.LBB56_1606:
	s_and_b64 vcc, exec, s[0:1]
	v_add_u32_e32 v0, 0x100, v8
	s_cbranch_vccnz .LBB56_1612
; %bb.1607:
	s_cmp_lg_u32 s33, 0
	v_mov_b32_e32 v12, 0
	v_mov_b32_e32 v14, 0
	;; [unrolled: 1-line block ×3, first 2 shown]
	s_cbranch_scc0 .LBB56_1613
; %bb.1608:
	s_min_u32 s8, s68, 15
	s_add_i32 s6, s8, 1
	s_and_b32 s9, s6, 30
	s_add_u32 s6, s2, 0xffffffec
	s_addc_u32 s7, s3, -1
	v_mov_b32_e32 v2, 0
	v_mov_b32_e32 v1, v0
	v_mov_b32_e32 v14, 0
	v_mov_b32_e32 v12, 0
.LBB56_1609:                            ; =>This Inner Loop Header: Depth=1
	s_mov_b64 s[10:11], s[6:7]
	s_load_dwordx4 s[16:19], s[10:11], 0x18
	s_load_dwordx2 s[24:25], s[10:11], 0x28
	s_load_dwordx2 s[26:27], s[10:11], 0xe8
	s_load_dwordx4 s[20:23], s[10:11], 0xd8
	s_add_u32 s6, s10, 24
	s_waitcnt lgkmcnt(0)
	v_mul_hi_u32 v3, s17, v1
	v_add_u32_e32 v3, v1, v3
	v_lshrrev_b32_e32 v3, s18, v3
	v_mul_lo_u32 v5, v3, s16
	v_mul_hi_u32 v7, s24, v3
	v_sub_u32_e32 v1, v1, v5
	v_add_u32_e32 v5, v3, v7
	v_mul_lo_u32 v7, v1, s20
	v_mul_lo_u32 v8, v1, s21
	;; [unrolled: 1-line block ×3, first 2 shown]
	v_lshrrev_b32_e32 v1, s25, v5
	v_mul_lo_u32 v5, v1, s19
	v_sub_u32_e32 v3, v3, v5
	s_addc_u32 s7, s11, 0
	s_add_i32 s9, s9, -2
	v_mul_lo_u32 v5, v3, s23
	v_mul_lo_u32 v10, v3, s26
	;; [unrolled: 1-line block ×3, first 2 shown]
	s_cmp_lg_u32 s9, 0
	v_add3_u32 v2, v7, v2, v5
	v_add3_u32 v12, v9, v12, v3
	;; [unrolled: 1-line block ×3, first 2 shown]
	s_cbranch_scc1 .LBB56_1609
; %bb.1610:
	s_bitcmp1_b32 s8, 0
	s_cselect_b64 s[8:9], -1, 0
	s_and_b64 vcc, exec, s[8:9]
	s_cbranch_vccnz .LBB56_1613
; %bb.1611:
	s_load_dwordx2 s[8:9], s[6:7], 0x18
	s_load_dword s16, s[6:7], 0x20
	s_load_dword s17, s[6:7], 0xe0
	s_load_dwordx2 s[10:11], s[6:7], 0xd8
	s_waitcnt lgkmcnt(0)
	v_mul_hi_u32 v3, s9, v1
	v_add_u32_e32 v3, v1, v3
	v_lshrrev_b32_e32 v3, s16, v3
	v_mul_lo_u32 v3, v3, s8
	v_sub_u32_e32 v1, v1, v3
	v_mad_u64_u32 v[2:3], s[6:7], v1, s10, v[2:3]
	v_mad_u64_u32 v[14:15], s[6:7], v1, s11, v[14:15]
	;; [unrolled: 1-line block ×3, first 2 shown]
	s_cbranch_execz .LBB56_1614
	s_branch .LBB56_1616
.LBB56_1612:
                                        ; implicit-def: $vgpr12
                                        ; implicit-def: $vgpr14
                                        ; implicit-def: $vgpr2
	s_branch .LBB56_1614
.LBB56_1613:
	s_cbranch_execnz .LBB56_1616
.LBB56_1614:
	s_load_dwordx4 s[8:11], s[2:3], 0x4
	s_load_dwordx4 s[16:19], s[2:3], 0xc4
	s_cmp_lt_u32 s33, 2
	s_waitcnt lgkmcnt(0)
	v_mul_hi_u32 v1, s9, v0
	v_add_u32_e32 v1, v0, v1
	v_lshrrev_b32_e32 v1, s10, v1
	v_mul_lo_u32 v2, v1, s8
	v_sub_u32_e32 v0, v0, v2
	v_mul_lo_u32 v2, v0, s16
	v_mul_lo_u32 v12, v0, s18
	;; [unrolled: 1-line block ×3, first 2 shown]
	s_cbranch_scc1 .LBB56_1616
; %bb.1615:
	s_load_dwordx4 s[8:11], s[2:3], 0x10
	s_load_dwordx4 s[16:19], s[2:3], 0xd0
	s_waitcnt lgkmcnt(0)
	v_mul_hi_u32 v0, s9, v1
	v_add_u32_e32 v0, v1, v0
	v_lshrrev_b32_e32 v0, s10, v0
	v_mul_lo_u32 v0, v0, s8
	v_sub_u32_e32 v0, v1, v0
	v_mad_u64_u32 v[2:3], s[6:7], v0, s16, v[2:3]
	v_mad_u64_u32 v[14:15], s[6:7], v0, s17, v[14:15]
	;; [unrolled: 1-line block ×3, first 2 shown]
.LBB56_1616:
	s_and_b64 vcc, exec, s[0:1]
	s_cbranch_vccnz .LBB56_1622
; %bb.1617:
	s_cmp_lg_u32 s33, 0
	v_mov_b32_e32 v8, 0
	v_mov_b32_e32 v10, 0
	;; [unrolled: 1-line block ×3, first 2 shown]
	s_cbranch_scc0 .LBB56_1623
; %bb.1618:
	s_min_u32 s6, s68, 15
	s_add_i32 s0, s6, 1
	s_and_b32 s7, s0, 30
	s_add_u32 s0, s2, 0xffffffec
	s_addc_u32 s1, s3, -1
	v_mov_b32_e32 v0, 0
	v_mov_b32_e32 v1, v24
	v_mov_b32_e32 v10, 0
	v_mov_b32_e32 v8, 0
.LBB56_1619:                            ; =>This Inner Loop Header: Depth=1
	s_mov_b64 s[20:21], s[0:1]
	s_load_dwordx4 s[8:11], s[20:21], 0x18
	s_load_dwordx2 s[22:23], s[20:21], 0x28
	s_load_dwordx2 s[24:25], s[20:21], 0xe8
	s_load_dwordx4 s[16:19], s[20:21], 0xd8
	s_add_u32 s0, s20, 24
	s_waitcnt lgkmcnt(0)
	v_mul_hi_u32 v3, s9, v1
	v_add_u32_e32 v3, v1, v3
	v_lshrrev_b32_e32 v3, s10, v3
	v_mul_lo_u32 v5, v3, s8
	v_mul_hi_u32 v7, s22, v3
	v_sub_u32_e32 v1, v1, v5
	v_add_u32_e32 v5, v3, v7
	v_mul_lo_u32 v7, v1, s16
	v_mul_lo_u32 v9, v1, s17
	;; [unrolled: 1-line block ×3, first 2 shown]
	v_lshrrev_b32_e32 v1, s23, v5
	v_mul_lo_u32 v5, v1, s11
	v_sub_u32_e32 v3, v3, v5
	s_addc_u32 s1, s21, 0
	s_add_i32 s7, s7, -2
	v_mul_lo_u32 v5, v3, s19
	v_mul_lo_u32 v13, v3, s24
	;; [unrolled: 1-line block ×3, first 2 shown]
	s_cmp_lg_u32 s7, 0
	v_add3_u32 v0, v7, v0, v5
	v_add3_u32 v8, v11, v8, v3
	;; [unrolled: 1-line block ×3, first 2 shown]
	s_cbranch_scc1 .LBB56_1619
; %bb.1620:
	s_bitcmp1_b32 s6, 0
	s_cselect_b64 s[6:7], -1, 0
	s_and_b64 vcc, exec, s[6:7]
	s_cbranch_vccnz .LBB56_1623
; %bb.1621:
	s_load_dwordx2 s[6:7], s[0:1], 0x18
	s_load_dword s10, s[0:1], 0x20
	s_load_dword s11, s[0:1], 0xe0
	s_load_dwordx2 s[8:9], s[0:1], 0xd8
	s_waitcnt lgkmcnt(0)
	v_mul_hi_u32 v3, s7, v1
	v_add_u32_e32 v3, v1, v3
	v_lshrrev_b32_e32 v3, s10, v3
	v_mul_lo_u32 v3, v3, s6
	v_sub_u32_e32 v3, v1, v3
	v_mad_u64_u32 v[0:1], s[0:1], v3, s8, v[0:1]
	v_mad_u64_u32 v[10:11], s[0:1], v3, s9, v[10:11]
	;; [unrolled: 1-line block ×3, first 2 shown]
	s_cbranch_execz .LBB56_1624
	s_branch .LBB56_1626
.LBB56_1622:
                                        ; implicit-def: $vgpr8
                                        ; implicit-def: $vgpr10
                                        ; implicit-def: $vgpr0
	s_branch .LBB56_1624
.LBB56_1623:
	s_cbranch_execnz .LBB56_1626
.LBB56_1624:
	s_load_dwordx4 s[8:11], s[2:3], 0x4
	s_load_dwordx4 s[16:19], s[2:3], 0xc4
	s_cmp_lt_u32 s33, 2
	s_waitcnt lgkmcnt(0)
	v_mul_hi_u32 v0, s9, v24
	v_add_u32_e32 v0, v24, v0
	v_lshrrev_b32_e32 v1, s10, v0
	v_mul_lo_u32 v0, v1, s8
	v_sub_u32_e32 v3, v24, v0
	v_mul_lo_u32 v0, v3, s16
	v_mul_lo_u32 v8, v3, s18
	;; [unrolled: 1-line block ×3, first 2 shown]
	s_cbranch_scc1 .LBB56_1626
; %bb.1625:
	s_load_dwordx4 s[8:11], s[2:3], 0x10
	s_load_dwordx4 s[16:19], s[2:3], 0xd0
	s_waitcnt lgkmcnt(0)
	v_mul_hi_u32 v3, s9, v1
	v_add_u32_e32 v3, v1, v3
	v_lshrrev_b32_e32 v3, s10, v3
	v_mul_lo_u32 v3, v3, s8
	v_sub_u32_e32 v3, v1, v3
	v_mad_u64_u32 v[0:1], s[0:1], v3, s16, v[0:1]
	v_mad_u64_u32 v[10:11], s[0:1], v3, s17, v[10:11]
	;; [unrolled: 1-line block ×3, first 2 shown]
.LBB56_1626:
	s_load_dword s24, s[4:5], 0x1a8
	s_load_dwordx4 s[8:11], s[2:3], 0x188
	s_waitcnt lgkmcnt(0)
	s_lshr_b32 s25, s24, 16
	v_mov_b32_e32 v1, s11
	v_add_co_u32_e32 v22, vcc, s10, v22
	v_addc_co_u32_e32 v23, vcc, 0, v1, vcc
	v_mov_b32_e32 v1, 11
	v_cmp_lt_i16_sdwa s[0:1], s25, v1 src0_sel:BYTE_0 src1_sel:DWORD
	s_and_b64 vcc, exec, s[0:1]
	s_cbranch_vccnz .LBB56_1633
; %bb.1627:
	v_mov_b32_e32 v1, 25
	v_cmp_gt_i16_sdwa s[0:1], s25, v1 src0_sel:BYTE_0 src1_sel:DWORD
	s_mov_b64 s[6:7], 0
	s_and_b64 vcc, exec, s[0:1]
	s_cbranch_vccz .LBB56_1635
; %bb.1628:
	v_mov_b32_e32 v1, 28
	v_cmp_gt_i16_sdwa s[0:1], s25, v1 src0_sel:BYTE_0 src1_sel:DWORD
	s_and_b64 vcc, exec, s[0:1]
	s_cbranch_vccz .LBB56_1636
; %bb.1629:
	v_mov_b32_e32 v1, 43
	v_cmp_gt_i16_sdwa s[0:1], s25, v1 src0_sel:BYTE_0 src1_sel:DWORD
	;; [unrolled: 5-line block ×3, first 2 shown]
	s_and_b64 vcc, exec, s[0:1]
	s_cbranch_vccz .LBB56_1638
; %bb.1631:
	v_mov_b32_e32 v1, 46
	v_cmp_eq_u16_sdwa s[0:1], s25, v1 src0_sel:BYTE_0 src1_sel:DWORD
	s_mov_b64 s[4:5], 0
	s_and_b64 vcc, exec, s[0:1]
	s_cbranch_vccz .LBB56_1641
; %bb.1632:
	global_load_dword v1, v[22:23], off
	s_mov_b64 s[0:1], 0
	s_mov_b64 s[16:17], -1
	s_branch .LBB56_1642
.LBB56_1633:
	s_mov_b64 s[16:17], 0
                                        ; implicit-def: $vgpr1
	s_mov_b64 s[4:5], s[12:13]
	s_cbranch_execnz .LBB56_1704
.LBB56_1634:
	s_andn2_b64 vcc, exec, s[16:17]
	s_cbranch_vccz .LBB56_1749
	s_branch .LBB56_3112
.LBB56_1635:
	s_mov_b64 s[16:17], 0
	s_mov_b64 s[0:1], 0
                                        ; implicit-def: $vgpr1
	s_cbranch_execnz .LBB56_1669
	s_branch .LBB56_1700
.LBB56_1636:
	s_mov_b64 s[16:17], 0
	s_mov_b64 s[0:1], 0
                                        ; implicit-def: $vgpr1
	s_cbranch_execz .LBB56_1668
	s_branch .LBB56_1651
.LBB56_1637:
	s_mov_b64 s[16:17], 0
	s_mov_b64 s[0:1], 0
                                        ; implicit-def: $vgpr1
	s_cbranch_execnz .LBB56_1647
	s_branch .LBB56_1650
.LBB56_1638:
	s_mov_b64 s[4:5], -1
	s_mov_b64 s[16:17], 0
	s_mov_b64 s[0:1], 0
                                        ; implicit-def: $vgpr1
	s_branch .LBB56_1642
.LBB56_1639:
	s_or_saveexec_b64 s[16:17], s[16:17]
                                        ; implicit-def: $sgpr18
	s_xor_b64 exec, exec, s[16:17]
	s_cbranch_execz .LBB56_1498
.LBB56_1640:
	s_mov_b32 s18, 0x46000000
	v_add_f32_e64 v1, |v6|, s18
	v_and_b32_e32 v1, 0xff, v1
	v_cmp_ne_u32_e32 vcc, 0, v1
	s_andn2_b64 s[14:15], s[14:15], exec
	s_and_b64 s[24:25], vcc, exec
	s_mov_b32 s18, 0
	s_or_b64 s[14:15], s[14:15], s[24:25]
	s_or_b64 exec, exec, s[16:17]
	v_mov_b32_e32 v7, s18
	s_and_saveexec_b64 s[16:17], s[14:15]
	s_cbranch_execnz .LBB56_1499
	s_branch .LBB56_1500
.LBB56_1641:
	s_mov_b64 s[0:1], -1
                                        ; implicit-def: $vgpr1
	s_mov_b64 s[16:17], 0
.LBB56_1642:
	s_and_b64 vcc, exec, s[4:5]
	s_cbranch_vccz .LBB56_1645
; %bb.1643:
	s_waitcnt vmcnt(0)
	v_mov_b32_e32 v1, 44
	v_cmp_eq_u16_sdwa s[0:1], s25, v1 src0_sel:BYTE_0 src1_sel:DWORD
	s_and_b64 vcc, exec, s[0:1]
	s_cbranch_vccz .LBB56_1646
; %bb.1644:
	global_load_ubyte v1, v[22:23], off
	s_movk_i32 s4, 0xff
	v_mov_b32_e32 v3, 0x7f800001
	v_mov_b32_e32 v5, 0x400000
	;; [unrolled: 1-line block ×3, first 2 shown]
	s_mov_b64 s[0:1], 0
	s_mov_b64 s[16:17], -1
	s_waitcnt vmcnt(0)
	v_lshlrev_b32_e32 v9, 23, v1
	v_cmp_ne_u32_e32 vcc, s4, v1
	v_cndmask_b32_e32 v3, v3, v9, vcc
	v_cmp_ne_u32_e32 vcc, 0, v1
	v_cndmask_b32_e32 v1, v5, v3, vcc
	v_add_u32_e32 v3, 0x7fff, v1
	v_lshrrev_b32_e32 v3, 16, v3
	v_cmp_o_f32_e32 vcc, v1, v1
	v_cndmask_b32_e32 v1, v7, v3, vcc
.LBB56_1645:
	s_branch .LBB56_1650
.LBB56_1646:
	s_mov_b64 s[0:1], -1
                                        ; implicit-def: $vgpr1
	s_branch .LBB56_1650
.LBB56_1647:
	s_waitcnt vmcnt(0)
	v_mov_b32_e32 v1, 29
	v_cmp_eq_u16_sdwa s[0:1], s25, v1 src0_sel:BYTE_0 src1_sel:DWORD
	s_and_b64 vcc, exec, s[0:1]
	s_cbranch_vccz .LBB56_1649
; %bb.1648:
	global_load_dwordx2 v[24:25], v[22:23], off
	s_movk_i32 s4, 0x7fff
	s_mov_b64 s[0:1], 0
	s_mov_b64 s[16:17], -1
	s_waitcnt vmcnt(0)
	v_ffbh_u32_e32 v1, v25
	v_min_u32_e32 v1, 32, v1
	v_lshlrev_b64 v[24:25], v1, v[24:25]
	v_min_u32_e32 v3, 1, v24
	v_or_b32_e32 v3, v25, v3
	v_cvt_f32_u32_e32 v3, v3
	v_sub_u32_e32 v1, 32, v1
	v_ldexp_f32 v1, v3, v1
	v_bfe_u32 v3, v1, 16, 1
	v_add3_u32 v1, v1, v3, s4
	v_lshrrev_b32_e32 v1, 16, v1
	s_branch .LBB56_1650
.LBB56_1649:
	s_mov_b64 s[0:1], -1
                                        ; implicit-def: $vgpr1
.LBB56_1650:
	s_branch .LBB56_1668
.LBB56_1651:
	s_waitcnt vmcnt(0)
	v_mov_b32_e32 v1, 27
	v_cmp_lt_i16_sdwa s[4:5], s25, v1 src0_sel:BYTE_0 src1_sel:DWORD
	s_and_b64 vcc, exec, s[4:5]
	s_cbranch_vccnz .LBB56_1654
; %bb.1652:
	v_cmp_gt_i16_sdwa s[4:5], s25, v1 src0_sel:BYTE_0 src1_sel:DWORD
	s_and_b64 vcc, exec, s[4:5]
	s_cbranch_vccz .LBB56_1655
; %bb.1653:
	global_load_dword v1, v[22:23], off
	s_movk_i32 s4, 0x7fff
	s_waitcnt vmcnt(0)
	v_cvt_f32_u32_e32 v1, v1
	v_bfe_u32 v3, v1, 16, 1
	v_add3_u32 v1, v1, v3, s4
	v_lshrrev_b32_e32 v1, 16, v1
	s_mov_b64 s[4:5], 0
	s_branch .LBB56_1656
.LBB56_1654:
	s_mov_b64 s[4:5], -1
                                        ; implicit-def: $vgpr1
	s_branch .LBB56_1659
.LBB56_1655:
	s_mov_b64 s[4:5], -1
                                        ; implicit-def: $vgpr1
.LBB56_1656:
	s_andn2_b64 vcc, exec, s[4:5]
	s_cbranch_vccnz .LBB56_1658
; %bb.1657:
	global_load_ushort v1, v[22:23], off
	s_movk_i32 s4, 0x7fff
	s_waitcnt vmcnt(0)
	v_cvt_f32_u32_e32 v1, v1
	v_bfe_u32 v3, v1, 16, 1
	v_add3_u32 v1, v1, v3, s4
	v_lshrrev_b32_e32 v1, 16, v1
.LBB56_1658:
	s_mov_b64 s[4:5], 0
.LBB56_1659:
	s_andn2_b64 vcc, exec, s[4:5]
	s_cbranch_vccnz .LBB56_1667
; %bb.1660:
	global_load_ubyte v1, v[22:23], off
	s_movk_i32 s4, 0x7f
                                        ; implicit-def: $sgpr20
	s_waitcnt vmcnt(0)
	v_cmp_lt_i16_e32 vcc, s4, v1
	s_mov_b64 s[4:5], 0
	s_and_saveexec_b64 s[16:17], vcc
	s_xor_b64 s[16:17], exec, s[16:17]
	s_cbranch_execz .LBB56_1680
; %bb.1661:
	s_movk_i32 s4, 0x80
	v_cmp_eq_u16_e32 vcc, s4, v1
	s_mov_b64 s[4:5], -1
                                        ; implicit-def: $sgpr20
	s_and_saveexec_b64 s[18:19], vcc
; %bb.1662:
	s_mov_b32 s20, 0x7f800001
	s_xor_b64 s[4:5], exec, -1
; %bb.1663:
	s_or_b64 exec, exec, s[18:19]
	s_and_b64 s[4:5], s[4:5], exec
	s_or_saveexec_b64 s[16:17], s[16:17]
	v_mov_b32_e32 v3, s20
	s_xor_b64 exec, exec, s[16:17]
	s_cbranch_execnz .LBB56_1681
.LBB56_1664:
	s_or_b64 exec, exec, s[16:17]
	s_and_saveexec_b64 s[16:17], s[4:5]
	s_cbranch_execz .LBB56_1666
.LBB56_1665:
	v_lshlrev_b32_e32 v3, 24, v1
	v_and_b32_e32 v1, 0xffff, v1
	v_and_b32_e32 v5, 7, v1
	v_ffbh_u32_e32 v9, v5
	v_min_u32_e32 v9, 32, v9
	v_subrev_u32_e32 v11, 28, v9
	v_bfe_u32 v7, v1, 3, 4
	v_lshlrev_b32_e32 v1, v11, v1
	v_sub_u32_e32 v9, 29, v9
	v_and_b32_e32 v1, 7, v1
	v_cmp_eq_u32_e32 vcc, 0, v7
	v_cndmask_b32_e32 v7, v7, v9, vcc
	v_cndmask_b32_e32 v1, v5, v1, vcc
	v_mov_b32_e32 v5, 0x3b800000
	v_lshlrev_b32_e32 v1, 20, v1
	v_and_b32_e32 v3, 0x80000000, v3
	v_lshl_add_u32 v5, v7, 23, v5
	v_or3_b32 v3, v3, v5, v1
.LBB56_1666:
	s_or_b64 exec, exec, s[16:17]
	v_bfe_u32 v1, v3, 16, 1
	s_movk_i32 s4, 0x7fff
	v_add3_u32 v1, v3, v1, s4
	v_lshrrev_b32_e32 v1, 16, v1
	v_mov_b32_e32 v5, 0x7fc0
	v_cmp_o_f32_e32 vcc, v3, v3
	v_cndmask_b32_e32 v1, v5, v1, vcc
.LBB56_1667:
	s_mov_b64 s[16:17], -1
.LBB56_1668:
	s_branch .LBB56_1700
.LBB56_1669:
	s_waitcnt vmcnt(0)
	v_mov_b32_e32 v1, 22
	v_cmp_gt_i16_sdwa s[4:5], s25, v1 src0_sel:BYTE_0 src1_sel:DWORD
	s_and_b64 vcc, exec, s[4:5]
	s_cbranch_vccz .LBB56_1679
; %bb.1670:
	v_mov_b32_e32 v1, 24
	v_cmp_lt_i16_sdwa s[4:5], s25, v1 src0_sel:BYTE_0 src1_sel:DWORD
	s_and_b64 vcc, exec, s[4:5]
	s_cbranch_vccnz .LBB56_1682
; %bb.1671:
	v_cmp_gt_i16_sdwa s[4:5], s25, v1 src0_sel:BYTE_0 src1_sel:DWORD
	s_and_b64 vcc, exec, s[4:5]
	s_cbranch_vccz .LBB56_1683
; %bb.1672:
	global_load_ubyte v1, v[22:23], off
	s_movk_i32 s4, 0x7f
                                        ; implicit-def: $sgpr18
	s_waitcnt vmcnt(0)
	v_cmp_lt_i16_e32 vcc, s4, v1
	s_mov_b64 s[4:5], 0
	s_and_saveexec_b64 s[6:7], vcc
	s_xor_b64 s[6:7], exec, s[6:7]
	s_cbranch_execz .LBB56_1694
; %bb.1673:
	s_movk_i32 s4, 0x80
	v_cmp_eq_u16_e32 vcc, s4, v1
	s_mov_b64 s[4:5], -1
                                        ; implicit-def: $sgpr18
	s_and_saveexec_b64 s[16:17], vcc
; %bb.1674:
	s_mov_b32 s18, 0x7f800001
	s_xor_b64 s[4:5], exec, -1
; %bb.1675:
	s_or_b64 exec, exec, s[16:17]
	s_and_b64 s[4:5], s[4:5], exec
	s_or_saveexec_b64 s[6:7], s[6:7]
	v_mov_b32_e32 v3, s18
	s_xor_b64 exec, exec, s[6:7]
	s_cbranch_execnz .LBB56_1695
.LBB56_1676:
	s_or_b64 exec, exec, s[6:7]
	s_and_saveexec_b64 s[6:7], s[4:5]
	s_cbranch_execz .LBB56_1678
.LBB56_1677:
	v_lshlrev_b32_e32 v3, 24, v1
	v_and_b32_e32 v1, 0xffff, v1
	v_and_b32_e32 v5, 3, v1
	v_ffbh_u32_e32 v9, v5
	v_min_u32_e32 v9, 32, v9
	v_subrev_u32_e32 v11, 29, v9
	v_bfe_u32 v7, v1, 2, 5
	v_lshlrev_b32_e32 v1, v11, v1
	v_sub_u32_e32 v9, 30, v9
	v_and_b32_e32 v1, 3, v1
	v_cmp_eq_u32_e32 vcc, 0, v7
	v_cndmask_b32_e32 v7, v7, v9, vcc
	v_cndmask_b32_e32 v1, v5, v1, vcc
	v_mov_b32_e32 v5, 0x37800000
	v_lshlrev_b32_e32 v1, 21, v1
	v_and_b32_e32 v3, 0x80000000, v3
	v_lshl_add_u32 v5, v7, 23, v5
	v_or3_b32 v3, v3, v5, v1
.LBB56_1678:
	s_or_b64 exec, exec, s[6:7]
	v_bfe_u32 v1, v3, 16, 1
	s_movk_i32 s4, 0x7fff
	v_add3_u32 v1, v3, v1, s4
	v_lshrrev_b32_e32 v1, 16, v1
	v_mov_b32_e32 v5, 0x7fc0
	v_cmp_o_f32_e32 vcc, v3, v3
	v_cndmask_b32_e32 v1, v5, v1, vcc
	s_mov_b64 s[4:5], 0
	s_branch .LBB56_1684
.LBB56_1679:
                                        ; implicit-def: $vgpr1
	s_mov_b64 s[6:7], 0
	s_branch .LBB56_1690
.LBB56_1680:
	s_or_saveexec_b64 s[16:17], s[16:17]
	v_mov_b32_e32 v3, s20
	s_xor_b64 exec, exec, s[16:17]
	s_cbranch_execz .LBB56_1664
.LBB56_1681:
	v_cmp_ne_u16_e32 vcc, 0, v1
	s_andn2_b64 s[4:5], s[4:5], exec
	s_and_b64 s[18:19], vcc, exec
	v_mov_b32_e32 v3, 0
	s_or_b64 s[4:5], s[4:5], s[18:19]
	s_or_b64 exec, exec, s[16:17]
	s_and_saveexec_b64 s[16:17], s[4:5]
	s_cbranch_execnz .LBB56_1665
	s_branch .LBB56_1666
.LBB56_1682:
	s_mov_b64 s[4:5], -1
                                        ; implicit-def: $vgpr1
	s_branch .LBB56_1687
.LBB56_1683:
	s_mov_b64 s[4:5], -1
                                        ; implicit-def: $vgpr1
.LBB56_1684:
	s_and_b64 vcc, exec, s[4:5]
	s_cbranch_vccz .LBB56_1686
; %bb.1685:
	global_load_ubyte v1, v[22:23], off
	s_mov_b32 s4, 0x7f800000
	s_brev_b32 s5, 1
	s_movk_i32 s6, 0x7fff
	v_mov_b32_e32 v3, 0x7fc0
	s_waitcnt vmcnt(0)
	v_lshlrev_b32_e32 v1, 24, v1
	v_and_b32_e32 v5, 0x7f000000, v1
	v_ffbh_u32_e32 v7, v5
	v_min_u32_e32 v7, 32, v7
	v_sub_u32_e64 v7, v7, 4 clamp
	v_lshlrev_b32_e32 v11, v7, v5
	v_lshlrev_b32_e32 v7, 23, v7
	v_lshrrev_b32_e32 v11, 4, v11
	v_add_u32_e32 v9, 0x1000000, v5
	v_sub_u32_e32 v7, v11, v7
	v_ashrrev_i32_e32 v9, 8, v9
	v_add_u32_e32 v7, 0x3c000000, v7
	v_and_or_b32 v7, v9, s4, v7
	v_cmp_ne_u32_e32 vcc, 0, v5
	v_cndmask_b32_e32 v5, 0, v7, vcc
	v_and_or_b32 v1, v1, s5, v5
	v_bfe_u32 v5, v5, 16, 1
	v_add3_u32 v5, v1, v5, s6
	v_lshrrev_b32_e32 v5, 16, v5
	v_cmp_o_f32_e32 vcc, v1, v1
	v_cndmask_b32_e32 v1, v3, v5, vcc
.LBB56_1686:
	s_mov_b64 s[4:5], 0
.LBB56_1687:
	s_andn2_b64 vcc, exec, s[4:5]
	s_cbranch_vccnz .LBB56_1689
; %bb.1688:
	global_load_ubyte v1, v[22:23], off
	s_movk_i32 s4, 0x7f00
	s_brev_b32 s5, 16
	s_brev_b32 s6, 1
	s_movk_i32 s7, 0x7fff
	v_mov_b32_e32 v3, 0x7fc0
	s_waitcnt vmcnt(0)
	v_lshlrev_b16_e32 v5, 8, v1
	v_lshlrev_b32_e32 v1, 25, v1
	v_lshrrev_b32_e32 v7, 4, v1
	v_and_or_b32 v9, v5, s4, 0.5
	v_or_b32_e32 v7, 0x70000000, v7
	v_add_f32_e32 v9, -0.5, v9
	v_mul_f32_e32 v7, 0x7800000, v7
	v_cmp_gt_u32_e32 vcc, s5, v1
	v_bfe_i32 v5, v5, 0, 16
	v_cndmask_b32_e32 v1, v7, v9, vcc
	v_and_or_b32 v5, v5, s6, v1
	v_bfe_u32 v1, v1, 16, 1
	v_add3_u32 v1, v5, v1, s7
	v_lshrrev_b32_e32 v1, 16, v1
	v_cmp_o_f32_e32 vcc, v5, v5
	v_cndmask_b32_e32 v1, v3, v1, vcc
.LBB56_1689:
	s_mov_b64 s[16:17], -1
	s_mov_b64 s[6:7], 0
	s_cbranch_execnz .LBB56_1700
.LBB56_1690:
	v_mov_b32_e32 v1, 14
	v_cmp_gt_i16_sdwa s[4:5], s25, v1 src0_sel:BYTE_0 src1_sel:DWORD
	s_and_b64 vcc, exec, s[4:5]
	s_cbranch_vccz .LBB56_1693
; %bb.1691:
	v_mov_b32_e32 v1, 15
	v_cmp_eq_u16_sdwa s[0:1], s25, v1 src0_sel:BYTE_0 src1_sel:DWORD
	s_and_b64 vcc, exec, s[0:1]
	s_cbranch_vccz .LBB56_1696
; %bb.1692:
	global_load_ushort v1, v[22:23], off
	s_mov_b64 s[0:1], 0
	s_mov_b64 s[16:17], -1
	s_branch .LBB56_1697
.LBB56_1693:
	s_mov_b64 s[4:5], -1
                                        ; implicit-def: $vgpr1
	s_branch .LBB56_1698
.LBB56_1694:
	s_or_saveexec_b64 s[6:7], s[6:7]
	v_mov_b32_e32 v3, s18
	s_xor_b64 exec, exec, s[6:7]
	s_cbranch_execz .LBB56_1676
.LBB56_1695:
	v_cmp_ne_u16_e32 vcc, 0, v1
	s_andn2_b64 s[4:5], s[4:5], exec
	s_and_b64 s[16:17], vcc, exec
	v_mov_b32_e32 v3, 0
	s_or_b64 s[4:5], s[4:5], s[16:17]
	s_or_b64 exec, exec, s[6:7]
	s_and_saveexec_b64 s[6:7], s[4:5]
	s_cbranch_execnz .LBB56_1677
	s_branch .LBB56_1678
.LBB56_1696:
	s_mov_b64 s[0:1], -1
                                        ; implicit-def: $vgpr1
.LBB56_1697:
	s_mov_b64 s[4:5], 0
.LBB56_1698:
	s_and_b64 vcc, exec, s[4:5]
	s_cbranch_vccz .LBB56_1700
; %bb.1699:
	s_waitcnt vmcnt(0)
	v_mov_b32_e32 v1, 11
	v_cmp_ne_u16_sdwa s[0:1], s25, v1 src0_sel:BYTE_0 src1_sel:DWORD
	s_mov_b64 s[6:7], -1
                                        ; implicit-def: $vgpr1
.LBB56_1700:
	s_and_b64 vcc, exec, s[0:1]
	s_mov_b64 s[4:5], s[12:13]
	s_cbranch_vccnz .LBB56_1761
; %bb.1701:
	s_andn2_b64 vcc, exec, s[6:7]
	s_cbranch_vccnz .LBB56_1703
.LBB56_1702:
	global_load_ubyte v1, v[22:23], off
	s_mov_b64 s[16:17], -1
	s_waitcnt vmcnt(0)
	v_cmp_ne_u16_e32 vcc, 0, v1
	v_cndmask_b32_e64 v1, 0, 1.0, vcc
	v_lshrrev_b32_e32 v1, 16, v1
.LBB56_1703:
	s_branch .LBB56_1634
.LBB56_1704:
	s_waitcnt vmcnt(0)
	v_mov_b32_e32 v1, 5
	v_cmp_lt_i16_sdwa s[0:1], s25, v1 src0_sel:BYTE_0 src1_sel:DWORD
	s_and_b64 vcc, exec, s[0:1]
	s_cbranch_vccnz .LBB56_1709
; %bb.1705:
	v_mov_b32_e32 v1, 8
	v_cmp_lt_i16_sdwa s[0:1], s25, v1 src0_sel:BYTE_0 src1_sel:DWORD
	s_and_b64 vcc, exec, s[0:1]
	s_cbranch_vccnz .LBB56_1710
; %bb.1706:
	;; [unrolled: 5-line block ×3, first 2 shown]
	v_cmp_gt_i16_sdwa s[0:1], s25, v1 src0_sel:BYTE_0 src1_sel:DWORD
	s_and_b64 vcc, exec, s[0:1]
	s_cbranch_vccz .LBB56_1712
; %bb.1708:
	global_load_dwordx2 v[24:25], v[22:23], off
	s_movk_i32 s0, 0x7fff
	v_mov_b32_e32 v1, 0x7fc0
	s_waitcnt vmcnt(0)
	v_cvt_f32_f64_e32 v3, v[24:25]
	v_bfe_u32 v5, v3, 16, 1
	v_add3_u32 v5, v3, v5, s0
	v_lshrrev_b32_e32 v5, 16, v5
	v_cmp_o_f32_e32 vcc, v3, v3
	v_cndmask_b32_e32 v1, v1, v5, vcc
	s_mov_b64 s[0:1], 0
	s_branch .LBB56_1713
.LBB56_1709:
                                        ; implicit-def: $vgpr1
	s_branch .LBB56_1730
.LBB56_1710:
                                        ; implicit-def: $vgpr1
	s_branch .LBB56_1719
.LBB56_1711:
	s_mov_b64 s[0:1], -1
                                        ; implicit-def: $vgpr1
	s_branch .LBB56_1716
.LBB56_1712:
	s_mov_b64 s[0:1], -1
                                        ; implicit-def: $vgpr1
.LBB56_1713:
	s_andn2_b64 vcc, exec, s[0:1]
	s_cbranch_vccnz .LBB56_1715
; %bb.1714:
	global_load_dword v1, v[22:23], off
	s_movk_i32 s0, 0x7fff
	v_mov_b32_e32 v3, 0x7fc0
	s_waitcnt vmcnt(0)
	v_bfe_u32 v5, v1, 16, 1
	v_add3_u32 v5, v1, v5, s0
	v_lshrrev_b32_e32 v5, 16, v5
	v_cmp_o_f32_e32 vcc, v1, v1
	v_cndmask_b32_e32 v1, v3, v5, vcc
.LBB56_1715:
	s_mov_b64 s[0:1], 0
.LBB56_1716:
	s_andn2_b64 vcc, exec, s[0:1]
	s_cbranch_vccnz .LBB56_1718
; %bb.1717:
	global_load_dword v1, v[22:23], off
	s_movk_i32 s0, 0x7fff
	v_mov_b32_e32 v5, 0x7fc0
	s_waitcnt vmcnt(0)
	v_cvt_f32_f16_e32 v3, v1
	v_cmp_o_f16_e32 vcc, v1, v1
	v_bfe_u32 v7, v3, 16, 1
	v_add3_u32 v3, v3, v7, s0
	v_lshrrev_b32_e32 v3, 16, v3
	v_cndmask_b32_e32 v1, v5, v3, vcc
.LBB56_1718:
	s_cbranch_execnz .LBB56_1729
.LBB56_1719:
	v_mov_b32_e32 v1, 6
	v_cmp_lt_i16_sdwa s[0:1], s25, v1 src0_sel:BYTE_0 src1_sel:DWORD
	s_and_b64 vcc, exec, s[0:1]
	s_cbranch_vccnz .LBB56_1722
; %bb.1720:
	v_cmp_gt_i16_sdwa s[0:1], s25, v1 src0_sel:BYTE_0 src1_sel:DWORD
	s_and_b64 vcc, exec, s[0:1]
	s_cbranch_vccz .LBB56_1723
; %bb.1721:
	global_load_dwordx2 v[24:25], v[22:23], off
	s_movk_i32 s0, 0x7fff
	v_mov_b32_e32 v1, 0x7fc0
	s_waitcnt vmcnt(0)
	v_cvt_f32_f64_e32 v3, v[24:25]
	v_bfe_u32 v5, v3, 16, 1
	v_add3_u32 v5, v3, v5, s0
	v_lshrrev_b32_e32 v5, 16, v5
	v_cmp_o_f32_e32 vcc, v3, v3
	v_cndmask_b32_e32 v1, v1, v5, vcc
	s_mov_b64 s[0:1], 0
	s_branch .LBB56_1724
.LBB56_1722:
	s_mov_b64 s[0:1], -1
                                        ; implicit-def: $vgpr1
	s_branch .LBB56_1727
.LBB56_1723:
	s_mov_b64 s[0:1], -1
                                        ; implicit-def: $vgpr1
.LBB56_1724:
	s_andn2_b64 vcc, exec, s[0:1]
	s_cbranch_vccnz .LBB56_1726
; %bb.1725:
	global_load_dword v1, v[22:23], off
	s_movk_i32 s0, 0x7fff
	v_mov_b32_e32 v3, 0x7fc0
	s_waitcnt vmcnt(0)
	v_bfe_u32 v5, v1, 16, 1
	v_add3_u32 v5, v1, v5, s0
	v_lshrrev_b32_e32 v5, 16, v5
	v_cmp_o_f32_e32 vcc, v1, v1
	v_cndmask_b32_e32 v1, v3, v5, vcc
.LBB56_1726:
	s_mov_b64 s[0:1], 0
.LBB56_1727:
	s_andn2_b64 vcc, exec, s[0:1]
	s_cbranch_vccnz .LBB56_1729
; %bb.1728:
	global_load_ushort v1, v[22:23], off
	s_movk_i32 s0, 0x7fff
	v_mov_b32_e32 v5, 0x7fc0
	s_waitcnt vmcnt(0)
	v_cvt_f32_f16_e32 v3, v1
	v_cmp_o_f16_e32 vcc, v1, v1
	v_bfe_u32 v7, v3, 16, 1
	v_add3_u32 v3, v3, v7, s0
	v_lshrrev_b32_e32 v3, 16, v3
	v_cndmask_b32_e32 v1, v5, v3, vcc
.LBB56_1729:
	s_cbranch_execnz .LBB56_1748
.LBB56_1730:
	v_mov_b32_e32 v1, 2
	v_cmp_lt_i16_sdwa s[0:1], s25, v1 src0_sel:BYTE_0 src1_sel:DWORD
	s_and_b64 vcc, exec, s[0:1]
	s_cbranch_vccnz .LBB56_1734
; %bb.1731:
	v_mov_b32_e32 v1, 3
	v_cmp_lt_i16_sdwa s[0:1], s25, v1 src0_sel:BYTE_0 src1_sel:DWORD
	s_and_b64 vcc, exec, s[0:1]
	s_cbranch_vccnz .LBB56_1735
; %bb.1732:
	v_cmp_gt_i16_sdwa s[0:1], s25, v1 src0_sel:BYTE_0 src1_sel:DWORD
	s_and_b64 vcc, exec, s[0:1]
	s_cbranch_vccz .LBB56_1736
; %bb.1733:
	global_load_dwordx2 v[24:25], v[22:23], off
	s_movk_i32 s0, 0x7fff
	s_waitcnt vmcnt(0)
	v_xor_b32_e32 v3, v24, v25
	v_ffbh_i32_e32 v1, v25
	v_ashrrev_i32_e32 v3, 31, v3
	v_add_u32_e32 v1, -1, v1
	v_add_u32_e32 v3, 32, v3
	v_min_u32_e32 v1, v1, v3
	v_lshlrev_b64 v[24:25], v1, v[24:25]
	v_min_u32_e32 v3, 1, v24
	v_or_b32_e32 v3, v25, v3
	v_cvt_f32_i32_e32 v3, v3
	v_sub_u32_e32 v1, 32, v1
	v_ldexp_f32 v1, v3, v1
	v_bfe_u32 v3, v1, 16, 1
	v_add3_u32 v1, v1, v3, s0
	v_lshrrev_b32_e32 v1, 16, v1
	s_mov_b64 s[0:1], 0
	s_branch .LBB56_1737
.LBB56_1734:
                                        ; implicit-def: $vgpr1
	s_branch .LBB56_1743
.LBB56_1735:
	s_mov_b64 s[0:1], -1
                                        ; implicit-def: $vgpr1
	s_branch .LBB56_1740
.LBB56_1736:
	s_mov_b64 s[0:1], -1
                                        ; implicit-def: $vgpr1
.LBB56_1737:
	s_andn2_b64 vcc, exec, s[0:1]
	s_cbranch_vccnz .LBB56_1739
; %bb.1738:
	global_load_dword v1, v[22:23], off
	s_movk_i32 s0, 0x7fff
	s_waitcnt vmcnt(0)
	v_cvt_f32_i32_e32 v1, v1
	v_bfe_u32 v3, v1, 16, 1
	v_add3_u32 v1, v1, v3, s0
	v_lshrrev_b32_e32 v1, 16, v1
.LBB56_1739:
	s_mov_b64 s[0:1], 0
.LBB56_1740:
	s_andn2_b64 vcc, exec, s[0:1]
	s_cbranch_vccnz .LBB56_1742
; %bb.1741:
	global_load_sshort v1, v[22:23], off
	s_movk_i32 s0, 0x7fff
	s_waitcnt vmcnt(0)
	v_cvt_f32_i32_e32 v1, v1
	v_bfe_u32 v3, v1, 16, 1
	v_add3_u32 v1, v1, v3, s0
	v_lshrrev_b32_e32 v1, 16, v1
.LBB56_1742:
	s_cbranch_execnz .LBB56_1748
.LBB56_1743:
	v_mov_b32_e32 v1, 0
	v_cmp_gt_i16_sdwa s[0:1], s25, v1 src0_sel:BYTE_0 src1_sel:DWORD
	s_and_b64 vcc, exec, s[0:1]
	s_cbranch_vccz .LBB56_1745
; %bb.1744:
	global_load_sbyte v1, v[22:23], off
	s_movk_i32 s0, 0x7fff
	s_waitcnt vmcnt(0)
	v_cvt_f32_i32_e32 v1, v1
	v_bfe_u32 v3, v1, 16, 1
	v_add3_u32 v1, v1, v3, s0
	v_lshrrev_b32_e32 v1, 16, v1
	s_mov_b64 s[0:1], 0
	s_branch .LBB56_1746
.LBB56_1745:
	s_mov_b64 s[0:1], -1
                                        ; implicit-def: $vgpr1
.LBB56_1746:
	s_andn2_b64 vcc, exec, s[0:1]
	s_cbranch_vccnz .LBB56_1748
; %bb.1747:
	global_load_ubyte v1, v[22:23], off
	s_movk_i32 s0, 0x7fff
	s_waitcnt vmcnt(0)
	v_cvt_f32_ubyte0_e32 v1, v1
	v_bfe_u32 v3, v1, 16, 1
	v_add3_u32 v1, v1, v3, s0
	v_lshrrev_b32_e32 v1, 16, v1
.LBB56_1748:
.LBB56_1749:
	s_load_dwordx2 s[0:1], s[2:3], 0x198
	s_lshr_b32 s26, s24, 24
	v_cmp_lt_i16_e64 s[2:3], s26, 11
	s_waitcnt lgkmcnt(0)
	v_mov_b32_e32 v3, s1
	v_add_co_u32_e32 v20, vcc, s0, v20
	v_addc_co_u32_e32 v21, vcc, 0, v3, vcc
	s_and_b64 vcc, exec, s[2:3]
	s_cbranch_vccnz .LBB56_1756
; %bb.1750:
	v_cmp_gt_i16_e64 s[6:7], s26, 25
	s_mov_b64 s[16:17], 0
	s_and_b64 vcc, exec, s[6:7]
	s_cbranch_vccz .LBB56_1758
; %bb.1751:
	v_cmp_gt_i16_e64 s[6:7], s26, 28
	s_and_b64 vcc, exec, s[6:7]
	s_cbranch_vccz .LBB56_1759
; %bb.1752:
	v_cmp_gt_i16_e64 s[6:7], s26, 43
	;; [unrolled: 4-line block ×3, first 2 shown]
	s_and_b64 vcc, exec, s[6:7]
	s_cbranch_vccz .LBB56_1762
; %bb.1754:
	v_cmp_eq_u16_e64 s[6:7], s26, 46
	s_mov_b64 s[20:21], 0
	s_and_b64 vcc, exec, s[6:7]
	s_cbranch_vccz .LBB56_1765
; %bb.1755:
	global_load_dword v3, v[20:21], off
	s_mov_b64 s[6:7], 0
	s_mov_b64 s[18:19], -1
	s_branch .LBB56_1766
.LBB56_1756:
	s_mov_b64 s[18:19], 0
                                        ; implicit-def: $vgpr3
	s_cbranch_execnz .LBB56_1831
.LBB56_1757:
	s_andn2_b64 vcc, exec, s[18:19]
	s_cbranch_vccnz .LBB56_3112
	s_branch .LBB56_1878
.LBB56_1758:
	s_mov_b64 s[18:19], 0
	s_mov_b64 s[6:7], 0
                                        ; implicit-def: $vgpr3
	s_cbranch_execnz .LBB56_1795
	s_branch .LBB56_1827
.LBB56_1759:
	s_mov_b64 s[20:21], -1
	s_mov_b64 s[18:19], 0
	s_mov_b64 s[6:7], 0
                                        ; implicit-def: $vgpr3
	s_branch .LBB56_1776
.LBB56_1760:
	s_mov_b64 s[20:21], -1
	s_mov_b64 s[18:19], 0
	s_mov_b64 s[6:7], 0
                                        ; implicit-def: $vgpr3
	s_branch .LBB56_1771
.LBB56_1761:
	s_or_b64 s[4:5], s[12:13], exec
	s_trap 2
                                        ; implicit-def: $vgpr1
	s_cbranch_execz .LBB56_1702
	s_branch .LBB56_1703
.LBB56_1762:
	s_mov_b64 s[20:21], -1
	s_mov_b64 s[18:19], 0
	s_mov_b64 s[6:7], 0
                                        ; implicit-def: $vgpr3
	s_branch .LBB56_1766
.LBB56_1763:
	s_or_saveexec_b64 s[18:19], s[18:19]
                                        ; implicit-def: $sgpr24
	s_xor_b64 exec, exec, s[18:19]
	s_cbranch_execz .LBB56_1510
.LBB56_1764:
	s_mov_b32 s24, 0x42800000
	v_add_f32_e64 v1, |v6|, s24
	v_and_b32_e32 v1, 0xff, v1
	v_cmp_ne_u32_e32 vcc, 0, v1
	s_andn2_b64 s[16:17], s[16:17], exec
	s_and_b64 s[26:27], vcc, exec
	s_mov_b32 s24, 0
	s_or_b64 s[16:17], s[16:17], s[26:27]
	s_or_b64 exec, exec, s[18:19]
	v_mov_b32_e32 v7, s24
	s_and_saveexec_b64 s[18:19], s[16:17]
	s_cbranch_execnz .LBB56_1511
	s_branch .LBB56_1512
.LBB56_1765:
	s_mov_b64 s[6:7], -1
                                        ; implicit-def: $vgpr3
	s_mov_b64 s[18:19], 0
.LBB56_1766:
	s_and_b64 vcc, exec, s[20:21]
	s_cbranch_vccz .LBB56_1770
; %bb.1767:
	v_cmp_eq_u16_e64 s[6:7], s26, 44
	s_and_b64 vcc, exec, s[6:7]
	s_cbranch_vccz .LBB56_1769
; %bb.1768:
	global_load_ubyte v3, v[20:21], off
	s_movk_i32 s18, 0xff
	v_mov_b32_e32 v5, 0x7f800001
	v_mov_b32_e32 v7, 0x400000
	;; [unrolled: 1-line block ×3, first 2 shown]
	s_mov_b64 s[6:7], 0
	s_waitcnt vmcnt(0)
	v_lshlrev_b32_e32 v11, 23, v3
	v_cmp_ne_u32_e32 vcc, s18, v3
	v_cndmask_b32_e32 v5, v5, v11, vcc
	v_cmp_ne_u32_e32 vcc, 0, v3
	v_cndmask_b32_e32 v3, v7, v5, vcc
	v_add_u32_e32 v5, 0x7fff, v3
	v_lshrrev_b32_e32 v5, 16, v5
	v_cmp_o_f32_e32 vcc, v3, v3
	v_cndmask_b32_e32 v3, v9, v5, vcc
	s_mov_b64 s[18:19], -1
	s_branch .LBB56_1770
.LBB56_1769:
	s_mov_b64 s[6:7], -1
                                        ; implicit-def: $vgpr3
.LBB56_1770:
	s_mov_b64 s[20:21], 0
.LBB56_1771:
	s_and_b64 vcc, exec, s[20:21]
	s_cbranch_vccz .LBB56_1775
; %bb.1772:
	v_cmp_eq_u16_e64 s[6:7], s26, 29
	s_and_b64 vcc, exec, s[6:7]
	s_cbranch_vccz .LBB56_1774
; %bb.1773:
	global_load_dwordx2 v[22:23], v[20:21], off
	s_movk_i32 s18, 0x7fff
	s_mov_b64 s[6:7], 0
	s_mov_b64 s[20:21], 0
	s_waitcnt vmcnt(0)
	v_ffbh_u32_e32 v3, v23
	v_min_u32_e32 v3, 32, v3
	v_lshlrev_b64 v[22:23], v3, v[22:23]
	v_min_u32_e32 v5, 1, v22
	v_or_b32_e32 v5, v23, v5
	v_cvt_f32_u32_e32 v5, v5
	v_sub_u32_e32 v3, 32, v3
	v_ldexp_f32 v3, v5, v3
	v_bfe_u32 v5, v3, 16, 1
	v_add3_u32 v3, v3, v5, s18
	v_lshrrev_b32_e32 v3, 16, v3
	s_mov_b64 s[18:19], -1
	s_branch .LBB56_1776
.LBB56_1774:
	s_mov_b64 s[6:7], -1
                                        ; implicit-def: $vgpr3
.LBB56_1775:
	s_mov_b64 s[20:21], 0
.LBB56_1776:
	s_and_b64 vcc, exec, s[20:21]
	s_cbranch_vccz .LBB56_1794
; %bb.1777:
	v_cmp_lt_i16_e64 s[18:19], s26, 27
	s_and_b64 vcc, exec, s[18:19]
	s_cbranch_vccnz .LBB56_1780
; %bb.1778:
	v_cmp_gt_i16_e64 s[18:19], s26, 27
	s_and_b64 vcc, exec, s[18:19]
	s_cbranch_vccz .LBB56_1781
; %bb.1779:
	global_load_dword v3, v[20:21], off
	s_movk_i32 s18, 0x7fff
	s_waitcnt vmcnt(0)
	v_cvt_f32_u32_e32 v3, v3
	v_bfe_u32 v5, v3, 16, 1
	v_add3_u32 v3, v3, v5, s18
	v_lshrrev_b32_e32 v3, 16, v3
	s_mov_b64 s[18:19], 0
	s_branch .LBB56_1782
.LBB56_1780:
	s_mov_b64 s[18:19], -1
                                        ; implicit-def: $vgpr3
	s_branch .LBB56_1785
.LBB56_1781:
	s_mov_b64 s[18:19], -1
                                        ; implicit-def: $vgpr3
.LBB56_1782:
	s_andn2_b64 vcc, exec, s[18:19]
	s_cbranch_vccnz .LBB56_1784
; %bb.1783:
	global_load_ushort v3, v[20:21], off
	s_movk_i32 s18, 0x7fff
	s_waitcnt vmcnt(0)
	v_cvt_f32_u32_e32 v3, v3
	v_bfe_u32 v5, v3, 16, 1
	v_add3_u32 v3, v3, v5, s18
	v_lshrrev_b32_e32 v3, 16, v3
.LBB56_1784:
	s_mov_b64 s[18:19], 0
.LBB56_1785:
	s_andn2_b64 vcc, exec, s[18:19]
	s_cbranch_vccnz .LBB56_1793
; %bb.1786:
	global_load_ubyte v3, v[20:21], off
	s_movk_i32 s18, 0x7f
                                        ; implicit-def: $sgpr27
	s_waitcnt vmcnt(0)
	v_cmp_lt_i16_e32 vcc, s18, v3
	s_mov_b64 s[18:19], 0
	s_and_saveexec_b64 s[20:21], vcc
	s_xor_b64 s[20:21], exec, s[20:21]
	s_cbranch_execz .LBB56_1806
; %bb.1787:
	s_movk_i32 s18, 0x80
	v_cmp_eq_u16_e32 vcc, s18, v3
	s_mov_b64 s[18:19], -1
                                        ; implicit-def: $sgpr27
	s_and_saveexec_b64 s[22:23], vcc
; %bb.1788:
	s_mov_b32 s27, 0x7f800001
	s_xor_b64 s[18:19], exec, -1
; %bb.1789:
	s_or_b64 exec, exec, s[22:23]
	s_and_b64 s[18:19], s[18:19], exec
	s_or_saveexec_b64 s[20:21], s[20:21]
	v_mov_b32_e32 v5, s27
	s_xor_b64 exec, exec, s[20:21]
	s_cbranch_execnz .LBB56_1807
.LBB56_1790:
	s_or_b64 exec, exec, s[20:21]
	s_and_saveexec_b64 s[20:21], s[18:19]
	s_cbranch_execz .LBB56_1792
.LBB56_1791:
	v_lshlrev_b32_e32 v5, 24, v3
	v_and_b32_e32 v3, 0xffff, v3
	v_and_b32_e32 v7, 7, v3
	v_ffbh_u32_e32 v11, v7
	v_min_u32_e32 v11, 32, v11
	v_subrev_u32_e32 v13, 28, v11
	v_bfe_u32 v9, v3, 3, 4
	v_lshlrev_b32_e32 v3, v13, v3
	v_sub_u32_e32 v11, 29, v11
	v_and_b32_e32 v3, 7, v3
	v_cmp_eq_u32_e32 vcc, 0, v9
	v_cndmask_b32_e32 v9, v9, v11, vcc
	v_cndmask_b32_e32 v3, v7, v3, vcc
	v_mov_b32_e32 v7, 0x3b800000
	v_lshlrev_b32_e32 v3, 20, v3
	v_and_b32_e32 v5, 0x80000000, v5
	v_lshl_add_u32 v7, v9, 23, v7
	v_or3_b32 v5, v5, v7, v3
.LBB56_1792:
	s_or_b64 exec, exec, s[20:21]
	v_bfe_u32 v3, v5, 16, 1
	s_movk_i32 s18, 0x7fff
	v_add3_u32 v3, v5, v3, s18
	v_lshrrev_b32_e32 v3, 16, v3
	v_mov_b32_e32 v7, 0x7fc0
	v_cmp_o_f32_e32 vcc, v5, v5
	v_cndmask_b32_e32 v3, v7, v3, vcc
.LBB56_1793:
	s_mov_b64 s[18:19], -1
.LBB56_1794:
	s_branch .LBB56_1827
.LBB56_1795:
	v_cmp_gt_i16_e64 s[16:17], s26, 22
	s_and_b64 vcc, exec, s[16:17]
	s_cbranch_vccz .LBB56_1805
; %bb.1796:
	v_cmp_lt_i16_e64 s[16:17], s26, 24
	s_and_b64 vcc, exec, s[16:17]
	s_cbranch_vccnz .LBB56_1808
; %bb.1797:
	v_cmp_gt_i16_e64 s[16:17], s26, 24
	s_and_b64 vcc, exec, s[16:17]
	s_cbranch_vccz .LBB56_1809
; %bb.1798:
	global_load_ubyte v3, v[20:21], off
	s_movk_i32 s16, 0x7f
                                        ; implicit-def: $sgpr22
	s_waitcnt vmcnt(0)
	v_cmp_lt_i16_e32 vcc, s16, v3
	s_mov_b64 s[16:17], 0
	s_and_saveexec_b64 s[18:19], vcc
	s_xor_b64 s[18:19], exec, s[18:19]
	s_cbranch_execz .LBB56_1821
; %bb.1799:
	s_movk_i32 s16, 0x80
	v_cmp_eq_u16_e32 vcc, s16, v3
	s_mov_b64 s[16:17], -1
                                        ; implicit-def: $sgpr22
	s_and_saveexec_b64 s[20:21], vcc
; %bb.1800:
	s_mov_b32 s22, 0x7f800001
	s_xor_b64 s[16:17], exec, -1
; %bb.1801:
	s_or_b64 exec, exec, s[20:21]
	s_and_b64 s[16:17], s[16:17], exec
	s_or_saveexec_b64 s[18:19], s[18:19]
	v_mov_b32_e32 v5, s22
	s_xor_b64 exec, exec, s[18:19]
	s_cbranch_execnz .LBB56_1822
.LBB56_1802:
	s_or_b64 exec, exec, s[18:19]
	s_and_saveexec_b64 s[18:19], s[16:17]
	s_cbranch_execz .LBB56_1804
.LBB56_1803:
	v_lshlrev_b32_e32 v5, 24, v3
	v_and_b32_e32 v3, 0xffff, v3
	v_and_b32_e32 v7, 3, v3
	v_ffbh_u32_e32 v11, v7
	v_min_u32_e32 v11, 32, v11
	v_subrev_u32_e32 v13, 29, v11
	v_bfe_u32 v9, v3, 2, 5
	v_lshlrev_b32_e32 v3, v13, v3
	v_sub_u32_e32 v11, 30, v11
	v_and_b32_e32 v3, 3, v3
	v_cmp_eq_u32_e32 vcc, 0, v9
	v_cndmask_b32_e32 v9, v9, v11, vcc
	v_cndmask_b32_e32 v3, v7, v3, vcc
	v_mov_b32_e32 v7, 0x37800000
	v_lshlrev_b32_e32 v3, 21, v3
	v_and_b32_e32 v5, 0x80000000, v5
	v_lshl_add_u32 v7, v9, 23, v7
	v_or3_b32 v5, v5, v7, v3
.LBB56_1804:
	s_or_b64 exec, exec, s[18:19]
	v_bfe_u32 v3, v5, 16, 1
	s_movk_i32 s16, 0x7fff
	v_add3_u32 v3, v5, v3, s16
	v_lshrrev_b32_e32 v3, 16, v3
	v_mov_b32_e32 v7, 0x7fc0
	v_cmp_o_f32_e32 vcc, v5, v5
	v_cndmask_b32_e32 v3, v7, v3, vcc
	s_mov_b64 s[16:17], 0
	s_branch .LBB56_1810
.LBB56_1805:
	s_mov_b64 s[16:17], -1
                                        ; implicit-def: $vgpr3
	s_branch .LBB56_1816
.LBB56_1806:
	s_or_saveexec_b64 s[20:21], s[20:21]
	v_mov_b32_e32 v5, s27
	s_xor_b64 exec, exec, s[20:21]
	s_cbranch_execz .LBB56_1790
.LBB56_1807:
	v_cmp_ne_u16_e32 vcc, 0, v3
	s_andn2_b64 s[18:19], s[18:19], exec
	s_and_b64 s[22:23], vcc, exec
	v_mov_b32_e32 v5, 0
	s_or_b64 s[18:19], s[18:19], s[22:23]
	s_or_b64 exec, exec, s[20:21]
	s_and_saveexec_b64 s[20:21], s[18:19]
	s_cbranch_execnz .LBB56_1791
	s_branch .LBB56_1792
.LBB56_1808:
	s_mov_b64 s[16:17], -1
                                        ; implicit-def: $vgpr3
	s_branch .LBB56_1813
.LBB56_1809:
	s_mov_b64 s[16:17], -1
                                        ; implicit-def: $vgpr3
.LBB56_1810:
	s_and_b64 vcc, exec, s[16:17]
	s_cbranch_vccz .LBB56_1812
; %bb.1811:
	global_load_ubyte v3, v[20:21], off
	s_mov_b32 s16, 0x7f800000
	s_brev_b32 s17, 1
	s_movk_i32 s18, 0x7fff
	v_mov_b32_e32 v5, 0x7fc0
	s_waitcnt vmcnt(0)
	v_lshlrev_b32_e32 v3, 24, v3
	v_and_b32_e32 v7, 0x7f000000, v3
	v_ffbh_u32_e32 v9, v7
	v_min_u32_e32 v9, 32, v9
	v_sub_u32_e64 v9, v9, 4 clamp
	v_lshlrev_b32_e32 v13, v9, v7
	v_lshlrev_b32_e32 v9, 23, v9
	v_lshrrev_b32_e32 v13, 4, v13
	v_add_u32_e32 v11, 0x1000000, v7
	v_sub_u32_e32 v9, v13, v9
	v_ashrrev_i32_e32 v11, 8, v11
	v_add_u32_e32 v9, 0x3c000000, v9
	v_and_or_b32 v9, v11, s16, v9
	v_cmp_ne_u32_e32 vcc, 0, v7
	v_cndmask_b32_e32 v7, 0, v9, vcc
	v_and_or_b32 v3, v3, s17, v7
	v_bfe_u32 v7, v7, 16, 1
	v_add3_u32 v7, v3, v7, s18
	v_lshrrev_b32_e32 v7, 16, v7
	v_cmp_o_f32_e32 vcc, v3, v3
	v_cndmask_b32_e32 v3, v5, v7, vcc
.LBB56_1812:
	s_mov_b64 s[16:17], 0
.LBB56_1813:
	s_andn2_b64 vcc, exec, s[16:17]
	s_cbranch_vccnz .LBB56_1815
; %bb.1814:
	global_load_ubyte v3, v[20:21], off
	s_movk_i32 s16, 0x7f00
	s_brev_b32 s17, 16
	s_brev_b32 s18, 1
	s_movk_i32 s19, 0x7fff
	v_mov_b32_e32 v5, 0x7fc0
	s_waitcnt vmcnt(0)
	v_lshlrev_b16_e32 v7, 8, v3
	v_lshlrev_b32_e32 v3, 25, v3
	v_lshrrev_b32_e32 v9, 4, v3
	v_and_or_b32 v11, v7, s16, 0.5
	v_or_b32_e32 v9, 0x70000000, v9
	v_add_f32_e32 v11, -0.5, v11
	v_mul_f32_e32 v9, 0x7800000, v9
	v_cmp_gt_u32_e32 vcc, s17, v3
	v_bfe_i32 v7, v7, 0, 16
	v_cndmask_b32_e32 v3, v9, v11, vcc
	v_and_or_b32 v7, v7, s18, v3
	v_bfe_u32 v3, v3, 16, 1
	v_add3_u32 v3, v7, v3, s19
	v_lshrrev_b32_e32 v3, 16, v3
	v_cmp_o_f32_e32 vcc, v7, v7
	v_cndmask_b32_e32 v3, v5, v3, vcc
.LBB56_1815:
	s_mov_b64 s[16:17], 0
	s_mov_b64 s[18:19], -1
.LBB56_1816:
	s_andn2_b64 vcc, exec, s[16:17]
	s_mov_b64 s[16:17], 0
	s_cbranch_vccnz .LBB56_1827
; %bb.1817:
	v_cmp_gt_i16_e64 s[16:17], s26, 14
	s_and_b64 vcc, exec, s[16:17]
	s_cbranch_vccz .LBB56_1820
; %bb.1818:
	v_cmp_eq_u16_e64 s[6:7], s26, 15
	s_and_b64 vcc, exec, s[6:7]
	s_cbranch_vccz .LBB56_1823
; %bb.1819:
	global_load_ushort v3, v[20:21], off
	s_mov_b64 s[6:7], 0
	s_mov_b64 s[18:19], -1
	s_branch .LBB56_1824
.LBB56_1820:
	s_mov_b64 s[20:21], -1
                                        ; implicit-def: $vgpr3
	s_branch .LBB56_1825
.LBB56_1821:
	s_or_saveexec_b64 s[18:19], s[18:19]
	v_mov_b32_e32 v5, s22
	s_xor_b64 exec, exec, s[18:19]
	s_cbranch_execz .LBB56_1802
.LBB56_1822:
	v_cmp_ne_u16_e32 vcc, 0, v3
	s_andn2_b64 s[16:17], s[16:17], exec
	s_and_b64 s[20:21], vcc, exec
	v_mov_b32_e32 v5, 0
	s_or_b64 s[16:17], s[16:17], s[20:21]
	s_or_b64 exec, exec, s[18:19]
	s_and_saveexec_b64 s[18:19], s[16:17]
	s_cbranch_execnz .LBB56_1803
	s_branch .LBB56_1804
.LBB56_1823:
	s_mov_b64 s[6:7], -1
                                        ; implicit-def: $vgpr3
.LBB56_1824:
	s_mov_b64 s[20:21], 0
.LBB56_1825:
	s_mov_b64 s[16:17], 0
	s_and_b64 vcc, exec, s[20:21]
	s_cbranch_vccz .LBB56_1827
; %bb.1826:
	v_cmp_ne_u16_e64 s[6:7], s26, 11
	s_mov_b64 s[16:17], -1
                                        ; implicit-def: $vgpr3
.LBB56_1827:
	s_and_b64 vcc, exec, s[6:7]
	s_cbranch_vccnz .LBB56_1890
; %bb.1828:
	s_andn2_b64 vcc, exec, s[16:17]
	s_cbranch_vccnz .LBB56_1830
.LBB56_1829:
	global_load_ubyte v3, v[20:21], off
	s_mov_b64 s[18:19], -1
	s_waitcnt vmcnt(0)
	v_cmp_ne_u16_e32 vcc, 0, v3
	v_cndmask_b32_e64 v3, 0, 1.0, vcc
	v_lshrrev_b32_e32 v3, 16, v3
.LBB56_1830:
	s_branch .LBB56_1757
.LBB56_1831:
	v_cmp_lt_i16_e64 s[6:7], s26, 5
	s_and_b64 vcc, exec, s[6:7]
	s_cbranch_vccnz .LBB56_1836
; %bb.1832:
	v_cmp_lt_i16_e64 s[6:7], s26, 8
	s_and_b64 vcc, exec, s[6:7]
	s_cbranch_vccnz .LBB56_1837
; %bb.1833:
	;; [unrolled: 4-line block ×3, first 2 shown]
	v_cmp_gt_i16_e64 s[6:7], s26, 9
	s_and_b64 vcc, exec, s[6:7]
	s_cbranch_vccz .LBB56_1839
; %bb.1835:
	global_load_dwordx2 v[22:23], v[20:21], off
	s_movk_i32 s6, 0x7fff
	s_waitcnt vmcnt(1)
	v_mov_b32_e32 v3, 0x7fc0
	s_waitcnt vmcnt(0)
	v_cvt_f32_f64_e32 v5, v[22:23]
	v_bfe_u32 v7, v5, 16, 1
	v_add3_u32 v7, v5, v7, s6
	v_lshrrev_b32_e32 v7, 16, v7
	v_cmp_o_f32_e32 vcc, v5, v5
	v_cndmask_b32_e32 v3, v3, v7, vcc
	s_mov_b64 s[6:7], 0
	s_branch .LBB56_1840
.LBB56_1836:
                                        ; implicit-def: $vgpr3
	s_branch .LBB56_1858
.LBB56_1837:
	s_mov_b64 s[6:7], -1
                                        ; implicit-def: $vgpr3
	s_branch .LBB56_1846
.LBB56_1838:
	s_mov_b64 s[6:7], -1
                                        ; implicit-def: $vgpr3
	s_branch .LBB56_1843
.LBB56_1839:
	s_mov_b64 s[6:7], -1
                                        ; implicit-def: $vgpr3
.LBB56_1840:
	s_andn2_b64 vcc, exec, s[6:7]
	s_cbranch_vccnz .LBB56_1842
; %bb.1841:
	global_load_dword v3, v[20:21], off
	s_movk_i32 s6, 0x7fff
	v_mov_b32_e32 v5, 0x7fc0
	s_waitcnt vmcnt(0)
	v_bfe_u32 v7, v3, 16, 1
	v_add3_u32 v7, v3, v7, s6
	v_lshrrev_b32_e32 v7, 16, v7
	v_cmp_o_f32_e32 vcc, v3, v3
	v_cndmask_b32_e32 v3, v5, v7, vcc
.LBB56_1842:
	s_mov_b64 s[6:7], 0
.LBB56_1843:
	s_andn2_b64 vcc, exec, s[6:7]
	s_cbranch_vccnz .LBB56_1845
; %bb.1844:
	global_load_dword v3, v[20:21], off
	s_movk_i32 s6, 0x7fff
	v_mov_b32_e32 v7, 0x7fc0
	s_waitcnt vmcnt(0)
	v_cvt_f32_f16_e32 v5, v3
	v_cmp_o_f16_e32 vcc, v3, v3
	v_bfe_u32 v9, v5, 16, 1
	v_add3_u32 v5, v5, v9, s6
	v_lshrrev_b32_e32 v5, 16, v5
	v_cndmask_b32_e32 v3, v7, v5, vcc
.LBB56_1845:
	s_mov_b64 s[6:7], 0
.LBB56_1846:
	s_andn2_b64 vcc, exec, s[6:7]
	s_cbranch_vccnz .LBB56_1857
; %bb.1847:
	v_cmp_lt_i16_e64 s[6:7], s26, 6
	s_and_b64 vcc, exec, s[6:7]
	s_cbranch_vccnz .LBB56_1850
; %bb.1848:
	v_cmp_gt_i16_e64 s[6:7], s26, 6
	s_and_b64 vcc, exec, s[6:7]
	s_cbranch_vccz .LBB56_1851
; %bb.1849:
	global_load_dwordx2 v[22:23], v[20:21], off
	s_movk_i32 s6, 0x7fff
	s_waitcnt vmcnt(1)
	v_mov_b32_e32 v3, 0x7fc0
	s_waitcnt vmcnt(0)
	v_cvt_f32_f64_e32 v5, v[22:23]
	v_bfe_u32 v7, v5, 16, 1
	v_add3_u32 v7, v5, v7, s6
	v_lshrrev_b32_e32 v7, 16, v7
	v_cmp_o_f32_e32 vcc, v5, v5
	v_cndmask_b32_e32 v3, v3, v7, vcc
	s_mov_b64 s[6:7], 0
	s_branch .LBB56_1852
.LBB56_1850:
	s_mov_b64 s[6:7], -1
                                        ; implicit-def: $vgpr3
	s_branch .LBB56_1855
.LBB56_1851:
	s_mov_b64 s[6:7], -1
                                        ; implicit-def: $vgpr3
.LBB56_1852:
	s_andn2_b64 vcc, exec, s[6:7]
	s_cbranch_vccnz .LBB56_1854
; %bb.1853:
	global_load_dword v3, v[20:21], off
	s_movk_i32 s6, 0x7fff
	v_mov_b32_e32 v5, 0x7fc0
	s_waitcnt vmcnt(0)
	v_bfe_u32 v7, v3, 16, 1
	v_add3_u32 v7, v3, v7, s6
	v_lshrrev_b32_e32 v7, 16, v7
	v_cmp_o_f32_e32 vcc, v3, v3
	v_cndmask_b32_e32 v3, v5, v7, vcc
.LBB56_1854:
	s_mov_b64 s[6:7], 0
.LBB56_1855:
	s_andn2_b64 vcc, exec, s[6:7]
	s_cbranch_vccnz .LBB56_1857
; %bb.1856:
	global_load_ushort v3, v[20:21], off
	s_movk_i32 s6, 0x7fff
	v_mov_b32_e32 v7, 0x7fc0
	s_waitcnt vmcnt(0)
	v_cvt_f32_f16_e32 v5, v3
	v_cmp_o_f16_e32 vcc, v3, v3
	v_bfe_u32 v9, v5, 16, 1
	v_add3_u32 v5, v5, v9, s6
	v_lshrrev_b32_e32 v5, 16, v5
	v_cndmask_b32_e32 v3, v7, v5, vcc
.LBB56_1857:
	s_cbranch_execnz .LBB56_1877
.LBB56_1858:
	v_cmp_lt_i16_e64 s[6:7], s26, 2
	s_and_b64 vcc, exec, s[6:7]
	s_cbranch_vccnz .LBB56_1862
; %bb.1859:
	v_cmp_lt_i16_e64 s[6:7], s26, 3
	s_and_b64 vcc, exec, s[6:7]
	s_cbranch_vccnz .LBB56_1863
; %bb.1860:
	v_cmp_gt_i16_e64 s[6:7], s26, 3
	s_and_b64 vcc, exec, s[6:7]
	s_cbranch_vccz .LBB56_1864
; %bb.1861:
	global_load_dwordx2 v[22:23], v[20:21], off
	s_movk_i32 s6, 0x7fff
	s_waitcnt vmcnt(0)
	v_xor_b32_e32 v5, v22, v23
	v_ffbh_i32_e32 v3, v23
	v_ashrrev_i32_e32 v5, 31, v5
	v_add_u32_e32 v3, -1, v3
	v_add_u32_e32 v5, 32, v5
	v_min_u32_e32 v3, v3, v5
	v_lshlrev_b64 v[22:23], v3, v[22:23]
	v_min_u32_e32 v5, 1, v22
	v_or_b32_e32 v5, v23, v5
	v_cvt_f32_i32_e32 v5, v5
	v_sub_u32_e32 v3, 32, v3
	v_ldexp_f32 v3, v5, v3
	v_bfe_u32 v5, v3, 16, 1
	v_add3_u32 v3, v3, v5, s6
	v_lshrrev_b32_e32 v3, 16, v3
	s_mov_b64 s[6:7], 0
	s_branch .LBB56_1865
.LBB56_1862:
	s_mov_b64 s[6:7], -1
                                        ; implicit-def: $vgpr3
	s_branch .LBB56_1871
.LBB56_1863:
	s_mov_b64 s[6:7], -1
                                        ; implicit-def: $vgpr3
	s_branch .LBB56_1868
.LBB56_1864:
	s_mov_b64 s[6:7], -1
                                        ; implicit-def: $vgpr3
.LBB56_1865:
	s_andn2_b64 vcc, exec, s[6:7]
	s_cbranch_vccnz .LBB56_1867
; %bb.1866:
	global_load_dword v3, v[20:21], off
	s_movk_i32 s6, 0x7fff
	s_waitcnt vmcnt(0)
	v_cvt_f32_i32_e32 v3, v3
	v_bfe_u32 v5, v3, 16, 1
	v_add3_u32 v3, v3, v5, s6
	v_lshrrev_b32_e32 v3, 16, v3
.LBB56_1867:
	s_mov_b64 s[6:7], 0
.LBB56_1868:
	s_andn2_b64 vcc, exec, s[6:7]
	s_cbranch_vccnz .LBB56_1870
; %bb.1869:
	global_load_sshort v3, v[20:21], off
	s_movk_i32 s6, 0x7fff
	s_waitcnt vmcnt(0)
	v_cvt_f32_i32_e32 v3, v3
	v_bfe_u32 v5, v3, 16, 1
	v_add3_u32 v3, v3, v5, s6
	v_lshrrev_b32_e32 v3, 16, v3
.LBB56_1870:
	s_mov_b64 s[6:7], 0
.LBB56_1871:
	s_andn2_b64 vcc, exec, s[6:7]
	s_cbranch_vccnz .LBB56_1877
; %bb.1872:
	v_cmp_gt_i16_e64 s[6:7], s26, 0
	s_and_b64 vcc, exec, s[6:7]
	s_cbranch_vccz .LBB56_1874
; %bb.1873:
	global_load_sbyte v3, v[20:21], off
	s_movk_i32 s6, 0x7fff
	s_waitcnt vmcnt(0)
	v_cvt_f32_i32_e32 v3, v3
	v_bfe_u32 v5, v3, 16, 1
	v_add3_u32 v3, v3, v5, s6
	v_lshrrev_b32_e32 v3, 16, v3
	s_mov_b64 s[6:7], 0
	s_branch .LBB56_1875
.LBB56_1874:
	s_mov_b64 s[6:7], -1
                                        ; implicit-def: $vgpr3
.LBB56_1875:
	s_andn2_b64 vcc, exec, s[6:7]
	s_cbranch_vccnz .LBB56_1877
; %bb.1876:
	global_load_ubyte v3, v[20:21], off
	s_movk_i32 s6, 0x7fff
	s_waitcnt vmcnt(0)
	v_cvt_f32_ubyte0_e32 v3, v3
	v_bfe_u32 v5, v3, 16, 1
	v_add3_u32 v3, v3, v5, s6
	v_lshrrev_b32_e32 v3, 16, v3
.LBB56_1877:
.LBB56_1878:
	v_mov_b32_e32 v5, s11
	v_add_co_u32_e32 v18, vcc, s10, v18
	v_addc_co_u32_e32 v19, vcc, 0, v5, vcc
	v_mov_b32_e32 v5, 11
	v_cmp_lt_i16_sdwa s[6:7], s25, v5 src0_sel:BYTE_0 src1_sel:DWORD
	s_and_b64 vcc, exec, s[6:7]
	s_cbranch_vccnz .LBB56_1885
; %bb.1879:
	v_mov_b32_e32 v5, 25
	v_cmp_gt_i16_sdwa s[6:7], s25, v5 src0_sel:BYTE_0 src1_sel:DWORD
	s_mov_b64 s[16:17], 0
	s_and_b64 vcc, exec, s[6:7]
	s_cbranch_vccz .LBB56_1887
; %bb.1880:
	v_mov_b32_e32 v5, 28
	v_cmp_gt_i16_sdwa s[6:7], s25, v5 src0_sel:BYTE_0 src1_sel:DWORD
	s_and_b64 vcc, exec, s[6:7]
	s_cbranch_vccz .LBB56_1888
; %bb.1881:
	v_mov_b32_e32 v5, 43
	v_cmp_gt_i16_sdwa s[6:7], s25, v5 src0_sel:BYTE_0 src1_sel:DWORD
	;; [unrolled: 5-line block ×3, first 2 shown]
	s_and_b64 vcc, exec, s[6:7]
	s_cbranch_vccz .LBB56_1891
; %bb.1883:
	v_mov_b32_e32 v5, 46
	v_cmp_eq_u16_sdwa s[6:7], s25, v5 src0_sel:BYTE_0 src1_sel:DWORD
	s_mov_b64 s[20:21], 0
	s_and_b64 vcc, exec, s[6:7]
	s_cbranch_vccz .LBB56_1892
; %bb.1884:
	global_load_dword v5, v[18:19], off
	s_mov_b64 s[6:7], 0
	s_mov_b64 s[18:19], -1
	s_branch .LBB56_1893
.LBB56_1885:
	s_mov_b64 s[18:19], 0
                                        ; implicit-def: $vgpr5
	s_cbranch_execnz .LBB56_1959
.LBB56_1886:
	s_andn2_b64 vcc, exec, s[18:19]
	s_cbranch_vccnz .LBB56_3112
	s_branch .LBB56_2007
.LBB56_1887:
	s_mov_b64 s[20:21], -1
	s_mov_b64 s[18:19], 0
	s_mov_b64 s[6:7], 0
                                        ; implicit-def: $vgpr5
	s_branch .LBB56_1922
.LBB56_1888:
	s_mov_b64 s[20:21], -1
	s_mov_b64 s[18:19], 0
	s_mov_b64 s[6:7], 0
                                        ; implicit-def: $vgpr5
	s_branch .LBB56_1903
.LBB56_1889:
	s_mov_b64 s[20:21], -1
	s_mov_b64 s[18:19], 0
	s_mov_b64 s[6:7], 0
                                        ; implicit-def: $vgpr5
	s_branch .LBB56_1898
.LBB56_1890:
	s_trap 2
	s_or_b64 s[4:5], s[4:5], exec
                                        ; implicit-def: $vgpr3
	s_cbranch_execz .LBB56_1829
	s_branch .LBB56_1830
.LBB56_1891:
	s_mov_b64 s[20:21], -1
	s_mov_b64 s[18:19], 0
	s_mov_b64 s[6:7], 0
                                        ; implicit-def: $vgpr5
	s_branch .LBB56_1893
.LBB56_1892:
	s_mov_b64 s[6:7], -1
                                        ; implicit-def: $vgpr5
	s_mov_b64 s[18:19], 0
.LBB56_1893:
	s_and_b64 vcc, exec, s[20:21]
	s_cbranch_vccz .LBB56_1897
; %bb.1894:
	s_waitcnt vmcnt(0)
	v_mov_b32_e32 v5, 44
	v_cmp_eq_u16_sdwa s[6:7], s25, v5 src0_sel:BYTE_0 src1_sel:DWORD
	s_and_b64 vcc, exec, s[6:7]
	s_cbranch_vccz .LBB56_1896
; %bb.1895:
	global_load_ubyte v5, v[18:19], off
	s_movk_i32 s18, 0xff
	v_mov_b32_e32 v7, 0x7f800001
	v_mov_b32_e32 v9, 0x400000
	;; [unrolled: 1-line block ×3, first 2 shown]
	s_mov_b64 s[6:7], 0
	s_waitcnt vmcnt(0)
	v_lshlrev_b32_e32 v13, 23, v5
	v_cmp_ne_u32_e32 vcc, s18, v5
	v_cndmask_b32_e32 v7, v7, v13, vcc
	v_cmp_ne_u32_e32 vcc, 0, v5
	v_cndmask_b32_e32 v5, v9, v7, vcc
	v_add_u32_e32 v7, 0x7fff, v5
	v_lshrrev_b32_e32 v7, 16, v7
	v_cmp_o_f32_e32 vcc, v5, v5
	v_cndmask_b32_e32 v5, v11, v7, vcc
	s_mov_b64 s[18:19], -1
	s_branch .LBB56_1897
.LBB56_1896:
	s_mov_b64 s[6:7], -1
                                        ; implicit-def: $vgpr5
.LBB56_1897:
	s_mov_b64 s[20:21], 0
.LBB56_1898:
	s_and_b64 vcc, exec, s[20:21]
	s_cbranch_vccz .LBB56_1902
; %bb.1899:
	s_waitcnt vmcnt(0)
	v_mov_b32_e32 v5, 29
	v_cmp_eq_u16_sdwa s[6:7], s25, v5 src0_sel:BYTE_0 src1_sel:DWORD
	s_and_b64 vcc, exec, s[6:7]
	s_cbranch_vccz .LBB56_1901
; %bb.1900:
	global_load_dwordx2 v[20:21], v[18:19], off
	s_movk_i32 s18, 0x7fff
	s_mov_b64 s[6:7], 0
	s_mov_b64 s[20:21], 0
	s_waitcnt vmcnt(0)
	v_ffbh_u32_e32 v5, v21
	v_min_u32_e32 v5, 32, v5
	v_lshlrev_b64 v[20:21], v5, v[20:21]
	v_min_u32_e32 v7, 1, v20
	v_or_b32_e32 v7, v21, v7
	v_cvt_f32_u32_e32 v7, v7
	v_sub_u32_e32 v5, 32, v5
	v_ldexp_f32 v5, v7, v5
	v_bfe_u32 v7, v5, 16, 1
	v_add3_u32 v5, v5, v7, s18
	v_lshrrev_b32_e32 v5, 16, v5
	s_mov_b64 s[18:19], -1
	s_branch .LBB56_1903
.LBB56_1901:
	s_mov_b64 s[6:7], -1
                                        ; implicit-def: $vgpr5
.LBB56_1902:
	s_mov_b64 s[20:21], 0
.LBB56_1903:
	s_and_b64 vcc, exec, s[20:21]
	s_cbranch_vccz .LBB56_1921
; %bb.1904:
	s_waitcnt vmcnt(0)
	v_mov_b32_e32 v5, 27
	v_cmp_lt_i16_sdwa s[18:19], s25, v5 src0_sel:BYTE_0 src1_sel:DWORD
	s_and_b64 vcc, exec, s[18:19]
	s_cbranch_vccnz .LBB56_1907
; %bb.1905:
	v_cmp_gt_i16_sdwa s[18:19], s25, v5 src0_sel:BYTE_0 src1_sel:DWORD
	s_and_b64 vcc, exec, s[18:19]
	s_cbranch_vccz .LBB56_1908
; %bb.1906:
	global_load_dword v5, v[18:19], off
	s_movk_i32 s18, 0x7fff
	s_waitcnt vmcnt(0)
	v_cvt_f32_u32_e32 v5, v5
	v_bfe_u32 v7, v5, 16, 1
	v_add3_u32 v5, v5, v7, s18
	v_lshrrev_b32_e32 v5, 16, v5
	s_mov_b64 s[18:19], 0
	s_branch .LBB56_1909
.LBB56_1907:
	s_mov_b64 s[18:19], -1
                                        ; implicit-def: $vgpr5
	s_branch .LBB56_1912
.LBB56_1908:
	s_mov_b64 s[18:19], -1
                                        ; implicit-def: $vgpr5
.LBB56_1909:
	s_andn2_b64 vcc, exec, s[18:19]
	s_cbranch_vccnz .LBB56_1911
; %bb.1910:
	global_load_ushort v5, v[18:19], off
	s_movk_i32 s18, 0x7fff
	s_waitcnt vmcnt(0)
	v_cvt_f32_u32_e32 v5, v5
	v_bfe_u32 v7, v5, 16, 1
	v_add3_u32 v5, v5, v7, s18
	v_lshrrev_b32_e32 v5, 16, v5
.LBB56_1911:
	s_mov_b64 s[18:19], 0
.LBB56_1912:
	s_andn2_b64 vcc, exec, s[18:19]
	s_cbranch_vccnz .LBB56_1920
; %bb.1913:
	global_load_ubyte v5, v[18:19], off
	s_movk_i32 s18, 0x7f
                                        ; implicit-def: $sgpr27
	s_waitcnt vmcnt(0)
	v_cmp_lt_i16_e32 vcc, s18, v5
	s_mov_b64 s[18:19], 0
	s_and_saveexec_b64 s[20:21], vcc
	s_xor_b64 s[20:21], exec, s[20:21]
	s_cbranch_execz .LBB56_1934
; %bb.1914:
	s_movk_i32 s18, 0x80
	v_cmp_eq_u16_e32 vcc, s18, v5
	s_mov_b64 s[18:19], -1
                                        ; implicit-def: $sgpr27
	s_and_saveexec_b64 s[22:23], vcc
; %bb.1915:
	s_mov_b32 s27, 0x7f800001
	s_xor_b64 s[18:19], exec, -1
; %bb.1916:
	s_or_b64 exec, exec, s[22:23]
	s_and_b64 s[18:19], s[18:19], exec
	s_or_saveexec_b64 s[20:21], s[20:21]
	v_mov_b32_e32 v7, s27
	s_xor_b64 exec, exec, s[20:21]
	s_cbranch_execnz .LBB56_1935
.LBB56_1917:
	s_or_b64 exec, exec, s[20:21]
	s_and_saveexec_b64 s[20:21], s[18:19]
	s_cbranch_execz .LBB56_1919
.LBB56_1918:
	v_lshlrev_b32_e32 v7, 24, v5
	v_and_b32_e32 v5, 0xffff, v5
	v_and_b32_e32 v9, 7, v5
	v_ffbh_u32_e32 v13, v9
	v_min_u32_e32 v13, 32, v13
	v_subrev_u32_e32 v15, 28, v13
	v_bfe_u32 v11, v5, 3, 4
	v_lshlrev_b32_e32 v5, v15, v5
	v_sub_u32_e32 v13, 29, v13
	v_and_b32_e32 v5, 7, v5
	v_cmp_eq_u32_e32 vcc, 0, v11
	v_cndmask_b32_e32 v11, v11, v13, vcc
	v_cndmask_b32_e32 v5, v9, v5, vcc
	v_mov_b32_e32 v9, 0x3b800000
	v_lshlrev_b32_e32 v5, 20, v5
	v_and_b32_e32 v7, 0x80000000, v7
	v_lshl_add_u32 v9, v11, 23, v9
	v_or3_b32 v7, v7, v9, v5
.LBB56_1919:
	s_or_b64 exec, exec, s[20:21]
	v_bfe_u32 v5, v7, 16, 1
	s_movk_i32 s18, 0x7fff
	v_add3_u32 v5, v7, v5, s18
	v_lshrrev_b32_e32 v5, 16, v5
	v_mov_b32_e32 v9, 0x7fc0
	v_cmp_o_f32_e32 vcc, v7, v7
	v_cndmask_b32_e32 v5, v9, v5, vcc
.LBB56_1920:
	s_mov_b64 s[18:19], -1
.LBB56_1921:
	s_mov_b64 s[20:21], 0
.LBB56_1922:
	s_and_b64 vcc, exec, s[20:21]
	s_cbranch_vccz .LBB56_1955
; %bb.1923:
	s_waitcnt vmcnt(0)
	v_mov_b32_e32 v5, 22
	v_cmp_gt_i16_sdwa s[16:17], s25, v5 src0_sel:BYTE_0 src1_sel:DWORD
	s_and_b64 vcc, exec, s[16:17]
	s_cbranch_vccz .LBB56_1933
; %bb.1924:
	v_mov_b32_e32 v5, 24
	v_cmp_lt_i16_sdwa s[16:17], s25, v5 src0_sel:BYTE_0 src1_sel:DWORD
	s_and_b64 vcc, exec, s[16:17]
	s_cbranch_vccnz .LBB56_1936
; %bb.1925:
	v_cmp_gt_i16_sdwa s[16:17], s25, v5 src0_sel:BYTE_0 src1_sel:DWORD
	s_and_b64 vcc, exec, s[16:17]
	s_cbranch_vccz .LBB56_1937
; %bb.1926:
	global_load_ubyte v5, v[18:19], off
	s_movk_i32 s16, 0x7f
                                        ; implicit-def: $sgpr22
	s_waitcnt vmcnt(0)
	v_cmp_lt_i16_e32 vcc, s16, v5
	s_mov_b64 s[16:17], 0
	s_and_saveexec_b64 s[18:19], vcc
	s_xor_b64 s[18:19], exec, s[18:19]
	s_cbranch_execz .LBB56_1949
; %bb.1927:
	s_movk_i32 s16, 0x80
	v_cmp_eq_u16_e32 vcc, s16, v5
	s_mov_b64 s[16:17], -1
                                        ; implicit-def: $sgpr22
	s_and_saveexec_b64 s[20:21], vcc
; %bb.1928:
	s_mov_b32 s22, 0x7f800001
	s_xor_b64 s[16:17], exec, -1
; %bb.1929:
	s_or_b64 exec, exec, s[20:21]
	s_and_b64 s[16:17], s[16:17], exec
	s_or_saveexec_b64 s[18:19], s[18:19]
	v_mov_b32_e32 v7, s22
	s_xor_b64 exec, exec, s[18:19]
	s_cbranch_execnz .LBB56_1950
.LBB56_1930:
	s_or_b64 exec, exec, s[18:19]
	s_and_saveexec_b64 s[18:19], s[16:17]
	s_cbranch_execz .LBB56_1932
.LBB56_1931:
	v_lshlrev_b32_e32 v7, 24, v5
	v_and_b32_e32 v5, 0xffff, v5
	v_and_b32_e32 v9, 3, v5
	v_ffbh_u32_e32 v13, v9
	v_min_u32_e32 v13, 32, v13
	v_subrev_u32_e32 v15, 29, v13
	v_bfe_u32 v11, v5, 2, 5
	v_lshlrev_b32_e32 v5, v15, v5
	v_sub_u32_e32 v13, 30, v13
	v_and_b32_e32 v5, 3, v5
	v_cmp_eq_u32_e32 vcc, 0, v11
	v_cndmask_b32_e32 v11, v11, v13, vcc
	v_cndmask_b32_e32 v5, v9, v5, vcc
	v_mov_b32_e32 v9, 0x37800000
	v_lshlrev_b32_e32 v5, 21, v5
	v_and_b32_e32 v7, 0x80000000, v7
	v_lshl_add_u32 v9, v11, 23, v9
	v_or3_b32 v7, v7, v9, v5
.LBB56_1932:
	s_or_b64 exec, exec, s[18:19]
	v_bfe_u32 v5, v7, 16, 1
	s_movk_i32 s16, 0x7fff
	v_add3_u32 v5, v7, v5, s16
	v_lshrrev_b32_e32 v5, 16, v5
	v_mov_b32_e32 v9, 0x7fc0
	v_cmp_o_f32_e32 vcc, v7, v7
	v_cndmask_b32_e32 v5, v9, v5, vcc
	s_mov_b64 s[16:17], 0
	s_branch .LBB56_1938
.LBB56_1933:
	s_mov_b64 s[16:17], -1
                                        ; implicit-def: $vgpr5
	s_branch .LBB56_1944
.LBB56_1934:
	s_or_saveexec_b64 s[20:21], s[20:21]
	v_mov_b32_e32 v7, s27
	s_xor_b64 exec, exec, s[20:21]
	s_cbranch_execz .LBB56_1917
.LBB56_1935:
	v_cmp_ne_u16_e32 vcc, 0, v5
	s_andn2_b64 s[18:19], s[18:19], exec
	s_and_b64 s[22:23], vcc, exec
	v_mov_b32_e32 v7, 0
	s_or_b64 s[18:19], s[18:19], s[22:23]
	s_or_b64 exec, exec, s[20:21]
	s_and_saveexec_b64 s[20:21], s[18:19]
	s_cbranch_execnz .LBB56_1918
	s_branch .LBB56_1919
.LBB56_1936:
	s_mov_b64 s[16:17], -1
                                        ; implicit-def: $vgpr5
	s_branch .LBB56_1941
.LBB56_1937:
	s_mov_b64 s[16:17], -1
                                        ; implicit-def: $vgpr5
.LBB56_1938:
	s_and_b64 vcc, exec, s[16:17]
	s_cbranch_vccz .LBB56_1940
; %bb.1939:
	global_load_ubyte v5, v[18:19], off
	s_mov_b32 s16, 0x7f800000
	s_brev_b32 s17, 1
	s_movk_i32 s18, 0x7fff
	v_mov_b32_e32 v7, 0x7fc0
	s_waitcnt vmcnt(0)
	v_lshlrev_b32_e32 v5, 24, v5
	v_and_b32_e32 v9, 0x7f000000, v5
	v_ffbh_u32_e32 v11, v9
	v_min_u32_e32 v11, 32, v11
	v_sub_u32_e64 v11, v11, 4 clamp
	v_lshlrev_b32_e32 v15, v11, v9
	v_lshlrev_b32_e32 v11, 23, v11
	v_lshrrev_b32_e32 v15, 4, v15
	v_add_u32_e32 v13, 0x1000000, v9
	v_sub_u32_e32 v11, v15, v11
	v_ashrrev_i32_e32 v13, 8, v13
	v_add_u32_e32 v11, 0x3c000000, v11
	v_and_or_b32 v11, v13, s16, v11
	v_cmp_ne_u32_e32 vcc, 0, v9
	v_cndmask_b32_e32 v9, 0, v11, vcc
	v_and_or_b32 v5, v5, s17, v9
	v_bfe_u32 v9, v9, 16, 1
	v_add3_u32 v9, v5, v9, s18
	v_lshrrev_b32_e32 v9, 16, v9
	v_cmp_o_f32_e32 vcc, v5, v5
	v_cndmask_b32_e32 v5, v7, v9, vcc
.LBB56_1940:
	s_mov_b64 s[16:17], 0
.LBB56_1941:
	s_andn2_b64 vcc, exec, s[16:17]
	s_cbranch_vccnz .LBB56_1943
; %bb.1942:
	global_load_ubyte v5, v[18:19], off
	s_movk_i32 s16, 0x7f00
	s_brev_b32 s17, 16
	s_brev_b32 s18, 1
	s_movk_i32 s19, 0x7fff
	v_mov_b32_e32 v7, 0x7fc0
	s_waitcnt vmcnt(0)
	v_lshlrev_b16_e32 v9, 8, v5
	v_lshlrev_b32_e32 v5, 25, v5
	v_lshrrev_b32_e32 v11, 4, v5
	v_and_or_b32 v13, v9, s16, 0.5
	v_or_b32_e32 v11, 0x70000000, v11
	v_add_f32_e32 v13, -0.5, v13
	v_mul_f32_e32 v11, 0x7800000, v11
	v_cmp_gt_u32_e32 vcc, s17, v5
	v_bfe_i32 v9, v9, 0, 16
	v_cndmask_b32_e32 v5, v11, v13, vcc
	v_and_or_b32 v9, v9, s18, v5
	v_bfe_u32 v5, v5, 16, 1
	v_add3_u32 v5, v9, v5, s19
	v_lshrrev_b32_e32 v5, 16, v5
	v_cmp_o_f32_e32 vcc, v9, v9
	v_cndmask_b32_e32 v5, v7, v5, vcc
.LBB56_1943:
	s_mov_b64 s[16:17], 0
	s_mov_b64 s[18:19], -1
.LBB56_1944:
	s_andn2_b64 vcc, exec, s[16:17]
	s_mov_b64 s[16:17], 0
	s_cbranch_vccnz .LBB56_1955
; %bb.1945:
	v_mov_b32_e32 v5, 14
	v_cmp_gt_i16_sdwa s[16:17], s25, v5 src0_sel:BYTE_0 src1_sel:DWORD
	s_and_b64 vcc, exec, s[16:17]
	s_cbranch_vccz .LBB56_1948
; %bb.1946:
	v_mov_b32_e32 v5, 15
	v_cmp_eq_u16_sdwa s[6:7], s25, v5 src0_sel:BYTE_0 src1_sel:DWORD
	s_and_b64 vcc, exec, s[6:7]
	s_cbranch_vccz .LBB56_1951
; %bb.1947:
	global_load_ushort v5, v[18:19], off
	s_mov_b64 s[6:7], 0
	s_mov_b64 s[18:19], -1
	s_branch .LBB56_1952
.LBB56_1948:
	s_mov_b64 s[20:21], -1
                                        ; implicit-def: $vgpr5
	s_branch .LBB56_1953
.LBB56_1949:
	s_or_saveexec_b64 s[18:19], s[18:19]
	v_mov_b32_e32 v7, s22
	s_xor_b64 exec, exec, s[18:19]
	s_cbranch_execz .LBB56_1930
.LBB56_1950:
	v_cmp_ne_u16_e32 vcc, 0, v5
	s_andn2_b64 s[16:17], s[16:17], exec
	s_and_b64 s[20:21], vcc, exec
	v_mov_b32_e32 v7, 0
	s_or_b64 s[16:17], s[16:17], s[20:21]
	s_or_b64 exec, exec, s[18:19]
	s_and_saveexec_b64 s[18:19], s[16:17]
	s_cbranch_execnz .LBB56_1931
	s_branch .LBB56_1932
.LBB56_1951:
	s_mov_b64 s[6:7], -1
                                        ; implicit-def: $vgpr5
.LBB56_1952:
	s_mov_b64 s[20:21], 0
.LBB56_1953:
	s_mov_b64 s[16:17], 0
	s_and_b64 vcc, exec, s[20:21]
	s_cbranch_vccz .LBB56_1955
; %bb.1954:
	s_waitcnt vmcnt(0)
	v_mov_b32_e32 v5, 11
	v_cmp_ne_u16_sdwa s[6:7], s25, v5 src0_sel:BYTE_0 src1_sel:DWORD
	s_mov_b64 s[16:17], -1
                                        ; implicit-def: $vgpr5
.LBB56_1955:
	s_and_b64 vcc, exec, s[6:7]
	s_cbranch_vccnz .LBB56_2018
; %bb.1956:
	s_andn2_b64 vcc, exec, s[16:17]
	s_cbranch_vccnz .LBB56_1958
.LBB56_1957:
	global_load_ubyte v5, v[18:19], off
	s_mov_b64 s[18:19], -1
	s_waitcnt vmcnt(0)
	v_cmp_ne_u16_e32 vcc, 0, v5
	v_cndmask_b32_e64 v5, 0, 1.0, vcc
	v_lshrrev_b32_e32 v5, 16, v5
.LBB56_1958:
	s_branch .LBB56_1886
.LBB56_1959:
	s_waitcnt vmcnt(0)
	v_mov_b32_e32 v5, 5
	v_cmp_lt_i16_sdwa s[6:7], s25, v5 src0_sel:BYTE_0 src1_sel:DWORD
	s_and_b64 vcc, exec, s[6:7]
	s_cbranch_vccnz .LBB56_1964
; %bb.1960:
	v_mov_b32_e32 v5, 8
	v_cmp_lt_i16_sdwa s[6:7], s25, v5 src0_sel:BYTE_0 src1_sel:DWORD
	s_and_b64 vcc, exec, s[6:7]
	s_cbranch_vccnz .LBB56_1965
; %bb.1961:
	;; [unrolled: 5-line block ×3, first 2 shown]
	v_cmp_gt_i16_sdwa s[6:7], s25, v5 src0_sel:BYTE_0 src1_sel:DWORD
	s_and_b64 vcc, exec, s[6:7]
	s_cbranch_vccz .LBB56_1967
; %bb.1963:
	global_load_dwordx2 v[20:21], v[18:19], off
	s_movk_i32 s6, 0x7fff
	v_mov_b32_e32 v5, 0x7fc0
	s_waitcnt vmcnt(0)
	v_cvt_f32_f64_e32 v7, v[20:21]
	v_bfe_u32 v9, v7, 16, 1
	v_add3_u32 v9, v7, v9, s6
	v_lshrrev_b32_e32 v9, 16, v9
	v_cmp_o_f32_e32 vcc, v7, v7
	v_cndmask_b32_e32 v5, v5, v9, vcc
	s_mov_b64 s[6:7], 0
	s_branch .LBB56_1968
.LBB56_1964:
	s_mov_b64 s[6:7], -1
                                        ; implicit-def: $vgpr5
	s_branch .LBB56_1986
.LBB56_1965:
	s_mov_b64 s[6:7], -1
                                        ; implicit-def: $vgpr5
	s_branch .LBB56_1974
.LBB56_1966:
	s_mov_b64 s[6:7], -1
                                        ; implicit-def: $vgpr5
	s_branch .LBB56_1971
.LBB56_1967:
	s_mov_b64 s[6:7], -1
                                        ; implicit-def: $vgpr5
.LBB56_1968:
	s_andn2_b64 vcc, exec, s[6:7]
	s_cbranch_vccnz .LBB56_1970
; %bb.1969:
	global_load_dword v5, v[18:19], off
	s_movk_i32 s6, 0x7fff
	v_mov_b32_e32 v7, 0x7fc0
	s_waitcnt vmcnt(0)
	v_bfe_u32 v9, v5, 16, 1
	v_add3_u32 v9, v5, v9, s6
	v_lshrrev_b32_e32 v9, 16, v9
	v_cmp_o_f32_e32 vcc, v5, v5
	v_cndmask_b32_e32 v5, v7, v9, vcc
.LBB56_1970:
	s_mov_b64 s[6:7], 0
.LBB56_1971:
	s_andn2_b64 vcc, exec, s[6:7]
	s_cbranch_vccnz .LBB56_1973
; %bb.1972:
	global_load_dword v5, v[18:19], off
	s_movk_i32 s6, 0x7fff
	v_mov_b32_e32 v9, 0x7fc0
	s_waitcnt vmcnt(0)
	v_cvt_f32_f16_e32 v7, v5
	v_cmp_o_f16_e32 vcc, v5, v5
	v_bfe_u32 v11, v7, 16, 1
	v_add3_u32 v7, v7, v11, s6
	v_lshrrev_b32_e32 v7, 16, v7
	v_cndmask_b32_e32 v5, v9, v7, vcc
.LBB56_1973:
	s_mov_b64 s[6:7], 0
.LBB56_1974:
	s_andn2_b64 vcc, exec, s[6:7]
	s_cbranch_vccnz .LBB56_1985
; %bb.1975:
	v_mov_b32_e32 v5, 6
	v_cmp_lt_i16_sdwa s[6:7], s25, v5 src0_sel:BYTE_0 src1_sel:DWORD
	s_and_b64 vcc, exec, s[6:7]
	s_cbranch_vccnz .LBB56_1978
; %bb.1976:
	v_cmp_gt_i16_sdwa s[6:7], s25, v5 src0_sel:BYTE_0 src1_sel:DWORD
	s_and_b64 vcc, exec, s[6:7]
	s_cbranch_vccz .LBB56_1979
; %bb.1977:
	global_load_dwordx2 v[20:21], v[18:19], off
	s_movk_i32 s6, 0x7fff
	v_mov_b32_e32 v5, 0x7fc0
	s_waitcnt vmcnt(0)
	v_cvt_f32_f64_e32 v7, v[20:21]
	v_bfe_u32 v9, v7, 16, 1
	v_add3_u32 v9, v7, v9, s6
	v_lshrrev_b32_e32 v9, 16, v9
	v_cmp_o_f32_e32 vcc, v7, v7
	v_cndmask_b32_e32 v5, v5, v9, vcc
	s_mov_b64 s[6:7], 0
	s_branch .LBB56_1980
.LBB56_1978:
	s_mov_b64 s[6:7], -1
                                        ; implicit-def: $vgpr5
	s_branch .LBB56_1983
.LBB56_1979:
	s_mov_b64 s[6:7], -1
                                        ; implicit-def: $vgpr5
.LBB56_1980:
	s_andn2_b64 vcc, exec, s[6:7]
	s_cbranch_vccnz .LBB56_1982
; %bb.1981:
	global_load_dword v5, v[18:19], off
	s_movk_i32 s6, 0x7fff
	v_mov_b32_e32 v7, 0x7fc0
	s_waitcnt vmcnt(0)
	v_bfe_u32 v9, v5, 16, 1
	v_add3_u32 v9, v5, v9, s6
	v_lshrrev_b32_e32 v9, 16, v9
	v_cmp_o_f32_e32 vcc, v5, v5
	v_cndmask_b32_e32 v5, v7, v9, vcc
.LBB56_1982:
	s_mov_b64 s[6:7], 0
.LBB56_1983:
	s_andn2_b64 vcc, exec, s[6:7]
	s_cbranch_vccnz .LBB56_1985
; %bb.1984:
	global_load_ushort v5, v[18:19], off
	s_movk_i32 s6, 0x7fff
	v_mov_b32_e32 v9, 0x7fc0
	s_waitcnt vmcnt(0)
	v_cvt_f32_f16_e32 v7, v5
	v_cmp_o_f16_e32 vcc, v5, v5
	v_bfe_u32 v11, v7, 16, 1
	v_add3_u32 v7, v7, v11, s6
	v_lshrrev_b32_e32 v7, 16, v7
	v_cndmask_b32_e32 v5, v9, v7, vcc
.LBB56_1985:
	s_mov_b64 s[6:7], 0
.LBB56_1986:
	s_andn2_b64 vcc, exec, s[6:7]
	s_cbranch_vccnz .LBB56_2006
; %bb.1987:
	v_mov_b32_e32 v5, 2
	v_cmp_lt_i16_sdwa s[6:7], s25, v5 src0_sel:BYTE_0 src1_sel:DWORD
	s_and_b64 vcc, exec, s[6:7]
	s_cbranch_vccnz .LBB56_1991
; %bb.1988:
	v_mov_b32_e32 v5, 3
	v_cmp_lt_i16_sdwa s[6:7], s25, v5 src0_sel:BYTE_0 src1_sel:DWORD
	s_and_b64 vcc, exec, s[6:7]
	s_cbranch_vccnz .LBB56_1992
; %bb.1989:
	v_cmp_gt_i16_sdwa s[6:7], s25, v5 src0_sel:BYTE_0 src1_sel:DWORD
	s_and_b64 vcc, exec, s[6:7]
	s_cbranch_vccz .LBB56_1993
; %bb.1990:
	global_load_dwordx2 v[20:21], v[18:19], off
	s_movk_i32 s6, 0x7fff
	s_waitcnt vmcnt(0)
	v_xor_b32_e32 v7, v20, v21
	v_ffbh_i32_e32 v5, v21
	v_ashrrev_i32_e32 v7, 31, v7
	v_add_u32_e32 v5, -1, v5
	v_add_u32_e32 v7, 32, v7
	v_min_u32_e32 v5, v5, v7
	v_lshlrev_b64 v[20:21], v5, v[20:21]
	v_min_u32_e32 v7, 1, v20
	v_or_b32_e32 v7, v21, v7
	v_cvt_f32_i32_e32 v7, v7
	v_sub_u32_e32 v5, 32, v5
	v_ldexp_f32 v5, v7, v5
	v_bfe_u32 v7, v5, 16, 1
	v_add3_u32 v5, v5, v7, s6
	v_lshrrev_b32_e32 v5, 16, v5
	s_mov_b64 s[6:7], 0
	s_branch .LBB56_1994
.LBB56_1991:
	s_mov_b64 s[6:7], -1
                                        ; implicit-def: $vgpr5
	s_branch .LBB56_2000
.LBB56_1992:
	s_mov_b64 s[6:7], -1
                                        ; implicit-def: $vgpr5
	s_branch .LBB56_1997
.LBB56_1993:
	s_mov_b64 s[6:7], -1
                                        ; implicit-def: $vgpr5
.LBB56_1994:
	s_andn2_b64 vcc, exec, s[6:7]
	s_cbranch_vccnz .LBB56_1996
; %bb.1995:
	global_load_dword v5, v[18:19], off
	s_movk_i32 s6, 0x7fff
	s_waitcnt vmcnt(0)
	v_cvt_f32_i32_e32 v5, v5
	v_bfe_u32 v7, v5, 16, 1
	v_add3_u32 v5, v5, v7, s6
	v_lshrrev_b32_e32 v5, 16, v5
.LBB56_1996:
	s_mov_b64 s[6:7], 0
.LBB56_1997:
	s_andn2_b64 vcc, exec, s[6:7]
	s_cbranch_vccnz .LBB56_1999
; %bb.1998:
	global_load_sshort v5, v[18:19], off
	s_movk_i32 s6, 0x7fff
	s_waitcnt vmcnt(0)
	v_cvt_f32_i32_e32 v5, v5
	v_bfe_u32 v7, v5, 16, 1
	v_add3_u32 v5, v5, v7, s6
	v_lshrrev_b32_e32 v5, 16, v5
.LBB56_1999:
	s_mov_b64 s[6:7], 0
.LBB56_2000:
	s_andn2_b64 vcc, exec, s[6:7]
	s_cbranch_vccnz .LBB56_2006
; %bb.2001:
	v_mov_b32_e32 v5, 0
	v_cmp_gt_i16_sdwa s[6:7], s25, v5 src0_sel:BYTE_0 src1_sel:DWORD
	s_and_b64 vcc, exec, s[6:7]
	s_cbranch_vccz .LBB56_2003
; %bb.2002:
	global_load_sbyte v5, v[18:19], off
	s_movk_i32 s6, 0x7fff
	s_waitcnt vmcnt(0)
	v_cvt_f32_i32_e32 v5, v5
	v_bfe_u32 v7, v5, 16, 1
	v_add3_u32 v5, v5, v7, s6
	v_lshrrev_b32_e32 v5, 16, v5
	s_mov_b64 s[6:7], 0
	s_branch .LBB56_2004
.LBB56_2003:
	s_mov_b64 s[6:7], -1
                                        ; implicit-def: $vgpr5
.LBB56_2004:
	s_andn2_b64 vcc, exec, s[6:7]
	s_cbranch_vccnz .LBB56_2006
; %bb.2005:
	global_load_ubyte v5, v[18:19], off
	s_movk_i32 s6, 0x7fff
	s_waitcnt vmcnt(0)
	v_cvt_f32_ubyte0_e32 v5, v5
	v_bfe_u32 v7, v5, 16, 1
	v_add3_u32 v5, v5, v7, s6
	v_lshrrev_b32_e32 v5, 16, v5
.LBB56_2006:
.LBB56_2007:
	v_mov_b32_e32 v7, s1
	v_add_co_u32_e32 v16, vcc, s0, v16
	v_addc_co_u32_e32 v17, vcc, 0, v7, vcc
	s_and_b64 vcc, exec, s[2:3]
	s_cbranch_vccnz .LBB56_2014
; %bb.2008:
	v_cmp_gt_i16_e64 s[6:7], s26, 25
	s_mov_b64 s[16:17], 0
	s_and_b64 vcc, exec, s[6:7]
	s_cbranch_vccz .LBB56_2015
; %bb.2009:
	v_cmp_gt_i16_e64 s[6:7], s26, 28
	s_and_b64 vcc, exec, s[6:7]
	s_cbranch_vccz .LBB56_2016
; %bb.2010:
	v_cmp_gt_i16_e64 s[6:7], s26, 43
	s_and_b64 vcc, exec, s[6:7]
	s_cbranch_vccz .LBB56_2017
; %bb.2011:
	v_cmp_gt_i16_e64 s[6:7], s26, 45
	s_and_b64 vcc, exec, s[6:7]
	s_cbranch_vccz .LBB56_2019
; %bb.2012:
	v_cmp_eq_u16_e64 s[6:7], s26, 46
	s_mov_b64 s[20:21], 0
	s_and_b64 vcc, exec, s[6:7]
	s_cbranch_vccz .LBB56_2020
; %bb.2013:
	global_load_dword v18, v[16:17], off
	s_mov_b64 s[6:7], 0
	s_mov_b64 s[18:19], -1
	s_branch .LBB56_2021
.LBB56_2014:
	s_mov_b64 s[6:7], -1
	s_mov_b64 s[18:19], 0
                                        ; implicit-def: $vgpr18
	s_branch .LBB56_2087
.LBB56_2015:
	s_mov_b64 s[20:21], -1
	s_mov_b64 s[18:19], 0
	s_mov_b64 s[6:7], 0
                                        ; implicit-def: $vgpr18
	s_branch .LBB56_2050
.LBB56_2016:
	s_mov_b64 s[20:21], -1
	s_mov_b64 s[18:19], 0
	s_mov_b64 s[6:7], 0
                                        ; implicit-def: $vgpr18
	s_branch .LBB56_2031
.LBB56_2017:
	s_mov_b64 s[20:21], -1
	s_mov_b64 s[18:19], 0
	s_mov_b64 s[6:7], 0
                                        ; implicit-def: $vgpr18
	s_branch .LBB56_2026
.LBB56_2018:
	s_trap 2
	s_or_b64 s[4:5], s[4:5], exec
                                        ; implicit-def: $vgpr5
	s_cbranch_execz .LBB56_1957
	s_branch .LBB56_1958
.LBB56_2019:
	s_mov_b64 s[20:21], -1
	s_mov_b64 s[18:19], 0
	s_mov_b64 s[6:7], 0
                                        ; implicit-def: $vgpr18
	s_branch .LBB56_2021
.LBB56_2020:
	s_mov_b64 s[6:7], -1
                                        ; implicit-def: $vgpr18
	s_mov_b64 s[18:19], 0
.LBB56_2021:
	s_and_b64 vcc, exec, s[20:21]
	s_cbranch_vccz .LBB56_2025
; %bb.2022:
	v_cmp_eq_u16_e64 s[6:7], s26, 44
	s_and_b64 vcc, exec, s[6:7]
	s_cbranch_vccz .LBB56_2024
; %bb.2023:
	global_load_ubyte v7, v[16:17], off
	s_movk_i32 s18, 0xff
	v_mov_b32_e32 v9, 0x7f800001
	v_mov_b32_e32 v11, 0x400000
	;; [unrolled: 1-line block ×3, first 2 shown]
	s_mov_b64 s[6:7], 0
	s_waitcnt vmcnt(0)
	v_lshlrev_b32_e32 v15, 23, v7
	v_cmp_ne_u32_e32 vcc, s18, v7
	v_cndmask_b32_e32 v9, v9, v15, vcc
	v_cmp_ne_u32_e32 vcc, 0, v7
	v_cndmask_b32_e32 v7, v11, v9, vcc
	v_add_u32_e32 v9, 0x7fff, v7
	v_lshrrev_b32_e32 v9, 16, v9
	v_cmp_o_f32_e32 vcc, v7, v7
	v_cndmask_b32_e32 v18, v13, v9, vcc
	s_mov_b64 s[18:19], -1
	s_branch .LBB56_2025
.LBB56_2024:
	s_mov_b64 s[6:7], -1
                                        ; implicit-def: $vgpr18
.LBB56_2025:
	s_mov_b64 s[20:21], 0
.LBB56_2026:
	s_and_b64 vcc, exec, s[20:21]
	s_cbranch_vccz .LBB56_2030
; %bb.2027:
	v_cmp_eq_u16_e64 s[6:7], s26, 29
	s_and_b64 vcc, exec, s[6:7]
	s_cbranch_vccz .LBB56_2029
; %bb.2028:
	global_load_dwordx2 v[18:19], v[16:17], off
	s_movk_i32 s18, 0x7fff
	s_mov_b64 s[6:7], 0
	s_mov_b64 s[20:21], 0
	s_waitcnt vmcnt(0)
	v_ffbh_u32_e32 v7, v19
	v_min_u32_e32 v7, 32, v7
	v_lshlrev_b64 v[18:19], v7, v[18:19]
	v_min_u32_e32 v9, 1, v18
	v_or_b32_e32 v9, v19, v9
	v_cvt_f32_u32_e32 v9, v9
	v_sub_u32_e32 v7, 32, v7
	v_ldexp_f32 v7, v9, v7
	v_bfe_u32 v9, v7, 16, 1
	v_add3_u32 v7, v7, v9, s18
	v_lshrrev_b32_e32 v18, 16, v7
	s_mov_b64 s[18:19], -1
	s_branch .LBB56_2031
.LBB56_2029:
	s_mov_b64 s[6:7], -1
                                        ; implicit-def: $vgpr18
.LBB56_2030:
	s_mov_b64 s[20:21], 0
.LBB56_2031:
	s_and_b64 vcc, exec, s[20:21]
	s_cbranch_vccz .LBB56_2049
; %bb.2032:
	v_cmp_lt_i16_e64 s[18:19], s26, 27
	s_and_b64 vcc, exec, s[18:19]
	s_cbranch_vccnz .LBB56_2035
; %bb.2033:
	v_cmp_gt_i16_e64 s[18:19], s26, 27
	s_and_b64 vcc, exec, s[18:19]
	s_cbranch_vccz .LBB56_2036
; %bb.2034:
	global_load_dword v7, v[16:17], off
	s_movk_i32 s18, 0x7fff
	s_waitcnt vmcnt(0)
	v_cvt_f32_u32_e32 v7, v7
	v_bfe_u32 v9, v7, 16, 1
	v_add3_u32 v7, v7, v9, s18
	v_lshrrev_b32_e32 v18, 16, v7
	s_mov_b64 s[18:19], 0
	s_branch .LBB56_2037
.LBB56_2035:
	s_mov_b64 s[18:19], -1
                                        ; implicit-def: $vgpr18
	s_branch .LBB56_2040
.LBB56_2036:
	s_mov_b64 s[18:19], -1
                                        ; implicit-def: $vgpr18
.LBB56_2037:
	s_andn2_b64 vcc, exec, s[18:19]
	s_cbranch_vccnz .LBB56_2039
; %bb.2038:
	global_load_ushort v7, v[16:17], off
	s_movk_i32 s18, 0x7fff
	s_waitcnt vmcnt(0)
	v_cvt_f32_u32_e32 v7, v7
	v_bfe_u32 v9, v7, 16, 1
	v_add3_u32 v7, v7, v9, s18
	v_lshrrev_b32_e32 v18, 16, v7
.LBB56_2039:
	s_mov_b64 s[18:19], 0
.LBB56_2040:
	s_andn2_b64 vcc, exec, s[18:19]
	s_cbranch_vccnz .LBB56_2048
; %bb.2041:
	global_load_ubyte v7, v[16:17], off
	s_movk_i32 s18, 0x7f
                                        ; implicit-def: $sgpr27
	s_waitcnt vmcnt(0)
	v_cmp_lt_i16_e32 vcc, s18, v7
	s_mov_b64 s[18:19], 0
	s_and_saveexec_b64 s[20:21], vcc
	s_xor_b64 s[20:21], exec, s[20:21]
	s_cbranch_execz .LBB56_2062
; %bb.2042:
	s_movk_i32 s18, 0x80
	v_cmp_eq_u16_e32 vcc, s18, v7
	s_mov_b64 s[18:19], -1
                                        ; implicit-def: $sgpr27
	s_and_saveexec_b64 s[22:23], vcc
; %bb.2043:
	s_mov_b32 s27, 0x7f800001
	s_xor_b64 s[18:19], exec, -1
; %bb.2044:
	s_or_b64 exec, exec, s[22:23]
	s_and_b64 s[18:19], s[18:19], exec
	s_or_saveexec_b64 s[20:21], s[20:21]
	v_mov_b32_e32 v9, s27
	s_xor_b64 exec, exec, s[20:21]
	s_cbranch_execnz .LBB56_2063
.LBB56_2045:
	s_or_b64 exec, exec, s[20:21]
	s_and_saveexec_b64 s[20:21], s[18:19]
	s_cbranch_execz .LBB56_2047
.LBB56_2046:
	v_lshlrev_b32_e32 v9, 24, v7
	v_and_b32_e32 v7, 0xffff, v7
	v_and_b32_e32 v11, 7, v7
	v_ffbh_u32_e32 v15, v11
	v_min_u32_e32 v15, 32, v15
	v_subrev_u32_e32 v18, 28, v15
	v_bfe_u32 v13, v7, 3, 4
	v_lshlrev_b32_e32 v7, v18, v7
	v_sub_u32_e32 v15, 29, v15
	v_and_b32_e32 v7, 7, v7
	v_cmp_eq_u32_e32 vcc, 0, v13
	v_cndmask_b32_e32 v13, v13, v15, vcc
	v_cndmask_b32_e32 v7, v11, v7, vcc
	v_mov_b32_e32 v11, 0x3b800000
	v_lshlrev_b32_e32 v7, 20, v7
	v_and_b32_e32 v9, 0x80000000, v9
	v_lshl_add_u32 v11, v13, 23, v11
	v_or3_b32 v9, v9, v11, v7
.LBB56_2047:
	s_or_b64 exec, exec, s[20:21]
	v_bfe_u32 v7, v9, 16, 1
	s_movk_i32 s18, 0x7fff
	v_add3_u32 v7, v9, v7, s18
	v_lshrrev_b32_e32 v7, 16, v7
	v_mov_b32_e32 v11, 0x7fc0
	v_cmp_o_f32_e32 vcc, v9, v9
	v_cndmask_b32_e32 v18, v11, v7, vcc
.LBB56_2048:
	s_mov_b64 s[18:19], -1
.LBB56_2049:
	s_mov_b64 s[20:21], 0
.LBB56_2050:
	s_and_b64 vcc, exec, s[20:21]
	s_cbranch_vccz .LBB56_2083
; %bb.2051:
	v_cmp_gt_i16_e64 s[16:17], s26, 22
	s_and_b64 vcc, exec, s[16:17]
	s_cbranch_vccz .LBB56_2061
; %bb.2052:
	v_cmp_lt_i16_e64 s[16:17], s26, 24
	s_and_b64 vcc, exec, s[16:17]
	s_cbranch_vccnz .LBB56_2064
; %bb.2053:
	v_cmp_gt_i16_e64 s[16:17], s26, 24
	s_and_b64 vcc, exec, s[16:17]
	s_cbranch_vccz .LBB56_2065
; %bb.2054:
	global_load_ubyte v7, v[16:17], off
	s_movk_i32 s16, 0x7f
                                        ; implicit-def: $sgpr22
	s_waitcnt vmcnt(0)
	v_cmp_lt_i16_e32 vcc, s16, v7
	s_mov_b64 s[16:17], 0
	s_and_saveexec_b64 s[18:19], vcc
	s_xor_b64 s[18:19], exec, s[18:19]
	s_cbranch_execz .LBB56_2077
; %bb.2055:
	s_movk_i32 s16, 0x80
	v_cmp_eq_u16_e32 vcc, s16, v7
	s_mov_b64 s[16:17], -1
                                        ; implicit-def: $sgpr22
	s_and_saveexec_b64 s[20:21], vcc
; %bb.2056:
	s_mov_b32 s22, 0x7f800001
	s_xor_b64 s[16:17], exec, -1
; %bb.2057:
	s_or_b64 exec, exec, s[20:21]
	s_and_b64 s[16:17], s[16:17], exec
	s_or_saveexec_b64 s[18:19], s[18:19]
	v_mov_b32_e32 v9, s22
	s_xor_b64 exec, exec, s[18:19]
	s_cbranch_execnz .LBB56_2078
.LBB56_2058:
	s_or_b64 exec, exec, s[18:19]
	s_and_saveexec_b64 s[18:19], s[16:17]
	s_cbranch_execz .LBB56_2060
.LBB56_2059:
	v_lshlrev_b32_e32 v9, 24, v7
	v_and_b32_e32 v7, 0xffff, v7
	v_and_b32_e32 v11, 3, v7
	v_ffbh_u32_e32 v15, v11
	v_min_u32_e32 v15, 32, v15
	v_subrev_u32_e32 v18, 29, v15
	v_bfe_u32 v13, v7, 2, 5
	v_lshlrev_b32_e32 v7, v18, v7
	v_sub_u32_e32 v15, 30, v15
	v_and_b32_e32 v7, 3, v7
	v_cmp_eq_u32_e32 vcc, 0, v13
	v_cndmask_b32_e32 v13, v13, v15, vcc
	v_cndmask_b32_e32 v7, v11, v7, vcc
	v_mov_b32_e32 v11, 0x37800000
	v_lshlrev_b32_e32 v7, 21, v7
	v_and_b32_e32 v9, 0x80000000, v9
	v_lshl_add_u32 v11, v13, 23, v11
	v_or3_b32 v9, v9, v11, v7
.LBB56_2060:
	s_or_b64 exec, exec, s[18:19]
	v_bfe_u32 v7, v9, 16, 1
	s_movk_i32 s16, 0x7fff
	v_add3_u32 v7, v9, v7, s16
	v_lshrrev_b32_e32 v7, 16, v7
	v_mov_b32_e32 v11, 0x7fc0
	v_cmp_o_f32_e32 vcc, v9, v9
	v_cndmask_b32_e32 v18, v11, v7, vcc
	s_mov_b64 s[16:17], 0
	s_branch .LBB56_2066
.LBB56_2061:
	s_mov_b64 s[16:17], -1
                                        ; implicit-def: $vgpr18
	s_branch .LBB56_2072
.LBB56_2062:
	s_or_saveexec_b64 s[20:21], s[20:21]
	v_mov_b32_e32 v9, s27
	s_xor_b64 exec, exec, s[20:21]
	s_cbranch_execz .LBB56_2045
.LBB56_2063:
	v_cmp_ne_u16_e32 vcc, 0, v7
	s_andn2_b64 s[18:19], s[18:19], exec
	s_and_b64 s[22:23], vcc, exec
	v_mov_b32_e32 v9, 0
	s_or_b64 s[18:19], s[18:19], s[22:23]
	s_or_b64 exec, exec, s[20:21]
	s_and_saveexec_b64 s[20:21], s[18:19]
	s_cbranch_execnz .LBB56_2046
	s_branch .LBB56_2047
.LBB56_2064:
	s_mov_b64 s[16:17], -1
                                        ; implicit-def: $vgpr18
	s_branch .LBB56_2069
.LBB56_2065:
	s_mov_b64 s[16:17], -1
                                        ; implicit-def: $vgpr18
.LBB56_2066:
	s_and_b64 vcc, exec, s[16:17]
	s_cbranch_vccz .LBB56_2068
; %bb.2067:
	global_load_ubyte v7, v[16:17], off
	s_mov_b32 s16, 0x7f800000
	s_brev_b32 s17, 1
	s_movk_i32 s18, 0x7fff
	v_mov_b32_e32 v9, 0x7fc0
	s_waitcnt vmcnt(0)
	v_lshlrev_b32_e32 v7, 24, v7
	v_and_b32_e32 v11, 0x7f000000, v7
	v_ffbh_u32_e32 v13, v11
	v_min_u32_e32 v13, 32, v13
	v_sub_u32_e64 v13, v13, 4 clamp
	v_lshlrev_b32_e32 v18, v13, v11
	v_lshlrev_b32_e32 v13, 23, v13
	v_lshrrev_b32_e32 v18, 4, v18
	v_add_u32_e32 v15, 0x1000000, v11
	v_sub_u32_e32 v13, v18, v13
	v_ashrrev_i32_e32 v15, 8, v15
	v_add_u32_e32 v13, 0x3c000000, v13
	v_and_or_b32 v13, v15, s16, v13
	v_cmp_ne_u32_e32 vcc, 0, v11
	v_cndmask_b32_e32 v11, 0, v13, vcc
	v_and_or_b32 v7, v7, s17, v11
	v_bfe_u32 v11, v11, 16, 1
	v_add3_u32 v11, v7, v11, s18
	v_lshrrev_b32_e32 v11, 16, v11
	v_cmp_o_f32_e32 vcc, v7, v7
	v_cndmask_b32_e32 v18, v9, v11, vcc
.LBB56_2068:
	s_mov_b64 s[16:17], 0
.LBB56_2069:
	s_andn2_b64 vcc, exec, s[16:17]
	s_cbranch_vccnz .LBB56_2071
; %bb.2070:
	global_load_ubyte v7, v[16:17], off
	s_movk_i32 s16, 0x7f00
	s_brev_b32 s17, 16
	s_brev_b32 s18, 1
	s_movk_i32 s19, 0x7fff
	v_mov_b32_e32 v9, 0x7fc0
	s_waitcnt vmcnt(0)
	v_lshlrev_b16_e32 v11, 8, v7
	v_lshlrev_b32_e32 v7, 25, v7
	v_lshrrev_b32_e32 v13, 4, v7
	v_and_or_b32 v15, v11, s16, 0.5
	v_or_b32_e32 v13, 0x70000000, v13
	v_add_f32_e32 v15, -0.5, v15
	v_mul_f32_e32 v13, 0x7800000, v13
	v_cmp_gt_u32_e32 vcc, s17, v7
	v_bfe_i32 v11, v11, 0, 16
	v_cndmask_b32_e32 v7, v13, v15, vcc
	v_and_or_b32 v11, v11, s18, v7
	v_bfe_u32 v7, v7, 16, 1
	v_add3_u32 v7, v11, v7, s19
	v_lshrrev_b32_e32 v7, 16, v7
	v_cmp_o_f32_e32 vcc, v11, v11
	v_cndmask_b32_e32 v18, v9, v7, vcc
.LBB56_2071:
	s_mov_b64 s[16:17], 0
	s_mov_b64 s[18:19], -1
.LBB56_2072:
	s_andn2_b64 vcc, exec, s[16:17]
	s_mov_b64 s[16:17], 0
	s_cbranch_vccnz .LBB56_2083
; %bb.2073:
	v_cmp_gt_i16_e64 s[16:17], s26, 14
	s_and_b64 vcc, exec, s[16:17]
	s_cbranch_vccz .LBB56_2076
; %bb.2074:
	v_cmp_eq_u16_e64 s[6:7], s26, 15
	s_and_b64 vcc, exec, s[6:7]
	s_cbranch_vccz .LBB56_2079
; %bb.2075:
	global_load_ushort v18, v[16:17], off
	s_mov_b64 s[6:7], 0
	s_mov_b64 s[18:19], -1
	s_branch .LBB56_2080
.LBB56_2076:
	s_mov_b64 s[20:21], -1
                                        ; implicit-def: $vgpr18
	s_branch .LBB56_2081
.LBB56_2077:
	s_or_saveexec_b64 s[18:19], s[18:19]
	v_mov_b32_e32 v9, s22
	s_xor_b64 exec, exec, s[18:19]
	s_cbranch_execz .LBB56_2058
.LBB56_2078:
	v_cmp_ne_u16_e32 vcc, 0, v7
	s_andn2_b64 s[16:17], s[16:17], exec
	s_and_b64 s[20:21], vcc, exec
	v_mov_b32_e32 v9, 0
	s_or_b64 s[16:17], s[16:17], s[20:21]
	s_or_b64 exec, exec, s[18:19]
	s_and_saveexec_b64 s[18:19], s[16:17]
	s_cbranch_execnz .LBB56_2059
	s_branch .LBB56_2060
.LBB56_2079:
	s_mov_b64 s[6:7], -1
                                        ; implicit-def: $vgpr18
.LBB56_2080:
	s_mov_b64 s[20:21], 0
.LBB56_2081:
	s_mov_b64 s[16:17], 0
	s_and_b64 vcc, exec, s[20:21]
	s_cbranch_vccz .LBB56_2083
; %bb.2082:
	v_cmp_ne_u16_e64 s[6:7], s26, 11
	s_mov_b64 s[16:17], -1
                                        ; implicit-def: $vgpr18
.LBB56_2083:
	s_and_b64 vcc, exec, s[6:7]
	s_cbranch_vccnz .LBB56_2148
; %bb.2084:
	s_andn2_b64 vcc, exec, s[16:17]
	s_cbranch_vccnz .LBB56_2086
.LBB56_2085:
	global_load_ubyte v7, v[16:17], off
	s_mov_b64 s[18:19], -1
	s_waitcnt vmcnt(0)
	v_cmp_ne_u16_e32 vcc, 0, v7
	v_cndmask_b32_e64 v7, 0, 1.0, vcc
	v_lshrrev_b32_e32 v18, 16, v7
.LBB56_2086:
	s_mov_b64 s[6:7], 0
.LBB56_2087:
	s_and_b64 vcc, exec, s[6:7]
	s_cbranch_vccz .LBB56_2136
; %bb.2088:
	v_cmp_lt_i16_e64 s[6:7], s26, 5
	s_and_b64 vcc, exec, s[6:7]
	s_cbranch_vccnz .LBB56_2093
; %bb.2089:
	v_cmp_lt_i16_e64 s[6:7], s26, 8
	s_and_b64 vcc, exec, s[6:7]
	s_cbranch_vccnz .LBB56_2094
	;; [unrolled: 4-line block ×3, first 2 shown]
; %bb.2091:
	v_cmp_gt_i16_e64 s[6:7], s26, 9
	s_and_b64 vcc, exec, s[6:7]
	s_cbranch_vccz .LBB56_2096
; %bb.2092:
	global_load_dwordx2 v[18:19], v[16:17], off
	s_movk_i32 s6, 0x7fff
	v_mov_b32_e32 v7, 0x7fc0
	s_waitcnt vmcnt(0)
	v_cvt_f32_f64_e32 v9, v[18:19]
	v_bfe_u32 v11, v9, 16, 1
	v_add3_u32 v11, v9, v11, s6
	v_lshrrev_b32_e32 v11, 16, v11
	v_cmp_o_f32_e32 vcc, v9, v9
	v_cndmask_b32_e32 v18, v7, v11, vcc
	s_mov_b64 s[6:7], 0
	s_branch .LBB56_2097
.LBB56_2093:
	s_mov_b64 s[6:7], -1
                                        ; implicit-def: $vgpr18
	s_branch .LBB56_2115
.LBB56_2094:
	s_mov_b64 s[6:7], -1
                                        ; implicit-def: $vgpr18
	s_branch .LBB56_2103
.LBB56_2095:
	s_mov_b64 s[6:7], -1
                                        ; implicit-def: $vgpr18
	s_branch .LBB56_2100
.LBB56_2096:
	s_mov_b64 s[6:7], -1
                                        ; implicit-def: $vgpr18
.LBB56_2097:
	s_andn2_b64 vcc, exec, s[6:7]
	s_cbranch_vccnz .LBB56_2099
; %bb.2098:
	global_load_dword v7, v[16:17], off
	s_movk_i32 s6, 0x7fff
	v_mov_b32_e32 v9, 0x7fc0
	s_waitcnt vmcnt(0)
	v_bfe_u32 v11, v7, 16, 1
	v_add3_u32 v11, v7, v11, s6
	v_lshrrev_b32_e32 v11, 16, v11
	v_cmp_o_f32_e32 vcc, v7, v7
	v_cndmask_b32_e32 v18, v9, v11, vcc
.LBB56_2099:
	s_mov_b64 s[6:7], 0
.LBB56_2100:
	s_andn2_b64 vcc, exec, s[6:7]
	s_cbranch_vccnz .LBB56_2102
; %bb.2101:
	global_load_dword v7, v[16:17], off
	s_movk_i32 s6, 0x7fff
	v_mov_b32_e32 v11, 0x7fc0
	s_waitcnt vmcnt(0)
	v_cvt_f32_f16_e32 v9, v7
	v_cmp_o_f16_e32 vcc, v7, v7
	v_bfe_u32 v13, v9, 16, 1
	v_add3_u32 v9, v9, v13, s6
	v_lshrrev_b32_e32 v9, 16, v9
	v_cndmask_b32_e32 v18, v11, v9, vcc
.LBB56_2102:
	s_mov_b64 s[6:7], 0
.LBB56_2103:
	s_andn2_b64 vcc, exec, s[6:7]
	s_cbranch_vccnz .LBB56_2114
; %bb.2104:
	v_cmp_lt_i16_e64 s[6:7], s26, 6
	s_and_b64 vcc, exec, s[6:7]
	s_cbranch_vccnz .LBB56_2107
; %bb.2105:
	v_cmp_gt_i16_e64 s[6:7], s26, 6
	s_and_b64 vcc, exec, s[6:7]
	s_cbranch_vccz .LBB56_2108
; %bb.2106:
	global_load_dwordx2 v[18:19], v[16:17], off
	s_movk_i32 s6, 0x7fff
	v_mov_b32_e32 v7, 0x7fc0
	s_waitcnt vmcnt(0)
	v_cvt_f32_f64_e32 v9, v[18:19]
	v_bfe_u32 v11, v9, 16, 1
	v_add3_u32 v11, v9, v11, s6
	v_lshrrev_b32_e32 v11, 16, v11
	v_cmp_o_f32_e32 vcc, v9, v9
	v_cndmask_b32_e32 v18, v7, v11, vcc
	s_mov_b64 s[6:7], 0
	s_branch .LBB56_2109
.LBB56_2107:
	s_mov_b64 s[6:7], -1
                                        ; implicit-def: $vgpr18
	s_branch .LBB56_2112
.LBB56_2108:
	s_mov_b64 s[6:7], -1
                                        ; implicit-def: $vgpr18
.LBB56_2109:
	s_andn2_b64 vcc, exec, s[6:7]
	s_cbranch_vccnz .LBB56_2111
; %bb.2110:
	global_load_dword v7, v[16:17], off
	s_movk_i32 s6, 0x7fff
	v_mov_b32_e32 v9, 0x7fc0
	s_waitcnt vmcnt(0)
	v_bfe_u32 v11, v7, 16, 1
	v_add3_u32 v11, v7, v11, s6
	v_lshrrev_b32_e32 v11, 16, v11
	v_cmp_o_f32_e32 vcc, v7, v7
	v_cndmask_b32_e32 v18, v9, v11, vcc
.LBB56_2111:
	s_mov_b64 s[6:7], 0
.LBB56_2112:
	s_andn2_b64 vcc, exec, s[6:7]
	s_cbranch_vccnz .LBB56_2114
; %bb.2113:
	global_load_ushort v7, v[16:17], off
	s_movk_i32 s6, 0x7fff
	v_mov_b32_e32 v11, 0x7fc0
	s_waitcnt vmcnt(0)
	v_cvt_f32_f16_e32 v9, v7
	v_cmp_o_f16_e32 vcc, v7, v7
	v_bfe_u32 v13, v9, 16, 1
	v_add3_u32 v9, v9, v13, s6
	v_lshrrev_b32_e32 v9, 16, v9
	v_cndmask_b32_e32 v18, v11, v9, vcc
.LBB56_2114:
	s_mov_b64 s[6:7], 0
.LBB56_2115:
	s_andn2_b64 vcc, exec, s[6:7]
	s_cbranch_vccnz .LBB56_2135
; %bb.2116:
	v_cmp_lt_i16_e64 s[6:7], s26, 2
	s_and_b64 vcc, exec, s[6:7]
	s_cbranch_vccnz .LBB56_2120
; %bb.2117:
	v_cmp_lt_i16_e64 s[6:7], s26, 3
	s_and_b64 vcc, exec, s[6:7]
	s_cbranch_vccnz .LBB56_2121
; %bb.2118:
	v_cmp_gt_i16_e64 s[6:7], s26, 3
	s_and_b64 vcc, exec, s[6:7]
	s_cbranch_vccz .LBB56_2122
; %bb.2119:
	global_load_dwordx2 v[18:19], v[16:17], off
	s_movk_i32 s6, 0x7fff
	s_waitcnt vmcnt(0)
	v_xor_b32_e32 v9, v18, v19
	v_ffbh_i32_e32 v7, v19
	v_ashrrev_i32_e32 v9, 31, v9
	v_add_u32_e32 v7, -1, v7
	v_add_u32_e32 v9, 32, v9
	v_min_u32_e32 v7, v7, v9
	v_lshlrev_b64 v[18:19], v7, v[18:19]
	v_min_u32_e32 v9, 1, v18
	v_or_b32_e32 v9, v19, v9
	v_cvt_f32_i32_e32 v9, v9
	v_sub_u32_e32 v7, 32, v7
	v_ldexp_f32 v7, v9, v7
	v_bfe_u32 v9, v7, 16, 1
	v_add3_u32 v7, v7, v9, s6
	v_lshrrev_b32_e32 v18, 16, v7
	s_mov_b64 s[6:7], 0
	s_branch .LBB56_2123
.LBB56_2120:
	s_mov_b64 s[6:7], -1
                                        ; implicit-def: $vgpr18
	s_branch .LBB56_2129
.LBB56_2121:
	s_mov_b64 s[6:7], -1
                                        ; implicit-def: $vgpr18
	s_branch .LBB56_2126
.LBB56_2122:
	s_mov_b64 s[6:7], -1
                                        ; implicit-def: $vgpr18
.LBB56_2123:
	s_andn2_b64 vcc, exec, s[6:7]
	s_cbranch_vccnz .LBB56_2125
; %bb.2124:
	global_load_dword v7, v[16:17], off
	s_movk_i32 s6, 0x7fff
	s_waitcnt vmcnt(0)
	v_cvt_f32_i32_e32 v7, v7
	v_bfe_u32 v9, v7, 16, 1
	v_add3_u32 v7, v7, v9, s6
	v_lshrrev_b32_e32 v18, 16, v7
.LBB56_2125:
	s_mov_b64 s[6:7], 0
.LBB56_2126:
	s_andn2_b64 vcc, exec, s[6:7]
	s_cbranch_vccnz .LBB56_2128
; %bb.2127:
	global_load_sshort v7, v[16:17], off
	s_movk_i32 s6, 0x7fff
	s_waitcnt vmcnt(0)
	v_cvt_f32_i32_e32 v7, v7
	v_bfe_u32 v9, v7, 16, 1
	v_add3_u32 v7, v7, v9, s6
	v_lshrrev_b32_e32 v18, 16, v7
.LBB56_2128:
	s_mov_b64 s[6:7], 0
.LBB56_2129:
	s_andn2_b64 vcc, exec, s[6:7]
	s_cbranch_vccnz .LBB56_2135
; %bb.2130:
	v_cmp_gt_i16_e64 s[6:7], s26, 0
	s_and_b64 vcc, exec, s[6:7]
	s_cbranch_vccz .LBB56_2132
; %bb.2131:
	global_load_sbyte v7, v[16:17], off
	s_movk_i32 s6, 0x7fff
	s_waitcnt vmcnt(0)
	v_cvt_f32_i32_e32 v7, v7
	v_bfe_u32 v9, v7, 16, 1
	v_add3_u32 v7, v7, v9, s6
	v_lshrrev_b32_e32 v18, 16, v7
	s_mov_b64 s[6:7], 0
	s_branch .LBB56_2133
.LBB56_2132:
	s_mov_b64 s[6:7], -1
                                        ; implicit-def: $vgpr18
.LBB56_2133:
	s_andn2_b64 vcc, exec, s[6:7]
	s_cbranch_vccnz .LBB56_2135
; %bb.2134:
	global_load_ubyte v7, v[16:17], off
	s_movk_i32 s6, 0x7fff
	s_waitcnt vmcnt(0)
	v_cvt_f32_ubyte0_e32 v7, v7
	v_bfe_u32 v9, v7, 16, 1
	v_add3_u32 v7, v7, v9, s6
	v_lshrrev_b32_e32 v18, 16, v7
.LBB56_2135:
	s_mov_b64 s[18:19], -1
.LBB56_2136:
	s_andn2_b64 vcc, exec, s[18:19]
	s_cbranch_vccnz .LBB56_3112
; %bb.2137:
	v_mov_b32_e32 v7, s11
	v_add_co_u32_e32 v14, vcc, s10, v14
	v_addc_co_u32_e32 v15, vcc, 0, v7, vcc
	v_mov_b32_e32 v7, 11
	v_cmp_lt_i16_sdwa s[6:7], s25, v7 src0_sel:BYTE_0 src1_sel:DWORD
	s_and_b64 vcc, exec, s[6:7]
	s_cbranch_vccnz .LBB56_2144
; %bb.2138:
	v_mov_b32_e32 v7, 25
	v_cmp_gt_i16_sdwa s[6:7], s25, v7 src0_sel:BYTE_0 src1_sel:DWORD
	s_mov_b64 s[16:17], 0
	s_and_b64 vcc, exec, s[6:7]
	s_cbranch_vccz .LBB56_2145
; %bb.2139:
	v_mov_b32_e32 v7, 28
	v_cmp_gt_i16_sdwa s[6:7], s25, v7 src0_sel:BYTE_0 src1_sel:DWORD
	s_and_b64 vcc, exec, s[6:7]
	s_cbranch_vccz .LBB56_2146
; %bb.2140:
	v_mov_b32_e32 v7, 43
	v_cmp_gt_i16_sdwa s[6:7], s25, v7 src0_sel:BYTE_0 src1_sel:DWORD
	;; [unrolled: 5-line block ×3, first 2 shown]
	s_and_b64 vcc, exec, s[6:7]
	s_cbranch_vccz .LBB56_2149
; %bb.2142:
	v_mov_b32_e32 v7, 46
	v_cmp_eq_u16_sdwa s[6:7], s25, v7 src0_sel:BYTE_0 src1_sel:DWORD
	s_mov_b64 s[20:21], 0
	s_and_b64 vcc, exec, s[6:7]
	s_cbranch_vccz .LBB56_2150
; %bb.2143:
	global_load_dword v16, v[14:15], off
	s_mov_b64 s[6:7], 0
	s_mov_b64 s[18:19], -1
	s_branch .LBB56_2151
.LBB56_2144:
	s_mov_b64 s[6:7], -1
	s_mov_b64 s[18:19], 0
                                        ; implicit-def: $vgpr16
	s_branch .LBB56_2217
.LBB56_2145:
	s_mov_b64 s[20:21], -1
	s_mov_b64 s[18:19], 0
	s_mov_b64 s[6:7], 0
                                        ; implicit-def: $vgpr16
	s_branch .LBB56_2180
.LBB56_2146:
	s_mov_b64 s[20:21], -1
	s_mov_b64 s[18:19], 0
	s_mov_b64 s[6:7], 0
                                        ; implicit-def: $vgpr16
	s_branch .LBB56_2161
.LBB56_2147:
	s_mov_b64 s[20:21], -1
	s_mov_b64 s[18:19], 0
	s_mov_b64 s[6:7], 0
                                        ; implicit-def: $vgpr16
	s_branch .LBB56_2156
.LBB56_2148:
	s_trap 2
	s_or_b64 s[4:5], s[4:5], exec
                                        ; implicit-def: $vgpr18
	s_cbranch_execz .LBB56_2085
	s_branch .LBB56_2086
.LBB56_2149:
	s_mov_b64 s[20:21], -1
	s_mov_b64 s[18:19], 0
	s_mov_b64 s[6:7], 0
                                        ; implicit-def: $vgpr16
	s_branch .LBB56_2151
.LBB56_2150:
	s_mov_b64 s[6:7], -1
                                        ; implicit-def: $vgpr16
	s_mov_b64 s[18:19], 0
.LBB56_2151:
	s_and_b64 vcc, exec, s[20:21]
	s_cbranch_vccz .LBB56_2155
; %bb.2152:
	v_mov_b32_e32 v7, 44
	v_cmp_eq_u16_sdwa s[6:7], s25, v7 src0_sel:BYTE_0 src1_sel:DWORD
	s_and_b64 vcc, exec, s[6:7]
	s_cbranch_vccz .LBB56_2154
; %bb.2153:
	global_load_ubyte v7, v[14:15], off
	s_movk_i32 s18, 0xff
	v_mov_b32_e32 v9, 0x7f800001
	v_mov_b32_e32 v11, 0x400000
	;; [unrolled: 1-line block ×3, first 2 shown]
	s_mov_b64 s[6:7], 0
	s_waitcnt vmcnt(0)
	v_lshlrev_b32_e32 v16, 23, v7
	v_cmp_ne_u32_e32 vcc, s18, v7
	v_cndmask_b32_e32 v9, v9, v16, vcc
	v_cmp_ne_u32_e32 vcc, 0, v7
	v_cndmask_b32_e32 v7, v11, v9, vcc
	v_add_u32_e32 v9, 0x7fff, v7
	v_lshrrev_b32_e32 v9, 16, v9
	v_cmp_o_f32_e32 vcc, v7, v7
	v_cndmask_b32_e32 v16, v13, v9, vcc
	s_mov_b64 s[18:19], -1
	s_branch .LBB56_2155
.LBB56_2154:
	s_mov_b64 s[6:7], -1
                                        ; implicit-def: $vgpr16
.LBB56_2155:
	s_mov_b64 s[20:21], 0
.LBB56_2156:
	s_and_b64 vcc, exec, s[20:21]
	s_cbranch_vccz .LBB56_2160
; %bb.2157:
	v_mov_b32_e32 v7, 29
	v_cmp_eq_u16_sdwa s[6:7], s25, v7 src0_sel:BYTE_0 src1_sel:DWORD
	s_and_b64 vcc, exec, s[6:7]
	s_cbranch_vccz .LBB56_2159
; %bb.2158:
	global_load_dwordx2 v[16:17], v[14:15], off
	s_movk_i32 s18, 0x7fff
	s_mov_b64 s[6:7], 0
	s_mov_b64 s[20:21], 0
	s_waitcnt vmcnt(0)
	v_ffbh_u32_e32 v7, v17
	v_min_u32_e32 v7, 32, v7
	v_lshlrev_b64 v[16:17], v7, v[16:17]
	v_min_u32_e32 v9, 1, v16
	v_or_b32_e32 v9, v17, v9
	v_cvt_f32_u32_e32 v9, v9
	v_sub_u32_e32 v7, 32, v7
	v_ldexp_f32 v7, v9, v7
	v_bfe_u32 v9, v7, 16, 1
	v_add3_u32 v7, v7, v9, s18
	v_lshrrev_b32_e32 v16, 16, v7
	s_mov_b64 s[18:19], -1
	s_branch .LBB56_2161
.LBB56_2159:
	s_mov_b64 s[6:7], -1
                                        ; implicit-def: $vgpr16
.LBB56_2160:
	s_mov_b64 s[20:21], 0
.LBB56_2161:
	s_and_b64 vcc, exec, s[20:21]
	s_cbranch_vccz .LBB56_2179
; %bb.2162:
	v_mov_b32_e32 v7, 27
	v_cmp_lt_i16_sdwa s[18:19], s25, v7 src0_sel:BYTE_0 src1_sel:DWORD
	s_and_b64 vcc, exec, s[18:19]
	s_cbranch_vccnz .LBB56_2165
; %bb.2163:
	v_cmp_gt_i16_sdwa s[18:19], s25, v7 src0_sel:BYTE_0 src1_sel:DWORD
	s_and_b64 vcc, exec, s[18:19]
	s_cbranch_vccz .LBB56_2166
; %bb.2164:
	global_load_dword v7, v[14:15], off
	s_movk_i32 s18, 0x7fff
	s_waitcnt vmcnt(0)
	v_cvt_f32_u32_e32 v7, v7
	v_bfe_u32 v9, v7, 16, 1
	v_add3_u32 v7, v7, v9, s18
	v_lshrrev_b32_e32 v16, 16, v7
	s_mov_b64 s[18:19], 0
	s_branch .LBB56_2167
.LBB56_2165:
	s_mov_b64 s[18:19], -1
                                        ; implicit-def: $vgpr16
	s_branch .LBB56_2170
.LBB56_2166:
	s_mov_b64 s[18:19], -1
                                        ; implicit-def: $vgpr16
.LBB56_2167:
	s_andn2_b64 vcc, exec, s[18:19]
	s_cbranch_vccnz .LBB56_2169
; %bb.2168:
	global_load_ushort v7, v[14:15], off
	s_movk_i32 s18, 0x7fff
	s_waitcnt vmcnt(0)
	v_cvt_f32_u32_e32 v7, v7
	v_bfe_u32 v9, v7, 16, 1
	v_add3_u32 v7, v7, v9, s18
	v_lshrrev_b32_e32 v16, 16, v7
.LBB56_2169:
	s_mov_b64 s[18:19], 0
.LBB56_2170:
	s_andn2_b64 vcc, exec, s[18:19]
	s_cbranch_vccnz .LBB56_2178
; %bb.2171:
	global_load_ubyte v7, v[14:15], off
	s_movk_i32 s18, 0x7f
                                        ; implicit-def: $sgpr27
	s_waitcnt vmcnt(0)
	v_cmp_lt_i16_e32 vcc, s18, v7
	s_mov_b64 s[18:19], 0
	s_and_saveexec_b64 s[20:21], vcc
	s_xor_b64 s[20:21], exec, s[20:21]
	s_cbranch_execz .LBB56_2192
; %bb.2172:
	s_movk_i32 s18, 0x80
	v_cmp_eq_u16_e32 vcc, s18, v7
	s_mov_b64 s[18:19], -1
                                        ; implicit-def: $sgpr27
	s_and_saveexec_b64 s[22:23], vcc
; %bb.2173:
	s_mov_b32 s27, 0x7f800001
	s_xor_b64 s[18:19], exec, -1
; %bb.2174:
	s_or_b64 exec, exec, s[22:23]
	s_and_b64 s[18:19], s[18:19], exec
	s_or_saveexec_b64 s[20:21], s[20:21]
	v_mov_b32_e32 v9, s27
	s_xor_b64 exec, exec, s[20:21]
	s_cbranch_execnz .LBB56_2193
.LBB56_2175:
	s_or_b64 exec, exec, s[20:21]
	s_and_saveexec_b64 s[20:21], s[18:19]
	s_cbranch_execz .LBB56_2177
.LBB56_2176:
	v_lshlrev_b32_e32 v9, 24, v7
	v_and_b32_e32 v7, 0xffff, v7
	v_and_b32_e32 v11, 7, v7
	v_ffbh_u32_e32 v16, v11
	v_min_u32_e32 v16, 32, v16
	v_subrev_u32_e32 v17, 28, v16
	v_bfe_u32 v13, v7, 3, 4
	v_lshlrev_b32_e32 v7, v17, v7
	v_sub_u32_e32 v16, 29, v16
	v_and_b32_e32 v7, 7, v7
	v_cmp_eq_u32_e32 vcc, 0, v13
	v_cndmask_b32_e32 v13, v13, v16, vcc
	v_cndmask_b32_e32 v7, v11, v7, vcc
	v_mov_b32_e32 v11, 0x3b800000
	v_lshlrev_b32_e32 v7, 20, v7
	v_and_b32_e32 v9, 0x80000000, v9
	v_lshl_add_u32 v11, v13, 23, v11
	v_or3_b32 v9, v9, v11, v7
.LBB56_2177:
	s_or_b64 exec, exec, s[20:21]
	v_bfe_u32 v7, v9, 16, 1
	s_movk_i32 s18, 0x7fff
	v_add3_u32 v7, v9, v7, s18
	v_lshrrev_b32_e32 v7, 16, v7
	v_mov_b32_e32 v11, 0x7fc0
	v_cmp_o_f32_e32 vcc, v9, v9
	v_cndmask_b32_e32 v16, v11, v7, vcc
.LBB56_2178:
	s_mov_b64 s[18:19], -1
.LBB56_2179:
	s_mov_b64 s[20:21], 0
.LBB56_2180:
	s_and_b64 vcc, exec, s[20:21]
	s_cbranch_vccz .LBB56_2213
; %bb.2181:
	v_mov_b32_e32 v7, 22
	v_cmp_gt_i16_sdwa s[16:17], s25, v7 src0_sel:BYTE_0 src1_sel:DWORD
	s_and_b64 vcc, exec, s[16:17]
	s_cbranch_vccz .LBB56_2191
; %bb.2182:
	v_mov_b32_e32 v7, 24
	v_cmp_lt_i16_sdwa s[16:17], s25, v7 src0_sel:BYTE_0 src1_sel:DWORD
	s_and_b64 vcc, exec, s[16:17]
	s_cbranch_vccnz .LBB56_2194
; %bb.2183:
	v_cmp_gt_i16_sdwa s[16:17], s25, v7 src0_sel:BYTE_0 src1_sel:DWORD
	s_and_b64 vcc, exec, s[16:17]
	s_cbranch_vccz .LBB56_2195
; %bb.2184:
	global_load_ubyte v7, v[14:15], off
	s_movk_i32 s16, 0x7f
                                        ; implicit-def: $sgpr22
	s_waitcnt vmcnt(0)
	v_cmp_lt_i16_e32 vcc, s16, v7
	s_mov_b64 s[16:17], 0
	s_and_saveexec_b64 s[18:19], vcc
	s_xor_b64 s[18:19], exec, s[18:19]
	s_cbranch_execz .LBB56_2207
; %bb.2185:
	s_movk_i32 s16, 0x80
	v_cmp_eq_u16_e32 vcc, s16, v7
	s_mov_b64 s[16:17], -1
                                        ; implicit-def: $sgpr22
	s_and_saveexec_b64 s[20:21], vcc
; %bb.2186:
	s_mov_b32 s22, 0x7f800001
	s_xor_b64 s[16:17], exec, -1
; %bb.2187:
	s_or_b64 exec, exec, s[20:21]
	s_and_b64 s[16:17], s[16:17], exec
	s_or_saveexec_b64 s[18:19], s[18:19]
	v_mov_b32_e32 v9, s22
	s_xor_b64 exec, exec, s[18:19]
	s_cbranch_execnz .LBB56_2208
.LBB56_2188:
	s_or_b64 exec, exec, s[18:19]
	s_and_saveexec_b64 s[18:19], s[16:17]
	s_cbranch_execz .LBB56_2190
.LBB56_2189:
	v_lshlrev_b32_e32 v9, 24, v7
	v_and_b32_e32 v7, 0xffff, v7
	v_and_b32_e32 v11, 3, v7
	v_ffbh_u32_e32 v16, v11
	v_min_u32_e32 v16, 32, v16
	v_subrev_u32_e32 v17, 29, v16
	v_bfe_u32 v13, v7, 2, 5
	v_lshlrev_b32_e32 v7, v17, v7
	v_sub_u32_e32 v16, 30, v16
	v_and_b32_e32 v7, 3, v7
	v_cmp_eq_u32_e32 vcc, 0, v13
	v_cndmask_b32_e32 v13, v13, v16, vcc
	v_cndmask_b32_e32 v7, v11, v7, vcc
	v_mov_b32_e32 v11, 0x37800000
	v_lshlrev_b32_e32 v7, 21, v7
	v_and_b32_e32 v9, 0x80000000, v9
	v_lshl_add_u32 v11, v13, 23, v11
	v_or3_b32 v9, v9, v11, v7
.LBB56_2190:
	s_or_b64 exec, exec, s[18:19]
	v_bfe_u32 v7, v9, 16, 1
	s_movk_i32 s16, 0x7fff
	v_add3_u32 v7, v9, v7, s16
	v_lshrrev_b32_e32 v7, 16, v7
	v_mov_b32_e32 v11, 0x7fc0
	v_cmp_o_f32_e32 vcc, v9, v9
	v_cndmask_b32_e32 v16, v11, v7, vcc
	s_mov_b64 s[16:17], 0
	s_branch .LBB56_2196
.LBB56_2191:
	s_mov_b64 s[16:17], -1
                                        ; implicit-def: $vgpr16
	s_branch .LBB56_2202
.LBB56_2192:
	s_or_saveexec_b64 s[20:21], s[20:21]
	v_mov_b32_e32 v9, s27
	s_xor_b64 exec, exec, s[20:21]
	s_cbranch_execz .LBB56_2175
.LBB56_2193:
	v_cmp_ne_u16_e32 vcc, 0, v7
	s_andn2_b64 s[18:19], s[18:19], exec
	s_and_b64 s[22:23], vcc, exec
	v_mov_b32_e32 v9, 0
	s_or_b64 s[18:19], s[18:19], s[22:23]
	s_or_b64 exec, exec, s[20:21]
	s_and_saveexec_b64 s[20:21], s[18:19]
	s_cbranch_execnz .LBB56_2176
	s_branch .LBB56_2177
.LBB56_2194:
	s_mov_b64 s[16:17], -1
                                        ; implicit-def: $vgpr16
	s_branch .LBB56_2199
.LBB56_2195:
	s_mov_b64 s[16:17], -1
                                        ; implicit-def: $vgpr16
.LBB56_2196:
	s_and_b64 vcc, exec, s[16:17]
	s_cbranch_vccz .LBB56_2198
; %bb.2197:
	global_load_ubyte v7, v[14:15], off
	s_mov_b32 s16, 0x7f800000
	s_brev_b32 s17, 1
	s_movk_i32 s18, 0x7fff
	v_mov_b32_e32 v9, 0x7fc0
	s_waitcnt vmcnt(0)
	v_lshlrev_b32_e32 v7, 24, v7
	v_and_b32_e32 v11, 0x7f000000, v7
	v_ffbh_u32_e32 v13, v11
	v_min_u32_e32 v13, 32, v13
	v_sub_u32_e64 v13, v13, 4 clamp
	v_lshlrev_b32_e32 v17, v13, v11
	v_lshlrev_b32_e32 v13, 23, v13
	v_lshrrev_b32_e32 v17, 4, v17
	v_add_u32_e32 v16, 0x1000000, v11
	v_sub_u32_e32 v13, v17, v13
	v_ashrrev_i32_e32 v16, 8, v16
	v_add_u32_e32 v13, 0x3c000000, v13
	v_and_or_b32 v13, v16, s16, v13
	v_cmp_ne_u32_e32 vcc, 0, v11
	v_cndmask_b32_e32 v11, 0, v13, vcc
	v_and_or_b32 v7, v7, s17, v11
	v_bfe_u32 v11, v11, 16, 1
	v_add3_u32 v11, v7, v11, s18
	v_lshrrev_b32_e32 v11, 16, v11
	v_cmp_o_f32_e32 vcc, v7, v7
	v_cndmask_b32_e32 v16, v9, v11, vcc
.LBB56_2198:
	s_mov_b64 s[16:17], 0
.LBB56_2199:
	s_andn2_b64 vcc, exec, s[16:17]
	s_cbranch_vccnz .LBB56_2201
; %bb.2200:
	global_load_ubyte v7, v[14:15], off
	s_movk_i32 s16, 0x7f00
	s_brev_b32 s17, 16
	s_brev_b32 s18, 1
	s_movk_i32 s19, 0x7fff
	v_mov_b32_e32 v9, 0x7fc0
	s_waitcnt vmcnt(0)
	v_lshlrev_b16_e32 v11, 8, v7
	v_lshlrev_b32_e32 v7, 25, v7
	v_lshrrev_b32_e32 v13, 4, v7
	v_and_or_b32 v16, v11, s16, 0.5
	v_or_b32_e32 v13, 0x70000000, v13
	v_add_f32_e32 v16, -0.5, v16
	v_mul_f32_e32 v13, 0x7800000, v13
	v_cmp_gt_u32_e32 vcc, s17, v7
	v_bfe_i32 v11, v11, 0, 16
	v_cndmask_b32_e32 v7, v13, v16, vcc
	v_and_or_b32 v11, v11, s18, v7
	v_bfe_u32 v7, v7, 16, 1
	v_add3_u32 v7, v11, v7, s19
	v_lshrrev_b32_e32 v7, 16, v7
	v_cmp_o_f32_e32 vcc, v11, v11
	v_cndmask_b32_e32 v16, v9, v7, vcc
.LBB56_2201:
	s_mov_b64 s[16:17], 0
	s_mov_b64 s[18:19], -1
.LBB56_2202:
	s_andn2_b64 vcc, exec, s[16:17]
	s_mov_b64 s[16:17], 0
	s_cbranch_vccnz .LBB56_2213
; %bb.2203:
	v_mov_b32_e32 v7, 14
	v_cmp_gt_i16_sdwa s[16:17], s25, v7 src0_sel:BYTE_0 src1_sel:DWORD
	s_and_b64 vcc, exec, s[16:17]
	s_cbranch_vccz .LBB56_2206
; %bb.2204:
	v_mov_b32_e32 v7, 15
	v_cmp_eq_u16_sdwa s[6:7], s25, v7 src0_sel:BYTE_0 src1_sel:DWORD
	s_and_b64 vcc, exec, s[6:7]
	s_cbranch_vccz .LBB56_2209
; %bb.2205:
	global_load_ushort v16, v[14:15], off
	s_mov_b64 s[6:7], 0
	s_mov_b64 s[18:19], -1
	s_branch .LBB56_2210
.LBB56_2206:
	s_mov_b64 s[20:21], -1
                                        ; implicit-def: $vgpr16
	s_branch .LBB56_2211
.LBB56_2207:
	s_or_saveexec_b64 s[18:19], s[18:19]
	v_mov_b32_e32 v9, s22
	s_xor_b64 exec, exec, s[18:19]
	s_cbranch_execz .LBB56_2188
.LBB56_2208:
	v_cmp_ne_u16_e32 vcc, 0, v7
	s_andn2_b64 s[16:17], s[16:17], exec
	s_and_b64 s[20:21], vcc, exec
	v_mov_b32_e32 v9, 0
	s_or_b64 s[16:17], s[16:17], s[20:21]
	s_or_b64 exec, exec, s[18:19]
	s_and_saveexec_b64 s[18:19], s[16:17]
	s_cbranch_execnz .LBB56_2189
	s_branch .LBB56_2190
.LBB56_2209:
	s_mov_b64 s[6:7], -1
                                        ; implicit-def: $vgpr16
.LBB56_2210:
	s_mov_b64 s[20:21], 0
.LBB56_2211:
	s_mov_b64 s[16:17], 0
	s_and_b64 vcc, exec, s[20:21]
	s_cbranch_vccz .LBB56_2213
; %bb.2212:
	v_mov_b32_e32 v7, 11
	v_cmp_ne_u16_sdwa s[6:7], s25, v7 src0_sel:BYTE_0 src1_sel:DWORD
	s_mov_b64 s[16:17], -1
                                        ; implicit-def: $vgpr16
.LBB56_2213:
	s_and_b64 vcc, exec, s[6:7]
	s_cbranch_vccnz .LBB56_2278
; %bb.2214:
	s_andn2_b64 vcc, exec, s[16:17]
	s_cbranch_vccnz .LBB56_2216
.LBB56_2215:
	global_load_ubyte v7, v[14:15], off
	s_mov_b64 s[18:19], -1
	s_waitcnt vmcnt(0)
	v_cmp_ne_u16_e32 vcc, 0, v7
	v_cndmask_b32_e64 v7, 0, 1.0, vcc
	v_lshrrev_b32_e32 v16, 16, v7
.LBB56_2216:
	s_mov_b64 s[6:7], 0
.LBB56_2217:
	s_and_b64 vcc, exec, s[6:7]
	s_cbranch_vccz .LBB56_2266
; %bb.2218:
	v_mov_b32_e32 v7, 5
	v_cmp_lt_i16_sdwa s[6:7], s25, v7 src0_sel:BYTE_0 src1_sel:DWORD
	s_and_b64 vcc, exec, s[6:7]
	s_cbranch_vccnz .LBB56_2223
; %bb.2219:
	v_mov_b32_e32 v7, 8
	v_cmp_lt_i16_sdwa s[6:7], s25, v7 src0_sel:BYTE_0 src1_sel:DWORD
	s_and_b64 vcc, exec, s[6:7]
	s_cbranch_vccnz .LBB56_2224
	;; [unrolled: 5-line block ×3, first 2 shown]
; %bb.2221:
	v_cmp_gt_i16_sdwa s[6:7], s25, v7 src0_sel:BYTE_0 src1_sel:DWORD
	s_and_b64 vcc, exec, s[6:7]
	s_cbranch_vccz .LBB56_2226
; %bb.2222:
	global_load_dwordx2 v[16:17], v[14:15], off
	s_movk_i32 s6, 0x7fff
	v_mov_b32_e32 v7, 0x7fc0
	s_waitcnt vmcnt(0)
	v_cvt_f32_f64_e32 v9, v[16:17]
	v_bfe_u32 v11, v9, 16, 1
	v_add3_u32 v11, v9, v11, s6
	v_lshrrev_b32_e32 v11, 16, v11
	v_cmp_o_f32_e32 vcc, v9, v9
	v_cndmask_b32_e32 v16, v7, v11, vcc
	s_mov_b64 s[6:7], 0
	s_branch .LBB56_2227
.LBB56_2223:
	s_mov_b64 s[6:7], -1
                                        ; implicit-def: $vgpr16
	s_branch .LBB56_2245
.LBB56_2224:
	s_mov_b64 s[6:7], -1
                                        ; implicit-def: $vgpr16
	s_branch .LBB56_2233
.LBB56_2225:
	s_mov_b64 s[6:7], -1
                                        ; implicit-def: $vgpr16
	s_branch .LBB56_2230
.LBB56_2226:
	s_mov_b64 s[6:7], -1
                                        ; implicit-def: $vgpr16
.LBB56_2227:
	s_andn2_b64 vcc, exec, s[6:7]
	s_cbranch_vccnz .LBB56_2229
; %bb.2228:
	global_load_dword v7, v[14:15], off
	s_movk_i32 s6, 0x7fff
	v_mov_b32_e32 v9, 0x7fc0
	s_waitcnt vmcnt(0)
	v_bfe_u32 v11, v7, 16, 1
	v_add3_u32 v11, v7, v11, s6
	v_lshrrev_b32_e32 v11, 16, v11
	v_cmp_o_f32_e32 vcc, v7, v7
	v_cndmask_b32_e32 v16, v9, v11, vcc
.LBB56_2229:
	s_mov_b64 s[6:7], 0
.LBB56_2230:
	s_andn2_b64 vcc, exec, s[6:7]
	s_cbranch_vccnz .LBB56_2232
; %bb.2231:
	global_load_dword v7, v[14:15], off
	s_movk_i32 s6, 0x7fff
	v_mov_b32_e32 v11, 0x7fc0
	s_waitcnt vmcnt(0)
	v_cvt_f32_f16_e32 v9, v7
	v_cmp_o_f16_e32 vcc, v7, v7
	v_bfe_u32 v13, v9, 16, 1
	v_add3_u32 v9, v9, v13, s6
	v_lshrrev_b32_e32 v9, 16, v9
	v_cndmask_b32_e32 v16, v11, v9, vcc
.LBB56_2232:
	s_mov_b64 s[6:7], 0
.LBB56_2233:
	s_andn2_b64 vcc, exec, s[6:7]
	s_cbranch_vccnz .LBB56_2244
; %bb.2234:
	v_mov_b32_e32 v7, 6
	v_cmp_lt_i16_sdwa s[6:7], s25, v7 src0_sel:BYTE_0 src1_sel:DWORD
	s_and_b64 vcc, exec, s[6:7]
	s_cbranch_vccnz .LBB56_2237
; %bb.2235:
	v_cmp_gt_i16_sdwa s[6:7], s25, v7 src0_sel:BYTE_0 src1_sel:DWORD
	s_and_b64 vcc, exec, s[6:7]
	s_cbranch_vccz .LBB56_2238
; %bb.2236:
	global_load_dwordx2 v[16:17], v[14:15], off
	s_movk_i32 s6, 0x7fff
	v_mov_b32_e32 v7, 0x7fc0
	s_waitcnt vmcnt(0)
	v_cvt_f32_f64_e32 v9, v[16:17]
	v_bfe_u32 v11, v9, 16, 1
	v_add3_u32 v11, v9, v11, s6
	v_lshrrev_b32_e32 v11, 16, v11
	v_cmp_o_f32_e32 vcc, v9, v9
	v_cndmask_b32_e32 v16, v7, v11, vcc
	s_mov_b64 s[6:7], 0
	s_branch .LBB56_2239
.LBB56_2237:
	s_mov_b64 s[6:7], -1
                                        ; implicit-def: $vgpr16
	s_branch .LBB56_2242
.LBB56_2238:
	s_mov_b64 s[6:7], -1
                                        ; implicit-def: $vgpr16
.LBB56_2239:
	s_andn2_b64 vcc, exec, s[6:7]
	s_cbranch_vccnz .LBB56_2241
; %bb.2240:
	global_load_dword v7, v[14:15], off
	s_movk_i32 s6, 0x7fff
	v_mov_b32_e32 v9, 0x7fc0
	s_waitcnt vmcnt(0)
	v_bfe_u32 v11, v7, 16, 1
	v_add3_u32 v11, v7, v11, s6
	v_lshrrev_b32_e32 v11, 16, v11
	v_cmp_o_f32_e32 vcc, v7, v7
	v_cndmask_b32_e32 v16, v9, v11, vcc
.LBB56_2241:
	s_mov_b64 s[6:7], 0
.LBB56_2242:
	s_andn2_b64 vcc, exec, s[6:7]
	s_cbranch_vccnz .LBB56_2244
; %bb.2243:
	global_load_ushort v7, v[14:15], off
	s_movk_i32 s6, 0x7fff
	v_mov_b32_e32 v11, 0x7fc0
	s_waitcnt vmcnt(0)
	v_cvt_f32_f16_e32 v9, v7
	v_cmp_o_f16_e32 vcc, v7, v7
	v_bfe_u32 v13, v9, 16, 1
	v_add3_u32 v9, v9, v13, s6
	v_lshrrev_b32_e32 v9, 16, v9
	v_cndmask_b32_e32 v16, v11, v9, vcc
.LBB56_2244:
	s_mov_b64 s[6:7], 0
.LBB56_2245:
	s_andn2_b64 vcc, exec, s[6:7]
	s_cbranch_vccnz .LBB56_2265
; %bb.2246:
	v_mov_b32_e32 v7, 2
	v_cmp_lt_i16_sdwa s[6:7], s25, v7 src0_sel:BYTE_0 src1_sel:DWORD
	s_and_b64 vcc, exec, s[6:7]
	s_cbranch_vccnz .LBB56_2250
; %bb.2247:
	v_mov_b32_e32 v7, 3
	v_cmp_lt_i16_sdwa s[6:7], s25, v7 src0_sel:BYTE_0 src1_sel:DWORD
	s_and_b64 vcc, exec, s[6:7]
	s_cbranch_vccnz .LBB56_2251
; %bb.2248:
	v_cmp_gt_i16_sdwa s[6:7], s25, v7 src0_sel:BYTE_0 src1_sel:DWORD
	s_and_b64 vcc, exec, s[6:7]
	s_cbranch_vccz .LBB56_2252
; %bb.2249:
	global_load_dwordx2 v[16:17], v[14:15], off
	s_movk_i32 s6, 0x7fff
	s_waitcnt vmcnt(0)
	v_xor_b32_e32 v9, v16, v17
	v_ffbh_i32_e32 v7, v17
	v_ashrrev_i32_e32 v9, 31, v9
	v_add_u32_e32 v7, -1, v7
	v_add_u32_e32 v9, 32, v9
	v_min_u32_e32 v7, v7, v9
	v_lshlrev_b64 v[16:17], v7, v[16:17]
	v_min_u32_e32 v9, 1, v16
	v_or_b32_e32 v9, v17, v9
	v_cvt_f32_i32_e32 v9, v9
	v_sub_u32_e32 v7, 32, v7
	v_ldexp_f32 v7, v9, v7
	v_bfe_u32 v9, v7, 16, 1
	v_add3_u32 v7, v7, v9, s6
	v_lshrrev_b32_e32 v16, 16, v7
	s_mov_b64 s[6:7], 0
	s_branch .LBB56_2253
.LBB56_2250:
	s_mov_b64 s[6:7], -1
                                        ; implicit-def: $vgpr16
	s_branch .LBB56_2259
.LBB56_2251:
	s_mov_b64 s[6:7], -1
                                        ; implicit-def: $vgpr16
	s_branch .LBB56_2256
.LBB56_2252:
	s_mov_b64 s[6:7], -1
                                        ; implicit-def: $vgpr16
.LBB56_2253:
	s_andn2_b64 vcc, exec, s[6:7]
	s_cbranch_vccnz .LBB56_2255
; %bb.2254:
	global_load_dword v7, v[14:15], off
	s_movk_i32 s6, 0x7fff
	s_waitcnt vmcnt(0)
	v_cvt_f32_i32_e32 v7, v7
	v_bfe_u32 v9, v7, 16, 1
	v_add3_u32 v7, v7, v9, s6
	v_lshrrev_b32_e32 v16, 16, v7
.LBB56_2255:
	s_mov_b64 s[6:7], 0
.LBB56_2256:
	s_andn2_b64 vcc, exec, s[6:7]
	s_cbranch_vccnz .LBB56_2258
; %bb.2257:
	global_load_sshort v7, v[14:15], off
	s_movk_i32 s6, 0x7fff
	s_waitcnt vmcnt(0)
	v_cvt_f32_i32_e32 v7, v7
	v_bfe_u32 v9, v7, 16, 1
	v_add3_u32 v7, v7, v9, s6
	v_lshrrev_b32_e32 v16, 16, v7
.LBB56_2258:
	s_mov_b64 s[6:7], 0
.LBB56_2259:
	s_andn2_b64 vcc, exec, s[6:7]
	s_cbranch_vccnz .LBB56_2265
; %bb.2260:
	v_mov_b32_e32 v7, 0
	v_cmp_gt_i16_sdwa s[6:7], s25, v7 src0_sel:BYTE_0 src1_sel:DWORD
	s_and_b64 vcc, exec, s[6:7]
	s_cbranch_vccz .LBB56_2262
; %bb.2261:
	global_load_sbyte v7, v[14:15], off
	s_movk_i32 s6, 0x7fff
	s_waitcnt vmcnt(0)
	v_cvt_f32_i32_e32 v7, v7
	v_bfe_u32 v9, v7, 16, 1
	v_add3_u32 v7, v7, v9, s6
	v_lshrrev_b32_e32 v16, 16, v7
	s_mov_b64 s[6:7], 0
	s_branch .LBB56_2263
.LBB56_2262:
	s_mov_b64 s[6:7], -1
                                        ; implicit-def: $vgpr16
.LBB56_2263:
	s_andn2_b64 vcc, exec, s[6:7]
	s_cbranch_vccnz .LBB56_2265
; %bb.2264:
	global_load_ubyte v7, v[14:15], off
	s_movk_i32 s6, 0x7fff
	s_waitcnt vmcnt(0)
	v_cvt_f32_ubyte0_e32 v7, v7
	v_bfe_u32 v9, v7, 16, 1
	v_add3_u32 v7, v7, v9, s6
	v_lshrrev_b32_e32 v16, 16, v7
.LBB56_2265:
	s_mov_b64 s[18:19], -1
.LBB56_2266:
	s_andn2_b64 vcc, exec, s[18:19]
	s_cbranch_vccnz .LBB56_3112
; %bb.2267:
	v_mov_b32_e32 v7, s1
	v_add_co_u32_e32 v12, vcc, s0, v12
	v_addc_co_u32_e32 v13, vcc, 0, v7, vcc
	s_and_b64 vcc, exec, s[2:3]
	s_cbranch_vccnz .LBB56_2274
; %bb.2268:
	v_cmp_gt_i16_e64 s[6:7], s26, 25
	s_mov_b64 s[16:17], 0
	s_and_b64 vcc, exec, s[6:7]
	s_cbranch_vccz .LBB56_2275
; %bb.2269:
	v_cmp_gt_i16_e64 s[6:7], s26, 28
	s_and_b64 vcc, exec, s[6:7]
	s_cbranch_vccz .LBB56_2276
; %bb.2270:
	v_cmp_gt_i16_e64 s[6:7], s26, 43
	;; [unrolled: 4-line block ×3, first 2 shown]
	s_and_b64 vcc, exec, s[6:7]
	s_cbranch_vccz .LBB56_2279
; %bb.2272:
	v_cmp_eq_u16_e64 s[6:7], s26, 46
	s_mov_b64 s[20:21], 0
	s_and_b64 vcc, exec, s[6:7]
	s_cbranch_vccz .LBB56_2282
; %bb.2273:
	global_load_dword v14, v[12:13], off
	s_mov_b64 s[6:7], 0
	s_mov_b64 s[18:19], -1
	s_branch .LBB56_2283
.LBB56_2274:
	s_mov_b64 s[6:7], -1
	s_mov_b64 s[18:19], 0
                                        ; implicit-def: $vgpr14
	s_branch .LBB56_2349
.LBB56_2275:
	s_mov_b64 s[20:21], -1
	s_mov_b64 s[18:19], 0
	s_mov_b64 s[6:7], 0
                                        ; implicit-def: $vgpr14
	s_branch .LBB56_2312
.LBB56_2276:
	s_mov_b64 s[20:21], -1
	s_mov_b64 s[18:19], 0
	s_mov_b64 s[6:7], 0
                                        ; implicit-def: $vgpr14
	s_branch .LBB56_2293
.LBB56_2277:
	s_mov_b64 s[20:21], -1
	s_mov_b64 s[18:19], 0
	s_mov_b64 s[6:7], 0
                                        ; implicit-def: $vgpr14
	s_branch .LBB56_2288
.LBB56_2278:
	s_trap 2
	s_or_b64 s[4:5], s[4:5], exec
                                        ; implicit-def: $vgpr16
	s_cbranch_execz .LBB56_2215
	s_branch .LBB56_2216
.LBB56_2279:
	s_mov_b64 s[20:21], -1
	s_mov_b64 s[18:19], 0
	s_mov_b64 s[6:7], 0
                                        ; implicit-def: $vgpr14
	s_branch .LBB56_2283
.LBB56_2280:
	s_or_saveexec_b64 s[62:63], s[62:63]
                                        ; implicit-def: $sgpr64
	s_xor_b64 exec, exec, s[62:63]
	s_cbranch_execz .LBB56_1116
.LBB56_2281:
	s_mov_b32 s64, 0x42800000
	v_add_f32_e64 v4, |v5|, s64
	v_and_b32_e32 v4, 0xff, v4
	v_cmp_ne_u32_e32 vcc, 0, v4
	s_andn2_b64 s[60:61], s[60:61], exec
	s_and_b64 s[70:71], vcc, exec
	s_mov_b32 s64, 0
	s_or_b64 s[60:61], s[60:61], s[70:71]
	s_or_b64 exec, exec, s[62:63]
	v_mov_b32_e32 v10, s64
	s_and_saveexec_b64 s[62:63], s[60:61]
	s_cbranch_execnz .LBB56_1117
	s_branch .LBB56_1118
.LBB56_2282:
	s_mov_b64 s[6:7], -1
                                        ; implicit-def: $vgpr14
	s_mov_b64 s[18:19], 0
.LBB56_2283:
	s_and_b64 vcc, exec, s[20:21]
	s_cbranch_vccz .LBB56_2287
; %bb.2284:
	v_cmp_eq_u16_e64 s[6:7], s26, 44
	s_and_b64 vcc, exec, s[6:7]
	s_cbranch_vccz .LBB56_2286
; %bb.2285:
	global_load_ubyte v7, v[12:13], off
	s_movk_i32 s18, 0xff
	v_mov_b32_e32 v9, 0x7f800001
	v_mov_b32_e32 v11, 0x400000
	s_waitcnt vmcnt(1)
	v_mov_b32_e32 v14, 0x7fc0
	s_mov_b64 s[6:7], 0
	s_waitcnt vmcnt(0)
	v_lshlrev_b32_e32 v15, 23, v7
	v_cmp_ne_u32_e32 vcc, s18, v7
	v_cndmask_b32_e32 v9, v9, v15, vcc
	v_cmp_ne_u32_e32 vcc, 0, v7
	v_cndmask_b32_e32 v7, v11, v9, vcc
	v_add_u32_e32 v9, 0x7fff, v7
	v_lshrrev_b32_e32 v9, 16, v9
	v_cmp_o_f32_e32 vcc, v7, v7
	v_cndmask_b32_e32 v14, v14, v9, vcc
	s_mov_b64 s[18:19], -1
	s_branch .LBB56_2287
.LBB56_2286:
	s_mov_b64 s[6:7], -1
                                        ; implicit-def: $vgpr14
.LBB56_2287:
	s_mov_b64 s[20:21], 0
.LBB56_2288:
	s_and_b64 vcc, exec, s[20:21]
	s_cbranch_vccz .LBB56_2292
; %bb.2289:
	v_cmp_eq_u16_e64 s[6:7], s26, 29
	s_and_b64 vcc, exec, s[6:7]
	s_cbranch_vccz .LBB56_2291
; %bb.2290:
	global_load_dwordx2 v[14:15], v[12:13], off
	s_movk_i32 s18, 0x7fff
	s_mov_b64 s[6:7], 0
	s_mov_b64 s[20:21], 0
	s_waitcnt vmcnt(0)
	v_ffbh_u32_e32 v7, v15
	v_min_u32_e32 v7, 32, v7
	v_lshlrev_b64 v[14:15], v7, v[14:15]
	v_min_u32_e32 v9, 1, v14
	v_or_b32_e32 v9, v15, v9
	v_cvt_f32_u32_e32 v9, v9
	v_sub_u32_e32 v7, 32, v7
	v_ldexp_f32 v7, v9, v7
	v_bfe_u32 v9, v7, 16, 1
	v_add3_u32 v7, v7, v9, s18
	v_lshrrev_b32_e32 v14, 16, v7
	s_mov_b64 s[18:19], -1
	s_branch .LBB56_2293
.LBB56_2291:
	s_mov_b64 s[6:7], -1
                                        ; implicit-def: $vgpr14
.LBB56_2292:
	s_mov_b64 s[20:21], 0
.LBB56_2293:
	s_and_b64 vcc, exec, s[20:21]
	s_cbranch_vccz .LBB56_2311
; %bb.2294:
	v_cmp_lt_i16_e64 s[18:19], s26, 27
	s_and_b64 vcc, exec, s[18:19]
	s_cbranch_vccnz .LBB56_2297
; %bb.2295:
	v_cmp_gt_i16_e64 s[18:19], s26, 27
	s_and_b64 vcc, exec, s[18:19]
	s_cbranch_vccz .LBB56_2298
; %bb.2296:
	global_load_dword v7, v[12:13], off
	s_movk_i32 s18, 0x7fff
	s_waitcnt vmcnt(0)
	v_cvt_f32_u32_e32 v7, v7
	v_bfe_u32 v9, v7, 16, 1
	v_add3_u32 v7, v7, v9, s18
	v_lshrrev_b32_e32 v14, 16, v7
	s_mov_b64 s[18:19], 0
	s_branch .LBB56_2299
.LBB56_2297:
	s_mov_b64 s[18:19], -1
                                        ; implicit-def: $vgpr14
	s_branch .LBB56_2302
.LBB56_2298:
	s_mov_b64 s[18:19], -1
                                        ; implicit-def: $vgpr14
.LBB56_2299:
	s_andn2_b64 vcc, exec, s[18:19]
	s_cbranch_vccnz .LBB56_2301
; %bb.2300:
	global_load_ushort v7, v[12:13], off
	s_movk_i32 s18, 0x7fff
	s_waitcnt vmcnt(0)
	v_cvt_f32_u32_e32 v7, v7
	v_bfe_u32 v9, v7, 16, 1
	v_add3_u32 v7, v7, v9, s18
	v_lshrrev_b32_e32 v14, 16, v7
.LBB56_2301:
	s_mov_b64 s[18:19], 0
.LBB56_2302:
	s_andn2_b64 vcc, exec, s[18:19]
	s_cbranch_vccnz .LBB56_2310
; %bb.2303:
	global_load_ubyte v7, v[12:13], off
	s_movk_i32 s18, 0x7f
                                        ; implicit-def: $sgpr27
	s_waitcnt vmcnt(0)
	v_cmp_lt_i16_e32 vcc, s18, v7
	s_mov_b64 s[18:19], 0
	s_and_saveexec_b64 s[20:21], vcc
	s_xor_b64 s[20:21], exec, s[20:21]
	s_cbranch_execz .LBB56_2324
; %bb.2304:
	s_movk_i32 s18, 0x80
	v_cmp_eq_u16_e32 vcc, s18, v7
	s_mov_b64 s[18:19], -1
                                        ; implicit-def: $sgpr27
	s_and_saveexec_b64 s[22:23], vcc
; %bb.2305:
	s_mov_b32 s27, 0x7f800001
	s_xor_b64 s[18:19], exec, -1
; %bb.2306:
	s_or_b64 exec, exec, s[22:23]
	s_and_b64 s[18:19], s[18:19], exec
	s_or_saveexec_b64 s[20:21], s[20:21]
	v_mov_b32_e32 v9, s27
	s_xor_b64 exec, exec, s[20:21]
	s_cbranch_execnz .LBB56_2325
.LBB56_2307:
	s_or_b64 exec, exec, s[20:21]
	s_and_saveexec_b64 s[20:21], s[18:19]
	s_cbranch_execz .LBB56_2309
.LBB56_2308:
	v_lshlrev_b32_e32 v9, 24, v7
	v_and_b32_e32 v7, 0xffff, v7
	v_and_b32_e32 v11, 7, v7
	v_ffbh_u32_e32 v15, v11
	v_min_u32_e32 v15, 32, v15
	v_subrev_u32_e32 v17, 28, v15
	v_bfe_u32 v14, v7, 3, 4
	v_lshlrev_b32_e32 v7, v17, v7
	v_sub_u32_e32 v15, 29, v15
	v_and_b32_e32 v7, 7, v7
	v_cmp_eq_u32_e32 vcc, 0, v14
	v_cndmask_b32_e32 v14, v14, v15, vcc
	v_cndmask_b32_e32 v7, v11, v7, vcc
	v_mov_b32_e32 v11, 0x3b800000
	v_lshlrev_b32_e32 v7, 20, v7
	v_and_b32_e32 v9, 0x80000000, v9
	v_lshl_add_u32 v11, v14, 23, v11
	v_or3_b32 v9, v9, v11, v7
.LBB56_2309:
	s_or_b64 exec, exec, s[20:21]
	v_bfe_u32 v7, v9, 16, 1
	s_movk_i32 s18, 0x7fff
	v_add3_u32 v7, v9, v7, s18
	v_lshrrev_b32_e32 v7, 16, v7
	v_mov_b32_e32 v11, 0x7fc0
	v_cmp_o_f32_e32 vcc, v9, v9
	v_cndmask_b32_e32 v14, v11, v7, vcc
.LBB56_2310:
	s_mov_b64 s[18:19], -1
.LBB56_2311:
	s_mov_b64 s[20:21], 0
.LBB56_2312:
	s_and_b64 vcc, exec, s[20:21]
	s_cbranch_vccz .LBB56_2345
; %bb.2313:
	v_cmp_gt_i16_e64 s[16:17], s26, 22
	s_and_b64 vcc, exec, s[16:17]
	s_cbranch_vccz .LBB56_2323
; %bb.2314:
	v_cmp_lt_i16_e64 s[16:17], s26, 24
	s_and_b64 vcc, exec, s[16:17]
	s_cbranch_vccnz .LBB56_2326
; %bb.2315:
	v_cmp_gt_i16_e64 s[16:17], s26, 24
	s_and_b64 vcc, exec, s[16:17]
	s_cbranch_vccz .LBB56_2327
; %bb.2316:
	global_load_ubyte v7, v[12:13], off
	s_movk_i32 s16, 0x7f
                                        ; implicit-def: $sgpr22
	s_waitcnt vmcnt(0)
	v_cmp_lt_i16_e32 vcc, s16, v7
	s_mov_b64 s[16:17], 0
	s_and_saveexec_b64 s[18:19], vcc
	s_xor_b64 s[18:19], exec, s[18:19]
	s_cbranch_execz .LBB56_2339
; %bb.2317:
	s_movk_i32 s16, 0x80
	v_cmp_eq_u16_e32 vcc, s16, v7
	s_mov_b64 s[16:17], -1
                                        ; implicit-def: $sgpr22
	s_and_saveexec_b64 s[20:21], vcc
; %bb.2318:
	s_mov_b32 s22, 0x7f800001
	s_xor_b64 s[16:17], exec, -1
; %bb.2319:
	s_or_b64 exec, exec, s[20:21]
	s_and_b64 s[16:17], s[16:17], exec
	s_or_saveexec_b64 s[18:19], s[18:19]
	v_mov_b32_e32 v9, s22
	s_xor_b64 exec, exec, s[18:19]
	s_cbranch_execnz .LBB56_2340
.LBB56_2320:
	s_or_b64 exec, exec, s[18:19]
	s_and_saveexec_b64 s[18:19], s[16:17]
	s_cbranch_execz .LBB56_2322
.LBB56_2321:
	v_lshlrev_b32_e32 v9, 24, v7
	v_and_b32_e32 v7, 0xffff, v7
	v_and_b32_e32 v11, 3, v7
	v_ffbh_u32_e32 v15, v11
	v_min_u32_e32 v15, 32, v15
	v_subrev_u32_e32 v17, 29, v15
	v_bfe_u32 v14, v7, 2, 5
	v_lshlrev_b32_e32 v7, v17, v7
	v_sub_u32_e32 v15, 30, v15
	v_and_b32_e32 v7, 3, v7
	v_cmp_eq_u32_e32 vcc, 0, v14
	v_cndmask_b32_e32 v14, v14, v15, vcc
	v_cndmask_b32_e32 v7, v11, v7, vcc
	v_mov_b32_e32 v11, 0x37800000
	v_lshlrev_b32_e32 v7, 21, v7
	v_and_b32_e32 v9, 0x80000000, v9
	v_lshl_add_u32 v11, v14, 23, v11
	v_or3_b32 v9, v9, v11, v7
.LBB56_2322:
	s_or_b64 exec, exec, s[18:19]
	v_bfe_u32 v7, v9, 16, 1
	s_movk_i32 s16, 0x7fff
	v_add3_u32 v7, v9, v7, s16
	v_lshrrev_b32_e32 v7, 16, v7
	v_mov_b32_e32 v11, 0x7fc0
	v_cmp_o_f32_e32 vcc, v9, v9
	v_cndmask_b32_e32 v14, v11, v7, vcc
	s_mov_b64 s[16:17], 0
	s_branch .LBB56_2328
.LBB56_2323:
	s_mov_b64 s[16:17], -1
                                        ; implicit-def: $vgpr14
	s_branch .LBB56_2334
.LBB56_2324:
	s_or_saveexec_b64 s[20:21], s[20:21]
	v_mov_b32_e32 v9, s27
	s_xor_b64 exec, exec, s[20:21]
	s_cbranch_execz .LBB56_2307
.LBB56_2325:
	v_cmp_ne_u16_e32 vcc, 0, v7
	s_andn2_b64 s[18:19], s[18:19], exec
	s_and_b64 s[22:23], vcc, exec
	v_mov_b32_e32 v9, 0
	s_or_b64 s[18:19], s[18:19], s[22:23]
	s_or_b64 exec, exec, s[20:21]
	s_and_saveexec_b64 s[20:21], s[18:19]
	s_cbranch_execnz .LBB56_2308
	s_branch .LBB56_2309
.LBB56_2326:
	s_mov_b64 s[16:17], -1
                                        ; implicit-def: $vgpr14
	s_branch .LBB56_2331
.LBB56_2327:
	s_mov_b64 s[16:17], -1
                                        ; implicit-def: $vgpr14
.LBB56_2328:
	s_and_b64 vcc, exec, s[16:17]
	s_cbranch_vccz .LBB56_2330
; %bb.2329:
	global_load_ubyte v7, v[12:13], off
	s_mov_b32 s16, 0x7f800000
	s_brev_b32 s17, 1
	s_movk_i32 s18, 0x7fff
	v_mov_b32_e32 v9, 0x7fc0
	s_waitcnt vmcnt(0)
	v_lshlrev_b32_e32 v7, 24, v7
	v_and_b32_e32 v11, 0x7f000000, v7
	v_ffbh_u32_e32 v14, v11
	v_min_u32_e32 v14, 32, v14
	v_sub_u32_e64 v14, v14, 4 clamp
	v_lshlrev_b32_e32 v17, v14, v11
	v_lshlrev_b32_e32 v14, 23, v14
	v_lshrrev_b32_e32 v17, 4, v17
	v_add_u32_e32 v15, 0x1000000, v11
	v_sub_u32_e32 v14, v17, v14
	v_ashrrev_i32_e32 v15, 8, v15
	v_add_u32_e32 v14, 0x3c000000, v14
	v_and_or_b32 v14, v15, s16, v14
	v_cmp_ne_u32_e32 vcc, 0, v11
	v_cndmask_b32_e32 v11, 0, v14, vcc
	v_and_or_b32 v7, v7, s17, v11
	v_bfe_u32 v11, v11, 16, 1
	v_add3_u32 v11, v7, v11, s18
	v_lshrrev_b32_e32 v11, 16, v11
	v_cmp_o_f32_e32 vcc, v7, v7
	v_cndmask_b32_e32 v14, v9, v11, vcc
.LBB56_2330:
	s_mov_b64 s[16:17], 0
.LBB56_2331:
	s_andn2_b64 vcc, exec, s[16:17]
	s_cbranch_vccnz .LBB56_2333
; %bb.2332:
	global_load_ubyte v7, v[12:13], off
	s_movk_i32 s16, 0x7f00
	s_brev_b32 s17, 16
	s_brev_b32 s18, 1
	s_movk_i32 s19, 0x7fff
	v_mov_b32_e32 v9, 0x7fc0
	s_waitcnt vmcnt(0)
	v_lshlrev_b16_e32 v11, 8, v7
	v_lshlrev_b32_e32 v7, 25, v7
	v_lshrrev_b32_e32 v14, 4, v7
	v_and_or_b32 v15, v11, s16, 0.5
	v_or_b32_e32 v14, 0x70000000, v14
	v_add_f32_e32 v15, -0.5, v15
	v_mul_f32_e32 v14, 0x7800000, v14
	v_cmp_gt_u32_e32 vcc, s17, v7
	v_bfe_i32 v11, v11, 0, 16
	v_cndmask_b32_e32 v7, v14, v15, vcc
	v_and_or_b32 v11, v11, s18, v7
	v_bfe_u32 v7, v7, 16, 1
	v_add3_u32 v7, v11, v7, s19
	v_lshrrev_b32_e32 v7, 16, v7
	v_cmp_o_f32_e32 vcc, v11, v11
	v_cndmask_b32_e32 v14, v9, v7, vcc
.LBB56_2333:
	s_mov_b64 s[16:17], 0
	s_mov_b64 s[18:19], -1
.LBB56_2334:
	s_andn2_b64 vcc, exec, s[16:17]
	s_mov_b64 s[16:17], 0
	s_cbranch_vccnz .LBB56_2345
; %bb.2335:
	v_cmp_gt_i16_e64 s[16:17], s26, 14
	s_and_b64 vcc, exec, s[16:17]
	s_cbranch_vccz .LBB56_2338
; %bb.2336:
	v_cmp_eq_u16_e64 s[6:7], s26, 15
	s_and_b64 vcc, exec, s[6:7]
	s_cbranch_vccz .LBB56_2341
; %bb.2337:
	global_load_ushort v14, v[12:13], off
	s_mov_b64 s[6:7], 0
	s_mov_b64 s[18:19], -1
	s_branch .LBB56_2342
.LBB56_2338:
	s_mov_b64 s[20:21], -1
                                        ; implicit-def: $vgpr14
	s_branch .LBB56_2343
.LBB56_2339:
	s_or_saveexec_b64 s[18:19], s[18:19]
	v_mov_b32_e32 v9, s22
	s_xor_b64 exec, exec, s[18:19]
	s_cbranch_execz .LBB56_2320
.LBB56_2340:
	v_cmp_ne_u16_e32 vcc, 0, v7
	s_andn2_b64 s[16:17], s[16:17], exec
	s_and_b64 s[20:21], vcc, exec
	v_mov_b32_e32 v9, 0
	s_or_b64 s[16:17], s[16:17], s[20:21]
	s_or_b64 exec, exec, s[18:19]
	s_and_saveexec_b64 s[18:19], s[16:17]
	s_cbranch_execnz .LBB56_2321
	s_branch .LBB56_2322
.LBB56_2341:
	s_mov_b64 s[6:7], -1
                                        ; implicit-def: $vgpr14
.LBB56_2342:
	s_mov_b64 s[20:21], 0
.LBB56_2343:
	s_mov_b64 s[16:17], 0
	s_and_b64 vcc, exec, s[20:21]
	s_cbranch_vccz .LBB56_2345
; %bb.2344:
	v_cmp_ne_u16_e64 s[6:7], s26, 11
	s_mov_b64 s[16:17], -1
                                        ; implicit-def: $vgpr14
.LBB56_2345:
	s_and_b64 vcc, exec, s[6:7]
	s_cbranch_vccnz .LBB56_2410
; %bb.2346:
	s_andn2_b64 vcc, exec, s[16:17]
	s_cbranch_vccnz .LBB56_2348
.LBB56_2347:
	global_load_ubyte v7, v[12:13], off
	s_mov_b64 s[18:19], -1
	s_waitcnt vmcnt(0)
	v_cmp_ne_u16_e32 vcc, 0, v7
	v_cndmask_b32_e64 v7, 0, 1.0, vcc
	v_lshrrev_b32_e32 v14, 16, v7
.LBB56_2348:
	s_mov_b64 s[6:7], 0
.LBB56_2349:
	s_and_b64 vcc, exec, s[6:7]
	s_cbranch_vccz .LBB56_2398
; %bb.2350:
	v_cmp_lt_i16_e64 s[6:7], s26, 5
	s_and_b64 vcc, exec, s[6:7]
	s_cbranch_vccnz .LBB56_2355
; %bb.2351:
	v_cmp_lt_i16_e64 s[6:7], s26, 8
	s_and_b64 vcc, exec, s[6:7]
	s_cbranch_vccnz .LBB56_2356
	;; [unrolled: 4-line block ×3, first 2 shown]
; %bb.2353:
	v_cmp_gt_i16_e64 s[6:7], s26, 9
	s_and_b64 vcc, exec, s[6:7]
	s_cbranch_vccz .LBB56_2358
; %bb.2354:
	global_load_dwordx2 v[14:15], v[12:13], off
	s_movk_i32 s6, 0x7fff
	v_mov_b32_e32 v7, 0x7fc0
	s_waitcnt vmcnt(0)
	v_cvt_f32_f64_e32 v9, v[14:15]
	v_bfe_u32 v11, v9, 16, 1
	v_add3_u32 v11, v9, v11, s6
	v_lshrrev_b32_e32 v11, 16, v11
	v_cmp_o_f32_e32 vcc, v9, v9
	v_cndmask_b32_e32 v14, v7, v11, vcc
	s_mov_b64 s[6:7], 0
	s_branch .LBB56_2359
.LBB56_2355:
	s_mov_b64 s[6:7], -1
                                        ; implicit-def: $vgpr14
	s_branch .LBB56_2377
.LBB56_2356:
	s_mov_b64 s[6:7], -1
                                        ; implicit-def: $vgpr14
	s_branch .LBB56_2365
.LBB56_2357:
	s_mov_b64 s[6:7], -1
                                        ; implicit-def: $vgpr14
	s_branch .LBB56_2362
.LBB56_2358:
	s_mov_b64 s[6:7], -1
                                        ; implicit-def: $vgpr14
.LBB56_2359:
	s_andn2_b64 vcc, exec, s[6:7]
	s_cbranch_vccnz .LBB56_2361
; %bb.2360:
	global_load_dword v7, v[12:13], off
	s_movk_i32 s6, 0x7fff
	v_mov_b32_e32 v9, 0x7fc0
	s_waitcnt vmcnt(0)
	v_bfe_u32 v11, v7, 16, 1
	v_add3_u32 v11, v7, v11, s6
	v_lshrrev_b32_e32 v11, 16, v11
	v_cmp_o_f32_e32 vcc, v7, v7
	v_cndmask_b32_e32 v14, v9, v11, vcc
.LBB56_2361:
	s_mov_b64 s[6:7], 0
.LBB56_2362:
	s_andn2_b64 vcc, exec, s[6:7]
	s_cbranch_vccnz .LBB56_2364
; %bb.2363:
	global_load_dword v7, v[12:13], off
	s_movk_i32 s6, 0x7fff
	v_mov_b32_e32 v11, 0x7fc0
	s_waitcnt vmcnt(0)
	v_cvt_f32_f16_e32 v9, v7
	v_cmp_o_f16_e32 vcc, v7, v7
	v_bfe_u32 v14, v9, 16, 1
	v_add3_u32 v9, v9, v14, s6
	v_lshrrev_b32_e32 v9, 16, v9
	v_cndmask_b32_e32 v14, v11, v9, vcc
.LBB56_2364:
	s_mov_b64 s[6:7], 0
.LBB56_2365:
	s_andn2_b64 vcc, exec, s[6:7]
	s_cbranch_vccnz .LBB56_2376
; %bb.2366:
	v_cmp_lt_i16_e64 s[6:7], s26, 6
	s_and_b64 vcc, exec, s[6:7]
	s_cbranch_vccnz .LBB56_2369
; %bb.2367:
	v_cmp_gt_i16_e64 s[6:7], s26, 6
	s_and_b64 vcc, exec, s[6:7]
	s_cbranch_vccz .LBB56_2370
; %bb.2368:
	global_load_dwordx2 v[14:15], v[12:13], off
	s_movk_i32 s6, 0x7fff
	v_mov_b32_e32 v7, 0x7fc0
	s_waitcnt vmcnt(0)
	v_cvt_f32_f64_e32 v9, v[14:15]
	v_bfe_u32 v11, v9, 16, 1
	v_add3_u32 v11, v9, v11, s6
	v_lshrrev_b32_e32 v11, 16, v11
	v_cmp_o_f32_e32 vcc, v9, v9
	v_cndmask_b32_e32 v14, v7, v11, vcc
	s_mov_b64 s[6:7], 0
	s_branch .LBB56_2371
.LBB56_2369:
	s_mov_b64 s[6:7], -1
                                        ; implicit-def: $vgpr14
	s_branch .LBB56_2374
.LBB56_2370:
	s_mov_b64 s[6:7], -1
                                        ; implicit-def: $vgpr14
.LBB56_2371:
	s_andn2_b64 vcc, exec, s[6:7]
	s_cbranch_vccnz .LBB56_2373
; %bb.2372:
	global_load_dword v7, v[12:13], off
	s_movk_i32 s6, 0x7fff
	v_mov_b32_e32 v9, 0x7fc0
	s_waitcnt vmcnt(0)
	v_bfe_u32 v11, v7, 16, 1
	v_add3_u32 v11, v7, v11, s6
	v_lshrrev_b32_e32 v11, 16, v11
	v_cmp_o_f32_e32 vcc, v7, v7
	v_cndmask_b32_e32 v14, v9, v11, vcc
.LBB56_2373:
	s_mov_b64 s[6:7], 0
.LBB56_2374:
	s_andn2_b64 vcc, exec, s[6:7]
	s_cbranch_vccnz .LBB56_2376
; %bb.2375:
	global_load_ushort v7, v[12:13], off
	s_movk_i32 s6, 0x7fff
	v_mov_b32_e32 v11, 0x7fc0
	s_waitcnt vmcnt(0)
	v_cvt_f32_f16_e32 v9, v7
	v_cmp_o_f16_e32 vcc, v7, v7
	v_bfe_u32 v14, v9, 16, 1
	v_add3_u32 v9, v9, v14, s6
	v_lshrrev_b32_e32 v9, 16, v9
	v_cndmask_b32_e32 v14, v11, v9, vcc
.LBB56_2376:
	s_mov_b64 s[6:7], 0
.LBB56_2377:
	s_andn2_b64 vcc, exec, s[6:7]
	s_cbranch_vccnz .LBB56_2397
; %bb.2378:
	v_cmp_lt_i16_e64 s[6:7], s26, 2
	s_and_b64 vcc, exec, s[6:7]
	s_cbranch_vccnz .LBB56_2382
; %bb.2379:
	v_cmp_lt_i16_e64 s[6:7], s26, 3
	s_and_b64 vcc, exec, s[6:7]
	s_cbranch_vccnz .LBB56_2383
; %bb.2380:
	v_cmp_gt_i16_e64 s[6:7], s26, 3
	s_and_b64 vcc, exec, s[6:7]
	s_cbranch_vccz .LBB56_2384
; %bb.2381:
	global_load_dwordx2 v[14:15], v[12:13], off
	s_movk_i32 s6, 0x7fff
	s_waitcnt vmcnt(0)
	v_xor_b32_e32 v9, v14, v15
	v_ffbh_i32_e32 v7, v15
	v_ashrrev_i32_e32 v9, 31, v9
	v_add_u32_e32 v7, -1, v7
	v_add_u32_e32 v9, 32, v9
	v_min_u32_e32 v7, v7, v9
	v_lshlrev_b64 v[14:15], v7, v[14:15]
	v_min_u32_e32 v9, 1, v14
	v_or_b32_e32 v9, v15, v9
	v_cvt_f32_i32_e32 v9, v9
	v_sub_u32_e32 v7, 32, v7
	v_ldexp_f32 v7, v9, v7
	v_bfe_u32 v9, v7, 16, 1
	v_add3_u32 v7, v7, v9, s6
	v_lshrrev_b32_e32 v14, 16, v7
	s_mov_b64 s[6:7], 0
	s_branch .LBB56_2385
.LBB56_2382:
	s_mov_b64 s[6:7], -1
                                        ; implicit-def: $vgpr14
	s_branch .LBB56_2391
.LBB56_2383:
	s_mov_b64 s[6:7], -1
                                        ; implicit-def: $vgpr14
	s_branch .LBB56_2388
.LBB56_2384:
	s_mov_b64 s[6:7], -1
                                        ; implicit-def: $vgpr14
.LBB56_2385:
	s_andn2_b64 vcc, exec, s[6:7]
	s_cbranch_vccnz .LBB56_2387
; %bb.2386:
	global_load_dword v7, v[12:13], off
	s_movk_i32 s6, 0x7fff
	s_waitcnt vmcnt(0)
	v_cvt_f32_i32_e32 v7, v7
	v_bfe_u32 v9, v7, 16, 1
	v_add3_u32 v7, v7, v9, s6
	v_lshrrev_b32_e32 v14, 16, v7
.LBB56_2387:
	s_mov_b64 s[6:7], 0
.LBB56_2388:
	s_andn2_b64 vcc, exec, s[6:7]
	s_cbranch_vccnz .LBB56_2390
; %bb.2389:
	global_load_sshort v7, v[12:13], off
	s_movk_i32 s6, 0x7fff
	s_waitcnt vmcnt(0)
	v_cvt_f32_i32_e32 v7, v7
	v_bfe_u32 v9, v7, 16, 1
	v_add3_u32 v7, v7, v9, s6
	v_lshrrev_b32_e32 v14, 16, v7
.LBB56_2390:
	s_mov_b64 s[6:7], 0
.LBB56_2391:
	s_andn2_b64 vcc, exec, s[6:7]
	s_cbranch_vccnz .LBB56_2397
; %bb.2392:
	v_cmp_gt_i16_e64 s[6:7], s26, 0
	s_and_b64 vcc, exec, s[6:7]
	s_cbranch_vccz .LBB56_2394
; %bb.2393:
	global_load_sbyte v7, v[12:13], off
	s_movk_i32 s6, 0x7fff
	s_waitcnt vmcnt(0)
	v_cvt_f32_i32_e32 v7, v7
	v_bfe_u32 v9, v7, 16, 1
	v_add3_u32 v7, v7, v9, s6
	v_lshrrev_b32_e32 v14, 16, v7
	s_mov_b64 s[6:7], 0
	s_branch .LBB56_2395
.LBB56_2394:
	s_mov_b64 s[6:7], -1
                                        ; implicit-def: $vgpr14
.LBB56_2395:
	s_andn2_b64 vcc, exec, s[6:7]
	s_cbranch_vccnz .LBB56_2397
; %bb.2396:
	global_load_ubyte v7, v[12:13], off
	s_movk_i32 s6, 0x7fff
	s_waitcnt vmcnt(0)
	v_cvt_f32_ubyte0_e32 v7, v7
	v_bfe_u32 v9, v7, 16, 1
	v_add3_u32 v7, v7, v9, s6
	v_lshrrev_b32_e32 v14, 16, v7
.LBB56_2397:
	s_mov_b64 s[18:19], -1
.LBB56_2398:
	s_andn2_b64 vcc, exec, s[18:19]
	s_cbranch_vccnz .LBB56_3112
; %bb.2399:
	v_mov_b32_e32 v7, s11
	v_add_co_u32_e32 v10, vcc, s10, v10
	v_addc_co_u32_e32 v11, vcc, 0, v7, vcc
	v_mov_b32_e32 v7, 11
	v_cmp_lt_i16_sdwa s[6:7], s25, v7 src0_sel:BYTE_0 src1_sel:DWORD
	s_and_b64 vcc, exec, s[6:7]
	s_cbranch_vccnz .LBB56_2406
; %bb.2400:
	v_mov_b32_e32 v7, 25
	v_cmp_gt_i16_sdwa s[6:7], s25, v7 src0_sel:BYTE_0 src1_sel:DWORD
	s_mov_b64 s[10:11], 0
	s_and_b64 vcc, exec, s[6:7]
	s_cbranch_vccz .LBB56_2407
; %bb.2401:
	v_mov_b32_e32 v7, 28
	v_cmp_gt_i16_sdwa s[6:7], s25, v7 src0_sel:BYTE_0 src1_sel:DWORD
	s_and_b64 vcc, exec, s[6:7]
	s_cbranch_vccz .LBB56_2408
; %bb.2402:
	v_mov_b32_e32 v7, 43
	v_cmp_gt_i16_sdwa s[6:7], s25, v7 src0_sel:BYTE_0 src1_sel:DWORD
	;; [unrolled: 5-line block ×3, first 2 shown]
	s_and_b64 vcc, exec, s[6:7]
	s_cbranch_vccz .LBB56_2411
; %bb.2404:
	v_mov_b32_e32 v7, 46
	v_cmp_eq_u16_sdwa s[6:7], s25, v7 src0_sel:BYTE_0 src1_sel:DWORD
	s_mov_b64 s[18:19], 0
	s_and_b64 vcc, exec, s[6:7]
	s_cbranch_vccz .LBB56_2412
; %bb.2405:
	global_load_dword v12, v[10:11], off
	s_mov_b64 s[6:7], 0
	s_mov_b64 s[16:17], -1
	s_branch .LBB56_2413
.LBB56_2406:
	s_mov_b64 s[6:7], -1
	s_mov_b64 s[16:17], 0
                                        ; implicit-def: $vgpr12
	s_branch .LBB56_2479
.LBB56_2407:
	s_mov_b64 s[18:19], -1
	s_mov_b64 s[16:17], 0
	s_mov_b64 s[6:7], 0
                                        ; implicit-def: $vgpr12
	s_branch .LBB56_2442
.LBB56_2408:
	s_mov_b64 s[18:19], -1
	s_mov_b64 s[16:17], 0
	s_mov_b64 s[6:7], 0
                                        ; implicit-def: $vgpr12
	s_branch .LBB56_2423
.LBB56_2409:
	s_mov_b64 s[18:19], -1
	s_mov_b64 s[16:17], 0
	s_mov_b64 s[6:7], 0
                                        ; implicit-def: $vgpr12
	s_branch .LBB56_2418
.LBB56_2410:
	s_trap 2
	s_or_b64 s[4:5], s[4:5], exec
                                        ; implicit-def: $vgpr14
	s_cbranch_execz .LBB56_2347
	s_branch .LBB56_2348
.LBB56_2411:
	s_mov_b64 s[18:19], -1
	s_mov_b64 s[16:17], 0
	s_mov_b64 s[6:7], 0
                                        ; implicit-def: $vgpr12
	s_branch .LBB56_2413
.LBB56_2412:
	s_mov_b64 s[6:7], -1
                                        ; implicit-def: $vgpr12
	s_mov_b64 s[16:17], 0
.LBB56_2413:
	s_and_b64 vcc, exec, s[18:19]
	s_cbranch_vccz .LBB56_2417
; %bb.2414:
	v_mov_b32_e32 v7, 44
	v_cmp_eq_u16_sdwa s[6:7], s25, v7 src0_sel:BYTE_0 src1_sel:DWORD
	s_and_b64 vcc, exec, s[6:7]
	s_cbranch_vccz .LBB56_2416
; %bb.2415:
	global_load_ubyte v7, v[10:11], off
	s_movk_i32 s16, 0xff
	v_mov_b32_e32 v9, 0x7f800001
	s_waitcnt vmcnt(1)
	v_mov_b32_e32 v12, 0x400000
	v_mov_b32_e32 v13, 0x7fc0
	s_mov_b64 s[6:7], 0
	s_waitcnt vmcnt(0)
	v_lshlrev_b32_e32 v15, 23, v7
	v_cmp_ne_u32_e32 vcc, s16, v7
	v_cndmask_b32_e32 v9, v9, v15, vcc
	v_cmp_ne_u32_e32 vcc, 0, v7
	v_cndmask_b32_e32 v7, v12, v9, vcc
	v_add_u32_e32 v9, 0x7fff, v7
	v_lshrrev_b32_e32 v9, 16, v9
	v_cmp_o_f32_e32 vcc, v7, v7
	v_cndmask_b32_e32 v12, v13, v9, vcc
	s_mov_b64 s[16:17], -1
	s_branch .LBB56_2417
.LBB56_2416:
	s_mov_b64 s[6:7], -1
                                        ; implicit-def: $vgpr12
.LBB56_2417:
	s_mov_b64 s[18:19], 0
.LBB56_2418:
	s_and_b64 vcc, exec, s[18:19]
	s_cbranch_vccz .LBB56_2422
; %bb.2419:
	v_mov_b32_e32 v7, 29
	v_cmp_eq_u16_sdwa s[6:7], s25, v7 src0_sel:BYTE_0 src1_sel:DWORD
	s_and_b64 vcc, exec, s[6:7]
	s_cbranch_vccz .LBB56_2421
; %bb.2420:
	global_load_dwordx2 v[12:13], v[10:11], off
	s_movk_i32 s16, 0x7fff
	s_mov_b64 s[6:7], 0
	s_mov_b64 s[18:19], 0
	s_waitcnt vmcnt(0)
	v_ffbh_u32_e32 v7, v13
	v_min_u32_e32 v7, 32, v7
	v_lshlrev_b64 v[12:13], v7, v[12:13]
	v_min_u32_e32 v9, 1, v12
	v_or_b32_e32 v9, v13, v9
	v_cvt_f32_u32_e32 v9, v9
	v_sub_u32_e32 v7, 32, v7
	v_ldexp_f32 v7, v9, v7
	v_bfe_u32 v9, v7, 16, 1
	v_add3_u32 v7, v7, v9, s16
	v_lshrrev_b32_e32 v12, 16, v7
	s_mov_b64 s[16:17], -1
	s_branch .LBB56_2423
.LBB56_2421:
	s_mov_b64 s[6:7], -1
                                        ; implicit-def: $vgpr12
.LBB56_2422:
	s_mov_b64 s[18:19], 0
.LBB56_2423:
	s_and_b64 vcc, exec, s[18:19]
	s_cbranch_vccz .LBB56_2441
; %bb.2424:
	v_mov_b32_e32 v7, 27
	v_cmp_lt_i16_sdwa s[16:17], s25, v7 src0_sel:BYTE_0 src1_sel:DWORD
	s_and_b64 vcc, exec, s[16:17]
	s_cbranch_vccnz .LBB56_2427
; %bb.2425:
	v_cmp_gt_i16_sdwa s[16:17], s25, v7 src0_sel:BYTE_0 src1_sel:DWORD
	s_and_b64 vcc, exec, s[16:17]
	s_cbranch_vccz .LBB56_2428
; %bb.2426:
	global_load_dword v7, v[10:11], off
	s_movk_i32 s16, 0x7fff
	s_waitcnt vmcnt(0)
	v_cvt_f32_u32_e32 v7, v7
	v_bfe_u32 v9, v7, 16, 1
	v_add3_u32 v7, v7, v9, s16
	v_lshrrev_b32_e32 v12, 16, v7
	s_mov_b64 s[16:17], 0
	s_branch .LBB56_2429
.LBB56_2427:
	s_mov_b64 s[16:17], -1
                                        ; implicit-def: $vgpr12
	s_branch .LBB56_2432
.LBB56_2428:
	s_mov_b64 s[16:17], -1
                                        ; implicit-def: $vgpr12
.LBB56_2429:
	s_andn2_b64 vcc, exec, s[16:17]
	s_cbranch_vccnz .LBB56_2431
; %bb.2430:
	global_load_ushort v7, v[10:11], off
	s_movk_i32 s16, 0x7fff
	s_waitcnt vmcnt(0)
	v_cvt_f32_u32_e32 v7, v7
	v_bfe_u32 v9, v7, 16, 1
	v_add3_u32 v7, v7, v9, s16
	v_lshrrev_b32_e32 v12, 16, v7
.LBB56_2431:
	s_mov_b64 s[16:17], 0
.LBB56_2432:
	s_andn2_b64 vcc, exec, s[16:17]
	s_cbranch_vccnz .LBB56_2440
; %bb.2433:
	global_load_ubyte v7, v[10:11], off
	s_movk_i32 s16, 0x7f
                                        ; implicit-def: $sgpr22
	s_waitcnt vmcnt(0)
	v_cmp_lt_i16_e32 vcc, s16, v7
	s_mov_b64 s[16:17], 0
	s_and_saveexec_b64 s[18:19], vcc
	s_xor_b64 s[18:19], exec, s[18:19]
	s_cbranch_execz .LBB56_2454
; %bb.2434:
	s_movk_i32 s16, 0x80
	v_cmp_eq_u16_e32 vcc, s16, v7
	s_mov_b64 s[16:17], -1
                                        ; implicit-def: $sgpr22
	s_and_saveexec_b64 s[20:21], vcc
; %bb.2435:
	s_mov_b32 s22, 0x7f800001
	s_xor_b64 s[16:17], exec, -1
; %bb.2436:
	s_or_b64 exec, exec, s[20:21]
	s_and_b64 s[16:17], s[16:17], exec
	s_or_saveexec_b64 s[18:19], s[18:19]
	v_mov_b32_e32 v9, s22
	s_xor_b64 exec, exec, s[18:19]
	s_cbranch_execnz .LBB56_2455
.LBB56_2437:
	s_or_b64 exec, exec, s[18:19]
	s_and_saveexec_b64 s[18:19], s[16:17]
	s_cbranch_execz .LBB56_2439
.LBB56_2438:
	v_lshlrev_b32_e32 v9, 24, v7
	v_and_b32_e32 v7, 0xffff, v7
	v_and_b32_e32 v12, 7, v7
	v_ffbh_u32_e32 v15, v12
	v_min_u32_e32 v15, 32, v15
	v_subrev_u32_e32 v17, 28, v15
	v_bfe_u32 v13, v7, 3, 4
	v_lshlrev_b32_e32 v7, v17, v7
	v_sub_u32_e32 v15, 29, v15
	v_and_b32_e32 v7, 7, v7
	v_cmp_eq_u32_e32 vcc, 0, v13
	v_cndmask_b32_e32 v13, v13, v15, vcc
	v_cndmask_b32_e32 v7, v12, v7, vcc
	v_mov_b32_e32 v12, 0x3b800000
	v_lshlrev_b32_e32 v7, 20, v7
	v_and_b32_e32 v9, 0x80000000, v9
	v_lshl_add_u32 v12, v13, 23, v12
	v_or3_b32 v9, v9, v12, v7
.LBB56_2439:
	s_or_b64 exec, exec, s[18:19]
	v_bfe_u32 v7, v9, 16, 1
	s_movk_i32 s16, 0x7fff
	v_add3_u32 v7, v9, v7, s16
	v_lshrrev_b32_e32 v7, 16, v7
	v_mov_b32_e32 v12, 0x7fc0
	v_cmp_o_f32_e32 vcc, v9, v9
	v_cndmask_b32_e32 v12, v12, v7, vcc
.LBB56_2440:
	s_mov_b64 s[16:17], -1
.LBB56_2441:
	s_mov_b64 s[18:19], 0
.LBB56_2442:
	s_and_b64 vcc, exec, s[18:19]
	s_cbranch_vccz .LBB56_2475
; %bb.2443:
	v_mov_b32_e32 v7, 22
	v_cmp_gt_i16_sdwa s[10:11], s25, v7 src0_sel:BYTE_0 src1_sel:DWORD
	s_and_b64 vcc, exec, s[10:11]
	s_cbranch_vccz .LBB56_2453
; %bb.2444:
	v_mov_b32_e32 v7, 24
	v_cmp_lt_i16_sdwa s[10:11], s25, v7 src0_sel:BYTE_0 src1_sel:DWORD
	s_and_b64 vcc, exec, s[10:11]
	s_cbranch_vccnz .LBB56_2456
; %bb.2445:
	v_cmp_gt_i16_sdwa s[10:11], s25, v7 src0_sel:BYTE_0 src1_sel:DWORD
	s_and_b64 vcc, exec, s[10:11]
	s_cbranch_vccz .LBB56_2457
; %bb.2446:
	global_load_ubyte v7, v[10:11], off
	s_movk_i32 s10, 0x7f
                                        ; implicit-def: $sgpr20
	s_waitcnt vmcnt(0)
	v_cmp_lt_i16_e32 vcc, s10, v7
	s_mov_b64 s[10:11], 0
	s_and_saveexec_b64 s[16:17], vcc
	s_xor_b64 s[16:17], exec, s[16:17]
	s_cbranch_execz .LBB56_2469
; %bb.2447:
	s_movk_i32 s10, 0x80
	v_cmp_eq_u16_e32 vcc, s10, v7
	s_mov_b64 s[10:11], -1
                                        ; implicit-def: $sgpr20
	s_and_saveexec_b64 s[18:19], vcc
; %bb.2448:
	s_mov_b32 s20, 0x7f800001
	s_xor_b64 s[10:11], exec, -1
; %bb.2449:
	s_or_b64 exec, exec, s[18:19]
	s_and_b64 s[10:11], s[10:11], exec
	s_or_saveexec_b64 s[16:17], s[16:17]
	v_mov_b32_e32 v9, s20
	s_xor_b64 exec, exec, s[16:17]
	s_cbranch_execnz .LBB56_2470
.LBB56_2450:
	s_or_b64 exec, exec, s[16:17]
	s_and_saveexec_b64 s[16:17], s[10:11]
	s_cbranch_execz .LBB56_2452
.LBB56_2451:
	v_lshlrev_b32_e32 v9, 24, v7
	v_and_b32_e32 v7, 0xffff, v7
	v_and_b32_e32 v12, 3, v7
	v_ffbh_u32_e32 v15, v12
	v_min_u32_e32 v15, 32, v15
	v_subrev_u32_e32 v17, 29, v15
	v_bfe_u32 v13, v7, 2, 5
	v_lshlrev_b32_e32 v7, v17, v7
	v_sub_u32_e32 v15, 30, v15
	v_and_b32_e32 v7, 3, v7
	v_cmp_eq_u32_e32 vcc, 0, v13
	v_cndmask_b32_e32 v13, v13, v15, vcc
	v_cndmask_b32_e32 v7, v12, v7, vcc
	v_mov_b32_e32 v12, 0x37800000
	v_lshlrev_b32_e32 v7, 21, v7
	v_and_b32_e32 v9, 0x80000000, v9
	v_lshl_add_u32 v12, v13, 23, v12
	v_or3_b32 v9, v9, v12, v7
.LBB56_2452:
	s_or_b64 exec, exec, s[16:17]
	v_bfe_u32 v7, v9, 16, 1
	s_movk_i32 s10, 0x7fff
	v_add3_u32 v7, v9, v7, s10
	v_lshrrev_b32_e32 v7, 16, v7
	v_mov_b32_e32 v12, 0x7fc0
	v_cmp_o_f32_e32 vcc, v9, v9
	v_cndmask_b32_e32 v12, v12, v7, vcc
	s_mov_b64 s[10:11], 0
	s_branch .LBB56_2458
.LBB56_2453:
	s_mov_b64 s[10:11], -1
                                        ; implicit-def: $vgpr12
	s_branch .LBB56_2464
.LBB56_2454:
	s_or_saveexec_b64 s[18:19], s[18:19]
	v_mov_b32_e32 v9, s22
	s_xor_b64 exec, exec, s[18:19]
	s_cbranch_execz .LBB56_2437
.LBB56_2455:
	v_cmp_ne_u16_e32 vcc, 0, v7
	s_andn2_b64 s[16:17], s[16:17], exec
	s_and_b64 s[20:21], vcc, exec
	v_mov_b32_e32 v9, 0
	s_or_b64 s[16:17], s[16:17], s[20:21]
	s_or_b64 exec, exec, s[18:19]
	s_and_saveexec_b64 s[18:19], s[16:17]
	s_cbranch_execnz .LBB56_2438
	s_branch .LBB56_2439
.LBB56_2456:
	s_mov_b64 s[10:11], -1
                                        ; implicit-def: $vgpr12
	s_branch .LBB56_2461
.LBB56_2457:
	s_mov_b64 s[10:11], -1
                                        ; implicit-def: $vgpr12
.LBB56_2458:
	s_and_b64 vcc, exec, s[10:11]
	s_cbranch_vccz .LBB56_2460
; %bb.2459:
	global_load_ubyte v7, v[10:11], off
	s_mov_b32 s10, 0x7f800000
	s_brev_b32 s11, 1
	s_movk_i32 s16, 0x7fff
	v_mov_b32_e32 v9, 0x7fc0
	s_waitcnt vmcnt(0)
	v_lshlrev_b32_e32 v7, 24, v7
	v_and_b32_e32 v12, 0x7f000000, v7
	v_ffbh_u32_e32 v13, v12
	v_min_u32_e32 v13, 32, v13
	v_sub_u32_e64 v13, v13, 4 clamp
	v_lshlrev_b32_e32 v17, v13, v12
	v_lshlrev_b32_e32 v13, 23, v13
	v_lshrrev_b32_e32 v17, 4, v17
	v_add_u32_e32 v15, 0x1000000, v12
	v_sub_u32_e32 v13, v17, v13
	v_ashrrev_i32_e32 v15, 8, v15
	v_add_u32_e32 v13, 0x3c000000, v13
	v_and_or_b32 v13, v15, s10, v13
	v_cmp_ne_u32_e32 vcc, 0, v12
	v_cndmask_b32_e32 v12, 0, v13, vcc
	v_and_or_b32 v7, v7, s11, v12
	v_bfe_u32 v12, v12, 16, 1
	v_add3_u32 v12, v7, v12, s16
	v_lshrrev_b32_e32 v12, 16, v12
	v_cmp_o_f32_e32 vcc, v7, v7
	v_cndmask_b32_e32 v12, v9, v12, vcc
.LBB56_2460:
	s_mov_b64 s[10:11], 0
.LBB56_2461:
	s_andn2_b64 vcc, exec, s[10:11]
	s_cbranch_vccnz .LBB56_2463
; %bb.2462:
	global_load_ubyte v7, v[10:11], off
	s_movk_i32 s10, 0x7f00
	s_brev_b32 s11, 16
	s_brev_b32 s16, 1
	s_movk_i32 s17, 0x7fff
	v_mov_b32_e32 v9, 0x7fc0
	s_waitcnt vmcnt(0)
	v_lshlrev_b16_e32 v12, 8, v7
	v_lshlrev_b32_e32 v7, 25, v7
	v_lshrrev_b32_e32 v13, 4, v7
	v_and_or_b32 v15, v12, s10, 0.5
	v_or_b32_e32 v13, 0x70000000, v13
	v_add_f32_e32 v15, -0.5, v15
	v_mul_f32_e32 v13, 0x7800000, v13
	v_cmp_gt_u32_e32 vcc, s11, v7
	v_bfe_i32 v12, v12, 0, 16
	v_cndmask_b32_e32 v7, v13, v15, vcc
	v_and_or_b32 v12, v12, s16, v7
	v_bfe_u32 v7, v7, 16, 1
	v_add3_u32 v7, v12, v7, s17
	v_lshrrev_b32_e32 v7, 16, v7
	v_cmp_o_f32_e32 vcc, v12, v12
	v_cndmask_b32_e32 v12, v9, v7, vcc
.LBB56_2463:
	s_mov_b64 s[10:11], 0
	s_mov_b64 s[16:17], -1
.LBB56_2464:
	s_andn2_b64 vcc, exec, s[10:11]
	s_mov_b64 s[10:11], 0
	s_cbranch_vccnz .LBB56_2475
; %bb.2465:
	v_mov_b32_e32 v7, 14
	v_cmp_gt_i16_sdwa s[10:11], s25, v7 src0_sel:BYTE_0 src1_sel:DWORD
	s_and_b64 vcc, exec, s[10:11]
	s_cbranch_vccz .LBB56_2468
; %bb.2466:
	v_mov_b32_e32 v7, 15
	v_cmp_eq_u16_sdwa s[6:7], s25, v7 src0_sel:BYTE_0 src1_sel:DWORD
	s_and_b64 vcc, exec, s[6:7]
	s_cbranch_vccz .LBB56_2471
; %bb.2467:
	global_load_ushort v12, v[10:11], off
	s_mov_b64 s[6:7], 0
	s_mov_b64 s[16:17], -1
	s_branch .LBB56_2472
.LBB56_2468:
	s_mov_b64 s[18:19], -1
                                        ; implicit-def: $vgpr12
	s_branch .LBB56_2473
.LBB56_2469:
	s_or_saveexec_b64 s[16:17], s[16:17]
	v_mov_b32_e32 v9, s20
	s_xor_b64 exec, exec, s[16:17]
	s_cbranch_execz .LBB56_2450
.LBB56_2470:
	v_cmp_ne_u16_e32 vcc, 0, v7
	s_andn2_b64 s[10:11], s[10:11], exec
	s_and_b64 s[18:19], vcc, exec
	v_mov_b32_e32 v9, 0
	s_or_b64 s[10:11], s[10:11], s[18:19]
	s_or_b64 exec, exec, s[16:17]
	s_and_saveexec_b64 s[16:17], s[10:11]
	s_cbranch_execnz .LBB56_2451
	s_branch .LBB56_2452
.LBB56_2471:
	s_mov_b64 s[6:7], -1
                                        ; implicit-def: $vgpr12
.LBB56_2472:
	s_mov_b64 s[18:19], 0
.LBB56_2473:
	s_mov_b64 s[10:11], 0
	s_and_b64 vcc, exec, s[18:19]
	s_cbranch_vccz .LBB56_2475
; %bb.2474:
	v_mov_b32_e32 v7, 11
	v_cmp_ne_u16_sdwa s[6:7], s25, v7 src0_sel:BYTE_0 src1_sel:DWORD
	s_mov_b64 s[10:11], -1
                                        ; implicit-def: $vgpr12
.LBB56_2475:
	s_and_b64 vcc, exec, s[6:7]
	s_cbranch_vccnz .LBB56_2540
; %bb.2476:
	s_andn2_b64 vcc, exec, s[10:11]
	s_cbranch_vccnz .LBB56_2478
.LBB56_2477:
	global_load_ubyte v7, v[10:11], off
	s_mov_b64 s[16:17], -1
	s_waitcnt vmcnt(0)
	v_cmp_ne_u16_e32 vcc, 0, v7
	v_cndmask_b32_e64 v7, 0, 1.0, vcc
	v_lshrrev_b32_e32 v12, 16, v7
.LBB56_2478:
	s_mov_b64 s[6:7], 0
.LBB56_2479:
	s_and_b64 vcc, exec, s[6:7]
	s_cbranch_vccz .LBB56_2528
; %bb.2480:
	v_mov_b32_e32 v7, 5
	v_cmp_lt_i16_sdwa s[6:7], s25, v7 src0_sel:BYTE_0 src1_sel:DWORD
	s_and_b64 vcc, exec, s[6:7]
	s_cbranch_vccnz .LBB56_2485
; %bb.2481:
	v_mov_b32_e32 v7, 8
	v_cmp_lt_i16_sdwa s[6:7], s25, v7 src0_sel:BYTE_0 src1_sel:DWORD
	s_and_b64 vcc, exec, s[6:7]
	s_cbranch_vccnz .LBB56_2486
	;; [unrolled: 5-line block ×3, first 2 shown]
; %bb.2483:
	v_cmp_gt_i16_sdwa s[6:7], s25, v7 src0_sel:BYTE_0 src1_sel:DWORD
	s_and_b64 vcc, exec, s[6:7]
	s_cbranch_vccz .LBB56_2488
; %bb.2484:
	global_load_dwordx2 v[12:13], v[10:11], off
	s_movk_i32 s6, 0x7fff
	v_mov_b32_e32 v7, 0x7fc0
	s_waitcnt vmcnt(0)
	v_cvt_f32_f64_e32 v9, v[12:13]
	v_bfe_u32 v12, v9, 16, 1
	v_add3_u32 v12, v9, v12, s6
	v_lshrrev_b32_e32 v12, 16, v12
	v_cmp_o_f32_e32 vcc, v9, v9
	v_cndmask_b32_e32 v12, v7, v12, vcc
	s_mov_b64 s[6:7], 0
	s_branch .LBB56_2489
.LBB56_2485:
	s_mov_b64 s[6:7], -1
                                        ; implicit-def: $vgpr12
	s_branch .LBB56_2507
.LBB56_2486:
	s_mov_b64 s[6:7], -1
                                        ; implicit-def: $vgpr12
	s_branch .LBB56_2495
.LBB56_2487:
	s_mov_b64 s[6:7], -1
                                        ; implicit-def: $vgpr12
	s_branch .LBB56_2492
.LBB56_2488:
	s_mov_b64 s[6:7], -1
                                        ; implicit-def: $vgpr12
.LBB56_2489:
	s_andn2_b64 vcc, exec, s[6:7]
	s_cbranch_vccnz .LBB56_2491
; %bb.2490:
	global_load_dword v7, v[10:11], off
	s_movk_i32 s6, 0x7fff
	v_mov_b32_e32 v9, 0x7fc0
	s_waitcnt vmcnt(0)
	v_bfe_u32 v12, v7, 16, 1
	v_add3_u32 v12, v7, v12, s6
	v_lshrrev_b32_e32 v12, 16, v12
	v_cmp_o_f32_e32 vcc, v7, v7
	v_cndmask_b32_e32 v12, v9, v12, vcc
.LBB56_2491:
	s_mov_b64 s[6:7], 0
.LBB56_2492:
	s_andn2_b64 vcc, exec, s[6:7]
	s_cbranch_vccnz .LBB56_2494
; %bb.2493:
	global_load_dword v7, v[10:11], off
	s_movk_i32 s6, 0x7fff
	s_waitcnt vmcnt(1)
	v_mov_b32_e32 v12, 0x7fc0
	s_waitcnt vmcnt(0)
	v_cvt_f32_f16_e32 v9, v7
	v_cmp_o_f16_e32 vcc, v7, v7
	v_bfe_u32 v13, v9, 16, 1
	v_add3_u32 v9, v9, v13, s6
	v_lshrrev_b32_e32 v9, 16, v9
	v_cndmask_b32_e32 v12, v12, v9, vcc
.LBB56_2494:
	s_mov_b64 s[6:7], 0
.LBB56_2495:
	s_andn2_b64 vcc, exec, s[6:7]
	s_cbranch_vccnz .LBB56_2506
; %bb.2496:
	v_mov_b32_e32 v7, 6
	v_cmp_lt_i16_sdwa s[6:7], s25, v7 src0_sel:BYTE_0 src1_sel:DWORD
	s_and_b64 vcc, exec, s[6:7]
	s_cbranch_vccnz .LBB56_2499
; %bb.2497:
	v_cmp_gt_i16_sdwa s[6:7], s25, v7 src0_sel:BYTE_0 src1_sel:DWORD
	s_and_b64 vcc, exec, s[6:7]
	s_cbranch_vccz .LBB56_2500
; %bb.2498:
	global_load_dwordx2 v[12:13], v[10:11], off
	s_movk_i32 s6, 0x7fff
	v_mov_b32_e32 v7, 0x7fc0
	s_waitcnt vmcnt(0)
	v_cvt_f32_f64_e32 v9, v[12:13]
	v_bfe_u32 v12, v9, 16, 1
	v_add3_u32 v12, v9, v12, s6
	v_lshrrev_b32_e32 v12, 16, v12
	v_cmp_o_f32_e32 vcc, v9, v9
	v_cndmask_b32_e32 v12, v7, v12, vcc
	s_mov_b64 s[6:7], 0
	s_branch .LBB56_2501
.LBB56_2499:
	s_mov_b64 s[6:7], -1
                                        ; implicit-def: $vgpr12
	s_branch .LBB56_2504
.LBB56_2500:
	s_mov_b64 s[6:7], -1
                                        ; implicit-def: $vgpr12
.LBB56_2501:
	s_andn2_b64 vcc, exec, s[6:7]
	s_cbranch_vccnz .LBB56_2503
; %bb.2502:
	global_load_dword v7, v[10:11], off
	s_movk_i32 s6, 0x7fff
	v_mov_b32_e32 v9, 0x7fc0
	s_waitcnt vmcnt(0)
	v_bfe_u32 v12, v7, 16, 1
	v_add3_u32 v12, v7, v12, s6
	v_lshrrev_b32_e32 v12, 16, v12
	v_cmp_o_f32_e32 vcc, v7, v7
	v_cndmask_b32_e32 v12, v9, v12, vcc
.LBB56_2503:
	s_mov_b64 s[6:7], 0
.LBB56_2504:
	s_andn2_b64 vcc, exec, s[6:7]
	s_cbranch_vccnz .LBB56_2506
; %bb.2505:
	global_load_ushort v7, v[10:11], off
	s_movk_i32 s6, 0x7fff
	s_waitcnt vmcnt(1)
	v_mov_b32_e32 v12, 0x7fc0
	s_waitcnt vmcnt(0)
	v_cvt_f32_f16_e32 v9, v7
	v_cmp_o_f16_e32 vcc, v7, v7
	v_bfe_u32 v13, v9, 16, 1
	v_add3_u32 v9, v9, v13, s6
	v_lshrrev_b32_e32 v9, 16, v9
	v_cndmask_b32_e32 v12, v12, v9, vcc
.LBB56_2506:
	s_mov_b64 s[6:7], 0
.LBB56_2507:
	s_andn2_b64 vcc, exec, s[6:7]
	s_cbranch_vccnz .LBB56_2527
; %bb.2508:
	v_mov_b32_e32 v7, 2
	v_cmp_lt_i16_sdwa s[6:7], s25, v7 src0_sel:BYTE_0 src1_sel:DWORD
	s_and_b64 vcc, exec, s[6:7]
	s_cbranch_vccnz .LBB56_2512
; %bb.2509:
	v_mov_b32_e32 v7, 3
	v_cmp_lt_i16_sdwa s[6:7], s25, v7 src0_sel:BYTE_0 src1_sel:DWORD
	s_and_b64 vcc, exec, s[6:7]
	s_cbranch_vccnz .LBB56_2513
; %bb.2510:
	v_cmp_gt_i16_sdwa s[6:7], s25, v7 src0_sel:BYTE_0 src1_sel:DWORD
	s_and_b64 vcc, exec, s[6:7]
	s_cbranch_vccz .LBB56_2514
; %bb.2511:
	global_load_dwordx2 v[12:13], v[10:11], off
	s_movk_i32 s6, 0x7fff
	s_waitcnt vmcnt(0)
	v_xor_b32_e32 v9, v12, v13
	v_ffbh_i32_e32 v7, v13
	v_ashrrev_i32_e32 v9, 31, v9
	v_add_u32_e32 v7, -1, v7
	v_add_u32_e32 v9, 32, v9
	v_min_u32_e32 v7, v7, v9
	v_lshlrev_b64 v[12:13], v7, v[12:13]
	v_min_u32_e32 v9, 1, v12
	v_or_b32_e32 v9, v13, v9
	v_cvt_f32_i32_e32 v9, v9
	v_sub_u32_e32 v7, 32, v7
	v_ldexp_f32 v7, v9, v7
	v_bfe_u32 v9, v7, 16, 1
	v_add3_u32 v7, v7, v9, s6
	v_lshrrev_b32_e32 v12, 16, v7
	s_mov_b64 s[6:7], 0
	s_branch .LBB56_2515
.LBB56_2512:
	s_mov_b64 s[6:7], -1
                                        ; implicit-def: $vgpr12
	s_branch .LBB56_2521
.LBB56_2513:
	s_mov_b64 s[6:7], -1
                                        ; implicit-def: $vgpr12
	s_branch .LBB56_2518
.LBB56_2514:
	s_mov_b64 s[6:7], -1
                                        ; implicit-def: $vgpr12
.LBB56_2515:
	s_andn2_b64 vcc, exec, s[6:7]
	s_cbranch_vccnz .LBB56_2517
; %bb.2516:
	global_load_dword v7, v[10:11], off
	s_movk_i32 s6, 0x7fff
	s_waitcnt vmcnt(0)
	v_cvt_f32_i32_e32 v7, v7
	v_bfe_u32 v9, v7, 16, 1
	v_add3_u32 v7, v7, v9, s6
	v_lshrrev_b32_e32 v12, 16, v7
.LBB56_2517:
	s_mov_b64 s[6:7], 0
.LBB56_2518:
	s_andn2_b64 vcc, exec, s[6:7]
	s_cbranch_vccnz .LBB56_2520
; %bb.2519:
	global_load_sshort v7, v[10:11], off
	s_movk_i32 s6, 0x7fff
	s_waitcnt vmcnt(0)
	v_cvt_f32_i32_e32 v7, v7
	v_bfe_u32 v9, v7, 16, 1
	v_add3_u32 v7, v7, v9, s6
	v_lshrrev_b32_e32 v12, 16, v7
.LBB56_2520:
	s_mov_b64 s[6:7], 0
.LBB56_2521:
	s_andn2_b64 vcc, exec, s[6:7]
	s_cbranch_vccnz .LBB56_2527
; %bb.2522:
	v_mov_b32_e32 v7, 0
	v_cmp_gt_i16_sdwa s[6:7], s25, v7 src0_sel:BYTE_0 src1_sel:DWORD
	s_and_b64 vcc, exec, s[6:7]
	s_cbranch_vccz .LBB56_2524
; %bb.2523:
	global_load_sbyte v7, v[10:11], off
	s_movk_i32 s6, 0x7fff
	s_waitcnt vmcnt(0)
	v_cvt_f32_i32_e32 v7, v7
	v_bfe_u32 v9, v7, 16, 1
	v_add3_u32 v7, v7, v9, s6
	v_lshrrev_b32_e32 v12, 16, v7
	s_mov_b64 s[6:7], 0
	s_branch .LBB56_2525
.LBB56_2524:
	s_mov_b64 s[6:7], -1
                                        ; implicit-def: $vgpr12
.LBB56_2525:
	s_andn2_b64 vcc, exec, s[6:7]
	s_cbranch_vccnz .LBB56_2527
; %bb.2526:
	global_load_ubyte v7, v[10:11], off
	s_movk_i32 s6, 0x7fff
	s_waitcnt vmcnt(0)
	v_cvt_f32_ubyte0_e32 v7, v7
	v_bfe_u32 v9, v7, 16, 1
	v_add3_u32 v7, v7, v9, s6
	v_lshrrev_b32_e32 v12, 16, v7
.LBB56_2527:
	s_mov_b64 s[16:17], -1
.LBB56_2528:
	s_andn2_b64 vcc, exec, s[16:17]
	s_cbranch_vccnz .LBB56_3112
; %bb.2529:
	v_mov_b32_e32 v7, s1
	v_add_co_u32_e32 v8, vcc, s0, v8
	v_addc_co_u32_e32 v9, vcc, 0, v7, vcc
	s_and_b64 vcc, exec, s[2:3]
	s_cbranch_vccnz .LBB56_2536
; %bb.2530:
	v_cmp_gt_i16_e64 s[0:1], s26, 25
	s_mov_b64 s[2:3], 0
	s_and_b64 vcc, exec, s[0:1]
	s_cbranch_vccz .LBB56_2537
; %bb.2531:
	v_cmp_gt_i16_e64 s[0:1], s26, 28
	s_and_b64 vcc, exec, s[0:1]
	s_cbranch_vccz .LBB56_2538
; %bb.2532:
	v_cmp_gt_i16_e64 s[0:1], s26, 43
	;; [unrolled: 4-line block ×3, first 2 shown]
	s_and_b64 vcc, exec, s[0:1]
	s_cbranch_vccz .LBB56_2541
; %bb.2534:
	v_cmp_eq_u16_e64 s[0:1], s26, 46
	s_mov_b64 s[10:11], 0
	s_and_b64 vcc, exec, s[0:1]
	s_cbranch_vccz .LBB56_2542
; %bb.2535:
	global_load_dword v10, v[8:9], off
	s_mov_b64 s[0:1], 0
	s_mov_b64 s[6:7], -1
	s_branch .LBB56_2543
.LBB56_2536:
	s_mov_b64 s[0:1], -1
	s_mov_b64 s[6:7], 0
                                        ; implicit-def: $vgpr10
	s_branch .LBB56_2609
.LBB56_2537:
	s_mov_b64 s[10:11], -1
	s_mov_b64 s[6:7], 0
	s_mov_b64 s[0:1], 0
                                        ; implicit-def: $vgpr10
	s_branch .LBB56_2572
.LBB56_2538:
	s_mov_b64 s[10:11], -1
	s_mov_b64 s[6:7], 0
	s_mov_b64 s[0:1], 0
                                        ; implicit-def: $vgpr10
	s_branch .LBB56_2553
.LBB56_2539:
	s_mov_b64 s[10:11], -1
	s_mov_b64 s[6:7], 0
	s_mov_b64 s[0:1], 0
                                        ; implicit-def: $vgpr10
	s_branch .LBB56_2548
.LBB56_2540:
	s_trap 2
	s_or_b64 s[4:5], s[4:5], exec
                                        ; implicit-def: $vgpr12
	s_cbranch_execz .LBB56_2477
	s_branch .LBB56_2478
.LBB56_2541:
	s_mov_b64 s[10:11], -1
	s_mov_b64 s[6:7], 0
	s_mov_b64 s[0:1], 0
                                        ; implicit-def: $vgpr10
	s_branch .LBB56_2543
.LBB56_2542:
	s_mov_b64 s[0:1], -1
                                        ; implicit-def: $vgpr10
	s_mov_b64 s[6:7], 0
.LBB56_2543:
	s_and_b64 vcc, exec, s[10:11]
	s_cbranch_vccz .LBB56_2547
; %bb.2544:
	v_cmp_eq_u16_e64 s[0:1], s26, 44
	s_and_b64 vcc, exec, s[0:1]
	s_cbranch_vccz .LBB56_2546
; %bb.2545:
	global_load_ubyte v7, v[8:9], off
	s_movk_i32 s6, 0xff
	s_waitcnt vmcnt(1)
	v_mov_b32_e32 v10, 0x7f800001
	v_mov_b32_e32 v11, 0x400000
	;; [unrolled: 1-line block ×3, first 2 shown]
	s_mov_b64 s[0:1], 0
	s_waitcnt vmcnt(0)
	v_lshlrev_b32_e32 v15, 23, v7
	v_cmp_ne_u32_e32 vcc, s6, v7
	v_cndmask_b32_e32 v10, v10, v15, vcc
	v_cmp_ne_u32_e32 vcc, 0, v7
	v_cndmask_b32_e32 v7, v11, v10, vcc
	v_add_u32_e32 v10, 0x7fff, v7
	v_lshrrev_b32_e32 v10, 16, v10
	v_cmp_o_f32_e32 vcc, v7, v7
	v_cndmask_b32_e32 v10, v13, v10, vcc
	s_mov_b64 s[6:7], -1
	s_branch .LBB56_2547
.LBB56_2546:
	s_mov_b64 s[0:1], -1
                                        ; implicit-def: $vgpr10
.LBB56_2547:
	s_mov_b64 s[10:11], 0
.LBB56_2548:
	s_and_b64 vcc, exec, s[10:11]
	s_cbranch_vccz .LBB56_2552
; %bb.2549:
	v_cmp_eq_u16_e64 s[0:1], s26, 29
	s_and_b64 vcc, exec, s[0:1]
	s_cbranch_vccz .LBB56_2551
; %bb.2550:
	global_load_dwordx2 v[10:11], v[8:9], off
	s_movk_i32 s6, 0x7fff
	s_mov_b64 s[0:1], 0
	s_mov_b64 s[10:11], 0
	s_waitcnt vmcnt(0)
	v_ffbh_u32_e32 v7, v11
	v_min_u32_e32 v7, 32, v7
	v_lshlrev_b64 v[10:11], v7, v[10:11]
	v_min_u32_e32 v10, 1, v10
	v_or_b32_e32 v10, v11, v10
	v_cvt_f32_u32_e32 v10, v10
	v_sub_u32_e32 v7, 32, v7
	v_ldexp_f32 v7, v10, v7
	v_bfe_u32 v10, v7, 16, 1
	v_add3_u32 v7, v7, v10, s6
	v_lshrrev_b32_e32 v10, 16, v7
	s_mov_b64 s[6:7], -1
	s_branch .LBB56_2553
.LBB56_2551:
	s_mov_b64 s[0:1], -1
                                        ; implicit-def: $vgpr10
.LBB56_2552:
	s_mov_b64 s[10:11], 0
.LBB56_2553:
	s_and_b64 vcc, exec, s[10:11]
	s_cbranch_vccz .LBB56_2571
; %bb.2554:
	v_cmp_lt_i16_e64 s[6:7], s26, 27
	s_and_b64 vcc, exec, s[6:7]
	s_cbranch_vccnz .LBB56_2557
; %bb.2555:
	v_cmp_gt_i16_e64 s[6:7], s26, 27
	s_and_b64 vcc, exec, s[6:7]
	s_cbranch_vccz .LBB56_2558
; %bb.2556:
	global_load_dword v7, v[8:9], off
	s_movk_i32 s6, 0x7fff
	s_waitcnt vmcnt(0)
	v_cvt_f32_u32_e32 v7, v7
	v_bfe_u32 v10, v7, 16, 1
	v_add3_u32 v7, v7, v10, s6
	v_lshrrev_b32_e32 v10, 16, v7
	s_mov_b64 s[6:7], 0
	s_branch .LBB56_2559
.LBB56_2557:
	s_mov_b64 s[6:7], -1
                                        ; implicit-def: $vgpr10
	s_branch .LBB56_2562
.LBB56_2558:
	s_mov_b64 s[6:7], -1
                                        ; implicit-def: $vgpr10
.LBB56_2559:
	s_andn2_b64 vcc, exec, s[6:7]
	s_cbranch_vccnz .LBB56_2561
; %bb.2560:
	global_load_ushort v7, v[8:9], off
	s_movk_i32 s6, 0x7fff
	s_waitcnt vmcnt(0)
	v_cvt_f32_u32_e32 v7, v7
	v_bfe_u32 v10, v7, 16, 1
	v_add3_u32 v7, v7, v10, s6
	v_lshrrev_b32_e32 v10, 16, v7
.LBB56_2561:
	s_mov_b64 s[6:7], 0
.LBB56_2562:
	s_andn2_b64 vcc, exec, s[6:7]
	s_cbranch_vccnz .LBB56_2570
; %bb.2563:
	global_load_ubyte v7, v[8:9], off
	s_movk_i32 s6, 0x7f
                                        ; implicit-def: $sgpr18
	s_waitcnt vmcnt(0)
	v_cmp_lt_i16_e32 vcc, s6, v7
	s_mov_b64 s[6:7], 0
	s_and_saveexec_b64 s[10:11], vcc
	s_xor_b64 s[10:11], exec, s[10:11]
	s_cbranch_execz .LBB56_2584
; %bb.2564:
	s_movk_i32 s6, 0x80
	v_cmp_eq_u16_e32 vcc, s6, v7
	s_mov_b64 s[6:7], -1
                                        ; implicit-def: $sgpr18
	s_and_saveexec_b64 s[16:17], vcc
; %bb.2565:
	s_mov_b32 s18, 0x7f800001
	s_xor_b64 s[6:7], exec, -1
; %bb.2566:
	s_or_b64 exec, exec, s[16:17]
	s_and_b64 s[6:7], s[6:7], exec
	s_or_saveexec_b64 s[10:11], s[10:11]
	v_mov_b32_e32 v10, s18
	s_xor_b64 exec, exec, s[10:11]
	s_cbranch_execnz .LBB56_2585
.LBB56_2567:
	s_or_b64 exec, exec, s[10:11]
	s_and_saveexec_b64 s[10:11], s[6:7]
	s_cbranch_execz .LBB56_2569
.LBB56_2568:
	v_lshlrev_b32_e32 v10, 24, v7
	v_and_b32_e32 v7, 0xffff, v7
	v_and_b32_e32 v11, 7, v7
	v_ffbh_u32_e32 v15, v11
	v_min_u32_e32 v15, 32, v15
	v_subrev_u32_e32 v17, 28, v15
	v_bfe_u32 v13, v7, 3, 4
	v_lshlrev_b32_e32 v7, v17, v7
	v_sub_u32_e32 v15, 29, v15
	v_and_b32_e32 v7, 7, v7
	v_cmp_eq_u32_e32 vcc, 0, v13
	v_cndmask_b32_e32 v13, v13, v15, vcc
	v_cndmask_b32_e32 v7, v11, v7, vcc
	v_mov_b32_e32 v11, 0x3b800000
	v_lshlrev_b32_e32 v7, 20, v7
	v_and_b32_e32 v10, 0x80000000, v10
	v_lshl_add_u32 v11, v13, 23, v11
	v_or3_b32 v10, v10, v11, v7
.LBB56_2569:
	s_or_b64 exec, exec, s[10:11]
	v_bfe_u32 v7, v10, 16, 1
	s_movk_i32 s6, 0x7fff
	v_add3_u32 v7, v10, v7, s6
	v_lshrrev_b32_e32 v7, 16, v7
	v_mov_b32_e32 v11, 0x7fc0
	v_cmp_o_f32_e32 vcc, v10, v10
	v_cndmask_b32_e32 v10, v11, v7, vcc
.LBB56_2570:
	s_mov_b64 s[6:7], -1
.LBB56_2571:
	s_mov_b64 s[10:11], 0
.LBB56_2572:
	s_and_b64 vcc, exec, s[10:11]
	s_cbranch_vccz .LBB56_2605
; %bb.2573:
	v_cmp_gt_i16_e64 s[2:3], s26, 22
	s_and_b64 vcc, exec, s[2:3]
	s_cbranch_vccz .LBB56_2583
; %bb.2574:
	v_cmp_lt_i16_e64 s[2:3], s26, 24
	s_and_b64 vcc, exec, s[2:3]
	s_cbranch_vccnz .LBB56_2586
; %bb.2575:
	v_cmp_gt_i16_e64 s[2:3], s26, 24
	s_and_b64 vcc, exec, s[2:3]
	s_cbranch_vccz .LBB56_2587
; %bb.2576:
	global_load_ubyte v7, v[8:9], off
	s_movk_i32 s2, 0x7f
                                        ; implicit-def: $sgpr16
	s_waitcnt vmcnt(0)
	v_cmp_lt_i16_e32 vcc, s2, v7
	s_mov_b64 s[2:3], 0
	s_and_saveexec_b64 s[6:7], vcc
	s_xor_b64 s[6:7], exec, s[6:7]
	s_cbranch_execz .LBB56_2599
; %bb.2577:
	s_movk_i32 s2, 0x80
	v_cmp_eq_u16_e32 vcc, s2, v7
	s_mov_b64 s[2:3], -1
                                        ; implicit-def: $sgpr16
	s_and_saveexec_b64 s[10:11], vcc
; %bb.2578:
	s_mov_b32 s16, 0x7f800001
	s_xor_b64 s[2:3], exec, -1
; %bb.2579:
	s_or_b64 exec, exec, s[10:11]
	s_and_b64 s[2:3], s[2:3], exec
	s_or_saveexec_b64 s[6:7], s[6:7]
	v_mov_b32_e32 v10, s16
	s_xor_b64 exec, exec, s[6:7]
	s_cbranch_execnz .LBB56_2600
.LBB56_2580:
	s_or_b64 exec, exec, s[6:7]
	s_and_saveexec_b64 s[6:7], s[2:3]
	s_cbranch_execz .LBB56_2582
.LBB56_2581:
	v_lshlrev_b32_e32 v10, 24, v7
	v_and_b32_e32 v7, 0xffff, v7
	v_and_b32_e32 v11, 3, v7
	v_ffbh_u32_e32 v15, v11
	v_min_u32_e32 v15, 32, v15
	v_subrev_u32_e32 v17, 29, v15
	v_bfe_u32 v13, v7, 2, 5
	v_lshlrev_b32_e32 v7, v17, v7
	v_sub_u32_e32 v15, 30, v15
	v_and_b32_e32 v7, 3, v7
	v_cmp_eq_u32_e32 vcc, 0, v13
	v_cndmask_b32_e32 v13, v13, v15, vcc
	v_cndmask_b32_e32 v7, v11, v7, vcc
	v_mov_b32_e32 v11, 0x37800000
	v_lshlrev_b32_e32 v7, 21, v7
	v_and_b32_e32 v10, 0x80000000, v10
	v_lshl_add_u32 v11, v13, 23, v11
	v_or3_b32 v10, v10, v11, v7
.LBB56_2582:
	s_or_b64 exec, exec, s[6:7]
	v_bfe_u32 v7, v10, 16, 1
	s_movk_i32 s2, 0x7fff
	v_add3_u32 v7, v10, v7, s2
	v_lshrrev_b32_e32 v7, 16, v7
	v_mov_b32_e32 v11, 0x7fc0
	v_cmp_o_f32_e32 vcc, v10, v10
	v_cndmask_b32_e32 v10, v11, v7, vcc
	s_mov_b64 s[2:3], 0
	s_branch .LBB56_2588
.LBB56_2583:
	s_mov_b64 s[2:3], -1
                                        ; implicit-def: $vgpr10
	s_branch .LBB56_2594
.LBB56_2584:
	s_or_saveexec_b64 s[10:11], s[10:11]
	v_mov_b32_e32 v10, s18
	s_xor_b64 exec, exec, s[10:11]
	s_cbranch_execz .LBB56_2567
.LBB56_2585:
	v_cmp_ne_u16_e32 vcc, 0, v7
	s_andn2_b64 s[6:7], s[6:7], exec
	s_and_b64 s[16:17], vcc, exec
	v_mov_b32_e32 v10, 0
	s_or_b64 s[6:7], s[6:7], s[16:17]
	s_or_b64 exec, exec, s[10:11]
	s_and_saveexec_b64 s[10:11], s[6:7]
	s_cbranch_execnz .LBB56_2568
	s_branch .LBB56_2569
.LBB56_2586:
	s_mov_b64 s[2:3], -1
                                        ; implicit-def: $vgpr10
	s_branch .LBB56_2591
.LBB56_2587:
	s_mov_b64 s[2:3], -1
                                        ; implicit-def: $vgpr10
.LBB56_2588:
	s_and_b64 vcc, exec, s[2:3]
	s_cbranch_vccz .LBB56_2590
; %bb.2589:
	global_load_ubyte v7, v[8:9], off
	s_mov_b32 s2, 0x7f800000
	s_brev_b32 s3, 1
	s_movk_i32 s6, 0x7fff
	s_waitcnt vmcnt(1)
	v_mov_b32_e32 v10, 0x7fc0
	s_waitcnt vmcnt(0)
	v_lshlrev_b32_e32 v7, 24, v7
	v_and_b32_e32 v11, 0x7f000000, v7
	v_ffbh_u32_e32 v13, v11
	v_min_u32_e32 v13, 32, v13
	v_sub_u32_e64 v13, v13, 4 clamp
	v_lshlrev_b32_e32 v17, v13, v11
	v_lshlrev_b32_e32 v13, 23, v13
	v_lshrrev_b32_e32 v17, 4, v17
	v_add_u32_e32 v15, 0x1000000, v11
	v_sub_u32_e32 v13, v17, v13
	v_ashrrev_i32_e32 v15, 8, v15
	v_add_u32_e32 v13, 0x3c000000, v13
	v_and_or_b32 v13, v15, s2, v13
	v_cmp_ne_u32_e32 vcc, 0, v11
	v_cndmask_b32_e32 v11, 0, v13, vcc
	v_and_or_b32 v7, v7, s3, v11
	v_bfe_u32 v11, v11, 16, 1
	v_add3_u32 v11, v7, v11, s6
	v_lshrrev_b32_e32 v11, 16, v11
	v_cmp_o_f32_e32 vcc, v7, v7
	v_cndmask_b32_e32 v10, v10, v11, vcc
.LBB56_2590:
	s_mov_b64 s[2:3], 0
.LBB56_2591:
	s_andn2_b64 vcc, exec, s[2:3]
	s_cbranch_vccnz .LBB56_2593
; %bb.2592:
	global_load_ubyte v7, v[8:9], off
	s_movk_i32 s2, 0x7f00
	s_brev_b32 s3, 16
	s_brev_b32 s6, 1
	s_movk_i32 s7, 0x7fff
	s_waitcnt vmcnt(1)
	v_mov_b32_e32 v10, 0x7fc0
	s_waitcnt vmcnt(0)
	v_lshlrev_b16_e32 v11, 8, v7
	v_lshlrev_b32_e32 v7, 25, v7
	v_lshrrev_b32_e32 v13, 4, v7
	v_and_or_b32 v15, v11, s2, 0.5
	v_or_b32_e32 v13, 0x70000000, v13
	v_add_f32_e32 v15, -0.5, v15
	v_mul_f32_e32 v13, 0x7800000, v13
	v_cmp_gt_u32_e32 vcc, s3, v7
	v_bfe_i32 v11, v11, 0, 16
	v_cndmask_b32_e32 v7, v13, v15, vcc
	v_and_or_b32 v11, v11, s6, v7
	v_bfe_u32 v7, v7, 16, 1
	v_add3_u32 v7, v11, v7, s7
	v_lshrrev_b32_e32 v7, 16, v7
	v_cmp_o_f32_e32 vcc, v11, v11
	v_cndmask_b32_e32 v10, v10, v7, vcc
.LBB56_2593:
	s_mov_b64 s[2:3], 0
	s_mov_b64 s[6:7], -1
.LBB56_2594:
	s_andn2_b64 vcc, exec, s[2:3]
	s_mov_b64 s[2:3], 0
	s_cbranch_vccnz .LBB56_2605
; %bb.2595:
	v_cmp_gt_i16_e64 s[2:3], s26, 14
	s_and_b64 vcc, exec, s[2:3]
	s_cbranch_vccz .LBB56_2598
; %bb.2596:
	v_cmp_eq_u16_e64 s[0:1], s26, 15
	s_and_b64 vcc, exec, s[0:1]
	s_cbranch_vccz .LBB56_2601
; %bb.2597:
	global_load_ushort v10, v[8:9], off
	s_mov_b64 s[0:1], 0
	s_mov_b64 s[6:7], -1
	s_branch .LBB56_2602
.LBB56_2598:
	s_mov_b64 s[10:11], -1
                                        ; implicit-def: $vgpr10
	s_branch .LBB56_2603
.LBB56_2599:
	s_or_saveexec_b64 s[6:7], s[6:7]
	v_mov_b32_e32 v10, s16
	s_xor_b64 exec, exec, s[6:7]
	s_cbranch_execz .LBB56_2580
.LBB56_2600:
	v_cmp_ne_u16_e32 vcc, 0, v7
	s_andn2_b64 s[2:3], s[2:3], exec
	s_and_b64 s[10:11], vcc, exec
	v_mov_b32_e32 v10, 0
	s_or_b64 s[2:3], s[2:3], s[10:11]
	s_or_b64 exec, exec, s[6:7]
	s_and_saveexec_b64 s[6:7], s[2:3]
	s_cbranch_execnz .LBB56_2581
	s_branch .LBB56_2582
.LBB56_2601:
	s_mov_b64 s[0:1], -1
                                        ; implicit-def: $vgpr10
.LBB56_2602:
	s_mov_b64 s[10:11], 0
.LBB56_2603:
	s_mov_b64 s[2:3], 0
	s_and_b64 vcc, exec, s[10:11]
	s_cbranch_vccz .LBB56_2605
; %bb.2604:
	v_cmp_ne_u16_e64 s[0:1], s26, 11
	s_mov_b64 s[2:3], -1
                                        ; implicit-def: $vgpr10
.LBB56_2605:
	s_and_b64 vcc, exec, s[0:1]
	s_cbranch_vccnz .LBB56_2669
; %bb.2606:
	s_andn2_b64 vcc, exec, s[2:3]
	s_cbranch_vccnz .LBB56_2608
.LBB56_2607:
	global_load_ubyte v7, v[8:9], off
	s_mov_b64 s[6:7], -1
	s_waitcnt vmcnt(0)
	v_cmp_ne_u16_e32 vcc, 0, v7
	v_cndmask_b32_e64 v7, 0, 1.0, vcc
	v_lshrrev_b32_e32 v10, 16, v7
.LBB56_2608:
	s_mov_b64 s[0:1], 0
.LBB56_2609:
	s_and_b64 vcc, exec, s[0:1]
	s_cbranch_vccz .LBB56_2658
; %bb.2610:
	v_cmp_lt_i16_e64 s[0:1], s26, 5
	s_and_b64 vcc, exec, s[0:1]
	s_cbranch_vccnz .LBB56_2615
; %bb.2611:
	v_cmp_lt_i16_e64 s[0:1], s26, 8
	s_and_b64 vcc, exec, s[0:1]
	s_cbranch_vccnz .LBB56_2616
	;; [unrolled: 4-line block ×3, first 2 shown]
; %bb.2613:
	v_cmp_gt_i16_e64 s[0:1], s26, 9
	s_and_b64 vcc, exec, s[0:1]
	s_cbranch_vccz .LBB56_2618
; %bb.2614:
	global_load_dwordx2 v[10:11], v[8:9], off
	s_movk_i32 s0, 0x7fff
	v_mov_b32_e32 v7, 0x7fc0
	s_waitcnt vmcnt(0)
	v_cvt_f32_f64_e32 v10, v[10:11]
	v_bfe_u32 v11, v10, 16, 1
	v_add3_u32 v11, v10, v11, s0
	v_lshrrev_b32_e32 v11, 16, v11
	v_cmp_o_f32_e32 vcc, v10, v10
	v_cndmask_b32_e32 v10, v7, v11, vcc
	s_mov_b64 s[0:1], 0
	s_branch .LBB56_2619
.LBB56_2615:
	s_mov_b64 s[0:1], -1
                                        ; implicit-def: $vgpr10
	s_branch .LBB56_2637
.LBB56_2616:
	s_mov_b64 s[0:1], -1
                                        ; implicit-def: $vgpr10
	s_branch .LBB56_2625
.LBB56_2617:
	s_mov_b64 s[0:1], -1
                                        ; implicit-def: $vgpr10
	s_branch .LBB56_2622
.LBB56_2618:
	s_mov_b64 s[0:1], -1
                                        ; implicit-def: $vgpr10
.LBB56_2619:
	s_andn2_b64 vcc, exec, s[0:1]
	s_cbranch_vccnz .LBB56_2621
; %bb.2620:
	global_load_dword v7, v[8:9], off
	s_movk_i32 s0, 0x7fff
	s_waitcnt vmcnt(1)
	v_mov_b32_e32 v10, 0x7fc0
	s_waitcnt vmcnt(0)
	v_bfe_u32 v11, v7, 16, 1
	v_add3_u32 v11, v7, v11, s0
	v_lshrrev_b32_e32 v11, 16, v11
	v_cmp_o_f32_e32 vcc, v7, v7
	v_cndmask_b32_e32 v10, v10, v11, vcc
.LBB56_2621:
	s_mov_b64 s[0:1], 0
.LBB56_2622:
	s_andn2_b64 vcc, exec, s[0:1]
	s_cbranch_vccnz .LBB56_2624
; %bb.2623:
	global_load_dword v7, v[8:9], off
	s_movk_i32 s0, 0x7fff
	v_mov_b32_e32 v11, 0x7fc0
	s_waitcnt vmcnt(0)
	v_cvt_f32_f16_e32 v10, v7
	v_cmp_o_f16_e32 vcc, v7, v7
	v_bfe_u32 v13, v10, 16, 1
	v_add3_u32 v10, v10, v13, s0
	v_lshrrev_b32_e32 v10, 16, v10
	v_cndmask_b32_e32 v10, v11, v10, vcc
.LBB56_2624:
	s_mov_b64 s[0:1], 0
.LBB56_2625:
	s_andn2_b64 vcc, exec, s[0:1]
	s_cbranch_vccnz .LBB56_2636
; %bb.2626:
	v_cmp_lt_i16_e64 s[0:1], s26, 6
	s_and_b64 vcc, exec, s[0:1]
	s_cbranch_vccnz .LBB56_2629
; %bb.2627:
	v_cmp_gt_i16_e64 s[0:1], s26, 6
	s_and_b64 vcc, exec, s[0:1]
	s_cbranch_vccz .LBB56_2630
; %bb.2628:
	global_load_dwordx2 v[10:11], v[8:9], off
	s_movk_i32 s0, 0x7fff
	v_mov_b32_e32 v7, 0x7fc0
	s_waitcnt vmcnt(0)
	v_cvt_f32_f64_e32 v10, v[10:11]
	v_bfe_u32 v11, v10, 16, 1
	v_add3_u32 v11, v10, v11, s0
	v_lshrrev_b32_e32 v11, 16, v11
	v_cmp_o_f32_e32 vcc, v10, v10
	v_cndmask_b32_e32 v10, v7, v11, vcc
	s_mov_b64 s[0:1], 0
	s_branch .LBB56_2631
.LBB56_2629:
	s_mov_b64 s[0:1], -1
                                        ; implicit-def: $vgpr10
	s_branch .LBB56_2634
.LBB56_2630:
	s_mov_b64 s[0:1], -1
                                        ; implicit-def: $vgpr10
.LBB56_2631:
	s_andn2_b64 vcc, exec, s[0:1]
	s_cbranch_vccnz .LBB56_2633
; %bb.2632:
	global_load_dword v7, v[8:9], off
	s_movk_i32 s0, 0x7fff
	s_waitcnt vmcnt(1)
	v_mov_b32_e32 v10, 0x7fc0
	s_waitcnt vmcnt(0)
	v_bfe_u32 v11, v7, 16, 1
	v_add3_u32 v11, v7, v11, s0
	v_lshrrev_b32_e32 v11, 16, v11
	v_cmp_o_f32_e32 vcc, v7, v7
	v_cndmask_b32_e32 v10, v10, v11, vcc
.LBB56_2633:
	s_mov_b64 s[0:1], 0
.LBB56_2634:
	s_andn2_b64 vcc, exec, s[0:1]
	s_cbranch_vccnz .LBB56_2636
; %bb.2635:
	global_load_ushort v7, v[8:9], off
	s_movk_i32 s0, 0x7fff
	v_mov_b32_e32 v11, 0x7fc0
	s_waitcnt vmcnt(0)
	v_cvt_f32_f16_e32 v10, v7
	v_cmp_o_f16_e32 vcc, v7, v7
	v_bfe_u32 v13, v10, 16, 1
	v_add3_u32 v10, v10, v13, s0
	v_lshrrev_b32_e32 v10, 16, v10
	v_cndmask_b32_e32 v10, v11, v10, vcc
.LBB56_2636:
	s_mov_b64 s[0:1], 0
.LBB56_2637:
	s_andn2_b64 vcc, exec, s[0:1]
	s_cbranch_vccnz .LBB56_2657
; %bb.2638:
	v_cmp_lt_i16_e64 s[0:1], s26, 2
	s_and_b64 vcc, exec, s[0:1]
	s_cbranch_vccnz .LBB56_2642
; %bb.2639:
	v_cmp_lt_i16_e64 s[0:1], s26, 3
	s_and_b64 vcc, exec, s[0:1]
	s_cbranch_vccnz .LBB56_2643
; %bb.2640:
	v_cmp_gt_i16_e64 s[0:1], s26, 3
	s_and_b64 vcc, exec, s[0:1]
	s_cbranch_vccz .LBB56_2644
; %bb.2641:
	global_load_dwordx2 v[10:11], v[8:9], off
	s_movk_i32 s0, 0x7fff
	s_waitcnt vmcnt(0)
	v_xor_b32_e32 v13, v10, v11
	v_ffbh_i32_e32 v7, v11
	v_ashrrev_i32_e32 v13, 31, v13
	v_add_u32_e32 v7, -1, v7
	v_add_u32_e32 v13, 32, v13
	v_min_u32_e32 v7, v7, v13
	v_lshlrev_b64 v[10:11], v7, v[10:11]
	v_min_u32_e32 v10, 1, v10
	v_or_b32_e32 v10, v11, v10
	v_cvt_f32_i32_e32 v10, v10
	v_sub_u32_e32 v7, 32, v7
	v_ldexp_f32 v7, v10, v7
	v_bfe_u32 v10, v7, 16, 1
	v_add3_u32 v7, v7, v10, s0
	v_lshrrev_b32_e32 v10, 16, v7
	s_mov_b64 s[0:1], 0
	s_branch .LBB56_2645
.LBB56_2642:
	s_mov_b64 s[0:1], -1
                                        ; implicit-def: $vgpr10
	s_branch .LBB56_2651
.LBB56_2643:
	s_mov_b64 s[0:1], -1
                                        ; implicit-def: $vgpr10
	s_branch .LBB56_2648
.LBB56_2644:
	s_mov_b64 s[0:1], -1
                                        ; implicit-def: $vgpr10
.LBB56_2645:
	s_andn2_b64 vcc, exec, s[0:1]
	s_cbranch_vccnz .LBB56_2647
; %bb.2646:
	global_load_dword v7, v[8:9], off
	s_movk_i32 s0, 0x7fff
	s_waitcnt vmcnt(0)
	v_cvt_f32_i32_e32 v7, v7
	v_bfe_u32 v10, v7, 16, 1
	v_add3_u32 v7, v7, v10, s0
	v_lshrrev_b32_e32 v10, 16, v7
.LBB56_2647:
	s_mov_b64 s[0:1], 0
.LBB56_2648:
	s_andn2_b64 vcc, exec, s[0:1]
	s_cbranch_vccnz .LBB56_2650
; %bb.2649:
	global_load_sshort v7, v[8:9], off
	s_movk_i32 s0, 0x7fff
	s_waitcnt vmcnt(0)
	v_cvt_f32_i32_e32 v7, v7
	v_bfe_u32 v10, v7, 16, 1
	v_add3_u32 v7, v7, v10, s0
	v_lshrrev_b32_e32 v10, 16, v7
.LBB56_2650:
	s_mov_b64 s[0:1], 0
.LBB56_2651:
	s_andn2_b64 vcc, exec, s[0:1]
	s_cbranch_vccnz .LBB56_2657
; %bb.2652:
	v_cmp_gt_i16_e64 s[0:1], s26, 0
	s_and_b64 vcc, exec, s[0:1]
	s_cbranch_vccz .LBB56_2654
; %bb.2653:
	global_load_sbyte v7, v[8:9], off
	s_movk_i32 s0, 0x7fff
	s_waitcnt vmcnt(0)
	v_cvt_f32_i32_e32 v7, v7
	v_bfe_u32 v10, v7, 16, 1
	v_add3_u32 v7, v7, v10, s0
	v_lshrrev_b32_e32 v10, 16, v7
	s_mov_b64 s[0:1], 0
	s_branch .LBB56_2655
.LBB56_2654:
	s_mov_b64 s[0:1], -1
                                        ; implicit-def: $vgpr10
.LBB56_2655:
	s_andn2_b64 vcc, exec, s[0:1]
	s_cbranch_vccnz .LBB56_2657
; %bb.2656:
	global_load_ubyte v7, v[8:9], off
	s_movk_i32 s0, 0x7fff
	s_waitcnt vmcnt(0)
	v_cvt_f32_ubyte0_e32 v7, v7
	v_bfe_u32 v8, v7, 16, 1
	v_add3_u32 v7, v7, v8, s0
	v_lshrrev_b32_e32 v10, 16, v7
.LBB56_2657:
	s_mov_b64 s[6:7], -1
.LBB56_2658:
	s_andn2_b64 vcc, exec, s[6:7]
	s_cbranch_vccnz .LBB56_3112
; %bb.2659:
	s_waitcnt vmcnt(0)
	v_lshlrev_b32_e32 v1, 16, v1
	v_lshlrev_b32_e32 v3, 16, v3
	v_div_scale_f32 v7, s[0:1], v3, v3, v1
	v_rcp_f32_e32 v8, v7
	s_movk_i32 s0, 0x7fff
	s_lshr_b32 s18, s24, 8
	v_fma_f32 v9, -v7, v8, 1.0
	v_fmac_f32_e32 v8, v9, v8
	v_div_scale_f32 v9, vcc, v1, v3, v1
	v_mul_f32_e32 v11, v9, v8
	v_fma_f32 v13, -v7, v11, v9
	v_fmac_f32_e32 v11, v13, v8
	v_fma_f32 v7, -v7, v11, v9
	v_div_fmas_f32 v7, v7, v8, v11
	v_div_fixup_f32 v1, v7, v3, v1
	v_bfe_u32 v3, v1, 16, 1
	v_add3_u32 v3, v1, v3, s0
	v_lshrrev_b32_e32 v3, 16, v3
	v_mov_b32_e32 v7, 0x7fc0
	v_cmp_o_f32_e32 vcc, v1, v1
	v_cndmask_b32_e32 v1, v7, v3, vcc
	v_lshlrev_b32_e32 v3, 16, v1
	s_mov_b32 s0, 0x800000
	v_mov_b32_e32 v7, 0x80
	v_cmp_ngt_f32_e32 vcc, s0, v3
	v_cndmask_b32_e32 v1, v7, v1, vcc
	v_lshlrev_b32_e32 v3, 16, v1
	s_mov_b32 s0, 0x3f7e0000
	v_mov_b32_e32 v7, 0x3f7e
	v_cmp_nlt_f32_e32 vcc, s0, v3
	v_cndmask_b32_e32 v1, v7, v1, vcc
	v_mov_b32_e32 v3, s9
	v_add_co_u32_e32 v6, vcc, s8, v6
	v_addc_co_u32_e32 v7, vcc, 0, v3, vcc
	v_mov_b32_e32 v3, 11
	v_cmp_lt_i16_sdwa s[0:1], s18, v3 src0_sel:BYTE_0 src1_sel:DWORD
	s_and_b64 vcc, exec, s[0:1]
	s_cbranch_vccnz .LBB56_2666
; %bb.2660:
	v_mov_b32_e32 v3, 25
	v_cmp_gt_i16_sdwa s[0:1], s18, v3 src0_sel:BYTE_0 src1_sel:DWORD
	s_mov_b64 s[10:11], -1
	s_mov_b64 s[2:3], 0
	s_and_b64 vcc, exec, s[0:1]
	s_mov_b64 s[6:7], 0
	s_mov_b64 s[0:1], 0
	s_cbranch_vccz .LBB56_2698
; %bb.2661:
	v_mov_b32_e32 v3, 28
	v_cmp_gt_i16_sdwa s[0:1], s18, v3 src0_sel:BYTE_0 src1_sel:DWORD
	s_and_b64 vcc, exec, s[0:1]
	s_cbranch_vccz .LBB56_2667
; %bb.2662:
	v_mov_b32_e32 v3, 43
	v_cmp_gt_i16_sdwa s[0:1], s18, v3 src0_sel:BYTE_0 src1_sel:DWORD
	s_and_b64 vcc, exec, s[0:1]
	;; [unrolled: 5-line block ×3, first 2 shown]
	s_cbranch_vccz .LBB56_2670
; %bb.2664:
	v_mov_b32_e32 v3, 46
	v_cmp_eq_u16_sdwa s[6:7], s18, v3 src0_sel:BYTE_0 src1_sel:DWORD
	s_mov_b64 s[0:1], -1
	s_mov_b64 s[10:11], 0
	s_and_b64 vcc, exec, s[6:7]
	s_mov_b64 s[6:7], 0
	s_cbranch_vccz .LBB56_2671
; %bb.2665:
	v_and_b32_e32 v3, 0xffff, v1
	global_store_dword v[6:7], v3, off
	s_mov_b64 s[0:1], 0
	s_mov_b64 s[6:7], -1
	s_branch .LBB56_2671
.LBB56_2666:
	s_mov_b64 s[0:1], -1
	s_mov_b64 s[6:7], 0
	s_branch .LBB56_2742
.LBB56_2667:
	s_mov_b64 s[0:1], 0
	s_branch .LBB56_2681
.LBB56_2668:
	s_mov_b64 s[0:1], 0
	s_branch .LBB56_2677
.LBB56_2669:
	s_trap 2
	s_or_b64 s[4:5], s[4:5], exec
                                        ; implicit-def: $vgpr10
	s_cbranch_execz .LBB56_2607
	s_branch .LBB56_2608
.LBB56_2670:
	s_mov_b64 s[0:1], 0
.LBB56_2671:
	s_and_b64 vcc, exec, s[10:11]
	s_cbranch_vccz .LBB56_2676
; %bb.2672:
	v_mov_b32_e32 v3, 44
	v_cmp_eq_u16_sdwa s[10:11], s18, v3 src0_sel:BYTE_0 src1_sel:DWORD
	s_mov_b64 s[0:1], -1
	s_and_b64 vcc, exec, s[10:11]
	s_cbranch_vccz .LBB56_2676
; %bb.2673:
	v_and_b32_e32 v8, 0xffff, v1
	v_bfe_u32 v3, v8, 7, 8
	s_movk_i32 s0, 0xff
	v_cmp_ne_u32_e32 vcc, s0, v3
	v_mov_b32_e32 v9, 0xff
	s_and_saveexec_b64 s[6:7], vcc
; %bb.2674:
	v_lshlrev_b32_e32 v11, 16, v8
	s_mov_b32 s0, 0x3f0000
	v_lshrrev_b32_e32 v9, 7, v8
	v_and_b32_e32 v8, 64, v8
	v_and_or_b32 v3, v11, s0, v3
	v_cmp_ne_u32_e32 vcc, 0, v8
	v_cmp_ne_u32_e64 s[0:1], 0, v3
	s_and_b64 s[0:1], vcc, s[0:1]
	v_cndmask_b32_e64 v3, 0, 1, s[0:1]
	v_add_u32_e32 v9, v9, v3
; %bb.2675:
	s_or_b64 exec, exec, s[6:7]
	s_mov_b64 s[0:1], 0
	s_mov_b64 s[6:7], -1
	global_store_byte v[6:7], v9, off
.LBB56_2676:
	s_mov_b64 s[10:11], 0
.LBB56_2677:
	s_and_b64 vcc, exec, s[10:11]
	s_cbranch_vccz .LBB56_2680
; %bb.2678:
	v_mov_b32_e32 v3, 29
	v_cmp_eq_u16_sdwa s[10:11], s18, v3 src0_sel:BYTE_0 src1_sel:DWORD
	s_mov_b64 s[0:1], -1
	s_and_b64 vcc, exec, s[10:11]
	s_cbranch_vccz .LBB56_2680
; %bb.2679:
	v_lshlrev_b32_e32 v3, 16, v1
	v_trunc_f32_e32 v3, v3
	v_mul_f32_e32 v8, 0x2f800000, v3
	v_floor_f32_e32 v8, v8
	v_fmac_f32_e32 v3, 0xcf800000, v8
	v_cvt_u32_f32_e32 v9, v8
	v_cvt_u32_f32_e32 v8, v3
	s_mov_b64 s[0:1], 0
	s_mov_b64 s[6:7], -1
	s_mov_b64 s[10:11], 0
	global_store_dwordx2 v[6:7], v[8:9], off
	s_branch .LBB56_2681
.LBB56_2680:
	s_mov_b64 s[10:11], 0
.LBB56_2681:
	s_and_b64 vcc, exec, s[10:11]
	s_cbranch_vccz .LBB56_2697
; %bb.2682:
	v_mov_b32_e32 v3, 27
	v_cmp_lt_i16_sdwa s[10:11], s18, v3 src0_sel:BYTE_0 src1_sel:DWORD
	s_mov_b64 s[6:7], -1
	s_and_b64 vcc, exec, s[10:11]
	s_cbranch_vccnz .LBB56_2688
; %bb.2683:
	v_cmp_gt_i16_sdwa s[10:11], s18, v3 src0_sel:BYTE_0 src1_sel:DWORD
	s_and_b64 vcc, exec, s[10:11]
	s_cbranch_vccz .LBB56_2685
; %bb.2684:
	v_lshlrev_b32_e32 v3, 16, v1
	v_cvt_u32_f32_e32 v3, v3
	s_mov_b64 s[6:7], 0
	global_store_dword v[6:7], v3, off
.LBB56_2685:
	s_andn2_b64 vcc, exec, s[6:7]
	s_cbranch_vccnz .LBB56_2687
; %bb.2686:
	v_lshlrev_b32_e32 v3, 16, v1
	v_cvt_u32_f32_e32 v3, v3
	global_store_short v[6:7], v3, off
.LBB56_2687:
	s_mov_b64 s[6:7], 0
.LBB56_2688:
	s_andn2_b64 vcc, exec, s[6:7]
	s_cbranch_vccnz .LBB56_2696
; %bb.2689:
	v_lshlrev_b32_e32 v9, 16, v1
	v_and_b32_e32 v8, 0x7fffffff, v9
	s_mov_b32 s6, 0x43800000
	v_cmp_gt_u32_e32 vcc, s6, v8
	v_mov_b32_e32 v11, 0x80
	s_and_saveexec_b64 s[6:7], vcc
	s_cbranch_execz .LBB56_2695
; %bb.2690:
	s_mov_b32 s10, 0x3bffffff
	v_and_b32_e32 v3, 0xffff, v1
	v_cmp_lt_u32_e32 vcc, s10, v8
	s_mov_b64 s[10:11], 0
                                        ; implicit-def: $vgpr8
	s_and_saveexec_b64 s[16:17], vcc
	s_xor_b64 s[16:17], exec, s[16:17]
	s_cbranch_execz .LBB56_2791
; %bb.2691:
	v_bfe_u32 v8, v3, 4, 1
	s_mov_b32 s19, 0x487ffff
	v_add3_u32 v8, v9, v8, s19
	s_mov_b64 s[10:11], exec
	v_lshrrev_b32_e32 v8, 20, v8
                                        ; implicit-def: $vgpr9
	s_or_saveexec_b64 s[16:17], s[16:17]
                                        ; implicit-def: $sgpr19
	s_xor_b64 exec, exec, s[16:17]
	s_cbranch_execnz .LBB56_2792
.LBB56_2692:
	s_or_b64 exec, exec, s[16:17]
	v_mov_b32_e32 v11, s19
	s_and_saveexec_b64 s[16:17], s[10:11]
.LBB56_2693:
	v_lshrrev_b32_e32 v3, 8, v3
	s_movk_i32 s10, 0x80
	v_and_or_b32 v11, v3, s10, v8
.LBB56_2694:
	s_or_b64 exec, exec, s[16:17]
.LBB56_2695:
	s_or_b64 exec, exec, s[6:7]
	global_store_byte v[6:7], v11, off
.LBB56_2696:
	s_mov_b64 s[6:7], -1
.LBB56_2697:
	s_mov_b64 s[10:11], 0
.LBB56_2698:
	s_and_b64 vcc, exec, s[10:11]
	s_cbranch_vccz .LBB56_2738
; %bb.2699:
	v_mov_b32_e32 v3, 22
	v_cmp_gt_i16_sdwa s[10:11], s18, v3 src0_sel:BYTE_0 src1_sel:DWORD
	s_mov_b64 s[2:3], -1
	s_and_b64 vcc, exec, s[10:11]
	s_cbranch_vccz .LBB56_2731
; %bb.2700:
	v_mov_b32_e32 v3, 24
	v_cmp_lt_i16_sdwa s[6:7], s18, v3 src0_sel:BYTE_0 src1_sel:DWORD
	s_and_b64 vcc, exec, s[6:7]
	s_cbranch_vccnz .LBB56_2720
; %bb.2701:
	v_cmp_gt_i16_sdwa s[6:7], s18, v3 src0_sel:BYTE_0 src1_sel:DWORD
	s_and_b64 vcc, exec, s[6:7]
	s_cbranch_vccz .LBB56_2709
; %bb.2702:
	v_lshlrev_b32_e32 v9, 16, v1
	v_and_b32_e32 v8, 0x7fffffff, v9
	s_mov_b32 s2, 0x47800000
	v_cmp_gt_u32_e32 vcc, s2, v8
	v_mov_b32_e32 v11, 0x80
	s_and_saveexec_b64 s[2:3], vcc
	s_cbranch_execz .LBB56_2708
; %bb.2703:
	s_mov_b32 s6, 0x37ffffff
	v_and_b32_e32 v3, 0xffff, v1
	v_cmp_lt_u32_e32 vcc, s6, v8
	s_mov_b64 s[6:7], 0
                                        ; implicit-def: $vgpr8
	s_and_saveexec_b64 s[10:11], vcc
	s_xor_b64 s[10:11], exec, s[10:11]
	s_cbranch_execz .LBB56_2795
; %bb.2704:
	v_bfe_u32 v8, v3, 5, 1
	s_mov_b32 s16, 0x88fffff
	v_add3_u32 v8, v9, v8, s16
	s_mov_b64 s[6:7], exec
	v_lshrrev_b32_e32 v8, 21, v8
                                        ; implicit-def: $vgpr9
	s_or_saveexec_b64 s[10:11], s[10:11]
                                        ; implicit-def: $sgpr16
	s_xor_b64 exec, exec, s[10:11]
	s_cbranch_execnz .LBB56_2796
.LBB56_2705:
	s_or_b64 exec, exec, s[10:11]
	v_mov_b32_e32 v11, s16
	s_and_saveexec_b64 s[10:11], s[6:7]
.LBB56_2706:
	v_lshrrev_b32_e32 v3, 8, v3
	s_movk_i32 s6, 0x80
	v_and_or_b32 v11, v3, s6, v8
.LBB56_2707:
	s_or_b64 exec, exec, s[10:11]
.LBB56_2708:
	s_or_b64 exec, exec, s[2:3]
	s_mov_b64 s[2:3], 0
	global_store_byte v[6:7], v11, off
.LBB56_2709:
	s_and_b64 vcc, exec, s[2:3]
	s_cbranch_vccz .LBB56_2719
; %bb.2710:
	v_lshlrev_b32_e32 v9, 16, v1
	v_and_b32_e32 v11, 0x7fffffff, v9
	s_mov_b32 s2, 0x43f00000
	v_and_b32_e32 v3, 0xffff, v1
	v_cmp_gt_u32_e32 vcc, s2, v11
                                        ; implicit-def: $vgpr8
	s_and_saveexec_b64 s[2:3], vcc
	s_xor_b64 s[2:3], exec, s[2:3]
	s_cbranch_execz .LBB56_2716
; %bb.2711:
	s_mov_b32 s6, 0x3c7fffff
	v_cmp_lt_u32_e32 vcc, s6, v11
                                        ; implicit-def: $vgpr8
	s_and_saveexec_b64 s[6:7], vcc
	s_xor_b64 s[6:7], exec, s[6:7]
; %bb.2712:
	v_bfe_u32 v8, v3, 4, 1
	s_mov_b32 s10, 0x407ffff
	v_add3_u32 v8, v9, v8, s10
	v_lshrrev_b32_e32 v9, 20, v8
	v_and_b32_e32 v8, 0xff00000, v8
	s_mov_b32 s10, 0x7f00000
	v_mov_b32_e32 v11, 0x7e
	v_cmp_ne_u32_e32 vcc, s10, v8
	v_cndmask_b32_e32 v8, v11, v9, vcc
                                        ; implicit-def: $vgpr9
; %bb.2713:
	s_andn2_saveexec_b64 s[6:7], s[6:7]
; %bb.2714:
	s_mov_b32 s10, 0x46800000
	v_add_f32_e64 v8, |v9|, s10
; %bb.2715:
	s_or_b64 exec, exec, s[6:7]
                                        ; implicit-def: $vgpr11
.LBB56_2716:
	s_andn2_saveexec_b64 s[2:3], s[2:3]
; %bb.2717:
	s_mov_b32 s6, 0x7f800000
	v_mov_b32_e32 v8, 0x7e
	v_mov_b32_e32 v9, 0x7f
	v_cmp_lt_u32_e32 vcc, s6, v11
	v_cndmask_b32_e32 v8, v8, v9, vcc
; %bb.2718:
	s_or_b64 exec, exec, s[2:3]
	v_lshrrev_b32_e32 v3, 8, v3
	s_movk_i32 s2, 0x80
	v_and_or_b32 v3, v3, s2, v8
	global_store_byte v[6:7], v3, off
.LBB56_2719:
	s_mov_b64 s[2:3], 0
.LBB56_2720:
	s_andn2_b64 vcc, exec, s[2:3]
	s_cbranch_vccnz .LBB56_2730
; %bb.2721:
	v_lshlrev_b32_e32 v9, 16, v1
	v_and_b32_e32 v11, 0x7fffffff, v9
	s_mov_b32 s2, 0x47800000
	v_and_b32_e32 v3, 0xffff, v1
	v_cmp_gt_u32_e32 vcc, s2, v11
                                        ; implicit-def: $vgpr8
	s_and_saveexec_b64 s[2:3], vcc
	s_xor_b64 s[2:3], exec, s[2:3]
	s_cbranch_execz .LBB56_2727
; %bb.2722:
	s_mov_b32 s6, 0x387fffff
	v_cmp_lt_u32_e32 vcc, s6, v11
                                        ; implicit-def: $vgpr8
	s_and_saveexec_b64 s[6:7], vcc
	s_xor_b64 s[6:7], exec, s[6:7]
; %bb.2723:
	v_bfe_u32 v8, v3, 5, 1
	s_mov_b32 s10, 0x80fffff
	v_add3_u32 v8, v9, v8, s10
	v_lshrrev_b32_e32 v8, 21, v8
                                        ; implicit-def: $vgpr9
; %bb.2724:
	s_andn2_saveexec_b64 s[6:7], s[6:7]
; %bb.2725:
	s_mov_b32 s10, 0x43000000
	v_add_f32_e64 v8, |v9|, s10
; %bb.2726:
	s_or_b64 exec, exec, s[6:7]
                                        ; implicit-def: $vgpr11
.LBB56_2727:
	s_andn2_saveexec_b64 s[2:3], s[2:3]
; %bb.2728:
	s_mov_b32 s6, 0x7f800000
	v_mov_b32_e32 v8, 0x7c
	v_mov_b32_e32 v9, 0x7f
	v_cmp_lt_u32_e32 vcc, s6, v11
	v_cndmask_b32_e32 v8, v8, v9, vcc
; %bb.2729:
	s_or_b64 exec, exec, s[2:3]
	v_lshrrev_b32_e32 v3, 8, v3
	s_movk_i32 s2, 0x80
	v_and_or_b32 v3, v3, s2, v8
	global_store_byte v[6:7], v3, off
.LBB56_2730:
	s_mov_b64 s[2:3], 0
	s_mov_b64 s[6:7], -1
.LBB56_2731:
	s_andn2_b64 vcc, exec, s[2:3]
	s_mov_b64 s[2:3], 0
	s_cbranch_vccnz .LBB56_2738
; %bb.2732:
	v_mov_b32_e32 v3, 14
	v_cmp_gt_i16_sdwa s[2:3], s18, v3 src0_sel:BYTE_0 src1_sel:DWORD
	s_mov_b64 s[10:11], -1
	s_and_b64 vcc, exec, s[2:3]
	s_cbranch_vccz .LBB56_2736
; %bb.2733:
	v_mov_b32_e32 v3, 15
	v_cmp_eq_u16_sdwa s[2:3], s18, v3 src0_sel:BYTE_0 src1_sel:DWORD
	s_mov_b64 s[0:1], -1
	s_and_b64 vcc, exec, s[2:3]
	s_cbranch_vccz .LBB56_2735
; %bb.2734:
	global_store_short v[6:7], v1, off
	s_mov_b64 s[0:1], 0
	s_mov_b64 s[6:7], -1
.LBB56_2735:
	s_mov_b64 s[10:11], 0
.LBB56_2736:
	s_mov_b64 s[2:3], 0
	s_and_b64 vcc, exec, s[10:11]
	s_cbranch_vccz .LBB56_2738
; %bb.2737:
	v_mov_b32_e32 v3, 11
	v_cmp_ne_u16_sdwa s[0:1], s18, v3 src0_sel:BYTE_0 src1_sel:DWORD
	s_mov_b64 s[2:3], -1
.LBB56_2738:
	s_and_b64 vcc, exec, s[0:1]
	s_cbranch_vccnz .LBB56_2794
; %bb.2739:
	s_andn2_b64 vcc, exec, s[2:3]
	s_cbranch_vccnz .LBB56_2741
.LBB56_2740:
	v_and_b32_e32 v3, 0x7fff, v1
	v_cmp_ne_u16_e32 vcc, 0, v3
	v_cndmask_b32_e64 v3, 0, 1, vcc
	s_mov_b64 s[6:7], -1
	global_store_byte v[6:7], v3, off
.LBB56_2741:
	s_mov_b64 s[0:1], 0
.LBB56_2742:
	s_and_b64 vcc, exec, s[0:1]
	s_cbranch_vccz .LBB56_2781
; %bb.2743:
	v_mov_b32_e32 v3, 5
	v_cmp_lt_i16_sdwa s[2:3], s18, v3 src0_sel:BYTE_0 src1_sel:DWORD
	s_mov_b64 s[0:1], -1
	s_and_b64 vcc, exec, s[2:3]
	s_cbranch_vccnz .LBB56_2764
; %bb.2744:
	v_mov_b32_e32 v3, 8
	v_cmp_lt_i16_sdwa s[2:3], s18, v3 src0_sel:BYTE_0 src1_sel:DWORD
	s_and_b64 vcc, exec, s[2:3]
	s_cbranch_vccnz .LBB56_2754
; %bb.2745:
	v_mov_b32_e32 v3, 9
	v_cmp_lt_i16_sdwa s[2:3], s18, v3 src0_sel:BYTE_0 src1_sel:DWORD
	s_and_b64 vcc, exec, s[2:3]
	s_cbranch_vccnz .LBB56_2751
; %bb.2746:
	v_cmp_gt_i16_sdwa s[2:3], s18, v3 src0_sel:BYTE_0 src1_sel:DWORD
	s_and_b64 vcc, exec, s[2:3]
	s_cbranch_vccz .LBB56_2748
; %bb.2747:
	v_lshlrev_b32_e32 v3, 16, v1
	v_mov_b32_e32 v22, 0
	v_cvt_f64_f32_e32 v[20:21], v3
	v_mov_b32_e32 v23, v22
	global_store_dwordx4 v[6:7], v[20:23], off
	s_mov_b64 s[0:1], 0
.LBB56_2748:
	s_andn2_b64 vcc, exec, s[0:1]
	s_cbranch_vccnz .LBB56_2750
; %bb.2749:
	v_lshlrev_b32_e32 v8, 16, v1
	v_mov_b32_e32 v9, 0
	global_store_dwordx2 v[6:7], v[8:9], off
.LBB56_2750:
	s_mov_b64 s[0:1], 0
.LBB56_2751:
	s_andn2_b64 vcc, exec, s[0:1]
	s_cbranch_vccnz .LBB56_2753
; %bb.2752:
	v_lshlrev_b32_e32 v3, 16, v1
	v_cvt_f16_f32_e32 v3, v3
	global_store_dword v[6:7], v3, off
.LBB56_2753:
	s_mov_b64 s[0:1], 0
.LBB56_2754:
	s_andn2_b64 vcc, exec, s[0:1]
	s_cbranch_vccnz .LBB56_2763
; %bb.2755:
	v_mov_b32_e32 v3, 6
	v_cmp_lt_i16_sdwa s[2:3], s18, v3 src0_sel:BYTE_0 src1_sel:DWORD
	s_mov_b64 s[0:1], -1
	s_and_b64 vcc, exec, s[2:3]
	s_cbranch_vccnz .LBB56_2761
; %bb.2756:
	v_cmp_gt_i16_sdwa s[2:3], s18, v3 src0_sel:BYTE_0 src1_sel:DWORD
	s_and_b64 vcc, exec, s[2:3]
	s_cbranch_vccz .LBB56_2758
; %bb.2757:
	v_lshlrev_b32_e32 v3, 16, v1
	v_cvt_f64_f32_e32 v[8:9], v3
	global_store_dwordx2 v[6:7], v[8:9], off
	s_mov_b64 s[0:1], 0
.LBB56_2758:
	s_andn2_b64 vcc, exec, s[0:1]
	s_cbranch_vccnz .LBB56_2760
; %bb.2759:
	v_lshlrev_b32_e32 v3, 16, v1
	global_store_dword v[6:7], v3, off
.LBB56_2760:
	s_mov_b64 s[0:1], 0
.LBB56_2761:
	s_andn2_b64 vcc, exec, s[0:1]
	s_cbranch_vccnz .LBB56_2763
; %bb.2762:
	v_lshlrev_b32_e32 v3, 16, v1
	v_cvt_f16_f32_e32 v3, v3
	global_store_short v[6:7], v3, off
.LBB56_2763:
	s_mov_b64 s[0:1], 0
.LBB56_2764:
	s_andn2_b64 vcc, exec, s[0:1]
	s_cbranch_vccnz .LBB56_2780
; %bb.2765:
	v_mov_b32_e32 v3, 2
	v_cmp_lt_i16_sdwa s[2:3], s18, v3 src0_sel:BYTE_0 src1_sel:DWORD
	s_mov_b64 s[0:1], -1
	s_and_b64 vcc, exec, s[2:3]
	s_cbranch_vccnz .LBB56_2775
; %bb.2766:
	v_mov_b32_e32 v3, 3
	v_cmp_lt_i16_sdwa s[2:3], s18, v3 src0_sel:BYTE_0 src1_sel:DWORD
	s_and_b64 vcc, exec, s[2:3]
	s_cbranch_vccnz .LBB56_2772
; %bb.2767:
	v_cmp_gt_i16_sdwa s[2:3], s18, v3 src0_sel:BYTE_0 src1_sel:DWORD
	s_and_b64 vcc, exec, s[2:3]
	s_cbranch_vccz .LBB56_2769
; %bb.2768:
	v_lshlrev_b32_e32 v3, 16, v1
	v_trunc_f32_e32 v3, v3
	s_mov_b32 s0, 0x2f800000
	v_mul_f32_e64 v8, |v3|, s0
	v_floor_f32_e32 v8, v8
	s_mov_b32 s0, 0xcf800000
	v_cvt_u32_f32_e32 v9, v8
	v_fma_f32 v8, v8, s0, |v3|
	v_cvt_u32_f32_e32 v8, v8
	v_ashrrev_i32_e32 v3, 31, v3
	v_xor_b32_e32 v9, v9, v3
	s_mov_b64 s[0:1], 0
	v_xor_b32_e32 v8, v8, v3
	v_sub_co_u32_e32 v8, vcc, v8, v3
	v_subb_co_u32_e32 v9, vcc, v9, v3, vcc
	global_store_dwordx2 v[6:7], v[8:9], off
.LBB56_2769:
	s_andn2_b64 vcc, exec, s[0:1]
	s_cbranch_vccnz .LBB56_2771
; %bb.2770:
	v_lshlrev_b32_e32 v3, 16, v1
	v_cvt_i32_f32_e32 v3, v3
	global_store_dword v[6:7], v3, off
.LBB56_2771:
	s_mov_b64 s[0:1], 0
.LBB56_2772:
	s_andn2_b64 vcc, exec, s[0:1]
	s_cbranch_vccnz .LBB56_2774
; %bb.2773:
	v_lshlrev_b32_e32 v3, 16, v1
	v_cvt_i32_f32_e32 v3, v3
	global_store_short v[6:7], v3, off
.LBB56_2774:
	s_mov_b64 s[0:1], 0
.LBB56_2775:
	s_andn2_b64 vcc, exec, s[0:1]
	s_cbranch_vccnz .LBB56_2780
; %bb.2776:
	v_mov_b32_e32 v3, 0
	v_cmp_gt_i16_sdwa s[2:3], s18, v3 src0_sel:BYTE_0 src1_sel:DWORD
	s_mov_b64 s[0:1], -1
	s_and_b64 vcc, exec, s[2:3]
	v_lshlrev_b32_e32 v1, 16, v1
	s_cbranch_vccz .LBB56_2778
; %bb.2777:
	v_cvt_i32_f32_e32 v3, v1
	s_mov_b64 s[0:1], 0
	global_store_byte v[6:7], v3, off
.LBB56_2778:
	s_andn2_b64 vcc, exec, s[0:1]
	s_cbranch_vccnz .LBB56_2780
; %bb.2779:
	v_trunc_f32_e32 v1, v1
	s_mov_b32 s0, 0x2f800000
	v_mul_f32_e64 v3, |v1|, s0
	v_floor_f32_e32 v3, v3
	s_mov_b32 s0, 0xcf800000
	v_fma_f32 v3, v3, s0, |v1|
	v_cvt_u32_f32_e32 v3, v3
	v_ashrrev_i32_e32 v1, 31, v1
	v_xor_b32_e32 v3, v3, v1
	v_sub_u32_e32 v1, v3, v1
	global_store_byte v[6:7], v1, off
.LBB56_2780:
	s_mov_b64 s[6:7], -1
.LBB56_2781:
	s_andn2_b64 vcc, exec, s[6:7]
	s_cbranch_vccnz .LBB56_3112
; %bb.2782:
	v_lshlrev_b32_e32 v1, 16, v5
	v_lshlrev_b32_e32 v3, 16, v18
	v_div_scale_f32 v5, s[0:1], v3, v3, v1
	v_rcp_f32_e32 v6, v5
	s_movk_i32 s0, 0x7fff
	v_fma_f32 v7, -v5, v6, 1.0
	v_fmac_f32_e32 v6, v7, v6
	v_div_scale_f32 v7, vcc, v1, v3, v1
	v_mul_f32_e32 v8, v7, v6
	v_fma_f32 v9, -v5, v8, v7
	v_fmac_f32_e32 v8, v9, v6
	v_fma_f32 v5, -v5, v8, v7
	v_div_fmas_f32 v5, v5, v6, v8
	v_div_fixup_f32 v1, v5, v3, v1
	v_bfe_u32 v3, v1, 16, 1
	v_add3_u32 v3, v1, v3, s0
	v_lshrrev_b32_e32 v3, 16, v3
	v_mov_b32_e32 v5, 0x7fc0
	v_cmp_o_f32_e32 vcc, v1, v1
	v_cndmask_b32_e32 v1, v5, v3, vcc
	v_lshlrev_b32_e32 v3, 16, v1
	s_mov_b32 s0, 0x800000
	v_mov_b32_e32 v5, 0x80
	v_cmp_ngt_f32_e32 vcc, s0, v3
	v_cndmask_b32_e32 v1, v5, v1, vcc
	v_lshlrev_b32_e32 v3, 16, v1
	s_mov_b32 s0, 0x3f7e0000
	v_mov_b32_e32 v5, 0x3f7e
	v_cmp_nlt_f32_e32 vcc, s0, v3
	v_cndmask_b32_e32 v1, v5, v1, vcc
	v_mov_b32_e32 v3, s9
	v_add_co_u32_e32 v4, vcc, s8, v4
	v_addc_co_u32_e32 v5, vcc, 0, v3, vcc
	v_mov_b32_e32 v3, 11
	v_cmp_lt_i16_sdwa s[0:1], s18, v3 src0_sel:BYTE_0 src1_sel:DWORD
	s_and_b64 vcc, exec, s[0:1]
	s_cbranch_vccnz .LBB56_2789
; %bb.2783:
	v_mov_b32_e32 v3, 25
	v_cmp_gt_i16_sdwa s[0:1], s18, v3 src0_sel:BYTE_0 src1_sel:DWORD
	s_mov_b64 s[10:11], -1
	s_mov_b64 s[2:3], 0
	s_and_b64 vcc, exec, s[0:1]
	s_mov_b64 s[6:7], 0
	s_mov_b64 s[0:1], 0
	s_cbranch_vccz .LBB56_2825
; %bb.2784:
	v_mov_b32_e32 v3, 28
	v_cmp_gt_i16_sdwa s[0:1], s18, v3 src0_sel:BYTE_0 src1_sel:DWORD
	s_and_b64 vcc, exec, s[0:1]
	s_cbranch_vccz .LBB56_2790
; %bb.2785:
	v_mov_b32_e32 v3, 43
	v_cmp_gt_i16_sdwa s[0:1], s18, v3 src0_sel:BYTE_0 src1_sel:DWORD
	s_and_b64 vcc, exec, s[0:1]
	;; [unrolled: 5-line block ×3, first 2 shown]
	s_cbranch_vccz .LBB56_2797
; %bb.2787:
	v_mov_b32_e32 v3, 46
	v_cmp_eq_u16_sdwa s[6:7], s18, v3 src0_sel:BYTE_0 src1_sel:DWORD
	s_mov_b64 s[0:1], -1
	s_mov_b64 s[10:11], 0
	s_and_b64 vcc, exec, s[6:7]
	s_mov_b64 s[6:7], 0
	s_cbranch_vccz .LBB56_2798
; %bb.2788:
	v_and_b32_e32 v3, 0xffff, v1
	global_store_dword v[4:5], v3, off
	s_mov_b64 s[0:1], 0
	s_mov_b64 s[6:7], -1
	s_branch .LBB56_2798
.LBB56_2789:
	s_mov_b64 s[0:1], -1
	s_mov_b64 s[6:7], 0
	s_branch .LBB56_2869
.LBB56_2790:
	s_mov_b64 s[0:1], 0
	s_branch .LBB56_2808
.LBB56_2791:
	s_or_saveexec_b64 s[16:17], s[16:17]
                                        ; implicit-def: $sgpr19
	s_xor_b64 exec, exec, s[16:17]
	s_cbranch_execz .LBB56_2692
.LBB56_2792:
	s_mov_b32 s19, 0x46000000
	v_add_f32_e64 v8, |v9|, s19
	v_and_b32_e32 v8, 0xff, v8
	v_cmp_ne_u32_e32 vcc, 0, v8
	s_andn2_b64 s[10:11], s[10:11], exec
	s_and_b64 s[20:21], vcc, exec
	s_mov_b32 s19, 0
	s_or_b64 s[10:11], s[10:11], s[20:21]
	s_or_b64 exec, exec, s[16:17]
	v_mov_b32_e32 v11, s19
	s_and_saveexec_b64 s[16:17], s[10:11]
	s_cbranch_execnz .LBB56_2693
	s_branch .LBB56_2694
.LBB56_2793:
	s_mov_b64 s[0:1], 0
	s_branch .LBB56_2804
.LBB56_2794:
	s_trap 2
	s_or_b64 s[4:5], s[4:5], exec
	s_cbranch_execz .LBB56_2740
	s_branch .LBB56_2741
.LBB56_2795:
	s_or_saveexec_b64 s[10:11], s[10:11]
                                        ; implicit-def: $sgpr16
	s_xor_b64 exec, exec, s[10:11]
	s_cbranch_execz .LBB56_2705
.LBB56_2796:
	s_mov_b32 s16, 0x42800000
	v_add_f32_e64 v8, |v9|, s16
	v_and_b32_e32 v8, 0xff, v8
	v_cmp_ne_u32_e32 vcc, 0, v8
	s_andn2_b64 s[6:7], s[6:7], exec
	s_and_b64 s[20:21], vcc, exec
	s_mov_b32 s16, 0
	s_or_b64 s[6:7], s[6:7], s[20:21]
	s_or_b64 exec, exec, s[10:11]
	v_mov_b32_e32 v11, s16
	s_and_saveexec_b64 s[10:11], s[6:7]
	s_cbranch_execnz .LBB56_2706
	s_branch .LBB56_2707
.LBB56_2797:
	s_mov_b64 s[0:1], 0
.LBB56_2798:
	s_and_b64 vcc, exec, s[10:11]
	s_cbranch_vccz .LBB56_2803
; %bb.2799:
	v_mov_b32_e32 v3, 44
	v_cmp_eq_u16_sdwa s[10:11], s18, v3 src0_sel:BYTE_0 src1_sel:DWORD
	s_mov_b64 s[0:1], -1
	s_and_b64 vcc, exec, s[10:11]
	s_cbranch_vccz .LBB56_2803
; %bb.2800:
	v_and_b32_e32 v6, 0xffff, v1
	v_bfe_u32 v3, v6, 7, 8
	s_movk_i32 s0, 0xff
	v_cmp_ne_u32_e32 vcc, s0, v3
	v_mov_b32_e32 v7, 0xff
	s_and_saveexec_b64 s[6:7], vcc
; %bb.2801:
	v_lshlrev_b32_e32 v8, 16, v6
	s_mov_b32 s0, 0x3f0000
	v_lshrrev_b32_e32 v7, 7, v6
	v_and_b32_e32 v6, 64, v6
	v_and_or_b32 v3, v8, s0, v3
	v_cmp_ne_u32_e32 vcc, 0, v6
	v_cmp_ne_u32_e64 s[0:1], 0, v3
	s_and_b64 s[0:1], vcc, s[0:1]
	v_cndmask_b32_e64 v3, 0, 1, s[0:1]
	v_add_u32_e32 v7, v7, v3
; %bb.2802:
	s_or_b64 exec, exec, s[6:7]
	s_mov_b64 s[0:1], 0
	s_mov_b64 s[6:7], -1
	global_store_byte v[4:5], v7, off
.LBB56_2803:
	s_mov_b64 s[10:11], 0
.LBB56_2804:
	s_and_b64 vcc, exec, s[10:11]
	s_cbranch_vccz .LBB56_2807
; %bb.2805:
	v_mov_b32_e32 v3, 29
	v_cmp_eq_u16_sdwa s[10:11], s18, v3 src0_sel:BYTE_0 src1_sel:DWORD
	s_mov_b64 s[0:1], -1
	s_and_b64 vcc, exec, s[10:11]
	s_cbranch_vccz .LBB56_2807
; %bb.2806:
	v_lshlrev_b32_e32 v3, 16, v1
	v_trunc_f32_e32 v3, v3
	v_mul_f32_e32 v6, 0x2f800000, v3
	v_floor_f32_e32 v6, v6
	v_fmac_f32_e32 v3, 0xcf800000, v6
	v_cvt_u32_f32_e32 v7, v6
	v_cvt_u32_f32_e32 v6, v3
	s_mov_b64 s[0:1], 0
	s_mov_b64 s[6:7], -1
	s_mov_b64 s[10:11], 0
	global_store_dwordx2 v[4:5], v[6:7], off
	s_branch .LBB56_2808
.LBB56_2807:
	s_mov_b64 s[10:11], 0
.LBB56_2808:
	s_and_b64 vcc, exec, s[10:11]
	s_cbranch_vccz .LBB56_2824
; %bb.2809:
	v_mov_b32_e32 v3, 27
	v_cmp_lt_i16_sdwa s[10:11], s18, v3 src0_sel:BYTE_0 src1_sel:DWORD
	s_mov_b64 s[6:7], -1
	s_and_b64 vcc, exec, s[10:11]
	s_cbranch_vccnz .LBB56_2815
; %bb.2810:
	v_cmp_gt_i16_sdwa s[10:11], s18, v3 src0_sel:BYTE_0 src1_sel:DWORD
	s_and_b64 vcc, exec, s[10:11]
	s_cbranch_vccz .LBB56_2812
; %bb.2811:
	v_lshlrev_b32_e32 v3, 16, v1
	v_cvt_u32_f32_e32 v3, v3
	s_mov_b64 s[6:7], 0
	global_store_dword v[4:5], v3, off
.LBB56_2812:
	s_andn2_b64 vcc, exec, s[6:7]
	s_cbranch_vccnz .LBB56_2814
; %bb.2813:
	v_lshlrev_b32_e32 v3, 16, v1
	v_cvt_u32_f32_e32 v3, v3
	global_store_short v[4:5], v3, off
.LBB56_2814:
	s_mov_b64 s[6:7], 0
.LBB56_2815:
	s_andn2_b64 vcc, exec, s[6:7]
	s_cbranch_vccnz .LBB56_2823
; %bb.2816:
	v_lshlrev_b32_e32 v7, 16, v1
	v_and_b32_e32 v6, 0x7fffffff, v7
	s_mov_b32 s6, 0x43800000
	v_cmp_gt_u32_e32 vcc, s6, v6
	v_mov_b32_e32 v8, 0x80
	s_and_saveexec_b64 s[6:7], vcc
	s_cbranch_execz .LBB56_2822
; %bb.2817:
	s_mov_b32 s10, 0x3bffffff
	v_and_b32_e32 v3, 0xffff, v1
	v_cmp_lt_u32_e32 vcc, s10, v6
	s_mov_b64 s[10:11], 0
                                        ; implicit-def: $vgpr6
	s_and_saveexec_b64 s[16:17], vcc
	s_xor_b64 s[16:17], exec, s[16:17]
	s_cbranch_execz .LBB56_2918
; %bb.2818:
	v_bfe_u32 v6, v3, 4, 1
	s_mov_b32 s19, 0x487ffff
	v_add3_u32 v6, v7, v6, s19
	s_mov_b64 s[10:11], exec
	v_lshrrev_b32_e32 v6, 20, v6
                                        ; implicit-def: $vgpr7
	s_or_saveexec_b64 s[16:17], s[16:17]
                                        ; implicit-def: $sgpr19
	s_xor_b64 exec, exec, s[16:17]
	s_cbranch_execnz .LBB56_2919
.LBB56_2819:
	s_or_b64 exec, exec, s[16:17]
	v_mov_b32_e32 v8, s19
	s_and_saveexec_b64 s[16:17], s[10:11]
.LBB56_2820:
	v_lshrrev_b32_e32 v3, 8, v3
	s_movk_i32 s10, 0x80
	v_and_or_b32 v8, v3, s10, v6
.LBB56_2821:
	s_or_b64 exec, exec, s[16:17]
.LBB56_2822:
	s_or_b64 exec, exec, s[6:7]
	global_store_byte v[4:5], v8, off
.LBB56_2823:
	s_mov_b64 s[6:7], -1
.LBB56_2824:
	s_mov_b64 s[10:11], 0
.LBB56_2825:
	s_and_b64 vcc, exec, s[10:11]
	s_cbranch_vccz .LBB56_2865
; %bb.2826:
	v_mov_b32_e32 v3, 22
	v_cmp_gt_i16_sdwa s[10:11], s18, v3 src0_sel:BYTE_0 src1_sel:DWORD
	s_mov_b64 s[2:3], -1
	s_and_b64 vcc, exec, s[10:11]
	s_cbranch_vccz .LBB56_2858
; %bb.2827:
	v_mov_b32_e32 v3, 24
	v_cmp_lt_i16_sdwa s[6:7], s18, v3 src0_sel:BYTE_0 src1_sel:DWORD
	s_and_b64 vcc, exec, s[6:7]
	s_cbranch_vccnz .LBB56_2847
; %bb.2828:
	v_cmp_gt_i16_sdwa s[6:7], s18, v3 src0_sel:BYTE_0 src1_sel:DWORD
	s_and_b64 vcc, exec, s[6:7]
	s_cbranch_vccz .LBB56_2836
; %bb.2829:
	v_lshlrev_b32_e32 v7, 16, v1
	v_and_b32_e32 v6, 0x7fffffff, v7
	s_mov_b32 s2, 0x47800000
	v_cmp_gt_u32_e32 vcc, s2, v6
	v_mov_b32_e32 v8, 0x80
	s_and_saveexec_b64 s[2:3], vcc
	s_cbranch_execz .LBB56_2835
; %bb.2830:
	s_mov_b32 s6, 0x37ffffff
	v_and_b32_e32 v3, 0xffff, v1
	v_cmp_lt_u32_e32 vcc, s6, v6
	s_mov_b64 s[6:7], 0
                                        ; implicit-def: $vgpr6
	s_and_saveexec_b64 s[10:11], vcc
	s_xor_b64 s[10:11], exec, s[10:11]
	s_cbranch_execz .LBB56_2922
; %bb.2831:
	v_bfe_u32 v6, v3, 5, 1
	s_mov_b32 s16, 0x88fffff
	v_add3_u32 v6, v7, v6, s16
	s_mov_b64 s[6:7], exec
	v_lshrrev_b32_e32 v6, 21, v6
                                        ; implicit-def: $vgpr7
	s_or_saveexec_b64 s[10:11], s[10:11]
                                        ; implicit-def: $sgpr16
	s_xor_b64 exec, exec, s[10:11]
	s_cbranch_execnz .LBB56_2923
.LBB56_2832:
	s_or_b64 exec, exec, s[10:11]
	v_mov_b32_e32 v8, s16
	s_and_saveexec_b64 s[10:11], s[6:7]
.LBB56_2833:
	v_lshrrev_b32_e32 v3, 8, v3
	s_movk_i32 s6, 0x80
	v_and_or_b32 v8, v3, s6, v6
.LBB56_2834:
	s_or_b64 exec, exec, s[10:11]
.LBB56_2835:
	s_or_b64 exec, exec, s[2:3]
	s_mov_b64 s[2:3], 0
	global_store_byte v[4:5], v8, off
.LBB56_2836:
	s_and_b64 vcc, exec, s[2:3]
	s_cbranch_vccz .LBB56_2846
; %bb.2837:
	v_lshlrev_b32_e32 v7, 16, v1
	v_and_b32_e32 v8, 0x7fffffff, v7
	s_mov_b32 s2, 0x43f00000
	v_and_b32_e32 v3, 0xffff, v1
	v_cmp_gt_u32_e32 vcc, s2, v8
                                        ; implicit-def: $vgpr6
	s_and_saveexec_b64 s[2:3], vcc
	s_xor_b64 s[2:3], exec, s[2:3]
	s_cbranch_execz .LBB56_2843
; %bb.2838:
	s_mov_b32 s6, 0x3c7fffff
	v_cmp_lt_u32_e32 vcc, s6, v8
                                        ; implicit-def: $vgpr6
	s_and_saveexec_b64 s[6:7], vcc
	s_xor_b64 s[6:7], exec, s[6:7]
; %bb.2839:
	v_bfe_u32 v6, v3, 4, 1
	s_mov_b32 s10, 0x407ffff
	v_add3_u32 v6, v7, v6, s10
	v_lshrrev_b32_e32 v7, 20, v6
	v_and_b32_e32 v6, 0xff00000, v6
	s_mov_b32 s10, 0x7f00000
	v_mov_b32_e32 v8, 0x7e
	v_cmp_ne_u32_e32 vcc, s10, v6
	v_cndmask_b32_e32 v6, v8, v7, vcc
                                        ; implicit-def: $vgpr7
; %bb.2840:
	s_andn2_saveexec_b64 s[6:7], s[6:7]
; %bb.2841:
	s_mov_b32 s10, 0x46800000
	v_add_f32_e64 v6, |v7|, s10
; %bb.2842:
	s_or_b64 exec, exec, s[6:7]
                                        ; implicit-def: $vgpr8
.LBB56_2843:
	s_andn2_saveexec_b64 s[2:3], s[2:3]
; %bb.2844:
	s_mov_b32 s6, 0x7f800000
	v_mov_b32_e32 v6, 0x7e
	v_mov_b32_e32 v7, 0x7f
	v_cmp_lt_u32_e32 vcc, s6, v8
	v_cndmask_b32_e32 v6, v6, v7, vcc
; %bb.2845:
	s_or_b64 exec, exec, s[2:3]
	v_lshrrev_b32_e32 v3, 8, v3
	s_movk_i32 s2, 0x80
	v_and_or_b32 v3, v3, s2, v6
	global_store_byte v[4:5], v3, off
.LBB56_2846:
	s_mov_b64 s[2:3], 0
.LBB56_2847:
	s_andn2_b64 vcc, exec, s[2:3]
	s_cbranch_vccnz .LBB56_2857
; %bb.2848:
	v_lshlrev_b32_e32 v7, 16, v1
	v_and_b32_e32 v8, 0x7fffffff, v7
	s_mov_b32 s2, 0x47800000
	v_and_b32_e32 v3, 0xffff, v1
	v_cmp_gt_u32_e32 vcc, s2, v8
                                        ; implicit-def: $vgpr6
	s_and_saveexec_b64 s[2:3], vcc
	s_xor_b64 s[2:3], exec, s[2:3]
	s_cbranch_execz .LBB56_2854
; %bb.2849:
	s_mov_b32 s6, 0x387fffff
	v_cmp_lt_u32_e32 vcc, s6, v8
                                        ; implicit-def: $vgpr6
	s_and_saveexec_b64 s[6:7], vcc
	s_xor_b64 s[6:7], exec, s[6:7]
; %bb.2850:
	v_bfe_u32 v6, v3, 5, 1
	s_mov_b32 s10, 0x80fffff
	v_add3_u32 v6, v7, v6, s10
	v_lshrrev_b32_e32 v6, 21, v6
                                        ; implicit-def: $vgpr7
; %bb.2851:
	s_andn2_saveexec_b64 s[6:7], s[6:7]
; %bb.2852:
	s_mov_b32 s10, 0x43000000
	v_add_f32_e64 v6, |v7|, s10
; %bb.2853:
	s_or_b64 exec, exec, s[6:7]
                                        ; implicit-def: $vgpr8
.LBB56_2854:
	s_andn2_saveexec_b64 s[2:3], s[2:3]
; %bb.2855:
	s_mov_b32 s6, 0x7f800000
	v_mov_b32_e32 v6, 0x7c
	v_mov_b32_e32 v7, 0x7f
	v_cmp_lt_u32_e32 vcc, s6, v8
	v_cndmask_b32_e32 v6, v6, v7, vcc
; %bb.2856:
	s_or_b64 exec, exec, s[2:3]
	v_lshrrev_b32_e32 v3, 8, v3
	s_movk_i32 s2, 0x80
	v_and_or_b32 v3, v3, s2, v6
	global_store_byte v[4:5], v3, off
.LBB56_2857:
	s_mov_b64 s[2:3], 0
	s_mov_b64 s[6:7], -1
.LBB56_2858:
	s_andn2_b64 vcc, exec, s[2:3]
	s_mov_b64 s[2:3], 0
	s_cbranch_vccnz .LBB56_2865
; %bb.2859:
	v_mov_b32_e32 v3, 14
	v_cmp_gt_i16_sdwa s[2:3], s18, v3 src0_sel:BYTE_0 src1_sel:DWORD
	s_mov_b64 s[10:11], -1
	s_and_b64 vcc, exec, s[2:3]
	s_cbranch_vccz .LBB56_2863
; %bb.2860:
	v_mov_b32_e32 v3, 15
	v_cmp_eq_u16_sdwa s[2:3], s18, v3 src0_sel:BYTE_0 src1_sel:DWORD
	s_mov_b64 s[0:1], -1
	s_and_b64 vcc, exec, s[2:3]
	s_cbranch_vccz .LBB56_2862
; %bb.2861:
	global_store_short v[4:5], v1, off
	s_mov_b64 s[0:1], 0
	s_mov_b64 s[6:7], -1
.LBB56_2862:
	s_mov_b64 s[10:11], 0
.LBB56_2863:
	s_mov_b64 s[2:3], 0
	s_and_b64 vcc, exec, s[10:11]
	s_cbranch_vccz .LBB56_2865
; %bb.2864:
	v_mov_b32_e32 v3, 11
	v_cmp_ne_u16_sdwa s[0:1], s18, v3 src0_sel:BYTE_0 src1_sel:DWORD
	s_mov_b64 s[2:3], -1
.LBB56_2865:
	s_and_b64 vcc, exec, s[0:1]
	s_cbranch_vccnz .LBB56_2921
; %bb.2866:
	s_andn2_b64 vcc, exec, s[2:3]
	s_cbranch_vccnz .LBB56_2868
.LBB56_2867:
	v_and_b32_e32 v3, 0x7fff, v1
	v_cmp_ne_u16_e32 vcc, 0, v3
	v_cndmask_b32_e64 v3, 0, 1, vcc
	s_mov_b64 s[6:7], -1
	global_store_byte v[4:5], v3, off
.LBB56_2868:
	s_mov_b64 s[0:1], 0
.LBB56_2869:
	s_and_b64 vcc, exec, s[0:1]
	s_cbranch_vccz .LBB56_2908
; %bb.2870:
	v_mov_b32_e32 v3, 5
	v_cmp_lt_i16_sdwa s[2:3], s18, v3 src0_sel:BYTE_0 src1_sel:DWORD
	s_mov_b64 s[0:1], -1
	s_and_b64 vcc, exec, s[2:3]
	s_cbranch_vccnz .LBB56_2891
; %bb.2871:
	v_mov_b32_e32 v3, 8
	v_cmp_lt_i16_sdwa s[2:3], s18, v3 src0_sel:BYTE_0 src1_sel:DWORD
	s_and_b64 vcc, exec, s[2:3]
	s_cbranch_vccnz .LBB56_2881
; %bb.2872:
	v_mov_b32_e32 v3, 9
	v_cmp_lt_i16_sdwa s[2:3], s18, v3 src0_sel:BYTE_0 src1_sel:DWORD
	s_and_b64 vcc, exec, s[2:3]
	s_cbranch_vccnz .LBB56_2878
; %bb.2873:
	v_cmp_gt_i16_sdwa s[2:3], s18, v3 src0_sel:BYTE_0 src1_sel:DWORD
	s_and_b64 vcc, exec, s[2:3]
	s_cbranch_vccz .LBB56_2875
; %bb.2874:
	v_lshlrev_b32_e32 v3, 16, v1
	v_mov_b32_e32 v8, 0
	v_cvt_f64_f32_e32 v[6:7], v3
	v_mov_b32_e32 v9, v8
	global_store_dwordx4 v[4:5], v[6:9], off
	s_mov_b64 s[0:1], 0
.LBB56_2875:
	s_andn2_b64 vcc, exec, s[0:1]
	s_cbranch_vccnz .LBB56_2877
; %bb.2876:
	v_lshlrev_b32_e32 v6, 16, v1
	v_mov_b32_e32 v7, 0
	global_store_dwordx2 v[4:5], v[6:7], off
.LBB56_2877:
	s_mov_b64 s[0:1], 0
.LBB56_2878:
	s_andn2_b64 vcc, exec, s[0:1]
	s_cbranch_vccnz .LBB56_2880
; %bb.2879:
	v_lshlrev_b32_e32 v3, 16, v1
	v_cvt_f16_f32_e32 v3, v3
	global_store_dword v[4:5], v3, off
.LBB56_2880:
	s_mov_b64 s[0:1], 0
.LBB56_2881:
	s_andn2_b64 vcc, exec, s[0:1]
	s_cbranch_vccnz .LBB56_2890
; %bb.2882:
	v_mov_b32_e32 v3, 6
	v_cmp_lt_i16_sdwa s[2:3], s18, v3 src0_sel:BYTE_0 src1_sel:DWORD
	s_mov_b64 s[0:1], -1
	s_and_b64 vcc, exec, s[2:3]
	s_cbranch_vccnz .LBB56_2888
; %bb.2883:
	v_cmp_gt_i16_sdwa s[2:3], s18, v3 src0_sel:BYTE_0 src1_sel:DWORD
	s_and_b64 vcc, exec, s[2:3]
	s_cbranch_vccz .LBB56_2885
; %bb.2884:
	v_lshlrev_b32_e32 v3, 16, v1
	v_cvt_f64_f32_e32 v[6:7], v3
	global_store_dwordx2 v[4:5], v[6:7], off
	s_mov_b64 s[0:1], 0
.LBB56_2885:
	s_andn2_b64 vcc, exec, s[0:1]
	s_cbranch_vccnz .LBB56_2887
; %bb.2886:
	v_lshlrev_b32_e32 v3, 16, v1
	global_store_dword v[4:5], v3, off
.LBB56_2887:
	s_mov_b64 s[0:1], 0
.LBB56_2888:
	s_andn2_b64 vcc, exec, s[0:1]
	s_cbranch_vccnz .LBB56_2890
; %bb.2889:
	v_lshlrev_b32_e32 v3, 16, v1
	v_cvt_f16_f32_e32 v3, v3
	global_store_short v[4:5], v3, off
.LBB56_2890:
	s_mov_b64 s[0:1], 0
.LBB56_2891:
	s_andn2_b64 vcc, exec, s[0:1]
	s_cbranch_vccnz .LBB56_2907
; %bb.2892:
	v_mov_b32_e32 v3, 2
	v_cmp_lt_i16_sdwa s[2:3], s18, v3 src0_sel:BYTE_0 src1_sel:DWORD
	s_mov_b64 s[0:1], -1
	s_and_b64 vcc, exec, s[2:3]
	s_cbranch_vccnz .LBB56_2902
; %bb.2893:
	v_mov_b32_e32 v3, 3
	v_cmp_lt_i16_sdwa s[2:3], s18, v3 src0_sel:BYTE_0 src1_sel:DWORD
	s_and_b64 vcc, exec, s[2:3]
	s_cbranch_vccnz .LBB56_2899
; %bb.2894:
	v_cmp_gt_i16_sdwa s[2:3], s18, v3 src0_sel:BYTE_0 src1_sel:DWORD
	s_and_b64 vcc, exec, s[2:3]
	s_cbranch_vccz .LBB56_2896
; %bb.2895:
	v_lshlrev_b32_e32 v3, 16, v1
	v_trunc_f32_e32 v3, v3
	s_mov_b32 s0, 0x2f800000
	v_mul_f32_e64 v6, |v3|, s0
	v_floor_f32_e32 v6, v6
	s_mov_b32 s0, 0xcf800000
	v_cvt_u32_f32_e32 v7, v6
	v_fma_f32 v6, v6, s0, |v3|
	v_cvt_u32_f32_e32 v6, v6
	v_ashrrev_i32_e32 v3, 31, v3
	v_xor_b32_e32 v7, v7, v3
	s_mov_b64 s[0:1], 0
	v_xor_b32_e32 v6, v6, v3
	v_sub_co_u32_e32 v6, vcc, v6, v3
	v_subb_co_u32_e32 v7, vcc, v7, v3, vcc
	global_store_dwordx2 v[4:5], v[6:7], off
.LBB56_2896:
	s_andn2_b64 vcc, exec, s[0:1]
	s_cbranch_vccnz .LBB56_2898
; %bb.2897:
	v_lshlrev_b32_e32 v3, 16, v1
	v_cvt_i32_f32_e32 v3, v3
	global_store_dword v[4:5], v3, off
.LBB56_2898:
	s_mov_b64 s[0:1], 0
.LBB56_2899:
	s_andn2_b64 vcc, exec, s[0:1]
	s_cbranch_vccnz .LBB56_2901
; %bb.2900:
	v_lshlrev_b32_e32 v3, 16, v1
	v_cvt_i32_f32_e32 v3, v3
	global_store_short v[4:5], v3, off
.LBB56_2901:
	s_mov_b64 s[0:1], 0
.LBB56_2902:
	s_andn2_b64 vcc, exec, s[0:1]
	s_cbranch_vccnz .LBB56_2907
; %bb.2903:
	v_mov_b32_e32 v3, 0
	v_cmp_gt_i16_sdwa s[2:3], s18, v3 src0_sel:BYTE_0 src1_sel:DWORD
	s_mov_b64 s[0:1], -1
	s_and_b64 vcc, exec, s[2:3]
	v_lshlrev_b32_e32 v1, 16, v1
	s_cbranch_vccz .LBB56_2905
; %bb.2904:
	v_cvt_i32_f32_e32 v3, v1
	s_mov_b64 s[0:1], 0
	global_store_byte v[4:5], v3, off
.LBB56_2905:
	s_andn2_b64 vcc, exec, s[0:1]
	s_cbranch_vccnz .LBB56_2907
; %bb.2906:
	v_trunc_f32_e32 v1, v1
	s_mov_b32 s0, 0x2f800000
	v_mul_f32_e64 v3, |v1|, s0
	v_floor_f32_e32 v3, v3
	s_mov_b32 s0, 0xcf800000
	v_fma_f32 v3, v3, s0, |v1|
	v_cvt_u32_f32_e32 v3, v3
	v_ashrrev_i32_e32 v1, 31, v1
	v_xor_b32_e32 v3, v3, v1
	v_sub_u32_e32 v1, v3, v1
	global_store_byte v[4:5], v1, off
.LBB56_2907:
	s_mov_b64 s[6:7], -1
.LBB56_2908:
	s_andn2_b64 vcc, exec, s[6:7]
	s_cbranch_vccnz .LBB56_3112
; %bb.2909:
	v_lshlrev_b32_e32 v1, 16, v16
	v_lshlrev_b32_e32 v3, 16, v14
	v_div_scale_f32 v4, s[0:1], v3, v3, v1
	v_rcp_f32_e32 v5, v4
	s_movk_i32 s0, 0x7fff
	v_fma_f32 v6, -v4, v5, 1.0
	v_fmac_f32_e32 v5, v6, v5
	v_div_scale_f32 v6, vcc, v1, v3, v1
	v_mul_f32_e32 v7, v6, v5
	v_fma_f32 v8, -v4, v7, v6
	v_fmac_f32_e32 v7, v8, v5
	v_fma_f32 v4, -v4, v7, v6
	v_div_fmas_f32 v4, v4, v5, v7
	v_div_fixup_f32 v1, v4, v3, v1
	v_bfe_u32 v3, v1, 16, 1
	v_add3_u32 v3, v1, v3, s0
	v_lshrrev_b32_e32 v3, 16, v3
	v_mov_b32_e32 v4, 0x7fc0
	v_cmp_o_f32_e32 vcc, v1, v1
	v_cndmask_b32_e32 v1, v4, v3, vcc
	v_lshlrev_b32_e32 v3, 16, v1
	s_mov_b32 s0, 0x800000
	v_mov_b32_e32 v4, 0x80
	v_cmp_ngt_f32_e32 vcc, s0, v3
	v_cndmask_b32_e32 v1, v4, v1, vcc
	v_lshlrev_b32_e32 v3, 16, v1
	s_mov_b32 s0, 0x3f7e0000
	v_mov_b32_e32 v4, 0x3f7e
	v_cmp_nlt_f32_e32 vcc, s0, v3
	v_cndmask_b32_e32 v1, v4, v1, vcc
	v_mov_b32_e32 v3, s9
	v_add_co_u32_e32 v2, vcc, s8, v2
	v_mov_b32_e32 v4, 11
	v_addc_co_u32_e32 v3, vcc, 0, v3, vcc
	v_cmp_lt_i16_sdwa s[0:1], s18, v4 src0_sel:BYTE_0 src1_sel:DWORD
	s_and_b64 vcc, exec, s[0:1]
	s_cbranch_vccnz .LBB56_2916
; %bb.2910:
	v_mov_b32_e32 v4, 25
	v_cmp_gt_i16_sdwa s[0:1], s18, v4 src0_sel:BYTE_0 src1_sel:DWORD
	s_mov_b64 s[10:11], -1
	s_mov_b64 s[2:3], 0
	s_and_b64 vcc, exec, s[0:1]
	s_mov_b64 s[6:7], 0
	s_mov_b64 s[0:1], 0
	s_cbranch_vccz .LBB56_2952
; %bb.2911:
	v_mov_b32_e32 v4, 28
	v_cmp_gt_i16_sdwa s[0:1], s18, v4 src0_sel:BYTE_0 src1_sel:DWORD
	s_and_b64 vcc, exec, s[0:1]
	s_cbranch_vccz .LBB56_2917
; %bb.2912:
	v_mov_b32_e32 v4, 43
	v_cmp_gt_i16_sdwa s[0:1], s18, v4 src0_sel:BYTE_0 src1_sel:DWORD
	s_and_b64 vcc, exec, s[0:1]
	s_cbranch_vccz .LBB56_2920
; %bb.2913:
	v_mov_b32_e32 v4, 45
	v_cmp_gt_i16_sdwa s[0:1], s18, v4 src0_sel:BYTE_0 src1_sel:DWORD
	s_and_b64 vcc, exec, s[0:1]
	s_cbranch_vccz .LBB56_2924
; %bb.2914:
	v_mov_b32_e32 v4, 46
	v_cmp_eq_u16_sdwa s[6:7], s18, v4 src0_sel:BYTE_0 src1_sel:DWORD
	s_mov_b64 s[0:1], -1
	s_mov_b64 s[10:11], 0
	s_and_b64 vcc, exec, s[6:7]
	s_mov_b64 s[6:7], 0
	s_cbranch_vccz .LBB56_2925
; %bb.2915:
	v_and_b32_e32 v4, 0xffff, v1
	global_store_dword v[2:3], v4, off
	s_mov_b64 s[0:1], 0
	s_mov_b64 s[6:7], -1
	s_branch .LBB56_2925
.LBB56_2916:
	s_mov_b64 s[0:1], -1
	s_mov_b64 s[6:7], 0
	s_branch .LBB56_2996
.LBB56_2917:
	s_mov_b64 s[0:1], 0
	s_branch .LBB56_2935
.LBB56_2918:
	s_or_saveexec_b64 s[16:17], s[16:17]
                                        ; implicit-def: $sgpr19
	s_xor_b64 exec, exec, s[16:17]
	s_cbranch_execz .LBB56_2819
.LBB56_2919:
	s_mov_b32 s19, 0x46000000
	v_add_f32_e64 v6, |v7|, s19
	v_and_b32_e32 v6, 0xff, v6
	v_cmp_ne_u32_e32 vcc, 0, v6
	s_andn2_b64 s[10:11], s[10:11], exec
	s_and_b64 s[20:21], vcc, exec
	s_mov_b32 s19, 0
	s_or_b64 s[10:11], s[10:11], s[20:21]
	s_or_b64 exec, exec, s[16:17]
	v_mov_b32_e32 v8, s19
	s_and_saveexec_b64 s[16:17], s[10:11]
	s_cbranch_execnz .LBB56_2820
	s_branch .LBB56_2821
.LBB56_2920:
	s_mov_b64 s[0:1], 0
	s_branch .LBB56_2931
.LBB56_2921:
	s_trap 2
	s_or_b64 s[4:5], s[4:5], exec
	s_cbranch_execz .LBB56_2867
	s_branch .LBB56_2868
.LBB56_2922:
	s_or_saveexec_b64 s[10:11], s[10:11]
                                        ; implicit-def: $sgpr16
	s_xor_b64 exec, exec, s[10:11]
	s_cbranch_execz .LBB56_2832
.LBB56_2923:
	s_mov_b32 s16, 0x42800000
	v_add_f32_e64 v6, |v7|, s16
	v_and_b32_e32 v6, 0xff, v6
	v_cmp_ne_u32_e32 vcc, 0, v6
	s_andn2_b64 s[6:7], s[6:7], exec
	s_and_b64 s[20:21], vcc, exec
	s_mov_b32 s16, 0
	s_or_b64 s[6:7], s[6:7], s[20:21]
	s_or_b64 exec, exec, s[10:11]
	v_mov_b32_e32 v8, s16
	s_and_saveexec_b64 s[10:11], s[6:7]
	s_cbranch_execnz .LBB56_2833
	s_branch .LBB56_2834
.LBB56_2924:
	s_mov_b64 s[0:1], 0
.LBB56_2925:
	s_and_b64 vcc, exec, s[10:11]
	s_cbranch_vccz .LBB56_2930
; %bb.2926:
	v_mov_b32_e32 v4, 44
	v_cmp_eq_u16_sdwa s[10:11], s18, v4 src0_sel:BYTE_0 src1_sel:DWORD
	s_mov_b64 s[0:1], -1
	s_and_b64 vcc, exec, s[10:11]
	s_cbranch_vccz .LBB56_2930
; %bb.2927:
	v_and_b32_e32 v5, 0xffff, v1
	v_bfe_u32 v4, v5, 7, 8
	s_movk_i32 s0, 0xff
	v_cmp_ne_u32_e32 vcc, s0, v4
	v_mov_b32_e32 v6, 0xff
	s_and_saveexec_b64 s[6:7], vcc
; %bb.2928:
	v_lshlrev_b32_e32 v7, 16, v5
	s_mov_b32 s0, 0x3f0000
	v_lshrrev_b32_e32 v6, 7, v5
	v_and_b32_e32 v5, 64, v5
	v_and_or_b32 v4, v7, s0, v4
	v_cmp_ne_u32_e32 vcc, 0, v5
	v_cmp_ne_u32_e64 s[0:1], 0, v4
	s_and_b64 s[0:1], vcc, s[0:1]
	v_cndmask_b32_e64 v4, 0, 1, s[0:1]
	v_add_u32_e32 v6, v6, v4
; %bb.2929:
	s_or_b64 exec, exec, s[6:7]
	s_mov_b64 s[0:1], 0
	s_mov_b64 s[6:7], -1
	global_store_byte v[2:3], v6, off
.LBB56_2930:
	s_mov_b64 s[10:11], 0
.LBB56_2931:
	s_and_b64 vcc, exec, s[10:11]
	s_cbranch_vccz .LBB56_2934
; %bb.2932:
	v_mov_b32_e32 v4, 29
	v_cmp_eq_u16_sdwa s[10:11], s18, v4 src0_sel:BYTE_0 src1_sel:DWORD
	s_mov_b64 s[0:1], -1
	s_and_b64 vcc, exec, s[10:11]
	s_cbranch_vccz .LBB56_2934
; %bb.2933:
	v_lshlrev_b32_e32 v4, 16, v1
	v_trunc_f32_e32 v4, v4
	v_mul_f32_e32 v5, 0x2f800000, v4
	v_floor_f32_e32 v6, v5
	v_fmac_f32_e32 v4, 0xcf800000, v6
	v_cvt_u32_f32_e32 v5, v6
	v_cvt_u32_f32_e32 v4, v4
	s_mov_b64 s[0:1], 0
	s_mov_b64 s[6:7], -1
	s_mov_b64 s[10:11], 0
	global_store_dwordx2 v[2:3], v[4:5], off
	s_branch .LBB56_2935
.LBB56_2934:
	s_mov_b64 s[10:11], 0
.LBB56_2935:
	s_and_b64 vcc, exec, s[10:11]
	s_cbranch_vccz .LBB56_2951
; %bb.2936:
	v_mov_b32_e32 v4, 27
	v_cmp_lt_i16_sdwa s[10:11], s18, v4 src0_sel:BYTE_0 src1_sel:DWORD
	s_mov_b64 s[6:7], -1
	s_and_b64 vcc, exec, s[10:11]
	s_cbranch_vccnz .LBB56_2942
; %bb.2937:
	v_cmp_gt_i16_sdwa s[10:11], s18, v4 src0_sel:BYTE_0 src1_sel:DWORD
	s_and_b64 vcc, exec, s[10:11]
	s_cbranch_vccz .LBB56_2939
; %bb.2938:
	v_lshlrev_b32_e32 v4, 16, v1
	v_cvt_u32_f32_e32 v4, v4
	s_mov_b64 s[6:7], 0
	global_store_dword v[2:3], v4, off
.LBB56_2939:
	s_andn2_b64 vcc, exec, s[6:7]
	s_cbranch_vccnz .LBB56_2941
; %bb.2940:
	v_lshlrev_b32_e32 v4, 16, v1
	v_cvt_u32_f32_e32 v4, v4
	global_store_short v[2:3], v4, off
.LBB56_2941:
	s_mov_b64 s[6:7], 0
.LBB56_2942:
	s_andn2_b64 vcc, exec, s[6:7]
	s_cbranch_vccnz .LBB56_2950
; %bb.2943:
	v_lshlrev_b32_e32 v6, 16, v1
	v_and_b32_e32 v5, 0x7fffffff, v6
	s_mov_b32 s6, 0x43800000
	v_cmp_gt_u32_e32 vcc, s6, v5
	v_mov_b32_e32 v7, 0x80
	s_and_saveexec_b64 s[6:7], vcc
	s_cbranch_execz .LBB56_2949
; %bb.2944:
	s_mov_b32 s10, 0x3bffffff
	v_and_b32_e32 v4, 0xffff, v1
	v_cmp_lt_u32_e32 vcc, s10, v5
	s_mov_b64 s[10:11], 0
                                        ; implicit-def: $vgpr5
	s_and_saveexec_b64 s[16:17], vcc
	s_xor_b64 s[16:17], exec, s[16:17]
	s_cbranch_execz .LBB56_3158
; %bb.2945:
	v_bfe_u32 v5, v4, 4, 1
	s_mov_b32 s19, 0x487ffff
	v_add3_u32 v5, v6, v5, s19
	s_mov_b64 s[10:11], exec
	v_lshrrev_b32_e32 v5, 20, v5
                                        ; implicit-def: $vgpr6
	s_or_saveexec_b64 s[16:17], s[16:17]
                                        ; implicit-def: $sgpr19
	s_xor_b64 exec, exec, s[16:17]
	s_cbranch_execnz .LBB56_3159
.LBB56_2946:
	s_or_b64 exec, exec, s[16:17]
	v_mov_b32_e32 v7, s19
	s_and_saveexec_b64 s[16:17], s[10:11]
.LBB56_2947:
	v_lshrrev_b32_e32 v4, 8, v4
	s_movk_i32 s10, 0x80
	v_and_or_b32 v7, v4, s10, v5
.LBB56_2948:
	s_or_b64 exec, exec, s[16:17]
.LBB56_2949:
	s_or_b64 exec, exec, s[6:7]
	global_store_byte v[2:3], v7, off
.LBB56_2950:
	s_mov_b64 s[6:7], -1
.LBB56_2951:
	s_mov_b64 s[10:11], 0
.LBB56_2952:
	s_and_b64 vcc, exec, s[10:11]
	s_cbranch_vccz .LBB56_2992
; %bb.2953:
	v_mov_b32_e32 v4, 22
	v_cmp_gt_i16_sdwa s[10:11], s18, v4 src0_sel:BYTE_0 src1_sel:DWORD
	s_mov_b64 s[2:3], -1
	s_and_b64 vcc, exec, s[10:11]
	s_cbranch_vccz .LBB56_2985
; %bb.2954:
	v_mov_b32_e32 v4, 24
	v_cmp_lt_i16_sdwa s[6:7], s18, v4 src0_sel:BYTE_0 src1_sel:DWORD
	s_and_b64 vcc, exec, s[6:7]
	s_cbranch_vccnz .LBB56_2974
; %bb.2955:
	v_cmp_gt_i16_sdwa s[6:7], s18, v4 src0_sel:BYTE_0 src1_sel:DWORD
	s_and_b64 vcc, exec, s[6:7]
	s_cbranch_vccz .LBB56_2963
; %bb.2956:
	v_lshlrev_b32_e32 v6, 16, v1
	v_and_b32_e32 v5, 0x7fffffff, v6
	s_mov_b32 s2, 0x47800000
	v_cmp_gt_u32_e32 vcc, s2, v5
	v_mov_b32_e32 v7, 0x80
	s_and_saveexec_b64 s[2:3], vcc
	s_cbranch_execz .LBB56_2962
; %bb.2957:
	s_mov_b32 s6, 0x37ffffff
	v_and_b32_e32 v4, 0xffff, v1
	v_cmp_lt_u32_e32 vcc, s6, v5
	s_mov_b64 s[6:7], 0
                                        ; implicit-def: $vgpr5
	s_and_saveexec_b64 s[10:11], vcc
	s_xor_b64 s[10:11], exec, s[10:11]
	s_cbranch_execz .LBB56_3161
; %bb.2958:
	v_bfe_u32 v5, v4, 5, 1
	s_mov_b32 s16, 0x88fffff
	v_add3_u32 v5, v6, v5, s16
	s_mov_b64 s[6:7], exec
	v_lshrrev_b32_e32 v5, 21, v5
                                        ; implicit-def: $vgpr6
	s_or_saveexec_b64 s[10:11], s[10:11]
                                        ; implicit-def: $sgpr16
	s_xor_b64 exec, exec, s[10:11]
	s_cbranch_execnz .LBB56_3162
.LBB56_2959:
	s_or_b64 exec, exec, s[10:11]
	v_mov_b32_e32 v7, s16
	s_and_saveexec_b64 s[10:11], s[6:7]
.LBB56_2960:
	v_lshrrev_b32_e32 v4, 8, v4
	s_movk_i32 s6, 0x80
	v_and_or_b32 v7, v4, s6, v5
.LBB56_2961:
	s_or_b64 exec, exec, s[10:11]
.LBB56_2962:
	s_or_b64 exec, exec, s[2:3]
	s_mov_b64 s[2:3], 0
	global_store_byte v[2:3], v7, off
.LBB56_2963:
	s_and_b64 vcc, exec, s[2:3]
	s_cbranch_vccz .LBB56_2973
; %bb.2964:
	v_lshlrev_b32_e32 v6, 16, v1
	v_and_b32_e32 v7, 0x7fffffff, v6
	s_mov_b32 s2, 0x43f00000
	v_and_b32_e32 v4, 0xffff, v1
	v_cmp_gt_u32_e32 vcc, s2, v7
                                        ; implicit-def: $vgpr5
	s_and_saveexec_b64 s[2:3], vcc
	s_xor_b64 s[2:3], exec, s[2:3]
	s_cbranch_execz .LBB56_2970
; %bb.2965:
	s_mov_b32 s6, 0x3c7fffff
	v_cmp_lt_u32_e32 vcc, s6, v7
                                        ; implicit-def: $vgpr5
	s_and_saveexec_b64 s[6:7], vcc
	s_xor_b64 s[6:7], exec, s[6:7]
; %bb.2966:
	v_bfe_u32 v5, v4, 4, 1
	s_mov_b32 s10, 0x407ffff
	v_add3_u32 v5, v6, v5, s10
	v_lshrrev_b32_e32 v6, 20, v5
	v_and_b32_e32 v5, 0xff00000, v5
	s_mov_b32 s10, 0x7f00000
	v_mov_b32_e32 v7, 0x7e
	v_cmp_ne_u32_e32 vcc, s10, v5
	v_cndmask_b32_e32 v5, v7, v6, vcc
                                        ; implicit-def: $vgpr6
; %bb.2967:
	s_andn2_saveexec_b64 s[6:7], s[6:7]
; %bb.2968:
	s_mov_b32 s10, 0x46800000
	v_add_f32_e64 v5, |v6|, s10
; %bb.2969:
	s_or_b64 exec, exec, s[6:7]
                                        ; implicit-def: $vgpr7
.LBB56_2970:
	s_andn2_saveexec_b64 s[2:3], s[2:3]
; %bb.2971:
	s_mov_b32 s6, 0x7f800000
	v_mov_b32_e32 v5, 0x7e
	v_mov_b32_e32 v6, 0x7f
	v_cmp_lt_u32_e32 vcc, s6, v7
	v_cndmask_b32_e32 v5, v5, v6, vcc
; %bb.2972:
	s_or_b64 exec, exec, s[2:3]
	v_lshrrev_b32_e32 v4, 8, v4
	s_movk_i32 s2, 0x80
	v_and_or_b32 v4, v4, s2, v5
	global_store_byte v[2:3], v4, off
.LBB56_2973:
	s_mov_b64 s[2:3], 0
.LBB56_2974:
	s_andn2_b64 vcc, exec, s[2:3]
	s_cbranch_vccnz .LBB56_2984
; %bb.2975:
	v_lshlrev_b32_e32 v6, 16, v1
	v_and_b32_e32 v7, 0x7fffffff, v6
	s_mov_b32 s2, 0x47800000
	v_and_b32_e32 v4, 0xffff, v1
	v_cmp_gt_u32_e32 vcc, s2, v7
                                        ; implicit-def: $vgpr5
	s_and_saveexec_b64 s[2:3], vcc
	s_xor_b64 s[2:3], exec, s[2:3]
	s_cbranch_execz .LBB56_2981
; %bb.2976:
	s_mov_b32 s6, 0x387fffff
	v_cmp_lt_u32_e32 vcc, s6, v7
                                        ; implicit-def: $vgpr5
	s_and_saveexec_b64 s[6:7], vcc
	s_xor_b64 s[6:7], exec, s[6:7]
; %bb.2977:
	v_bfe_u32 v5, v4, 5, 1
	s_mov_b32 s10, 0x80fffff
	v_add3_u32 v5, v6, v5, s10
	v_lshrrev_b32_e32 v5, 21, v5
                                        ; implicit-def: $vgpr6
; %bb.2978:
	s_andn2_saveexec_b64 s[6:7], s[6:7]
; %bb.2979:
	s_mov_b32 s10, 0x43000000
	v_add_f32_e64 v5, |v6|, s10
; %bb.2980:
	s_or_b64 exec, exec, s[6:7]
                                        ; implicit-def: $vgpr7
.LBB56_2981:
	s_andn2_saveexec_b64 s[2:3], s[2:3]
; %bb.2982:
	s_mov_b32 s6, 0x7f800000
	v_mov_b32_e32 v5, 0x7c
	v_mov_b32_e32 v6, 0x7f
	v_cmp_lt_u32_e32 vcc, s6, v7
	v_cndmask_b32_e32 v5, v5, v6, vcc
; %bb.2983:
	s_or_b64 exec, exec, s[2:3]
	v_lshrrev_b32_e32 v4, 8, v4
	s_movk_i32 s2, 0x80
	v_and_or_b32 v4, v4, s2, v5
	global_store_byte v[2:3], v4, off
.LBB56_2984:
	s_mov_b64 s[2:3], 0
	s_mov_b64 s[6:7], -1
.LBB56_2985:
	s_andn2_b64 vcc, exec, s[2:3]
	s_mov_b64 s[2:3], 0
	s_cbranch_vccnz .LBB56_2992
; %bb.2986:
	v_mov_b32_e32 v4, 14
	v_cmp_gt_i16_sdwa s[2:3], s18, v4 src0_sel:BYTE_0 src1_sel:DWORD
	s_mov_b64 s[10:11], -1
	s_and_b64 vcc, exec, s[2:3]
	s_cbranch_vccz .LBB56_2990
; %bb.2987:
	v_mov_b32_e32 v4, 15
	v_cmp_eq_u16_sdwa s[2:3], s18, v4 src0_sel:BYTE_0 src1_sel:DWORD
	s_mov_b64 s[0:1], -1
	s_and_b64 vcc, exec, s[2:3]
	s_cbranch_vccz .LBB56_2989
; %bb.2988:
	global_store_short v[2:3], v1, off
	s_mov_b64 s[0:1], 0
	s_mov_b64 s[6:7], -1
.LBB56_2989:
	s_mov_b64 s[10:11], 0
.LBB56_2990:
	s_mov_b64 s[2:3], 0
	s_and_b64 vcc, exec, s[10:11]
	s_cbranch_vccz .LBB56_2992
; %bb.2991:
	v_mov_b32_e32 v4, 11
	v_cmp_ne_u16_sdwa s[0:1], s18, v4 src0_sel:BYTE_0 src1_sel:DWORD
	s_mov_b64 s[2:3], -1
.LBB56_2992:
	s_and_b64 vcc, exec, s[0:1]
	s_cbranch_vccnz .LBB56_3160
; %bb.2993:
	s_andn2_b64 vcc, exec, s[2:3]
	s_cbranch_vccnz .LBB56_2995
.LBB56_2994:
	v_and_b32_e32 v4, 0x7fff, v1
	v_cmp_ne_u16_e32 vcc, 0, v4
	v_cndmask_b32_e64 v4, 0, 1, vcc
	s_mov_b64 s[6:7], -1
	global_store_byte v[2:3], v4, off
.LBB56_2995:
	s_mov_b64 s[0:1], 0
.LBB56_2996:
	s_and_b64 vcc, exec, s[0:1]
	s_cbranch_vccz .LBB56_3035
; %bb.2997:
	v_mov_b32_e32 v4, 5
	v_cmp_lt_i16_sdwa s[2:3], s18, v4 src0_sel:BYTE_0 src1_sel:DWORD
	s_mov_b64 s[0:1], -1
	s_and_b64 vcc, exec, s[2:3]
	s_cbranch_vccnz .LBB56_3018
; %bb.2998:
	v_mov_b32_e32 v4, 8
	v_cmp_lt_i16_sdwa s[2:3], s18, v4 src0_sel:BYTE_0 src1_sel:DWORD
	s_and_b64 vcc, exec, s[2:3]
	s_cbranch_vccnz .LBB56_3008
; %bb.2999:
	v_mov_b32_e32 v4, 9
	v_cmp_lt_i16_sdwa s[2:3], s18, v4 src0_sel:BYTE_0 src1_sel:DWORD
	s_and_b64 vcc, exec, s[2:3]
	s_cbranch_vccnz .LBB56_3005
; %bb.3000:
	v_cmp_gt_i16_sdwa s[2:3], s18, v4 src0_sel:BYTE_0 src1_sel:DWORD
	s_and_b64 vcc, exec, s[2:3]
	s_cbranch_vccz .LBB56_3002
; %bb.3001:
	v_lshlrev_b32_e32 v4, 16, v1
	v_mov_b32_e32 v6, 0
	v_cvt_f64_f32_e32 v[4:5], v4
	v_mov_b32_e32 v7, v6
	global_store_dwordx4 v[2:3], v[4:7], off
	s_mov_b64 s[0:1], 0
.LBB56_3002:
	s_andn2_b64 vcc, exec, s[0:1]
	s_cbranch_vccnz .LBB56_3004
; %bb.3003:
	v_lshlrev_b32_e32 v4, 16, v1
	v_mov_b32_e32 v5, 0
	global_store_dwordx2 v[2:3], v[4:5], off
.LBB56_3004:
	s_mov_b64 s[0:1], 0
.LBB56_3005:
	s_andn2_b64 vcc, exec, s[0:1]
	s_cbranch_vccnz .LBB56_3007
; %bb.3006:
	v_lshlrev_b32_e32 v4, 16, v1
	v_cvt_f16_f32_e32 v4, v4
	global_store_dword v[2:3], v4, off
.LBB56_3007:
	s_mov_b64 s[0:1], 0
.LBB56_3008:
	s_andn2_b64 vcc, exec, s[0:1]
	s_cbranch_vccnz .LBB56_3017
; %bb.3009:
	v_mov_b32_e32 v4, 6
	v_cmp_lt_i16_sdwa s[2:3], s18, v4 src0_sel:BYTE_0 src1_sel:DWORD
	s_mov_b64 s[0:1], -1
	s_and_b64 vcc, exec, s[2:3]
	s_cbranch_vccnz .LBB56_3015
; %bb.3010:
	v_cmp_gt_i16_sdwa s[2:3], s18, v4 src0_sel:BYTE_0 src1_sel:DWORD
	s_and_b64 vcc, exec, s[2:3]
	s_cbranch_vccz .LBB56_3012
; %bb.3011:
	v_lshlrev_b32_e32 v4, 16, v1
	v_cvt_f64_f32_e32 v[4:5], v4
	global_store_dwordx2 v[2:3], v[4:5], off
	s_mov_b64 s[0:1], 0
.LBB56_3012:
	s_andn2_b64 vcc, exec, s[0:1]
	s_cbranch_vccnz .LBB56_3014
; %bb.3013:
	v_lshlrev_b32_e32 v4, 16, v1
	global_store_dword v[2:3], v4, off
.LBB56_3014:
	s_mov_b64 s[0:1], 0
.LBB56_3015:
	s_andn2_b64 vcc, exec, s[0:1]
	s_cbranch_vccnz .LBB56_3017
; %bb.3016:
	v_lshlrev_b32_e32 v4, 16, v1
	v_cvt_f16_f32_e32 v4, v4
	global_store_short v[2:3], v4, off
.LBB56_3017:
	s_mov_b64 s[0:1], 0
.LBB56_3018:
	s_andn2_b64 vcc, exec, s[0:1]
	s_cbranch_vccnz .LBB56_3034
; %bb.3019:
	v_mov_b32_e32 v4, 2
	v_cmp_lt_i16_sdwa s[2:3], s18, v4 src0_sel:BYTE_0 src1_sel:DWORD
	s_mov_b64 s[0:1], -1
	s_and_b64 vcc, exec, s[2:3]
	s_cbranch_vccnz .LBB56_3029
; %bb.3020:
	v_mov_b32_e32 v4, 3
	v_cmp_lt_i16_sdwa s[2:3], s18, v4 src0_sel:BYTE_0 src1_sel:DWORD
	s_and_b64 vcc, exec, s[2:3]
	s_cbranch_vccnz .LBB56_3026
; %bb.3021:
	v_cmp_gt_i16_sdwa s[2:3], s18, v4 src0_sel:BYTE_0 src1_sel:DWORD
	s_and_b64 vcc, exec, s[2:3]
	s_cbranch_vccz .LBB56_3023
; %bb.3022:
	v_lshlrev_b32_e32 v4, 16, v1
	v_trunc_f32_e32 v4, v4
	s_mov_b32 s0, 0x2f800000
	v_mul_f32_e64 v5, |v4|, s0
	v_floor_f32_e32 v5, v5
	s_mov_b32 s0, 0xcf800000
	v_cvt_u32_f32_e32 v6, v5
	v_fma_f32 v5, v5, s0, |v4|
	v_cvt_u32_f32_e32 v5, v5
	v_ashrrev_i32_e32 v7, 31, v4
	v_xor_b32_e32 v6, v6, v7
	s_mov_b64 s[0:1], 0
	v_xor_b32_e32 v4, v5, v7
	v_sub_co_u32_e32 v4, vcc, v4, v7
	v_subb_co_u32_e32 v5, vcc, v6, v7, vcc
	global_store_dwordx2 v[2:3], v[4:5], off
.LBB56_3023:
	s_andn2_b64 vcc, exec, s[0:1]
	s_cbranch_vccnz .LBB56_3025
; %bb.3024:
	v_lshlrev_b32_e32 v4, 16, v1
	v_cvt_i32_f32_e32 v4, v4
	global_store_dword v[2:3], v4, off
.LBB56_3025:
	s_mov_b64 s[0:1], 0
.LBB56_3026:
	s_andn2_b64 vcc, exec, s[0:1]
	s_cbranch_vccnz .LBB56_3028
; %bb.3027:
	v_lshlrev_b32_e32 v4, 16, v1
	v_cvt_i32_f32_e32 v4, v4
	global_store_short v[2:3], v4, off
.LBB56_3028:
	s_mov_b64 s[0:1], 0
.LBB56_3029:
	s_andn2_b64 vcc, exec, s[0:1]
	s_cbranch_vccnz .LBB56_3034
; %bb.3030:
	v_mov_b32_e32 v4, 0
	v_cmp_gt_i16_sdwa s[2:3], s18, v4 src0_sel:BYTE_0 src1_sel:DWORD
	s_mov_b64 s[0:1], -1
	s_and_b64 vcc, exec, s[2:3]
	s_cbranch_vccz .LBB56_3032
; %bb.3031:
	v_lshlrev_b32_e32 v4, 16, v1
	v_cvt_i32_f32_e32 v4, v4
	s_mov_b64 s[0:1], 0
	global_store_byte v[2:3], v4, off
.LBB56_3032:
	s_andn2_b64 vcc, exec, s[0:1]
	s_cbranch_vccnz .LBB56_3034
; %bb.3033:
	v_lshlrev_b32_e32 v1, 16, v1
	v_trunc_f32_e32 v1, v1
	s_mov_b32 s0, 0x2f800000
	v_mul_f32_e64 v4, |v1|, s0
	v_floor_f32_e32 v4, v4
	s_mov_b32 s0, 0xcf800000
	v_fma_f32 v4, v4, s0, |v1|
	v_cvt_u32_f32_e32 v4, v4
	v_ashrrev_i32_e32 v1, 31, v1
	v_xor_b32_e32 v4, v4, v1
	v_sub_u32_e32 v1, v4, v1
	global_store_byte v[2:3], v1, off
.LBB56_3034:
	s_mov_b64 s[6:7], -1
.LBB56_3035:
	s_andn2_b64 vcc, exec, s[6:7]
	s_cbranch_vccnz .LBB56_3112
; %bb.3036:
	v_lshlrev_b32_e32 v1, 16, v12
	v_lshlrev_b32_e32 v2, 16, v10
	v_div_scale_f32 v3, s[0:1], v2, v2, v1
	v_rcp_f32_e32 v4, v3
	s_movk_i32 s0, 0x7fff
	v_fma_f32 v5, -v3, v4, 1.0
	v_fmac_f32_e32 v4, v5, v4
	v_div_scale_f32 v5, vcc, v1, v2, v1
	v_mul_f32_e32 v6, v5, v4
	v_fma_f32 v7, -v3, v6, v5
	v_fmac_f32_e32 v6, v7, v4
	v_fma_f32 v3, -v3, v6, v5
	v_div_fmas_f32 v3, v3, v4, v6
	v_div_fixup_f32 v1, v3, v2, v1
	v_bfe_u32 v2, v1, 16, 1
	v_add3_u32 v2, v1, v2, s0
	v_lshrrev_b32_e32 v2, 16, v2
	v_mov_b32_e32 v3, 0x7fc0
	v_cmp_o_f32_e32 vcc, v1, v1
	v_cndmask_b32_e32 v1, v3, v2, vcc
	v_lshlrev_b32_e32 v2, 16, v1
	s_mov_b32 s0, 0x800000
	v_mov_b32_e32 v3, 0x80
	v_cmp_ngt_f32_e32 vcc, s0, v2
	v_cndmask_b32_e32 v1, v3, v1, vcc
	v_lshlrev_b32_e32 v2, 16, v1
	s_mov_b32 s0, 0x3f7e0000
	v_mov_b32_e32 v3, 0x3f7e
	v_cmp_nlt_f32_e32 vcc, s0, v2
	v_cndmask_b32_e32 v2, v3, v1, vcc
	v_mov_b32_e32 v1, 0xff
	v_and_b32_e32 v3, s18, v1
	v_mov_b32_e32 v1, s9
	v_add_co_u32_e32 v0, vcc, s8, v0
	v_addc_co_u32_e32 v1, vcc, 0, v1, vcc
	v_cmp_gt_i16_e32 vcc, 11, v3
	s_cbranch_vccnz .LBB56_3157
; %bb.3037:
	v_cmp_lt_i16_e32 vcc, 25, v3
	s_mov_b64 s[6:7], -1
	s_mov_b64 s[2:3], 0
	s_mov_b64 s[0:1], 0
	s_cbranch_vccz .LBB56_3070
; %bb.3038:
	v_cmp_lt_i16_e32 vcc, 28, v3
	s_cbranch_vccz .LBB56_3054
; %bb.3039:
	v_cmp_lt_i16_e32 vcc, 43, v3
	;; [unrolled: 3-line block ×3, first 2 shown]
	s_cbranch_vccz .LBB56_3044
; %bb.3041:
	v_cmp_eq_u16_e32 vcc, 46, v3
	s_mov_b64 s[0:1], -1
	s_cbranch_vccz .LBB56_3043
; %bb.3042:
	v_and_b32_e32 v4, 0xffff, v2
	global_store_dword v[0:1], v4, off
	s_mov_b64 s[0:1], 0
.LBB56_3043:
	s_mov_b64 s[6:7], 0
.LBB56_3044:
	s_and_b64 vcc, exec, s[6:7]
	s_cbranch_vccz .LBB56_3049
; %bb.3045:
	v_cmp_eq_u16_e32 vcc, 44, v3
	s_mov_b64 s[0:1], -1
	s_cbranch_vccz .LBB56_3049
; %bb.3046:
	v_and_b32_e32 v5, 0xffff, v2
	v_bfe_u32 v4, v5, 7, 8
	s_movk_i32 s0, 0xff
	v_cmp_ne_u32_e32 vcc, s0, v4
	v_mov_b32_e32 v6, 0xff
	s_and_saveexec_b64 s[6:7], vcc
; %bb.3047:
	v_lshlrev_b32_e32 v7, 16, v5
	s_mov_b32 s0, 0x3f0000
	v_lshrrev_b32_e32 v6, 7, v5
	v_and_b32_e32 v5, 64, v5
	v_and_or_b32 v4, v7, s0, v4
	v_cmp_ne_u32_e32 vcc, 0, v5
	v_cmp_ne_u32_e64 s[0:1], 0, v4
	s_and_b64 s[0:1], vcc, s[0:1]
	v_cndmask_b32_e64 v4, 0, 1, s[0:1]
	v_add_u32_e32 v6, v6, v4
; %bb.3048:
	s_or_b64 exec, exec, s[6:7]
	s_mov_b64 s[0:1], 0
	global_store_byte v[0:1], v6, off
.LBB56_3049:
	s_mov_b64 s[6:7], 0
.LBB56_3050:
	s_and_b64 vcc, exec, s[6:7]
	s_cbranch_vccz .LBB56_3053
; %bb.3051:
	v_cmp_eq_u16_e32 vcc, 29, v3
	s_mov_b64 s[0:1], -1
	s_cbranch_vccz .LBB56_3053
; %bb.3052:
	v_lshlrev_b32_e32 v4, 16, v2
	v_trunc_f32_e32 v4, v4
	v_mul_f32_e32 v5, 0x2f800000, v4
	v_floor_f32_e32 v6, v5
	v_fmac_f32_e32 v4, 0xcf800000, v6
	v_cvt_u32_f32_e32 v5, v6
	v_cvt_u32_f32_e32 v4, v4
	s_mov_b64 s[0:1], 0
	global_store_dwordx2 v[0:1], v[4:5], off
.LBB56_3053:
	s_mov_b64 s[6:7], 0
.LBB56_3054:
	s_and_b64 vcc, exec, s[6:7]
	s_cbranch_vccz .LBB56_3069
; %bb.3055:
	v_cmp_gt_i16_e32 vcc, 27, v3
	s_mov_b64 s[6:7], -1
	s_cbranch_vccnz .LBB56_3061
; %bb.3056:
	v_cmp_lt_i16_e32 vcc, 27, v3
	s_cbranch_vccz .LBB56_3058
; %bb.3057:
	v_lshlrev_b32_e32 v4, 16, v2
	v_cvt_u32_f32_e32 v4, v4
	s_mov_b64 s[6:7], 0
	global_store_dword v[0:1], v4, off
.LBB56_3058:
	s_andn2_b64 vcc, exec, s[6:7]
	s_cbranch_vccnz .LBB56_3060
; %bb.3059:
	v_lshlrev_b32_e32 v4, 16, v2
	v_cvt_u32_f32_e32 v4, v4
	global_store_short v[0:1], v4, off
.LBB56_3060:
	s_mov_b64 s[6:7], 0
.LBB56_3061:
	s_andn2_b64 vcc, exec, s[6:7]
	s_cbranch_vccnz .LBB56_3069
; %bb.3062:
	v_lshlrev_b32_e32 v6, 16, v2
	v_and_b32_e32 v5, 0x7fffffff, v6
	s_mov_b32 s6, 0x43800000
	v_cmp_gt_u32_e32 vcc, s6, v5
	v_mov_b32_e32 v7, 0x80
	s_and_saveexec_b64 s[6:7], vcc
	s_cbranch_execz .LBB56_3068
; %bb.3063:
	s_mov_b32 s8, 0x3bffffff
	v_and_b32_e32 v4, 0xffff, v2
	v_cmp_lt_u32_e32 vcc, s8, v5
	s_mov_b64 s[8:9], 0
                                        ; implicit-def: $vgpr5
	s_and_saveexec_b64 s[10:11], vcc
	s_xor_b64 s[10:11], exec, s[10:11]
	s_cbranch_execz .LBB56_3163
; %bb.3064:
	v_bfe_u32 v5, v4, 4, 1
	s_mov_b32 s16, 0x487ffff
	v_add3_u32 v5, v6, v5, s16
	s_mov_b64 s[8:9], exec
	v_lshrrev_b32_e32 v5, 20, v5
                                        ; implicit-def: $vgpr6
	s_or_saveexec_b64 s[10:11], s[10:11]
                                        ; implicit-def: $sgpr16
	s_xor_b64 exec, exec, s[10:11]
	s_cbranch_execnz .LBB56_3164
.LBB56_3065:
	s_or_b64 exec, exec, s[10:11]
	v_mov_b32_e32 v7, s16
	s_and_saveexec_b64 s[10:11], s[8:9]
.LBB56_3066:
	v_lshrrev_b32_e32 v4, 8, v4
	s_movk_i32 s8, 0x80
	v_and_or_b32 v7, v4, s8, v5
.LBB56_3067:
	s_or_b64 exec, exec, s[10:11]
.LBB56_3068:
	s_or_b64 exec, exec, s[6:7]
	global_store_byte v[0:1], v7, off
.LBB56_3069:
	s_mov_b64 s[6:7], 0
.LBB56_3070:
	s_and_b64 vcc, exec, s[6:7]
	s_cbranch_vccz .LBB56_3110
; %bb.3071:
	v_cmp_lt_i16_e32 vcc, 22, v3
	s_mov_b64 s[2:3], -1
	s_cbranch_vccz .LBB56_3103
; %bb.3072:
	v_cmp_gt_i16_e32 vcc, 24, v3
	s_cbranch_vccnz .LBB56_3092
; %bb.3073:
	v_cmp_lt_i16_e32 vcc, 24, v3
	s_cbranch_vccz .LBB56_3081
; %bb.3074:
	v_lshlrev_b32_e32 v6, 16, v2
	v_and_b32_e32 v5, 0x7fffffff, v6
	s_mov_b32 s2, 0x47800000
	v_cmp_gt_u32_e32 vcc, s2, v5
	v_mov_b32_e32 v7, 0x80
	s_and_saveexec_b64 s[2:3], vcc
	s_cbranch_execz .LBB56_3080
; %bb.3075:
	s_mov_b32 s6, 0x37ffffff
	v_and_b32_e32 v4, 0xffff, v2
	v_cmp_lt_u32_e32 vcc, s6, v5
	s_mov_b64 s[6:7], 0
                                        ; implicit-def: $vgpr5
	s_and_saveexec_b64 s[8:9], vcc
	s_xor_b64 s[8:9], exec, s[8:9]
	s_cbranch_execz .LBB56_3166
; %bb.3076:
	v_bfe_u32 v5, v4, 5, 1
	s_mov_b32 s10, 0x88fffff
	v_add3_u32 v5, v6, v5, s10
	s_mov_b64 s[6:7], exec
	v_lshrrev_b32_e32 v5, 21, v5
                                        ; implicit-def: $vgpr6
	s_or_saveexec_b64 s[8:9], s[8:9]
                                        ; implicit-def: $sgpr10
	s_xor_b64 exec, exec, s[8:9]
	s_cbranch_execnz .LBB56_3167
.LBB56_3077:
	s_or_b64 exec, exec, s[8:9]
	v_mov_b32_e32 v7, s10
	s_and_saveexec_b64 s[8:9], s[6:7]
.LBB56_3078:
	v_lshrrev_b32_e32 v4, 8, v4
	s_movk_i32 s6, 0x80
	v_and_or_b32 v7, v4, s6, v5
.LBB56_3079:
	s_or_b64 exec, exec, s[8:9]
.LBB56_3080:
	s_or_b64 exec, exec, s[2:3]
	s_mov_b64 s[2:3], 0
	global_store_byte v[0:1], v7, off
.LBB56_3081:
	s_and_b64 vcc, exec, s[2:3]
	s_cbranch_vccz .LBB56_3091
; %bb.3082:
	v_lshlrev_b32_e32 v6, 16, v2
	v_and_b32_e32 v7, 0x7fffffff, v6
	s_mov_b32 s2, 0x43f00000
	v_and_b32_e32 v4, 0xffff, v2
	v_cmp_gt_u32_e32 vcc, s2, v7
                                        ; implicit-def: $vgpr5
	s_and_saveexec_b64 s[2:3], vcc
	s_xor_b64 s[2:3], exec, s[2:3]
	s_cbranch_execz .LBB56_3088
; %bb.3083:
	s_mov_b32 s6, 0x3c7fffff
	v_cmp_lt_u32_e32 vcc, s6, v7
                                        ; implicit-def: $vgpr5
	s_and_saveexec_b64 s[6:7], vcc
	s_xor_b64 s[6:7], exec, s[6:7]
; %bb.3084:
	v_bfe_u32 v5, v4, 4, 1
	s_mov_b32 s8, 0x407ffff
	v_add3_u32 v5, v6, v5, s8
	v_lshrrev_b32_e32 v6, 20, v5
	v_and_b32_e32 v5, 0xff00000, v5
	s_mov_b32 s8, 0x7f00000
	v_mov_b32_e32 v7, 0x7e
	v_cmp_ne_u32_e32 vcc, s8, v5
	v_cndmask_b32_e32 v5, v7, v6, vcc
                                        ; implicit-def: $vgpr6
; %bb.3085:
	s_andn2_saveexec_b64 s[6:7], s[6:7]
; %bb.3086:
	s_mov_b32 s8, 0x46800000
	v_add_f32_e64 v5, |v6|, s8
; %bb.3087:
	s_or_b64 exec, exec, s[6:7]
                                        ; implicit-def: $vgpr7
.LBB56_3088:
	s_andn2_saveexec_b64 s[2:3], s[2:3]
; %bb.3089:
	s_mov_b32 s6, 0x7f800000
	v_mov_b32_e32 v5, 0x7e
	v_mov_b32_e32 v6, 0x7f
	v_cmp_lt_u32_e32 vcc, s6, v7
	v_cndmask_b32_e32 v5, v5, v6, vcc
; %bb.3090:
	s_or_b64 exec, exec, s[2:3]
	v_lshrrev_b32_e32 v4, 8, v4
	s_movk_i32 s2, 0x80
	v_and_or_b32 v4, v4, s2, v5
	global_store_byte v[0:1], v4, off
.LBB56_3091:
	s_mov_b64 s[2:3], 0
.LBB56_3092:
	s_andn2_b64 vcc, exec, s[2:3]
	s_cbranch_vccnz .LBB56_3102
; %bb.3093:
	v_lshlrev_b32_e32 v6, 16, v2
	v_and_b32_e32 v7, 0x7fffffff, v6
	s_mov_b32 s2, 0x47800000
	v_and_b32_e32 v4, 0xffff, v2
	v_cmp_gt_u32_e32 vcc, s2, v7
                                        ; implicit-def: $vgpr5
	s_and_saveexec_b64 s[2:3], vcc
	s_xor_b64 s[2:3], exec, s[2:3]
	s_cbranch_execz .LBB56_3099
; %bb.3094:
	s_mov_b32 s6, 0x387fffff
	v_cmp_lt_u32_e32 vcc, s6, v7
                                        ; implicit-def: $vgpr5
	s_and_saveexec_b64 s[6:7], vcc
	s_xor_b64 s[6:7], exec, s[6:7]
; %bb.3095:
	v_bfe_u32 v5, v4, 5, 1
	s_mov_b32 s8, 0x80fffff
	v_add3_u32 v5, v6, v5, s8
	v_lshrrev_b32_e32 v5, 21, v5
                                        ; implicit-def: $vgpr6
; %bb.3096:
	s_andn2_saveexec_b64 s[6:7], s[6:7]
; %bb.3097:
	s_mov_b32 s8, 0x43000000
	v_add_f32_e64 v5, |v6|, s8
; %bb.3098:
	s_or_b64 exec, exec, s[6:7]
                                        ; implicit-def: $vgpr7
.LBB56_3099:
	s_andn2_saveexec_b64 s[2:3], s[2:3]
; %bb.3100:
	s_mov_b32 s6, 0x7f800000
	v_mov_b32_e32 v5, 0x7c
	v_mov_b32_e32 v6, 0x7f
	v_cmp_lt_u32_e32 vcc, s6, v7
	v_cndmask_b32_e32 v5, v5, v6, vcc
; %bb.3101:
	s_or_b64 exec, exec, s[2:3]
	v_lshrrev_b32_e32 v4, 8, v4
	s_movk_i32 s2, 0x80
	v_and_or_b32 v4, v4, s2, v5
	global_store_byte v[0:1], v4, off
.LBB56_3102:
	s_mov_b64 s[2:3], 0
.LBB56_3103:
	s_andn2_b64 vcc, exec, s[2:3]
	s_mov_b64 s[2:3], 0
	s_cbranch_vccnz .LBB56_3110
; %bb.3104:
	v_cmp_lt_i16_e32 vcc, 14, v3
	s_mov_b64 s[6:7], -1
	s_cbranch_vccz .LBB56_3108
; %bb.3105:
	v_cmp_eq_u16_e32 vcc, 15, v3
	s_mov_b64 s[0:1], -1
	s_cbranch_vccz .LBB56_3107
; %bb.3106:
	global_store_short v[0:1], v2, off
	s_mov_b64 s[0:1], 0
.LBB56_3107:
	s_mov_b64 s[6:7], 0
.LBB56_3108:
	s_and_b64 vcc, exec, s[6:7]
	s_cbranch_vccz .LBB56_3110
; %bb.3109:
	v_cmp_ne_u16_e64 s[0:1], 11, v3
	s_mov_b64 s[2:3], -1
.LBB56_3110:
	s_and_b64 vcc, exec, s[0:1]
	s_cbranch_vccnz .LBB56_3165
.LBB56_3111:
	s_mov_b64 s[0:1], 0
	s_branch .LBB56_3113
.LBB56_3112:
	s_mov_b64 s[0:1], 0
	s_mov_b64 s[2:3], 0
                                        ; implicit-def: $vgpr0_vgpr1
                                        ; implicit-def: $vgpr3
                                        ; implicit-def: $vgpr2
.LBB56_3113:
	s_and_b64 s[6:7], s[2:3], exec
	s_andn2_b64 s[2:3], s[12:13], exec
	s_and_b64 s[4:5], s[4:5], exec
	s_and_b64 s[0:1], s[0:1], exec
	s_or_b64 s[12:13], s[2:3], s[4:5]
.LBB56_3114:
	s_or_b64 exec, exec, s[14:15]
	s_and_saveexec_b64 s[2:3], s[12:13]
	s_cbranch_execz .LBB56_3117
; %bb.3115:
	; divergent unreachable
	s_or_b64 exec, exec, s[2:3]
	s_and_saveexec_b64 s[2:3], s[6:7]
	s_xor_b64 s[2:3], exec, s[2:3]
	s_cbranch_execnz .LBB56_3118
.LBB56_3116:
	s_or_b64 exec, exec, s[2:3]
	s_and_saveexec_b64 s[2:3], s[0:1]
	s_cbranch_execnz .LBB56_3119
	s_branch .LBB56_3156
.LBB56_3117:
	s_or_b64 exec, exec, s[2:3]
	s_and_saveexec_b64 s[2:3], s[6:7]
	s_xor_b64 s[2:3], exec, s[2:3]
	s_cbranch_execz .LBB56_3116
.LBB56_3118:
	s_waitcnt vmcnt(0)
	v_and_b32_e32 v4, 0x7fff, v2
	v_cmp_ne_u16_e32 vcc, 0, v4
	v_cndmask_b32_e64 v4, 0, 1, vcc
	global_store_byte v[0:1], v4, off
	s_or_b64 exec, exec, s[2:3]
	s_and_saveexec_b64 s[2:3], s[0:1]
	s_cbranch_execz .LBB56_3156
.LBB56_3119:
	s_waitcnt vmcnt(0)
	v_cmp_gt_i16_e32 vcc, 5, v3
	s_mov_b64 s[0:1], -1
	s_cbranch_vccnz .LBB56_3140
; %bb.3120:
	v_cmp_gt_i16_e32 vcc, 8, v3
	s_cbranch_vccnz .LBB56_3130
; %bb.3121:
	v_cmp_gt_i16_e32 vcc, 9, v3
	s_cbranch_vccnz .LBB56_3127
; %bb.3122:
	v_cmp_lt_i16_e32 vcc, 9, v3
	s_cbranch_vccz .LBB56_3124
; %bb.3123:
	v_lshlrev_b32_e32 v4, 16, v2
	v_mov_b32_e32 v6, 0
	v_cvt_f64_f32_e32 v[4:5], v4
	v_mov_b32_e32 v7, v6
	global_store_dwordx4 v[0:1], v[4:7], off
	s_mov_b64 s[0:1], 0
.LBB56_3124:
	s_andn2_b64 vcc, exec, s[0:1]
	s_cbranch_vccnz .LBB56_3126
; %bb.3125:
	v_lshlrev_b32_e32 v4, 16, v2
	v_mov_b32_e32 v5, 0
	global_store_dwordx2 v[0:1], v[4:5], off
.LBB56_3126:
	s_mov_b64 s[0:1], 0
.LBB56_3127:
	s_andn2_b64 vcc, exec, s[0:1]
	s_cbranch_vccnz .LBB56_3129
; %bb.3128:
	v_lshlrev_b32_e32 v4, 16, v2
	v_cvt_f16_f32_e32 v4, v4
	global_store_dword v[0:1], v4, off
.LBB56_3129:
	s_mov_b64 s[0:1], 0
.LBB56_3130:
	s_andn2_b64 vcc, exec, s[0:1]
	s_cbranch_vccnz .LBB56_3139
; %bb.3131:
	v_cmp_gt_i16_e32 vcc, 6, v3
	s_mov_b64 s[0:1], -1
	s_cbranch_vccnz .LBB56_3137
; %bb.3132:
	v_cmp_lt_i16_e32 vcc, 6, v3
	s_cbranch_vccz .LBB56_3134
; %bb.3133:
	v_lshlrev_b32_e32 v4, 16, v2
	v_cvt_f64_f32_e32 v[4:5], v4
	global_store_dwordx2 v[0:1], v[4:5], off
	s_mov_b64 s[0:1], 0
.LBB56_3134:
	s_andn2_b64 vcc, exec, s[0:1]
	s_cbranch_vccnz .LBB56_3136
; %bb.3135:
	v_lshlrev_b32_e32 v4, 16, v2
	global_store_dword v[0:1], v4, off
.LBB56_3136:
	s_mov_b64 s[0:1], 0
.LBB56_3137:
	s_andn2_b64 vcc, exec, s[0:1]
	s_cbranch_vccnz .LBB56_3139
; %bb.3138:
	v_lshlrev_b32_e32 v4, 16, v2
	v_cvt_f16_f32_e32 v4, v4
	global_store_short v[0:1], v4, off
.LBB56_3139:
	s_mov_b64 s[0:1], 0
.LBB56_3140:
	s_andn2_b64 vcc, exec, s[0:1]
	s_cbranch_vccnz .LBB56_3156
; %bb.3141:
	v_cmp_gt_i16_e32 vcc, 2, v3
	s_mov_b64 s[0:1], -1
	s_cbranch_vccnz .LBB56_3151
; %bb.3142:
	v_cmp_gt_i16_e32 vcc, 3, v3
	s_cbranch_vccnz .LBB56_3148
; %bb.3143:
	v_cmp_lt_i16_e32 vcc, 3, v3
	s_cbranch_vccz .LBB56_3145
; %bb.3144:
	v_lshlrev_b32_e32 v4, 16, v2
	v_trunc_f32_e32 v4, v4
	s_mov_b32 s0, 0x2f800000
	v_mul_f32_e64 v5, |v4|, s0
	v_floor_f32_e32 v5, v5
	s_mov_b32 s0, 0xcf800000
	v_cvt_u32_f32_e32 v6, v5
	v_fma_f32 v5, v5, s0, |v4|
	v_cvt_u32_f32_e32 v5, v5
	v_ashrrev_i32_e32 v7, 31, v4
	v_xor_b32_e32 v6, v6, v7
	s_mov_b64 s[0:1], 0
	v_xor_b32_e32 v4, v5, v7
	v_sub_co_u32_e32 v4, vcc, v4, v7
	v_subb_co_u32_e32 v5, vcc, v6, v7, vcc
	global_store_dwordx2 v[0:1], v[4:5], off
.LBB56_3145:
	s_andn2_b64 vcc, exec, s[0:1]
	s_cbranch_vccnz .LBB56_3147
; %bb.3146:
	v_lshlrev_b32_e32 v4, 16, v2
	v_cvt_i32_f32_e32 v4, v4
	global_store_dword v[0:1], v4, off
.LBB56_3147:
	s_mov_b64 s[0:1], 0
.LBB56_3148:
	s_andn2_b64 vcc, exec, s[0:1]
	s_cbranch_vccnz .LBB56_3150
; %bb.3149:
	v_lshlrev_b32_e32 v4, 16, v2
	v_cvt_i32_f32_e32 v4, v4
	global_store_short v[0:1], v4, off
.LBB56_3150:
	s_mov_b64 s[0:1], 0
.LBB56_3151:
	s_andn2_b64 vcc, exec, s[0:1]
	s_cbranch_vccnz .LBB56_3156
; %bb.3152:
	v_cmp_lt_i16_e32 vcc, 0, v3
	s_mov_b64 s[0:1], -1
	s_cbranch_vccz .LBB56_3154
; %bb.3153:
	v_lshlrev_b32_e32 v3, 16, v2
	v_cvt_i32_f32_e32 v3, v3
	s_mov_b64 s[0:1], 0
	global_store_byte v[0:1], v3, off
.LBB56_3154:
	s_andn2_b64 vcc, exec, s[0:1]
	s_cbranch_vccnz .LBB56_3156
; %bb.3155:
	v_lshlrev_b32_e32 v2, 16, v2
	v_trunc_f32_e32 v2, v2
	s_mov_b32 s0, 0x2f800000
	v_mul_f32_e64 v3, |v2|, s0
	v_floor_f32_e32 v3, v3
	s_mov_b32 s0, 0xcf800000
	v_fma_f32 v3, v3, s0, |v2|
	v_cvt_u32_f32_e32 v3, v3
	v_ashrrev_i32_e32 v2, 31, v2
	v_xor_b32_e32 v3, v3, v2
	v_sub_u32_e32 v2, v3, v2
	global_store_byte v[0:1], v2, off
	s_endpgm
.LBB56_3156:
	s_endpgm
.LBB56_3157:
	s_mov_b64 s[2:3], 0
	s_mov_b64 s[0:1], -1
	s_branch .LBB56_3113
.LBB56_3158:
	s_or_saveexec_b64 s[16:17], s[16:17]
                                        ; implicit-def: $sgpr19
	s_xor_b64 exec, exec, s[16:17]
	s_cbranch_execz .LBB56_2946
.LBB56_3159:
	s_mov_b32 s19, 0x46000000
	v_add_f32_e64 v5, |v6|, s19
	v_and_b32_e32 v5, 0xff, v5
	v_cmp_ne_u32_e32 vcc, 0, v5
	s_andn2_b64 s[10:11], s[10:11], exec
	s_and_b64 s[20:21], vcc, exec
	s_mov_b32 s19, 0
	s_or_b64 s[10:11], s[10:11], s[20:21]
	s_or_b64 exec, exec, s[16:17]
	v_mov_b32_e32 v7, s19
	s_and_saveexec_b64 s[16:17], s[10:11]
	s_cbranch_execnz .LBB56_2947
	s_branch .LBB56_2948
.LBB56_3160:
	s_trap 2
	s_or_b64 s[4:5], s[4:5], exec
	s_cbranch_execz .LBB56_2994
	s_branch .LBB56_2995
.LBB56_3161:
	s_or_saveexec_b64 s[10:11], s[10:11]
                                        ; implicit-def: $sgpr16
	s_xor_b64 exec, exec, s[10:11]
	s_cbranch_execz .LBB56_2959
.LBB56_3162:
	s_mov_b32 s16, 0x42800000
	v_add_f32_e64 v5, |v6|, s16
	v_and_b32_e32 v5, 0xff, v5
	v_cmp_ne_u32_e32 vcc, 0, v5
	s_andn2_b64 s[6:7], s[6:7], exec
	s_and_b64 s[20:21], vcc, exec
	s_mov_b32 s16, 0
	s_or_b64 s[6:7], s[6:7], s[20:21]
	s_or_b64 exec, exec, s[10:11]
	v_mov_b32_e32 v7, s16
	s_and_saveexec_b64 s[10:11], s[6:7]
	s_cbranch_execnz .LBB56_2960
	s_branch .LBB56_2961
.LBB56_3163:
	s_or_saveexec_b64 s[10:11], s[10:11]
                                        ; implicit-def: $sgpr16
	s_xor_b64 exec, exec, s[10:11]
	s_cbranch_execz .LBB56_3065
.LBB56_3164:
	s_mov_b32 s16, 0x46000000
	v_add_f32_e64 v5, |v6|, s16
	v_and_b32_e32 v5, 0xff, v5
	v_cmp_ne_u32_e32 vcc, 0, v5
	s_andn2_b64 s[8:9], s[8:9], exec
	s_and_b64 s[18:19], vcc, exec
	s_mov_b32 s16, 0
	s_or_b64 s[8:9], s[8:9], s[18:19]
	s_or_b64 exec, exec, s[10:11]
	v_mov_b32_e32 v7, s16
	s_and_saveexec_b64 s[10:11], s[8:9]
	s_cbranch_execnz .LBB56_3066
	s_branch .LBB56_3067
.LBB56_3165:
	s_mov_b64 s[2:3], 0
	s_or_b64 s[4:5], s[4:5], exec
	s_trap 2
	s_branch .LBB56_3111
.LBB56_3166:
	s_or_saveexec_b64 s[8:9], s[8:9]
                                        ; implicit-def: $sgpr10
	s_xor_b64 exec, exec, s[8:9]
	s_cbranch_execz .LBB56_3077
.LBB56_3167:
	s_mov_b32 s10, 0x42800000
	v_add_f32_e64 v5, |v6|, s10
	v_and_b32_e32 v5, 0xff, v5
	v_cmp_ne_u32_e32 vcc, 0, v5
	s_andn2_b64 s[6:7], s[6:7], exec
	s_and_b64 s[16:17], vcc, exec
	s_mov_b32 s10, 0
	s_or_b64 s[6:7], s[6:7], s[16:17]
	s_or_b64 exec, exec, s[8:9]
	v_mov_b32_e32 v7, s10
	s_and_saveexec_b64 s[8:9], s[6:7]
	s_cbranch_execnz .LBB56_3078
	s_branch .LBB56_3079
	.section	.rodata,"a",@progbits
	.p2align	6, 0x0
	.amdhsa_kernel _ZN2at6native32elementwise_kernel_manual_unrollILi128ELi4EZNS0_15gpu_kernel_implIZZZNS0_23launch_dirichlet_kernelERNS_18TensorIteratorBaseEENKUlvE_clEvENKUlvE2_clEvEUlN3c108BFloat16ES8_E_EEvS4_RKT_EUlibE0_EEviT1_
		.amdhsa_group_segment_fixed_size 0
		.amdhsa_private_segment_fixed_size 0
		.amdhsa_kernarg_size 432
		.amdhsa_user_sgpr_count 6
		.amdhsa_user_sgpr_private_segment_buffer 1
		.amdhsa_user_sgpr_dispatch_ptr 0
		.amdhsa_user_sgpr_queue_ptr 0
		.amdhsa_user_sgpr_kernarg_segment_ptr 1
		.amdhsa_user_sgpr_dispatch_id 0
		.amdhsa_user_sgpr_flat_scratch_init 0
		.amdhsa_user_sgpr_kernarg_preload_length 0
		.amdhsa_user_sgpr_kernarg_preload_offset 0
		.amdhsa_user_sgpr_private_segment_size 0
		.amdhsa_uses_dynamic_stack 0
		.amdhsa_system_sgpr_private_segment_wavefront_offset 0
		.amdhsa_system_sgpr_workgroup_id_x 1
		.amdhsa_system_sgpr_workgroup_id_y 0
		.amdhsa_system_sgpr_workgroup_id_z 0
		.amdhsa_system_sgpr_workgroup_info 0
		.amdhsa_system_vgpr_workitem_id 0
		.amdhsa_next_free_vgpr 26
		.amdhsa_next_free_sgpr 78
		.amdhsa_accum_offset 28
		.amdhsa_reserve_vcc 1
		.amdhsa_reserve_flat_scratch 0
		.amdhsa_float_round_mode_32 0
		.amdhsa_float_round_mode_16_64 0
		.amdhsa_float_denorm_mode_32 3
		.amdhsa_float_denorm_mode_16_64 3
		.amdhsa_dx10_clamp 1
		.amdhsa_ieee_mode 1
		.amdhsa_fp16_overflow 0
		.amdhsa_tg_split 0
		.amdhsa_exception_fp_ieee_invalid_op 0
		.amdhsa_exception_fp_denorm_src 0
		.amdhsa_exception_fp_ieee_div_zero 0
		.amdhsa_exception_fp_ieee_overflow 0
		.amdhsa_exception_fp_ieee_underflow 0
		.amdhsa_exception_fp_ieee_inexact 0
		.amdhsa_exception_int_div_zero 0
	.end_amdhsa_kernel
	.section	.text._ZN2at6native32elementwise_kernel_manual_unrollILi128ELi4EZNS0_15gpu_kernel_implIZZZNS0_23launch_dirichlet_kernelERNS_18TensorIteratorBaseEENKUlvE_clEvENKUlvE2_clEvEUlN3c108BFloat16ES8_E_EEvS4_RKT_EUlibE0_EEviT1_,"axG",@progbits,_ZN2at6native32elementwise_kernel_manual_unrollILi128ELi4EZNS0_15gpu_kernel_implIZZZNS0_23launch_dirichlet_kernelERNS_18TensorIteratorBaseEENKUlvE_clEvENKUlvE2_clEvEUlN3c108BFloat16ES8_E_EEvS4_RKT_EUlibE0_EEviT1_,comdat
.Lfunc_end56:
	.size	_ZN2at6native32elementwise_kernel_manual_unrollILi128ELi4EZNS0_15gpu_kernel_implIZZZNS0_23launch_dirichlet_kernelERNS_18TensorIteratorBaseEENKUlvE_clEvENKUlvE2_clEvEUlN3c108BFloat16ES8_E_EEvS4_RKT_EUlibE0_EEviT1_, .Lfunc_end56-_ZN2at6native32elementwise_kernel_manual_unrollILi128ELi4EZNS0_15gpu_kernel_implIZZZNS0_23launch_dirichlet_kernelERNS_18TensorIteratorBaseEENKUlvE_clEvENKUlvE2_clEvEUlN3c108BFloat16ES8_E_EEvS4_RKT_EUlibE0_EEviT1_
                                        ; -- End function
	.section	.AMDGPU.csdata,"",@progbits
; Kernel info:
; codeLenInByte = 69304
; NumSgprs: 82
; NumVgprs: 26
; NumAgprs: 0
; TotalNumVgprs: 26
; ScratchSize: 0
; MemoryBound: 0
; FloatMode: 240
; IeeeMode: 1
; LDSByteSize: 0 bytes/workgroup (compile time only)
; SGPRBlocks: 10
; VGPRBlocks: 3
; NumSGPRsForWavesPerEU: 82
; NumVGPRsForWavesPerEU: 26
; AccumOffset: 28
; Occupancy: 8
; WaveLimiterHint : 1
; COMPUTE_PGM_RSRC2:SCRATCH_EN: 0
; COMPUTE_PGM_RSRC2:USER_SGPR: 6
; COMPUTE_PGM_RSRC2:TRAP_HANDLER: 0
; COMPUTE_PGM_RSRC2:TGID_X_EN: 1
; COMPUTE_PGM_RSRC2:TGID_Y_EN: 0
; COMPUTE_PGM_RSRC2:TGID_Z_EN: 0
; COMPUTE_PGM_RSRC2:TIDIG_COMP_CNT: 0
; COMPUTE_PGM_RSRC3_GFX90A:ACCUM_OFFSET: 6
; COMPUTE_PGM_RSRC3_GFX90A:TG_SPLIT: 0
	.section	.text._ZN2at4cuda12_GLOBAL__N_121kernelPointwiseApply2IZN12_GLOBAL__N_119poisson_cuda_kernelIdEEvRKNS_10TensorBaseES7_NS_15PhiloxCudaStateEEUlRdRKdE_ddjLi1ELi1ELi1ELi512ELi2EEEvNS0_6detail10TensorInfoIT0_T2_EENSE_IT1_SG_EESG_T_,"axG",@progbits,_ZN2at4cuda12_GLOBAL__N_121kernelPointwiseApply2IZN12_GLOBAL__N_119poisson_cuda_kernelIdEEvRKNS_10TensorBaseES7_NS_15PhiloxCudaStateEEUlRdRKdE_ddjLi1ELi1ELi1ELi512ELi2EEEvNS0_6detail10TensorInfoIT0_T2_EENSE_IT1_SG_EESG_T_,comdat
	.globl	_ZN2at4cuda12_GLOBAL__N_121kernelPointwiseApply2IZN12_GLOBAL__N_119poisson_cuda_kernelIdEEvRKNS_10TensorBaseES7_NS_15PhiloxCudaStateEEUlRdRKdE_ddjLi1ELi1ELi1ELi512ELi2EEEvNS0_6detail10TensorInfoIT0_T2_EENSE_IT1_SG_EESG_T_ ; -- Begin function _ZN2at4cuda12_GLOBAL__N_121kernelPointwiseApply2IZN12_GLOBAL__N_119poisson_cuda_kernelIdEEvRKNS_10TensorBaseES7_NS_15PhiloxCudaStateEEUlRdRKdE_ddjLi1ELi1ELi1ELi512ELi2EEEvNS0_6detail10TensorInfoIT0_T2_EENSE_IT1_SG_EESG_T_
	.p2align	8
	.type	_ZN2at4cuda12_GLOBAL__N_121kernelPointwiseApply2IZN12_GLOBAL__N_119poisson_cuda_kernelIdEEvRKNS_10TensorBaseES7_NS_15PhiloxCudaStateEEUlRdRKdE_ddjLi1ELi1ELi1ELi512ELi2EEEvNS0_6detail10TensorInfoIT0_T2_EENSE_IT1_SG_EESG_T_,@function
_ZN2at4cuda12_GLOBAL__N_121kernelPointwiseApply2IZN12_GLOBAL__N_119poisson_cuda_kernelIdEEvRKNS_10TensorBaseES7_NS_15PhiloxCudaStateEEUlRdRKdE_ddjLi1ELi1ELi1ELi512ELi2EEEvNS0_6detail10TensorInfoIT0_T2_EENSE_IT1_SG_EESG_T_: ; @_ZN2at4cuda12_GLOBAL__N_121kernelPointwiseApply2IZN12_GLOBAL__N_119poisson_cuda_kernelIdEEvRKNS_10TensorBaseES7_NS_15PhiloxCudaStateEEUlRdRKdE_ddjLi1ELi1ELi1ELi512ELi2EEEvNS0_6detail10TensorInfoIT0_T2_EENSE_IT1_SG_EESG_T_
; %bb.0:
	s_load_dword s2, s[4:5], 0x1e4
	s_load_dword s49, s[4:5], 0x1b0
	s_add_u32 s0, s4, 0x1d8
	s_addc_u32 s1, s5, 0
	s_waitcnt lgkmcnt(0)
	s_and_b32 s2, s2, 0xffff
	s_mul_i32 s6, s6, s2
	v_add_u32_e32 v17, s6, v0
	v_cmp_gt_u32_e32 vcc, s49, v17
	s_and_saveexec_b64 s[6:7], vcc
	s_cbranch_execz .LBB57_46
; %bb.1:
	s_getpc_b64 s[6:7]
	s_add_u32 s6, s6, .str@rel32@lo+4
	s_addc_u32 s7, s7, .str@rel32@hi+12
	s_cmp_eq_u64 s[6:7], 0
	s_mov_b64 s[6:7], 0
	s_cbranch_scc1 .LBB57_47
; %bb.2:
	s_load_dword s3, s[4:5], 0x1d0
	s_load_dwordx2 s[8:9], s[4:5], 0x0
                                        ; implicit-def: $vgpr132 : SGPR spill to VGPR lane
                                        ; kill: killed $sgpr0 killed $sgpr1
	s_mov_b32 s26, 0
	s_mov_b32 s34, 0x55555555
	;; [unrolled: 1-line block ×3, first 2 shown]
	s_waitcnt lgkmcnt(0)
	s_bitcmp1_b32 s3, 0
	v_writelane_b32 v132, s8, 0
	v_writelane_b32 v132, s9, 1
	s_load_dword s8, s[4:5], 0x6c
	s_mov_b32 s38, 0xbf559e2b
	s_mov_b32 s40, 0xd7f4df2e
	;; [unrolled: 1-line block ×4, first 2 shown]
	s_waitcnt lgkmcnt(0)
	v_writelane_b32 v132, s8, 2
	s_load_dwordx2 s[28:29], s[4:5], 0xd8
	s_load_dword s8, s[4:5], 0x144
	s_mov_b32 s46, 0x998ef7b6
	s_mov_b32 s50, 0xfefa39ef
	;; [unrolled: 1-line block ×4, first 2 shown]
	s_waitcnt lgkmcnt(0)
	v_writelane_b32 v132, s8, 3
	s_load_dwordx2 s[8:9], s[4:5], 0x1c8
	s_mov_b32 s62, 0x6a5dcb37
	s_mov_b32 s64, 0
	;; [unrolled: 1-line block ×4, first 2 shown]
	s_waitcnt lgkmcnt(0)
	v_writelane_b32 v132, s8, 4
	v_writelane_b32 v132, s9, 5
	s_load_dwordx4 s[8:11], s[4:5], 0x1b8
	s_mov_b32 s70, 0x8f3faeef
	s_mov_b32 s72, 0
	;; [unrolled: 1-line block ×4, first 2 shown]
	s_waitcnt lgkmcnt(0)
	v_writelane_b32 v132, s8, 6
	v_writelane_b32 v132, s9, 7
	;; [unrolled: 1-line block ×4, first 2 shown]
	s_load_dword s8, s[0:1], 0x0
	s_mov_b32 s11, 0xcd9e8d57
	v_mad_u64_u32 v[12:13], s[0:1], v17, s11, 0
	s_mov_b32 s78, 0x992b2855
	s_waitcnt lgkmcnt(0)
	s_mul_i32 s0, s8, s2
	v_writelane_b32 v132, s0, 10
	s_cselect_b64 s[0:1], -1, 0
	v_cndmask_b32_e64 v0, 0, 1, s[0:1]
	v_cmp_ne_u32_e64 s[0:1], 1, v0
	v_writelane_b32 v132, s0, 11
	v_writelane_b32 v132, s1, 12
	s_mov_b32 s80, 0
	s_mov_b32 s82, 0x7f8b9c81
	;; [unrolled: 1-line block ×6, first 2 shown]
	s_movk_i32 s92, 0xf950
	s_mov_b32 s24, 0xc864beb5
	s_mov_b32 s20, 0
	;; [unrolled: 1-line block ×4, first 2 shown]
	v_mov_b32_e32 v14, 0
	v_mov_b32_e32 v16, v13
	v_mov_b32_e32 v13, s29
	s_mov_b32 s33, 0xd2511f53
	s_mov_b32 s27, 0x40080000
	;; [unrolled: 1-line block ×12, first 2 shown]
	s_movk_i32 s10, 0x204
	s_mov_b32 s57, 0x3ff71547
	s_mov_b32 s59, 0xbfe62e42
	s_mov_b32 s61, 0xbc7abc9e
	s_mov_b32 s63, 0x3e5ade15
	s_mov_b32 s65, 0x40900000
	s_mov_b32 s67, 0xc090cc00
	s_mov_b32 s69, 0x40200000
	s_mov_b32 s71, 0x3e843550
	v_mov_b32_e32 v18, 0x6b47b09a
	v_mov_b32_e32 v20, 0xd7f4df2e
	;; [unrolled: 1-line block ×59, first 2 shown]
	s_mov_b32 s73, 0x401c0000
	s_mov_b32 s75, 0x3ee4f051
	;; [unrolled: 1-line block ×14, first 2 shown]
	v_writelane_b32 v132, s0, 13
                                        ; kill: killed $sgpr4 killed $sgpr5
	v_writelane_b32 v132, s1, 14
                                        ; implicit-def: $sgpr94_sgpr95
                                        ; implicit-def: $sgpr18_sgpr19
                                        ; implicit-def: $sgpr16_sgpr17
	s_branch .LBB57_6
.LBB57_3:                               ;   in Loop: Header=BB57_6 Depth=1
	s_or_b64 exec, exec, s[4:5]
.LBB57_4:                               ;   in Loop: Header=BB57_6 Depth=1
	s_or_b64 exec, exec, s[0:1]
	v_readlane_b32 s0, v132, 2
	v_mul_lo_u32 v0, v92, s0
	v_cndmask_b32_e64 v0, 0, v0, s[2:3]
	v_mov_b32_e32 v1, v14
	v_readlane_b32 s0, v132, 0
	v_lshlrev_b64 v[0:1], 3, v[0:1]
	v_readlane_b32 s1, v132, 1
	v_mov_b32_e32 v2, s1
	v_add_co_u32_e32 v0, vcc, s0, v0
	v_readlane_b32 s0, v132, 10
	v_addc_co_u32_e32 v1, vcc, v2, v1, vcc
	v_add_u32_e32 v92, s0, v92
	v_cmp_le_u32_e32 vcc, s49, v92
	s_andn2_b64 s[0:1], s[18:19], exec
	s_and_b64 s[2:3], vcc, exec
	v_cvt_f64_u32_e32 v[2:3], v73
	s_andn2_b64 s[16:17], s[16:17], exec
	s_or_b64 s[18:19], s[0:1], s[2:3]
	global_store_dwordx2 v[0:1], v[2:3], off
.LBB57_5:                               ;   in Loop: Header=BB57_6 Depth=1
	s_or_b64 exec, exec, s[30:31]
	s_and_b64 s[0:1], exec, s[18:19]
	s_or_b64 s[6:7], s[0:1], s[6:7]
	s_andn2_b64 s[0:1], s[94:95], exec
	s_and_b64 s[2:3], s[16:17], exec
	s_or_b64 s[94:95], s[0:1], s[2:3]
	s_andn2_b64 exec, exec, s[6:7]
	s_cbranch_execz .LBB57_45
.LBB57_6:                               ; =>This Loop Header: Depth=1
                                        ;     Child Loop BB57_12 Depth 2
                                        ;     Child Loop BB57_41 Depth 2
	v_sub_u32_e32 v0, s49, v92
	v_readlane_b32 s0, v132, 3
	v_mul_lo_u32 v1, v92, s0
	v_cmp_lt_i32_e64 s[2:3], 0, v0
	v_cndmask_b32_e64 v0, 0, v1, s[2:3]
	v_mov_b32_e32 v1, v14
	v_lshlrev_b64 v[0:1], 3, v[0:1]
	v_add_co_u32_e32 v0, vcc, s28, v0
	v_addc_co_u32_e32 v1, vcc, v13, v1, vcc
	global_load_dwordx2 v[4:5], v[0:1], off
	s_or_b64 s[16:17], s[16:17], exec
	s_or_b64 s[18:19], s[18:19], exec
	s_waitcnt vmcnt(0)
	v_cmp_le_f64_e32 vcc, 0, v[4:5]
	s_and_saveexec_b64 s[30:31], vcc
	s_cbranch_execz .LBB57_5
; %bb.7:                                ;   in Loop: Header=BB57_6 Depth=1
	v_readlane_b32 s0, v132, 11
	v_readlane_b32 s12, v132, 6
	;; [unrolled: 1-line block ×6, first 2 shown]
	s_and_b64 vcc, exec, s[0:1]
	v_pk_mov_b32 v[0:1], s[14:15], s[14:15] op_sel:[0,1]
	v_pk_mov_b32 v[70:71], s[12:13], s[12:13] op_sel:[0,1]
	s_cbranch_vccnz .LBB57_9
; %bb.8:                                ;   in Loop: Header=BB57_6 Depth=1
	v_readlane_b32 s12, v132, 6
	v_readlane_b32 s14, v132, 8
	;; [unrolled: 1-line block ×3, first 2 shown]
	v_pk_mov_b32 v[0:1], s[14:15], s[14:15] op_sel:[0,1]
	v_readlane_b32 s13, v132, 7
	flat_load_dwordx2 v[0:1], v[0:1]
	v_pk_mov_b32 v[2:3], s[12:13], s[12:13] op_sel:[0,1]
	flat_load_dwordx2 v[70:71], v[2:3]
	v_readlane_b32 s0, v132, 4
	v_readlane_b32 s1, v132, 5
	v_mov_b32_e32 v2, s1
	s_waitcnt vmcnt(0) lgkmcnt(0)
	v_add_co_u32_e32 v0, vcc, s0, v0
	v_addc_co_u32_e32 v1, vcc, v1, v2, vcc
.LBB57_9:                               ;   in Loop: Header=BB57_6 Depth=1
	v_alignbit_b32 v94, v1, v0, 2
	v_and_b32_e32 v15, 3, v0
	v_lshrrev_b32_e32 v95, 2, v1
	v_mad_u64_u32 v[0:1], s[0:1], v94, s33, 0
	v_xor_b32_e32 v3, v16, v70
	v_mov_b32_e32 v2, v71
	v_xor_b32_e32 v1, v1, v71
	s_mov_b32 s0, 0xbb67ae85
	v_xor_b32_e32 v3, v3, v95
	v_add_co_u32_e32 v97, vcc, s0, v2
	v_mad_u64_u32 v[6:7], s[0:1], v3, s33, 0
	v_mad_u64_u32 v[8:9], s[0:1], v1, s11, 0
	v_add_co_u32_e32 v96, vcc, 0x9e3779b9, v70
	v_xor_b32_e32 v1, v12, v9
	v_xor_b32_e32 v3, v97, v7
	s_mov_b32 s0, 0x3c6ef372
	v_xor_b32_e32 v1, v1, v96
	v_xor_b32_e32 v3, v3, v0
	v_add_co_u32_e32 v98, vcc, s0, v70
	s_mov_b32 s0, 0x76cf5d0a
	v_add_co_u32_e32 v99, vcc, s0, v2
	v_mad_u64_u32 v[0:1], s[0:1], v1, s33, 0
	v_mad_u64_u32 v[10:11], s[0:1], v3, s11, 0
	v_xor_b32_e32 v3, v98, v11
	v_xor_b32_e32 v1, v99, v1
	s_mov_b32 s0, 0xdaa66d2b
	v_xor_b32_e32 v3, v3, v8
	v_xor_b32_e32 v1, v1, v6
	v_add_co_u32_e32 v101, vcc, s0, v70
	s_mov_b32 s0, 0x32370b8f
	v_add_co_u32_e32 v102, vcc, s0, v2
	v_mad_u64_u32 v[6:7], s[0:1], v3, s33, 0
	v_mad_u64_u32 v[8:9], s[0:1], v1, s11, 0
	;; [unrolled: 10-line block ×7, first 2 shown]
	v_xor_b32_e32 v1, v100, v1
	v_xor_b32_e32 v3, v112, v3
	;; [unrolled: 1-line block ×4, first 2 shown]
	v_mad_u64_u32 v[6:7], s[0:1], v1, s33, 0
	v_mad_u64_u32 v[8:9], s[0:1], v8, s11, 0
	s_mov_b32 s0, 0
	v_add_u32_e32 v103, 0x8ff34781, v70
	v_add_u32_e32 v93, 0x96a522ad, v71
	v_xor_b32_e32 v0, v9, v0
	v_xor_b32_e32 v2, v7, v2
	s_mov_b32 s1, 0x40500000
	v_mov_b32_e32 v3, v6
	v_mov_b32_e32 v1, v8
	v_xor_b32_e32 v0, v103, v0
	v_xor_b32_e32 v2, v93, v2
	v_cmp_ngt_f64_e32 vcc, s[0:1], v[4:5]
                                        ; implicit-def: $vgpr73
	s_and_saveexec_b64 s[0:1], vcc
	s_xor_b64 s[54:55], exec, s[0:1]
	s_cbranch_execz .LBB57_38
; %bb.10:                               ;   in Loop: Header=BB57_6 Depth=1
	s_mov_b32 s0, 0
	s_mov_b32 s1, 0x40af4000
	v_cmp_ge_f64_e32 vcc, s[0:1], v[4:5]
                                        ; implicit-def: $vgpr73
	s_and_saveexec_b64 s[0:1], vcc
	s_xor_b64 s[12:13], exec, s[0:1]
	s_cbranch_execz .LBB57_25
; %bb.11:                               ;   in Loop: Header=BB57_6 Depth=1
	s_mov_b32 s8, 0xae147ae1
	s_mov_b32 s9, 0xc00ae147
	v_div_scale_f64 v[6:7], s[0:1], v[4:5], v[4:5], s[8:9]
	v_rcp_f64_e32 v[8:9], v[6:7]
	s_mov_b32 s0, 0
	v_mul_f64 v[74:75], v[4:5], s[26:27]
	s_brev_b32 s1, 8
	v_cmp_gt_f64_e64 s[4:5], s[0:1], v[74:75]
	v_cndmask_b32_e64 v76, 0, 1, s[4:5]
	v_fma_f64 v[72:73], -v[6:7], v[8:9], 1.0
	v_lshlrev_b32_e32 v76, 8, v76
	v_fmac_f64_e32 v[8:9], v[8:9], v[72:73]
	v_ldexp_f64 v[74:75], v[74:75], v76
	v_fma_f64 v[72:73], -v[6:7], v[8:9], 1.0
	v_rsq_f64_e32 v[76:77], v[74:75]
	v_div_scale_f64 v[10:11], vcc, s[8:9], v[4:5], s[8:9]
	v_fmac_f64_e32 v[8:9], v[8:9], v[72:73]
	v_mul_f64 v[72:73], v[10:11], v[8:9]
	v_fma_f64 v[6:7], -v[6:7], v[72:73], v[10:11]
	s_nop 0
	v_div_fmas_f64 v[6:7], v[6:7], v[8:9], v[72:73]
	v_mul_f64 v[8:9], v[74:75], v[76:77]
	v_mul_f64 v[10:11], v[76:77], 0.5
	v_fma_f64 v[72:73], -v[10:11], v[8:9], 0.5
	v_fmac_f64_e32 v[8:9], v[8:9], v[72:73]
	v_fma_f64 v[76:77], -v[8:9], v[8:9], v[74:75]
	v_fmac_f64_e32 v[10:11], v[10:11], v[72:73]
	v_fmac_f64_e32 v[8:9], v[76:77], v[10:11]
	v_fma_f64 v[72:73], -v[8:9], v[8:9], v[74:75]
	v_fmac_f64_e32 v[8:9], v[72:73], v[10:11]
	v_cndmask_b32_e64 v10, 0, v87, s[4:5]
	v_ldexp_f64 v[8:9], v[8:9], v10
	v_cmp_class_f64_e32 vcc, v[74:75], v86
	s_mov_b32 s4, 0x54442d18
	v_cndmask_b32_e32 v9, v9, v75, vcc
	v_cndmask_b32_e32 v8, v8, v74, vcc
	s_mov_b32 s5, 0x400921fb
	v_div_scale_f64 v[10:11], s[0:1], v[8:9], v[8:9], s[4:5]
	v_rcp_f64_e32 v[74:75], v[10:11]
	s_mov_b32 s0, 0x95810625
	v_div_fixup_f64 v[6:7], v[6:7], v[4:5], s[8:9]
	s_mov_b32 s1, 0x3fe88b43
	v_fma_f64 v[76:77], -v[10:11], v[74:75], 1.0
	v_fmac_f64_e32 v[74:75], v[74:75], v[76:77]
	v_fma_f64 v[76:77], -v[10:11], v[74:75], 1.0
	v_fmac_f64_e32 v[74:75], v[74:75], v[76:77]
	v_div_scale_f64 v[76:77], vcc, s[4:5], v[8:9], s[4:5]
	v_mul_f64 v[78:79], v[76:77], v[74:75]
	v_fma_f64 v[10:11], -v[10:11], v[78:79], v[76:77]
	v_add_f64 v[6:7], v[6:7], s[0:1]
	s_nop 0
	v_div_fmas_f64 v[10:11], v[10:11], v[74:75], v[78:79]
	v_div_fixup_f64 v[74:75], v[10:11], v[8:9], s[4:5]
	v_frexp_mant_f64_e32 v[8:9], v[6:7]
	v_cmp_gt_f64_e32 vcc, s[34:35], v[8:9]
	v_mov_b32_e32 v72, 0
	v_cndmask_b32_e64 v73, v88, 2.0, vcc
	v_frexp_exp_i32_f64_e32 v10, v[6:7]
	v_mul_f64 v[8:9], v[8:9], v[72:73]
	v_subbrev_co_u32_e32 v73, vcc, 0, v10, vcc
	v_add_f64 v[10:11], v[8:9], 1.0
	v_rcp_f64_e32 v[78:79], v[10:11]
	v_add_f64 v[82:83], v[10:11], -1.0
	v_add_f64 v[80:81], v[8:9], -1.0
	v_add_f64 v[8:9], v[8:9], -v[82:83]
	v_fma_f64 v[82:83], -v[10:11], v[78:79], 1.0
	v_fmac_f64_e32 v[78:79], v[82:83], v[78:79]
	v_fma_f64 v[82:83], -v[10:11], v[78:79], 1.0
	v_fmac_f64_e32 v[78:79], v[82:83], v[78:79]
	v_mul_f64 v[82:83], v[80:81], v[78:79]
	v_mul_f64 v[84:85], v[10:11], v[82:83]
	v_fma_f64 v[10:11], v[82:83], v[10:11], -v[84:85]
	v_fmac_f64_e32 v[10:11], v[82:83], v[8:9]
	v_add_f64 v[8:9], v[84:85], v[10:11]
	v_add_f64 v[114:115], v[80:81], -v[8:9]
	v_add_f64 v[84:85], v[8:9], -v[84:85]
	;; [unrolled: 1-line block ×5, first 2 shown]
	v_add_f64 v[8:9], v[10:11], v[8:9]
	v_add_f64 v[8:9], v[114:115], v[8:9]
	v_mul_f64 v[8:9], v[78:79], v[8:9]
	v_add_f64 v[10:11], v[82:83], v[8:9]
	v_add_f64 v[78:79], v[10:11], -v[82:83]
	v_add_f64 v[8:9], v[8:9], -v[78:79]
	v_mul_f64 v[78:79], v[10:11], v[10:11]
	v_pk_mov_b32 v[80:81], s[36:37], s[36:37] op_sel:[0,1]
	v_fma_f64 v[82:83], s[38:39], v[78:79], v[80:81]
	v_fma_f64 v[82:83], v[78:79], v[82:83], s[40:41]
	;; [unrolled: 1-line block ×4, first 2 shown]
	s_mov_b32 s29, s49
	v_fma_f64 v[82:83], v[78:79], v[82:83], s[46:47]
	s_mov_b32 s49, s35
	v_fma_f64 v[82:83], v[78:79], v[82:83], s[48:49]
	v_ldexp_f64 v[84:85], v[10:11], 1
	v_mul_f64 v[10:11], v[10:11], v[78:79]
	v_mul_f64 v[10:11], v[10:11], v[82:83]
	v_add_f64 v[78:79], v[84:85], v[10:11]
	v_add_f64 v[82:83], v[78:79], -v[84:85]
	v_ldexp_f64 v[8:9], v[8:9], 1
	v_add_f64 v[10:11], v[10:11], -v[82:83]
	v_add_f64 v[8:9], v[8:9], v[10:11]
	v_add_f64 v[10:11], v[78:79], v[8:9]
	v_add_f64 v[78:79], v[10:11], -v[78:79]
	v_add_f64 v[8:9], v[8:9], -v[78:79]
	v_cvt_f64_i32_e32 v[78:79], v73
	v_mul_f64 v[82:83], v[78:79], s[50:51]
	v_fma_f64 v[84:85], v[78:79], s[50:51], -v[82:83]
	v_fmac_f64_e32 v[84:85], s[52:53], v[78:79]
	v_add_f64 v[78:79], v[82:83], v[84:85]
	v_add_f64 v[82:83], v[78:79], -v[82:83]
	v_add_f64 v[82:83], v[84:85], -v[82:83]
	v_add_f64 v[84:85], v[78:79], v[10:11]
	v_add_f64 v[114:115], v[84:85], -v[78:79]
	v_add_f64 v[116:117], v[84:85], -v[114:115]
	;; [unrolled: 1-line block ×4, first 2 shown]
	v_add_f64 v[10:11], v[10:11], v[78:79]
	v_add_f64 v[78:79], v[82:83], v[8:9]
	v_add_f64 v[114:115], v[78:79], -v[82:83]
	v_add_f64 v[116:117], v[78:79], -v[114:115]
	v_add_f64 v[10:11], v[78:79], v[10:11]
	v_add_f64 v[82:83], v[82:83], -v[116:117]
	v_add_f64 v[8:9], v[8:9], -v[114:115]
	v_add_f64 v[78:79], v[84:85], v[10:11]
	v_add_f64 v[8:9], v[8:9], v[82:83]
	v_add_f64 v[82:83], v[78:79], -v[84:85]
	v_add_f64 v[10:11], v[10:11], -v[82:83]
	v_add_f64 v[8:9], v[8:9], v[10:11]
	v_add_f64 v[8:9], v[78:79], v[8:9]
	v_cmp_class_f64_e64 vcc, v[6:7], s10
	v_cndmask_b32_e32 v8, v8, v6, vcc
	v_cndmask_b32_e32 v9, v9, v7, vcc
	v_cmp_ngt_f64_e32 vcc, 0, v[6:7]
	v_cndmask_b32_e32 v9, v89, v9, vcc
	v_cmp_nge_f64_e32 vcc, 0, v[6:7]
	v_cndmask_b32_e32 v8, 0, v8, vcc
	v_cmp_neq_f64_e32 vcc, 0, v[6:7]
	v_cndmask_b32_e32 v9, v90, v9, vcc
	v_add_f64 v[6:7], v[8:9], -v[4:5]
	v_frexp_mant_f64_e32 v[8:9], v[74:75]
	v_cmp_gt_f64_e32 vcc, s[34:35], v[8:9]
	v_cndmask_b32_e64 v73, v88, 2.0, vcc
	v_frexp_exp_i32_f64_e32 v10, v[74:75]
	v_mul_f64 v[8:9], v[8:9], v[72:73]
	v_subbrev_co_u32_e32 v73, vcc, 0, v10, vcc
	v_add_f64 v[10:11], v[8:9], 1.0
	v_rcp_f64_e32 v[78:79], v[10:11]
	v_add_f64 v[84:85], v[10:11], -1.0
	v_add_f64 v[82:83], v[8:9], -1.0
	v_add_f64 v[8:9], v[8:9], -v[84:85]
	v_fma_f64 v[84:85], -v[10:11], v[78:79], 1.0
	v_fmac_f64_e32 v[78:79], v[84:85], v[78:79]
	v_fma_f64 v[84:85], -v[10:11], v[78:79], 1.0
	v_fmac_f64_e32 v[78:79], v[84:85], v[78:79]
	v_mul_f64 v[84:85], v[82:83], v[78:79]
	v_mul_f64 v[114:115], v[10:11], v[84:85]
	v_fma_f64 v[10:11], v[84:85], v[10:11], -v[114:115]
	v_fmac_f64_e32 v[10:11], v[84:85], v[8:9]
	v_add_f64 v[8:9], v[114:115], v[10:11]
	v_add_f64 v[116:117], v[82:83], -v[8:9]
	v_add_f64 v[114:115], v[8:9], -v[114:115]
	;; [unrolled: 1-line block ×5, first 2 shown]
	v_add_f64 v[8:9], v[10:11], v[8:9]
	v_add_f64 v[8:9], v[116:117], v[8:9]
	v_mul_f64 v[8:9], v[78:79], v[8:9]
	v_add_f64 v[10:11], v[84:85], v[8:9]
	v_add_f64 v[78:79], v[10:11], -v[84:85]
	v_add_f64 v[8:9], v[8:9], -v[78:79]
	v_mul_f64 v[78:79], v[10:11], v[10:11]
	v_fma_f64 v[82:83], s[38:39], v[78:79], v[80:81]
	v_fma_f64 v[82:83], v[78:79], v[82:83], s[40:41]
	;; [unrolled: 1-line block ×6, first 2 shown]
	v_ldexp_f64 v[84:85], v[10:11], 1
	v_mul_f64 v[10:11], v[10:11], v[78:79]
	v_mul_f64 v[10:11], v[10:11], v[82:83]
	v_add_f64 v[78:79], v[84:85], v[10:11]
	v_add_f64 v[82:83], v[78:79], -v[84:85]
	v_ldexp_f64 v[8:9], v[8:9], 1
	v_add_f64 v[10:11], v[10:11], -v[82:83]
	v_add_f64 v[8:9], v[8:9], v[10:11]
	v_add_f64 v[10:11], v[78:79], v[8:9]
	v_add_f64 v[78:79], v[10:11], -v[78:79]
	v_add_f64 v[8:9], v[8:9], -v[78:79]
	v_cvt_f64_i32_e32 v[78:79], v73
	v_mul_f64 v[82:83], v[78:79], s[50:51]
	v_fma_f64 v[84:85], v[78:79], s[50:51], -v[82:83]
	v_fmac_f64_e32 v[84:85], s[52:53], v[78:79]
	v_add_f64 v[78:79], v[82:83], v[84:85]
	v_add_f64 v[82:83], v[78:79], -v[82:83]
	v_add_f64 v[82:83], v[84:85], -v[82:83]
	v_add_f64 v[84:85], v[78:79], v[10:11]
	v_add_f64 v[114:115], v[84:85], -v[78:79]
	v_add_f64 v[116:117], v[84:85], -v[114:115]
	;; [unrolled: 1-line block ×4, first 2 shown]
	v_add_f64 v[10:11], v[10:11], v[78:79]
	v_add_f64 v[78:79], v[82:83], v[8:9]
	v_add_f64 v[114:115], v[78:79], -v[82:83]
	v_add_f64 v[116:117], v[78:79], -v[114:115]
	v_add_f64 v[10:11], v[78:79], v[10:11]
	v_add_f64 v[82:83], v[82:83], -v[116:117]
	v_add_f64 v[8:9], v[8:9], -v[114:115]
	v_add_f64 v[78:79], v[84:85], v[10:11]
	v_add_f64 v[8:9], v[8:9], v[82:83]
	v_add_f64 v[82:83], v[78:79], -v[84:85]
	v_add_f64 v[10:11], v[10:11], -v[82:83]
	s_mov_b32 s0, 0
	v_add_f64 v[8:9], v[8:9], v[10:11]
	s_mov_b32 s1, 0x7ff00000
	v_add_f64 v[8:9], v[78:79], v[8:9]
	v_cmp_eq_f64_e32 vcc, s[0:1], v[74:75]
	v_cndmask_b32_e32 v8, v8, v74, vcc
	v_cndmask_b32_e32 v9, v9, v75, vcc
	v_cmp_neq_f64_e32 vcc, 0, v[74:75]
	v_cndmask_b32_e32 v9, v90, v9, vcc
	v_cndmask_b32_e32 v8, 0, v8, vcc
	v_mul_f64 v[76:77], v[4:5], v[74:75]
	v_add_f64 v[78:79], v[6:7], -v[8:9]
	v_frexp_exp_i32_f64_e32 v6, v[4:5]
	v_frexp_mant_f64_e32 v[4:5], v[4:5]
	v_cmp_gt_f64_e32 vcc, s[34:35], v[4:5]
	v_cndmask_b32_e64 v73, v88, 2.0, vcc
	v_mul_f64 v[4:5], v[4:5], v[72:73]
	v_subbrev_co_u32_e32 v73, vcc, 0, v6, vcc
	v_add_f64 v[6:7], v[4:5], 1.0
	v_rcp_f64_e32 v[8:9], v[6:7]
	v_add_f64 v[82:83], v[6:7], -1.0
	v_add_f64 v[10:11], v[4:5], -1.0
	v_add_f64 v[4:5], v[4:5], -v[82:83]
	v_fma_f64 v[82:83], -v[6:7], v[8:9], 1.0
	v_fmac_f64_e32 v[8:9], v[82:83], v[8:9]
	v_fma_f64 v[82:83], -v[6:7], v[8:9], 1.0
	v_fmac_f64_e32 v[8:9], v[82:83], v[8:9]
	v_mul_f64 v[82:83], v[10:11], v[8:9]
	v_mul_f64 v[84:85], v[6:7], v[82:83]
	v_fma_f64 v[6:7], v[82:83], v[6:7], -v[84:85]
	v_fmac_f64_e32 v[6:7], v[82:83], v[4:5]
	v_add_f64 v[4:5], v[84:85], v[6:7]
	v_add_f64 v[114:115], v[10:11], -v[4:5]
	v_add_f64 v[84:85], v[4:5], -v[84:85]
	;; [unrolled: 1-line block ×5, first 2 shown]
	v_add_f64 v[4:5], v[6:7], v[4:5]
	v_add_f64 v[4:5], v[114:115], v[4:5]
	v_mul_f64 v[4:5], v[8:9], v[4:5]
	v_add_f64 v[6:7], v[82:83], v[4:5]
	v_add_f64 v[8:9], v[6:7], -v[82:83]
	v_add_f64 v[4:5], v[4:5], -v[8:9]
	v_mul_f64 v[8:9], v[6:7], v[6:7]
	v_fmac_f64_e32 v[80:81], s[38:39], v[8:9]
	v_fma_f64 v[10:11], v[8:9], v[80:81], s[40:41]
	v_fma_f64 v[10:11], v[8:9], v[10:11], s[42:43]
	;; [unrolled: 1-line block ×5, first 2 shown]
	v_ldexp_f64 v[80:81], v[6:7], 1
	v_mul_f64 v[6:7], v[6:7], v[8:9]
	v_mul_f64 v[6:7], v[6:7], v[10:11]
	v_add_f64 v[8:9], v[80:81], v[6:7]
	v_add_f64 v[10:11], v[8:9], -v[80:81]
	v_ldexp_f64 v[4:5], v[4:5], 1
	v_add_f64 v[6:7], v[6:7], -v[10:11]
	v_add_f64 v[4:5], v[4:5], v[6:7]
	v_add_f64 v[6:7], v[8:9], v[4:5]
	v_add_f64 v[8:9], v[6:7], -v[8:9]
	v_add_f64 v[4:5], v[4:5], -v[8:9]
	v_cvt_f64_i32_e32 v[8:9], v73
	v_mul_f64 v[10:11], v[8:9], s[50:51]
	v_fma_f64 v[80:81], v[8:9], s[50:51], -v[10:11]
	v_fmac_f64_e32 v[80:81], s[52:53], v[8:9]
	v_add_f64 v[8:9], v[10:11], v[80:81]
	v_add_f64 v[10:11], v[8:9], -v[10:11]
	v_add_f64 v[10:11], v[80:81], -v[10:11]
	v_add_f64 v[80:81], v[8:9], v[6:7]
	v_add_f64 v[82:83], v[80:81], -v[8:9]
	v_add_f64 v[84:85], v[80:81], -v[82:83]
	;; [unrolled: 1-line block ×4, first 2 shown]
	v_add_f64 v[6:7], v[6:7], v[8:9]
	v_add_f64 v[8:9], v[10:11], v[4:5]
	v_add_f64 v[82:83], v[8:9], -v[10:11]
	v_add_f64 v[84:85], v[8:9], -v[82:83]
	v_add_f64 v[6:7], v[8:9], v[6:7]
	v_add_f64 v[10:11], v[10:11], -v[84:85]
	v_add_f64 v[4:5], v[4:5], -v[82:83]
	v_add_f64 v[8:9], v[80:81], v[6:7]
	v_add_f64 v[4:5], v[4:5], v[10:11]
	v_add_f64 v[10:11], v[8:9], -v[80:81]
	v_add_f64 v[6:7], v[6:7], -v[10:11]
	v_add_f64 v[4:5], v[4:5], v[6:7]
	v_add_f64 v[80:81], v[8:9], v[4:5]
	s_mov_b64 s[14:15], 0
	s_mov_b64 s[0:1], 0
	v_mov_b32_e32 v113, v17
                                        ; implicit-def: $vgpr73
.LBB57_12:                              ;   Parent Loop BB57_6 Depth=1
                                        ; =>  This Inner Loop Header: Depth=2
	v_add_u32_e32 v114, 1, v15
	v_pk_mov_b32 v[10:11], v[2:3], v[2:3] op_sel:[0,1]
	v_cmp_eq_u32_e32 vcc, 4, v114
	v_pk_mov_b32 v[8:9], v[0:1], v[0:1] op_sel:[0,1]
	v_mov_b32_e32 v85, v0
	v_mov_b32_e32 v84, v1
	;; [unrolled: 1-line block ×4, first 2 shown]
	s_and_saveexec_b64 s[4:5], vcc
	s_cbranch_execz .LBB57_14
; %bb.13:                               ;   in Loop: Header=BB57_12 Depth=2
	v_add_co_u32_e32 v94, vcc, 1, v94
	v_cndmask_b32_e64 v4, 0, 1, vcc
	v_addc_co_u32_e32 v95, vcc, 0, v95, vcc
	v_cmp_eq_u32_e32 vcc, 0, v95
	v_cndmask_b32_e32 v4, 0, v4, vcc
	v_add_u32_e32 v113, v4, v113
	v_cmp_eq_u32_e32 vcc, 0, v113
	v_cndmask_b32_e32 v4, 0, v4, vcc
	v_add_u32_e32 v72, v4, v72
	v_mad_u64_u32 v[4:5], s[8:9], v94, s33, 0
	v_mad_u64_u32 v[6:7], s[8:9], v113, s11, 0
	v_xor_b32_e32 v5, v5, v71
	v_xor_b32_e32 v7, v7, v70
	v_xor_b32_e32 v5, v72, v5
	v_xor_b32_e32 v7, v95, v7
	v_mad_u64_u32 v[10:11], s[8:9], v5, s11, 0
	v_mad_u64_u32 v[8:9], s[8:9], v7, s33, 0
	v_xor_b32_e32 v5, v96, v11
	v_xor_b32_e32 v5, v5, v6
	v_xor_b32_e32 v6, v97, v9
	v_xor_b32_e32 v6, v6, v4
	;; [unrolled: 6-line block ×10, first 2 shown]
	v_mov_b32_e32 v114, 0
	v_mov_b32_e32 v9, v84
	;; [unrolled: 1-line block ×5, first 2 shown]
.LBB57_14:                              ;   in Loop: Header=BB57_12 Depth=2
	s_or_b64 exec, exec, s[4:5]
	v_add_u32_e32 v115, 1, v114
	v_pk_mov_b32 v[4:5], v[8:9], v[8:9] op_sel:[0,1]
	v_cmp_eq_u32_e32 vcc, 4, v115
	v_pk_mov_b32 v[6:7], v[10:11], v[10:11] op_sel:[0,1]
	s_and_saveexec_b64 s[4:5], vcc
	s_cbranch_execz .LBB57_16
; %bb.15:                               ;   in Loop: Header=BB57_12 Depth=2
	v_add_co_u32_e32 v94, vcc, 1, v94
	v_cndmask_b32_e64 v4, 0, 1, vcc
	v_addc_co_u32_e32 v95, vcc, 0, v95, vcc
	v_cmp_eq_u32_e32 vcc, 0, v95
	v_cndmask_b32_e32 v4, 0, v4, vcc
	v_add_u32_e32 v113, v4, v113
	v_cmp_eq_u32_e32 vcc, 0, v113
	v_cndmask_b32_e32 v4, 0, v4, vcc
	v_add_u32_e32 v72, v4, v72
	v_mad_u64_u32 v[4:5], s[8:9], v94, s33, 0
	v_mad_u64_u32 v[6:7], s[8:9], v113, s11, 0
	v_xor_b32_e32 v5, v5, v71
	v_xor_b32_e32 v7, v7, v70
	v_xor_b32_e32 v5, v72, v5
	v_xor_b32_e32 v7, v95, v7
	v_mad_u64_u32 v[84:85], s[8:9], v5, s11, 0
	v_mad_u64_u32 v[82:83], s[8:9], v7, s33, 0
	v_xor_b32_e32 v5, v96, v85
	v_xor_b32_e32 v5, v5, v6
	v_xor_b32_e32 v6, v97, v83
	v_xor_b32_e32 v6, v6, v4
	;; [unrolled: 6-line block ×10, first 2 shown]
	v_mov_b32_e32 v115, 0
	v_mov_b32_e32 v5, v84
	;; [unrolled: 1-line block ×5, first 2 shown]
.LBB57_16:                              ;   in Loop: Header=BB57_12 Depth=2
	s_or_b64 exec, exec, s[4:5]
	v_cmp_eq_u32_e32 vcc, 1, v15
	v_cndmask_b32_e32 v0, v0, v1, vcc
	v_cmp_eq_u32_e32 vcc, 2, v15
	v_cndmask_b32_e32 v0, v0, v2, vcc
	;; [unrolled: 2-line block ×6, first 2 shown]
	v_lshrrev_b32_e32 v0, 11, v0
	v_cvt_f64_u32_e32 v[0:1], v0
	v_ldexp_f64 v[0:1], v[0:1], 32
	v_cvt_f64_u32_e32 v[2:3], v2
	v_add_f64 v[0:1], v[0:1], v[2:3]
	v_mov_b32_e32 v2, 0
	v_mov_b32_e32 v3, 0x3ca00000
	v_fmac_f64_e32 v[2:3], 0x3ca00000, v[0:1]
	v_add_f64 v[0:1], -v[2:3], 1.0
	v_div_scale_f64 v[8:9], s[4:5], v[2:3], v[2:3], v[0:1]
	v_rcp_f64_e32 v[10:11], v[8:9]
	v_fma_f64 v[116:117], -v[8:9], v[10:11], 1.0
	v_fmac_f64_e32 v[10:11], v[10:11], v[116:117]
	v_fma_f64 v[116:117], -v[8:9], v[10:11], 1.0
	v_fmac_f64_e32 v[10:11], v[10:11], v[116:117]
	v_div_scale_f64 v[116:117], vcc, v[0:1], v[2:3], v[0:1]
	v_mul_f64 v[118:119], v[116:117], v[10:11]
	v_fma_f64 v[8:9], -v[8:9], v[118:119], v[116:117]
	s_nop 1
	v_div_fmas_f64 v[8:9], v[8:9], v[10:11], v[118:119]
	v_div_fixup_f64 v[0:1], v[8:9], v[2:3], v[0:1]
	v_frexp_mant_f64_e32 v[2:3], v[0:1]
	v_cmp_gt_f64_e32 vcc, s[34:35], v[2:3]
	v_cndmask_b32_e64 v15, v88, 2.0, vcc
	v_frexp_exp_i32_f64_e32 v8, v[0:1]
	v_mul_f64 v[2:3], v[2:3], v[14:15]
	v_subbrev_co_u32_e32 v15, vcc, 0, v8, vcc
	v_add_f64 v[8:9], v[2:3], 1.0
	v_rcp_f64_e32 v[10:11], v[8:9]
	v_add_f64 v[118:119], v[8:9], -1.0
	v_add_f64 v[116:117], v[2:3], -1.0
	v_add_f64 v[2:3], v[2:3], -v[118:119]
	v_fma_f64 v[118:119], -v[8:9], v[10:11], 1.0
	v_fmac_f64_e32 v[10:11], v[118:119], v[10:11]
	v_fma_f64 v[118:119], -v[8:9], v[10:11], 1.0
	v_fmac_f64_e32 v[10:11], v[118:119], v[10:11]
	v_mul_f64 v[118:119], v[116:117], v[10:11]
	v_mul_f64 v[120:121], v[8:9], v[118:119]
	v_fma_f64 v[8:9], v[118:119], v[8:9], -v[120:121]
	v_fmac_f64_e32 v[8:9], v[118:119], v[2:3]
	v_add_f64 v[2:3], v[120:121], v[8:9]
	v_add_f64 v[122:123], v[116:117], -v[2:3]
	v_add_f64 v[120:121], v[2:3], -v[120:121]
	;; [unrolled: 1-line block ×5, first 2 shown]
	v_add_f64 v[2:3], v[8:9], v[2:3]
	v_add_f64 v[2:3], v[122:123], v[2:3]
	v_mul_f64 v[2:3], v[10:11], v[2:3]
	v_add_f64 v[8:9], v[118:119], v[2:3]
	v_add_f64 v[10:11], v[8:9], -v[118:119]
	v_add_f64 v[2:3], v[2:3], -v[10:11]
	v_mul_f64 v[10:11], v[8:9], v[8:9]
	v_pk_mov_b32 v[116:117], v[18:19], v[18:19] op_sel:[0,1]
	v_fmac_f64_e32 v[116:117], s[38:39], v[10:11]
	v_pk_mov_b32 v[118:119], v[20:21], v[20:21] op_sel:[0,1]
	v_fmac_f64_e32 v[118:119], v[10:11], v[116:117]
	;; [unrolled: 2-line block ×6, first 2 shown]
	v_ldexp_f64 v[116:117], v[8:9], 1
	v_mul_f64 v[8:9], v[8:9], v[10:11]
	v_mul_f64 v[8:9], v[8:9], v[118:119]
	v_add_f64 v[10:11], v[116:117], v[8:9]
	v_add_f64 v[116:117], v[10:11], -v[116:117]
	v_ldexp_f64 v[2:3], v[2:3], 1
	v_add_f64 v[8:9], v[8:9], -v[116:117]
	v_add_f64 v[2:3], v[2:3], v[8:9]
	v_add_f64 v[8:9], v[10:11], v[2:3]
	v_add_f64 v[10:11], v[8:9], -v[10:11]
	v_add_f64 v[2:3], v[2:3], -v[10:11]
	v_cvt_f64_i32_e32 v[10:11], v15
	v_mul_f64 v[116:117], v[10:11], s[50:51]
	v_fma_f64 v[118:119], v[10:11], s[50:51], -v[116:117]
	v_fmac_f64_e32 v[118:119], s[52:53], v[10:11]
	v_add_f64 v[10:11], v[116:117], v[118:119]
	v_add_f64 v[116:117], v[10:11], -v[116:117]
	v_add_f64 v[116:117], v[118:119], -v[116:117]
	v_add_f64 v[118:119], v[10:11], v[8:9]
	v_add_f64 v[120:121], v[118:119], -v[10:11]
	v_add_f64 v[122:123], v[118:119], -v[120:121]
	v_add_f64 v[10:11], v[10:11], -v[122:123]
	v_add_f64 v[8:9], v[8:9], -v[120:121]
	v_add_f64 v[8:9], v[8:9], v[10:11]
	v_add_f64 v[10:11], v[116:117], v[2:3]
	v_add_f64 v[120:121], v[10:11], -v[116:117]
	v_add_f64 v[122:123], v[10:11], -v[120:121]
	v_add_f64 v[8:9], v[10:11], v[8:9]
	v_add_f64 v[116:117], v[116:117], -v[122:123]
	v_add_f64 v[2:3], v[2:3], -v[120:121]
	v_add_f64 v[10:11], v[118:119], v[8:9]
	v_add_f64 v[2:3], v[2:3], v[116:117]
	v_add_f64 v[116:117], v[10:11], -v[118:119]
	v_add_f64 v[8:9], v[8:9], -v[116:117]
	v_add_f64 v[2:3], v[2:3], v[8:9]
	v_add_f64 v[2:3], v[10:11], v[2:3]
	v_cmp_class_f64_e64 vcc, v[0:1], s10
	v_cndmask_b32_e32 v2, v2, v0, vcc
	v_cndmask_b32_e32 v3, v3, v1, vcc
	v_cmp_ngt_f64_e32 vcc, 0, v[0:1]
	v_cndmask_b32_e32 v3, v89, v3, vcc
	v_cmp_nge_f64_e32 vcc, 0, v[0:1]
	v_cndmask_b32_e32 v2, 0, v2, vcc
	v_cmp_neq_f64_e32 vcc, 0, v[0:1]
	v_cndmask_b32_e32 v3, v90, v3, vcc
	v_add_f64 v[0:1], v[76:77], -v[2:3]
	v_div_scale_f64 v[2:3], s[4:5], v[74:75], v[74:75], v[0:1]
	v_rcp_f64_e32 v[8:9], v[2:3]
	v_fma_f64 v[10:11], -v[2:3], v[8:9], 1.0
	v_fmac_f64_e32 v[8:9], v[8:9], v[10:11]
	v_fma_f64 v[10:11], -v[2:3], v[8:9], 1.0
	v_fmac_f64_e32 v[8:9], v[8:9], v[10:11]
	v_div_scale_f64 v[10:11], vcc, v[0:1], v[74:75], v[0:1]
	v_mul_f64 v[116:117], v[10:11], v[8:9]
	v_fma_f64 v[2:3], -v[2:3], v[116:117], v[10:11]
	s_nop 1
	v_div_fmas_f64 v[2:3], v[2:3], v[8:9], v[116:117]
	v_div_fixup_f64 v[10:11], v[2:3], v[74:75], v[0:1]
	v_add_f64 v[0:1], v[10:11], 0.5
	v_floor_f64_e32 v[8:9], v[0:1]
	v_cmp_ngt_f64_e32 vcc, 0, v[8:9]
	v_mov_b32_e32 v116, 2
	s_and_saveexec_b64 s[8:9], vcc
	s_cbranch_execz .LBB57_22
; %bb.17:                               ;   in Loop: Header=BB57_12 Depth=2
	v_add_u32_e32 v15, 1, v115
	v_pk_mov_b32 v[0:1], v[4:5], v[4:5] op_sel:[0,1]
	v_cmp_eq_u32_e32 vcc, 4, v15
	v_pk_mov_b32 v[2:3], v[6:7], v[6:7] op_sel:[0,1]
	s_and_saveexec_b64 s[4:5], vcc
	s_cbranch_execz .LBB57_19
; %bb.18:                               ;   in Loop: Header=BB57_12 Depth=2
	v_add_co_u32_e32 v94, vcc, 1, v94
	v_cndmask_b32_e64 v0, 0, 1, vcc
	v_addc_co_u32_e32 v95, vcc, 0, v95, vcc
	v_cmp_eq_u32_e32 vcc, 0, v95
	v_cndmask_b32_e32 v0, 0, v0, vcc
	v_add_u32_e32 v113, v0, v113
	v_cmp_eq_u32_e32 vcc, 0, v113
	v_cndmask_b32_e32 v0, 0, v0, vcc
	v_add_u32_e32 v72, v0, v72
	v_mad_u64_u32 v[0:1], vcc, v94, s33, 0
	v_mad_u64_u32 v[2:3], vcc, v113, s11, 0
	v_xor_b32_e32 v1, v1, v71
	v_xor_b32_e32 v3, v3, v70
	v_xor_b32_e32 v1, v72, v1
	v_xor_b32_e32 v3, v95, v3
	v_mad_u64_u32 v[84:85], vcc, v1, s11, 0
	v_mad_u64_u32 v[82:83], vcc, v3, s33, 0
	v_xor_b32_e32 v1, v96, v85
	v_xor_b32_e32 v1, v1, v2
	v_xor_b32_e32 v2, v97, v83
	v_xor_b32_e32 v2, v2, v0
	;; [unrolled: 6-line block ×10, first 2 shown]
	v_mov_b32_e32 v15, 0
	v_mov_b32_e32 v1, v84
	;; [unrolled: 1-line block ×5, first 2 shown]
.LBB57_19:                              ;   in Loop: Header=BB57_12 Depth=2
	s_or_b64 exec, exec, s[4:5]
	v_add_u32_e32 v114, 1, v15
	v_cmp_eq_u32_e32 vcc, 4, v114
	s_and_saveexec_b64 s[4:5], vcc
	s_cbranch_execz .LBB57_21
; %bb.20:                               ;   in Loop: Header=BB57_12 Depth=2
	v_add_co_u32_e32 v94, vcc, 1, v94
	v_cndmask_b32_e64 v82, 0, 1, vcc
	v_addc_co_u32_e32 v95, vcc, 0, v95, vcc
	v_cmp_eq_u32_e32 vcc, 0, v95
	v_cndmask_b32_e32 v82, 0, v82, vcc
	v_add_u32_e32 v113, v82, v113
	v_cmp_eq_u32_e32 vcc, 0, v113
	v_cndmask_b32_e32 v82, 0, v82, vcc
	v_add_u32_e32 v72, v82, v72
	v_mad_u64_u32 v[82:83], vcc, v94, s33, 0
	v_mad_u64_u32 v[84:85], vcc, v113, s11, 0
	v_xor_b32_e32 v83, v83, v71
	v_xor_b32_e32 v85, v85, v70
	v_xor_b32_e32 v83, v72, v83
	v_xor_b32_e32 v85, v95, v85
	v_mad_u64_u32 v[118:119], vcc, v83, s11, 0
	v_mad_u64_u32 v[116:117], vcc, v85, s33, 0
	v_xor_b32_e32 v83, v96, v119
	v_xor_b32_e32 v83, v83, v84
	v_xor_b32_e32 v84, v97, v117
	v_xor_b32_e32 v84, v84, v82
	;; [unrolled: 6-line block ×9, first 2 shown]
	v_mad_u64_u32 v[82:83], vcc, v82, s33, 0
	v_mad_u64_u32 v[84:85], vcc, v84, s11, 0
	v_xor_b32_e32 v85, v85, v122
	v_xor_b32_e32 v83, v83, v120
	v_mov_b32_e32 v114, 0
	v_xor_b32_e32 v85, v103, v85
	v_xor_b32_e32 v83, v93, v83
.LBB57_21:                              ;   in Loop: Header=BB57_12 Depth=2
	s_or_b64 exec, exec, s[4:5]
	v_cmp_eq_u32_e32 vcc, 1, v115
	v_cndmask_b32_e32 v4, v4, v5, vcc
	v_cmp_eq_u32_e32 vcc, 2, v115
	v_cndmask_b32_e32 v4, v4, v6, vcc
	;; [unrolled: 2-line block ×6, first 2 shown]
	v_lshrrev_b32_e32 v0, 11, v0
	v_cvt_f64_u32_e32 v[0:1], v0
	v_ldexp_f64 v[0:1], v[0:1], 32
	v_cvt_f64_u32_e32 v[2:3], v4
	v_add_f64 v[0:1], v[0:1], v[2:3]
	v_mov_b32_e32 v2, 0
	v_mov_b32_e32 v3, 0x3ca00000
	v_fma_f64 v[4:5], -v[74:75], v[10:11], v[76:77]
	v_fmac_f64_e32 v[2:3], 0x3ca00000, v[0:1]
	v_mul_f64 v[0:1], v[4:5], s[56:57]
	v_rndne_f64_e32 v[0:1], v[0:1]
	s_mov_b32 s58, s50
	v_fma_f64 v[6:7], s[58:59], v[0:1], v[4:5]
	s_mov_b32 s60, s52
	v_fmac_f64_e32 v[6:7], s[60:61], v[0:1]
	v_pk_mov_b32 v[10:11], v[30:31], v[30:31] op_sel:[0,1]
	v_fmac_f64_e32 v[10:11], s[62:63], v[6:7]
	v_pk_mov_b32 v[116:117], v[32:33], v[32:33] op_sel:[0,1]
	;; [unrolled: 2-line block ×9, first 2 shown]
	v_fmac_f64_e32 v[10:11], v[6:7], v[116:117]
	v_fma_f64 v[10:11], v[6:7], v[10:11], 1.0
	v_fma_f64 v[6:7], v[6:7], v[10:11], 1.0
	v_cvt_i32_f64_e32 v0, v[0:1]
	v_ldexp_f64 v[0:1], v[6:7], v0
	v_add_f64 v[0:1], v[0:1], 1.0
	v_cmp_nlt_f64_e32 vcc, s[64:65], v[4:5]
	v_cmp_ngt_f64_e64 s[4:5], s[66:67], v[4:5]
	v_cndmask_b32_e32 v1, v91, v1, vcc
	s_and_b64 vcc, s[4:5], vcc
	v_cndmask_b32_e64 v1, v88, v1, s[4:5]
	v_cndmask_b32_e32 v0, 0, v0, vcc
	v_mul_f64 v[0:1], v[0:1], v[0:1]
	v_div_scale_f64 v[6:7], s[4:5], v[0:1], v[0:1], v[2:3]
	v_rcp_f64_e32 v[10:11], v[6:7]
	s_mov_b32 s49, s35
	v_fma_f64 v[116:117], -v[6:7], v[10:11], 1.0
	v_fmac_f64_e32 v[10:11], v[10:11], v[116:117]
	v_fma_f64 v[116:117], -v[6:7], v[10:11], 1.0
	v_fmac_f64_e32 v[10:11], v[10:11], v[116:117]
	v_div_scale_f64 v[116:117], vcc, v[2:3], v[0:1], v[2:3]
	v_mul_f64 v[118:119], v[116:117], v[10:11]
	v_fma_f64 v[6:7], -v[6:7], v[118:119], v[116:117]
	s_nop 1
	v_div_fmas_f64 v[6:7], v[6:7], v[10:11], v[118:119]
	v_div_fixup_f64 v[2:3], v[6:7], v[0:1], v[2:3]
	v_frexp_mant_f64_e32 v[0:1], v[2:3]
	v_cmp_gt_f64_e32 vcc, s[34:35], v[0:1]
	v_cndmask_b32_e64 v15, v88, 2.0, vcc
	v_frexp_exp_i32_f64_e32 v6, v[2:3]
	v_mul_f64 v[0:1], v[0:1], v[14:15]
	v_subbrev_co_u32_e32 v15, vcc, 0, v6, vcc
	v_add_f64 v[6:7], v[0:1], 1.0
	v_rcp_f64_e32 v[10:11], v[6:7]
	v_add_f64 v[118:119], v[6:7], -1.0
	v_add_f64 v[116:117], v[0:1], -1.0
	v_add_f64 v[0:1], v[0:1], -v[118:119]
	v_fma_f64 v[118:119], -v[6:7], v[10:11], 1.0
	v_fmac_f64_e32 v[10:11], v[118:119], v[10:11]
	v_fma_f64 v[118:119], -v[6:7], v[10:11], 1.0
	v_fmac_f64_e32 v[10:11], v[118:119], v[10:11]
	v_mul_f64 v[118:119], v[116:117], v[10:11]
	v_mul_f64 v[120:121], v[6:7], v[118:119]
	v_fma_f64 v[6:7], v[118:119], v[6:7], -v[120:121]
	v_fmac_f64_e32 v[6:7], v[118:119], v[0:1]
	v_add_f64 v[0:1], v[120:121], v[6:7]
	v_add_f64 v[122:123], v[116:117], -v[0:1]
	v_add_f64 v[120:121], v[0:1], -v[120:121]
	;; [unrolled: 1-line block ×5, first 2 shown]
	v_add_f64 v[0:1], v[6:7], v[0:1]
	v_add_f64 v[0:1], v[122:123], v[0:1]
	v_mul_f64 v[0:1], v[10:11], v[0:1]
	v_add_f64 v[6:7], v[118:119], v[0:1]
	v_add_f64 v[10:11], v[6:7], -v[118:119]
	v_add_f64 v[10:11], v[0:1], -v[10:11]
	v_mul_f64 v[116:117], v[6:7], v[6:7]
	v_pk_mov_b32 v[0:1], s[36:37], s[36:37] op_sel:[0,1]
	v_fma_f64 v[118:119], s[38:39], v[116:117], v[0:1]
	v_fma_f64 v[118:119], v[116:117], v[118:119], s[40:41]
	;; [unrolled: 1-line block ×6, first 2 shown]
	v_ldexp_f64 v[120:121], v[6:7], 1
	v_mul_f64 v[6:7], v[6:7], v[116:117]
	v_mul_f64 v[6:7], v[6:7], v[118:119]
	v_add_f64 v[116:117], v[120:121], v[6:7]
	v_add_f64 v[118:119], v[116:117], -v[120:121]
	v_ldexp_f64 v[10:11], v[10:11], 1
	v_add_f64 v[6:7], v[6:7], -v[118:119]
	v_add_f64 v[6:7], v[10:11], v[6:7]
	v_add_f64 v[10:11], v[116:117], v[6:7]
	v_add_f64 v[116:117], v[10:11], -v[116:117]
	v_add_f64 v[6:7], v[6:7], -v[116:117]
	v_cvt_f64_i32_e32 v[116:117], v15
	v_mul_f64 v[118:119], v[116:117], s[50:51]
	v_fma_f64 v[120:121], v[116:117], s[50:51], -v[118:119]
	v_fmac_f64_e32 v[120:121], s[52:53], v[116:117]
	v_add_f64 v[116:117], v[118:119], v[120:121]
	v_add_f64 v[118:119], v[116:117], -v[118:119]
	v_add_f64 v[118:119], v[120:121], -v[118:119]
	v_add_f64 v[120:121], v[116:117], v[10:11]
	v_add_f64 v[122:123], v[120:121], -v[116:117]
	v_add_f64 v[124:125], v[120:121], -v[122:123]
	;; [unrolled: 1-line block ×4, first 2 shown]
	v_add_f64 v[10:11], v[10:11], v[116:117]
	v_add_f64 v[116:117], v[118:119], v[6:7]
	v_add_f64 v[122:123], v[116:117], -v[118:119]
	v_add_f64 v[124:125], v[116:117], -v[122:123]
	v_add_f64 v[10:11], v[116:117], v[10:11]
	v_add_f64 v[118:119], v[118:119], -v[124:125]
	v_add_f64 v[6:7], v[6:7], -v[122:123]
	v_add_f64 v[116:117], v[120:121], v[10:11]
	v_add_f64 v[6:7], v[6:7], v[118:119]
	v_add_f64 v[118:119], v[116:117], -v[120:121]
	v_add_f64 v[10:11], v[10:11], -v[118:119]
	v_add_f64 v[6:7], v[6:7], v[10:11]
	v_add_f64 v[6:7], v[116:117], v[6:7]
	v_cmp_class_f64_e64 vcc, v[2:3], s10
	v_cndmask_b32_e32 v15, v6, v2, vcc
	v_cndmask_b32_e32 v6, v7, v3, vcc
	v_cmp_neq_f64_e32 vcc, 0, v[2:3]
	v_cndmask_b32_e32 v3, v90, v6, vcc
	v_add_f64 v[6:7], v[8:9], 1.0
	v_add_f64 v[6:7], v[6:7], -1.0
	v_add_f64 v[116:117], v[6:7], s[68:69]
	v_div_scale_f64 v[10:11], s[4:5], v[116:117], v[116:117], s[70:71]
	v_rcp_f64_e32 v[118:119], v[10:11]
	v_cndmask_b32_e32 v2, 0, v15, vcc
	v_add_f64 v[2:3], v[4:5], v[2:3]
	v_fma_f64 v[4:5], v[80:81], v[8:9], v[78:79]
	v_fma_f64 v[120:121], -v[10:11], v[118:119], 1.0
	v_fmac_f64_e32 v[118:119], v[118:119], v[120:121]
	v_fma_f64 v[120:121], -v[10:11], v[118:119], 1.0
	v_fmac_f64_e32 v[118:119], v[118:119], v[120:121]
	v_div_scale_f64 v[120:121], vcc, s[70:71], v[116:117], s[70:71]
	v_mul_f64 v[122:123], v[120:121], v[118:119]
	v_fma_f64 v[120:121], -v[10:11], v[122:123], v[120:121]
	v_add_f64 v[10:11], v[6:7], s[72:73]
	v_div_scale_f64 v[124:125], s[4:5], v[10:11], v[10:11], s[74:75]
	v_rcp_f64_e32 v[126:127], v[124:125]
	v_div_fmas_f64 v[118:119], v[120:121], v[118:119], v[122:123]
	v_div_fixup_f64 v[116:117], v[118:119], v[116:117], s[70:71]
	v_add_f64 v[122:123], v[6:7], s[76:77]
	v_fma_f64 v[118:119], -v[124:125], v[126:127], 1.0
	v_fmac_f64_e32 v[126:127], v[126:127], v[118:119]
	v_fma_f64 v[118:119], -v[124:125], v[126:127], 1.0
	v_fmac_f64_e32 v[126:127], v[126:127], v[118:119]
	v_div_scale_f64 v[118:119], vcc, s[74:75], v[10:11], s[74:75]
	v_mul_f64 v[120:121], v[118:119], v[126:127]
	v_fma_f64 v[118:119], -v[124:125], v[120:121], v[118:119]
	v_div_scale_f64 v[124:125], s[4:5], v[122:123], v[122:123], s[78:79]
	v_rcp_f64_e32 v[128:129], v[124:125]
	v_div_fmas_f64 v[118:119], v[118:119], v[126:127], v[120:121]
	v_add_f64 v[116:117], v[116:117], 0
	v_div_fixup_f64 v[118:119], v[118:119], v[10:11], s[74:75]
	v_add_f64 v[116:117], v[118:119], v[116:117]
	v_fma_f64 v[118:119], -v[124:125], v[128:129], 1.0
	v_fmac_f64_e32 v[128:129], v[128:129], v[118:119]
	v_fma_f64 v[118:119], -v[124:125], v[128:129], 1.0
	v_fmac_f64_e32 v[128:129], v[128:129], v[118:119]
	v_div_scale_f64 v[118:119], vcc, s[78:79], v[122:123], s[78:79]
	v_mul_f64 v[120:121], v[118:119], v[128:129]
	v_fma_f64 v[118:119], -v[124:125], v[120:121], v[118:119]
	v_add_f64 v[124:125], v[6:7], s[80:81]
	v_div_scale_f64 v[126:127], s[4:5], v[124:125], v[124:125], s[82:83]
	v_rcp_f64_e32 v[130:131], v[126:127]
	v_div_fmas_f64 v[118:119], v[118:119], v[128:129], v[120:121]
	v_div_fixup_f64 v[118:119], v[118:119], v[122:123], s[78:79]
	v_add_f64 v[116:117], v[116:117], v[118:119]
	v_fma_f64 v[118:119], -v[126:127], v[130:131], 1.0
	v_fmac_f64_e32 v[130:131], v[130:131], v[118:119]
	v_fma_f64 v[118:119], -v[126:127], v[130:131], 1.0
	v_fmac_f64_e32 v[130:131], v[130:131], v[118:119]
	v_div_scale_f64 v[118:119], vcc, s[82:83], v[124:125], s[82:83]
	v_mul_f64 v[120:121], v[118:119], v[130:131]
	v_add_f64 v[122:123], v[6:7], 4.0
	v_fma_f64 v[118:119], -v[126:127], v[120:121], v[118:119]
	v_div_scale_f64 v[126:127], s[4:5], v[122:123], v[122:123], s[84:85]
	v_rcp_f64_e32 v[128:129], v[126:127]
	v_div_fmas_f64 v[118:119], v[118:119], v[130:131], v[120:121]
	v_div_fixup_f64 v[118:119], v[118:119], v[124:125], s[82:83]
	v_add_f64 v[116:117], v[118:119], v[116:117]
	v_fma_f64 v[118:119], -v[126:127], v[128:129], 1.0
	v_fmac_f64_e32 v[128:129], v[128:129], v[118:119]
	v_fma_f64 v[118:119], -v[126:127], v[128:129], 1.0
	v_fmac_f64_e32 v[128:129], v[128:129], v[118:119]
	v_div_scale_f64 v[118:119], vcc, s[84:85], v[122:123], s[84:85]
	v_mul_f64 v[120:121], v[118:119], v[128:129]
	v_add_f64 v[124:125], v[6:7], s[26:27]
	v_fma_f64 v[118:119], -v[126:127], v[120:121], v[118:119]
	v_div_scale_f64 v[126:127], s[4:5], v[124:125], v[124:125], s[86:87]
	v_rcp_f64_e32 v[130:131], v[126:127]
	v_div_fmas_f64 v[118:119], v[118:119], v[128:129], v[120:121]
	v_div_fixup_f64 v[118:119], v[118:119], v[122:123], s[84:85]
	v_add_f64 v[116:117], v[116:117], v[118:119]
	v_fma_f64 v[118:119], -v[126:127], v[130:131], 1.0
	v_fmac_f64_e32 v[130:131], v[130:131], v[118:119]
	v_fma_f64 v[118:119], -v[126:127], v[130:131], 1.0
	v_fmac_f64_e32 v[130:131], v[130:131], v[118:119]
	v_div_scale_f64 v[118:119], vcc, s[86:87], v[124:125], s[86:87]
	v_mul_f64 v[120:121], v[118:119], v[130:131]
	v_add_f64 v[122:123], v[6:7], 2.0
	v_fma_f64 v[118:119], -v[126:127], v[120:121], v[118:119]
	v_div_scale_f64 v[126:127], s[4:5], v[122:123], v[122:123], s[88:89]
	v_rcp_f64_e32 v[128:129], v[126:127]
	v_div_fmas_f64 v[118:119], v[118:119], v[130:131], v[120:121]
	v_div_fixup_f64 v[118:119], v[118:119], v[124:125], s[86:87]
	v_add_f64 v[116:117], v[118:119], v[116:117]
	v_fma_f64 v[118:119], -v[126:127], v[128:129], 1.0
	v_fmac_f64_e32 v[128:129], v[128:129], v[118:119]
	v_fma_f64 v[118:119], -v[126:127], v[128:129], 1.0
	v_fmac_f64_e32 v[128:129], v[128:129], v[118:119]
	v_div_scale_f64 v[118:119], vcc, s[88:89], v[122:123], s[88:89]
	v_mul_f64 v[120:121], v[118:119], v[128:129]
	v_add_f64 v[124:125], v[6:7], 1.0
	v_fma_f64 v[118:119], -v[126:127], v[120:121], v[118:119]
	v_div_scale_f64 v[126:127], s[4:5], v[124:125], v[124:125], s[90:91]
	v_rcp_f64_e32 v[130:131], v[126:127]
	v_div_fmas_f64 v[118:119], v[118:119], v[128:129], v[120:121]
	v_div_fixup_f64 v[118:119], v[118:119], v[122:123], s[88:89]
	v_add_f64 v[116:117], v[116:117], v[118:119]
	v_fma_f64 v[118:119], -v[126:127], v[130:131], 1.0
	v_fmac_f64_e32 v[130:131], v[130:131], v[118:119]
	v_fma_f64 v[118:119], -v[126:127], v[130:131], 1.0
	v_fmac_f64_e32 v[130:131], v[130:131], v[118:119]
	v_div_scale_f64 v[118:119], vcc, s[90:91], v[124:125], s[90:91]
	v_mul_f64 v[120:121], v[118:119], v[130:131]
	v_fma_f64 v[118:119], -v[126:127], v[120:121], v[118:119]
	v_add_f64 v[10:11], v[10:11], 0.5
	s_nop 0
	v_div_fmas_f64 v[118:119], v[118:119], v[130:131], v[120:121]
	v_div_fixup_f64 v[118:119], v[118:119], v[124:125], s[90:91]
	v_add_f64 v[116:117], v[118:119], v[116:117]
	v_add_f64 v[116:117], v[116:117], s[92:93]
	v_frexp_mant_f64_e32 v[118:119], v[116:117]
	v_cmp_gt_f64_e32 vcc, s[34:35], v[118:119]
	v_cndmask_b32_e64 v15, v88, 2.0, vcc
	v_mul_f64 v[118:119], v[118:119], v[14:15]
	v_add_f64 v[120:121], v[118:119], 1.0
	v_rcp_f64_e32 v[122:123], v[120:121]
	v_add_f64 v[126:127], v[120:121], -1.0
	v_add_f64 v[124:125], v[118:119], -1.0
	v_add_f64 v[118:119], v[118:119], -v[126:127]
	v_fma_f64 v[126:127], -v[120:121], v[122:123], 1.0
	v_fmac_f64_e32 v[122:123], v[126:127], v[122:123]
	v_fma_f64 v[126:127], -v[120:121], v[122:123], 1.0
	v_fmac_f64_e32 v[122:123], v[126:127], v[122:123]
	v_mul_f64 v[126:127], v[124:125], v[122:123]
	v_mul_f64 v[128:129], v[120:121], v[126:127]
	v_fma_f64 v[120:121], v[126:127], v[120:121], -v[128:129]
	v_fmac_f64_e32 v[120:121], v[126:127], v[118:119]
	v_add_f64 v[118:119], v[128:129], v[120:121]
	v_add_f64 v[130:131], v[124:125], -v[118:119]
	v_add_f64 v[128:129], v[118:119], -v[128:129]
	;; [unrolled: 1-line block ×5, first 2 shown]
	v_add_f64 v[118:119], v[120:121], v[118:119]
	v_add_f64 v[118:119], v[130:131], v[118:119]
	v_mul_f64 v[118:119], v[122:123], v[118:119]
	v_add_f64 v[120:121], v[126:127], v[118:119]
	v_add_f64 v[122:123], v[120:121], -v[126:127]
	v_add_f64 v[118:119], v[118:119], -v[122:123]
	v_mul_f64 v[122:123], v[120:121], v[120:121]
	v_fma_f64 v[124:125], s[38:39], v[122:123], v[0:1]
	v_fma_f64 v[124:125], v[122:123], v[124:125], s[40:41]
	;; [unrolled: 1-line block ×6, first 2 shown]
	v_ldexp_f64 v[126:127], v[120:121], 1
	v_mul_f64 v[120:121], v[120:121], v[122:123]
	v_mul_f64 v[120:121], v[120:121], v[124:125]
	v_add_f64 v[122:123], v[126:127], v[120:121]
	v_add_f64 v[124:125], v[122:123], -v[126:127]
	v_ldexp_f64 v[118:119], v[118:119], 1
	v_add_f64 v[120:121], v[120:121], -v[124:125]
	v_add_f64 v[118:119], v[118:119], v[120:121]
	v_frexp_exp_i32_f64_e32 v115, v[116:117]
	v_add_f64 v[120:121], v[122:123], v[118:119]
	v_subbrev_co_u32_e32 v15, vcc, 0, v115, vcc
	v_add_f64 v[122:123], v[120:121], -v[122:123]
	v_add_f64 v[118:119], v[118:119], -v[122:123]
	v_cvt_f64_i32_e32 v[122:123], v15
	v_mul_f64 v[124:125], v[122:123], s[50:51]
	v_fma_f64 v[126:127], v[122:123], s[50:51], -v[124:125]
	v_fmac_f64_e32 v[126:127], s[52:53], v[122:123]
	v_add_f64 v[122:123], v[124:125], v[126:127]
	v_add_f64 v[124:125], v[122:123], -v[124:125]
	v_add_f64 v[124:125], v[126:127], -v[124:125]
	v_add_f64 v[126:127], v[122:123], v[120:121]
	v_add_f64 v[128:129], v[126:127], -v[122:123]
	v_add_f64 v[130:131], v[126:127], -v[128:129]
	v_add_f64 v[122:123], v[122:123], -v[130:131]
	v_add_f64 v[120:121], v[120:121], -v[128:129]
	v_add_f64 v[120:121], v[120:121], v[122:123]
	v_add_f64 v[122:123], v[124:125], v[118:119]
	v_add_f64 v[128:129], v[122:123], -v[124:125]
	v_add_f64 v[130:131], v[122:123], -v[128:129]
	v_add_f64 v[120:121], v[122:123], v[120:121]
	v_add_f64 v[124:125], v[124:125], -v[130:131]
	v_add_f64 v[118:119], v[118:119], -v[128:129]
	v_add_f64 v[122:123], v[126:127], v[120:121]
	v_add_f64 v[118:119], v[118:119], v[124:125]
	v_add_f64 v[124:125], v[122:123], -v[126:127]
	v_add_f64 v[120:121], v[120:121], -v[124:125]
	v_add_f64 v[118:119], v[118:119], v[120:121]
	v_add_f64 v[118:119], v[122:123], v[118:119]
	v_cmp_class_f64_e64 vcc, v[116:117], s10
	v_div_scale_f64 v[120:121], s[4:5], s[22:23], s[22:23], v[10:11]
	v_cndmask_b32_e32 v119, v119, v117, vcc
	v_cndmask_b32_e32 v118, v118, v116, vcc
	v_rcp_f64_e32 v[122:123], v[120:121]
	v_add_f64 v[118:119], v[118:119], s[24:25]
	v_add_f64 v[118:119], v[118:119], s[20:21]
	v_cmp_ngt_f64_e32 vcc, 0, v[116:117]
	v_cndmask_b32_e32 v15, v89, v119, vcc
	v_cmp_nge_f64_e32 vcc, 0, v[116:117]
	v_cndmask_b32_e32 v118, 0, v118, vcc
	v_cmp_neq_f64_e32 vcc, 0, v[116:117]
	v_fma_f64 v[116:117], -v[120:121], v[122:123], 1.0
	v_fmac_f64_e32 v[122:123], v[122:123], v[116:117]
	v_fma_f64 v[116:117], -v[120:121], v[122:123], 1.0
	v_cndmask_b32_e32 v119, v90, v15, vcc
	v_fmac_f64_e32 v[122:123], v[122:123], v[116:117]
	v_div_scale_f64 v[116:117], vcc, v[10:11], s[22:23], v[10:11]
	v_mul_f64 v[124:125], v[116:117], v[122:123]
	v_fma_f64 v[116:117], -v[120:121], v[124:125], v[116:117]
	v_add_f64 v[6:7], v[6:7], 0.5
	s_nop 0
	v_div_fmas_f64 v[116:117], v[116:117], v[122:123], v[124:125]
	v_div_fixup_f64 v[10:11], v[116:117], s[22:23], v[10:11]
	v_frexp_mant_f64_e32 v[116:117], v[10:11]
	v_cmp_gt_f64_e32 vcc, s[34:35], v[116:117]
	v_cndmask_b32_e64 v15, v88, 2.0, vcc
	v_mul_f64 v[116:117], v[116:117], v[14:15]
	v_add_f64 v[120:121], v[116:117], 1.0
	v_rcp_f64_e32 v[122:123], v[120:121]
	v_add_f64 v[126:127], v[120:121], -1.0
	v_add_f64 v[124:125], v[116:117], -1.0
	v_add_f64 v[116:117], v[116:117], -v[126:127]
	v_fma_f64 v[126:127], -v[120:121], v[122:123], 1.0
	v_fmac_f64_e32 v[122:123], v[126:127], v[122:123]
	v_fma_f64 v[126:127], -v[120:121], v[122:123], 1.0
	v_fmac_f64_e32 v[122:123], v[126:127], v[122:123]
	v_mul_f64 v[126:127], v[124:125], v[122:123]
	v_mul_f64 v[128:129], v[120:121], v[126:127]
	v_fma_f64 v[120:121], v[126:127], v[120:121], -v[128:129]
	v_fmac_f64_e32 v[120:121], v[126:127], v[116:117]
	v_add_f64 v[116:117], v[128:129], v[120:121]
	v_add_f64 v[130:131], v[124:125], -v[116:117]
	v_add_f64 v[128:129], v[116:117], -v[128:129]
	;; [unrolled: 1-line block ×5, first 2 shown]
	v_add_f64 v[116:117], v[120:121], v[116:117]
	v_add_f64 v[116:117], v[130:131], v[116:117]
	v_mul_f64 v[116:117], v[122:123], v[116:117]
	v_add_f64 v[120:121], v[126:127], v[116:117]
	v_add_f64 v[122:123], v[120:121], -v[126:127]
	v_add_f64 v[116:117], v[116:117], -v[122:123]
	v_mul_f64 v[122:123], v[120:121], v[120:121]
	v_fmac_f64_e32 v[0:1], s[38:39], v[122:123]
	v_fma_f64 v[0:1], v[122:123], v[0:1], s[40:41]
	v_fma_f64 v[0:1], v[122:123], v[0:1], s[42:43]
	v_fma_f64 v[0:1], v[122:123], v[0:1], s[44:45]
	v_fma_f64 v[0:1], v[122:123], v[0:1], s[46:47]
	v_fma_f64 v[0:1], v[122:123], v[0:1], s[48:49]
	v_ldexp_f64 v[124:125], v[120:121], 1
	v_mul_f64 v[120:121], v[120:121], v[122:123]
	v_mul_f64 v[0:1], v[120:121], v[0:1]
	v_add_f64 v[120:121], v[124:125], v[0:1]
	v_add_f64 v[122:123], v[120:121], -v[124:125]
	v_ldexp_f64 v[116:117], v[116:117], 1
	v_add_f64 v[0:1], v[0:1], -v[122:123]
	v_add_f64 v[0:1], v[116:117], v[0:1]
	v_frexp_exp_i32_f64_e32 v115, v[10:11]
	v_add_f64 v[116:117], v[120:121], v[0:1]
	v_subbrev_co_u32_e32 v15, vcc, 0, v115, vcc
	v_add_f64 v[120:121], v[116:117], -v[120:121]
	v_add_f64 v[0:1], v[0:1], -v[120:121]
	v_cvt_f64_i32_e32 v[120:121], v15
	v_mul_f64 v[122:123], v[120:121], s[50:51]
	v_fma_f64 v[124:125], v[120:121], s[50:51], -v[122:123]
	v_fmac_f64_e32 v[124:125], s[52:53], v[120:121]
	v_add_f64 v[120:121], v[122:123], v[124:125]
	v_add_f64 v[122:123], v[120:121], -v[122:123]
	v_add_f64 v[122:123], v[124:125], -v[122:123]
	v_add_f64 v[124:125], v[120:121], v[116:117]
	v_add_f64 v[126:127], v[124:125], -v[120:121]
	v_add_f64 v[128:129], v[124:125], -v[126:127]
	;; [unrolled: 1-line block ×4, first 2 shown]
	v_add_f64 v[116:117], v[116:117], v[120:121]
	v_add_f64 v[120:121], v[122:123], v[0:1]
	v_add_f64 v[126:127], v[120:121], -v[122:123]
	v_add_f64 v[128:129], v[120:121], -v[126:127]
	v_add_f64 v[116:117], v[120:121], v[116:117]
	v_add_f64 v[122:123], v[122:123], -v[128:129]
	v_add_f64 v[0:1], v[0:1], -v[126:127]
	v_add_f64 v[120:121], v[124:125], v[116:117]
	v_add_f64 v[0:1], v[0:1], v[122:123]
	v_add_f64 v[122:123], v[120:121], -v[124:125]
	v_add_f64 v[116:117], v[116:117], -v[122:123]
	v_add_f64 v[0:1], v[0:1], v[116:117]
	v_add_f64 v[0:1], v[120:121], v[0:1]
	v_cmp_class_f64_e64 vcc, v[10:11], s10
	v_cndmask_b32_e32 v0, v0, v10, vcc
	v_cndmask_b32_e32 v1, v1, v11, vcc
	v_cmp_ngt_f64_e32 vcc, 0, v[10:11]
	v_cndmask_b32_e32 v1, v89, v1, vcc
	v_cmp_nge_f64_e32 vcc, 0, v[10:11]
	v_cndmask_b32_e32 v0, 0, v0, vcc
	v_cmp_neq_f64_e32 vcc, 0, v[10:11]
	v_cndmask_b32_e32 v1, v90, v1, vcc
	v_fmac_f64_e32 v[118:119], v[6:7], v[0:1]
	v_add_f64 v[0:1], v[4:5], -v[118:119]
	v_cvt_u32_f64_e32 v4, v[8:9]
	v_cmp_le_f64_e32 vcc, v[2:3], v[0:1]
	v_cndmask_b32_e64 v116, 0, 1, vcc
	v_cndmask_b32_e32 v73, v73, v4, vcc
	v_mov_b32_e32 v115, v114
.LBB57_22:                              ;   in Loop: Header=BB57_12 Depth=2
	s_or_b64 exec, exec, s[8:9]
	v_cmp_gt_i32_e32 vcc, 2, v116
	s_or_b64 s[0:1], vcc, s[0:1]
	v_mov_b32_e32 v15, v115
	v_mov_b32_e32 v0, v85
	;; [unrolled: 1-line block ×5, first 2 shown]
	s_andn2_b64 exec, exec, s[0:1]
	s_cbranch_execnz .LBB57_12
; %bb.23:                               ;   in Loop: Header=BB57_12 Depth=2
	s_or_b64 exec, exec, s[0:1]
	v_cmp_ne_u32_e32 vcc, 0, v116
	s_or_b64 s[14:15], vcc, s[14:15]
	s_mov_b64 s[0:1], 0
	v_mov_b32_e32 v15, v115
	v_mov_b32_e32 v0, v85
	;; [unrolled: 1-line block ×5, first 2 shown]
	s_andn2_b64 exec, exec, s[14:15]
	s_cbranch_execnz .LBB57_12
; %bb.24:                               ;   in Loop: Header=BB57_6 Depth=1
	s_or_b64 exec, exec, s[14:15]
	s_mov_b32 s49, s29
                                        ; implicit-def: $vgpr4_vgpr5
                                        ; implicit-def: $vgpr70_vgpr71
                                        ; implicit-def: $vgpr15
                                        ; implicit-def: $vgpr94
                                        ; implicit-def: $vgpr95
                                        ; implicit-def: $vgpr103
                                        ; implicit-def: $vgpr93
                                        ; implicit-def: $vgpr3
                                        ; implicit-def: $vgpr96
                                        ; implicit-def: $vgpr97
                                        ; implicit-def: $vgpr98
                                        ; implicit-def: $vgpr99
                                        ; implicit-def: $vgpr101
                                        ; implicit-def: $vgpr102
                                        ; implicit-def: $vgpr104
                                        ; implicit-def: $vgpr105
                                        ; implicit-def: $vgpr106
                                        ; implicit-def: $vgpr107
                                        ; implicit-def: $vgpr108
                                        ; implicit-def: $vgpr109
                                        ; implicit-def: $vgpr110
                                        ; implicit-def: $vgpr111
                                        ; implicit-def: $vgpr100
                                        ; implicit-def: $vgpr112
.LBB57_25:                              ;   in Loop: Header=BB57_6 Depth=1
	s_andn2_saveexec_b64 s[0:1], s[12:13]
	s_cbranch_execz .LBB57_37
; %bb.26:                               ;   in Loop: Header=BB57_6 Depth=1
	v_add_co_u32_e32 v6, vcc, 1, v94
	v_cndmask_b32_e64 v7, 0, 1, vcc
	v_addc_co_u32_e32 v10, vcc, 0, v95, vcc
	v_cmp_eq_u32_e32 vcc, 0, v10
	v_cndmask_b32_e32 v7, 0, v7, vcc
	v_add_u32_e32 v8, v7, v17
	v_cmp_eq_u32_e32 vcc, 0, v8
	v_cndmask_b32_e32 v11, 0, v7, vcc
	v_mad_u64_u32 v[6:7], s[4:5], v6, s33, 0
	v_mad_u64_u32 v[8:9], s[4:5], v8, s11, 0
	v_xor_b32_e32 v7, v7, v71
	v_xor_b32_e32 v9, v9, v70
	v_xor_b32_e32 v7, v11, v7
	v_xor_b32_e32 v9, v10, v9
	v_mad_u64_u32 v[70:71], s[4:5], v7, s11, 0
	v_mad_u64_u32 v[10:11], s[4:5], v9, s33, 0
	v_xor_b32_e32 v7, v96, v71
	v_xor_b32_e32 v7, v7, v8
	v_xor_b32_e32 v8, v97, v11
	v_xor_b32_e32 v8, v8, v6
	;; [unrolled: 6-line block ×8, first 2 shown]
	v_mad_u64_u32 v[72:73], s[4:5], v7, s33, 0
	v_mad_u64_u32 v[8:9], s[4:5], v6, s11, 0
	v_xor_b32_e32 v6, v112, v73
	v_xor_b32_e32 v6, v6, v10
	v_mad_u64_u32 v[6:7], s[4:5], v6, s11, 0
	v_xor_b32_e32 v7, v7, v8
	v_xor_b32_e32 v10, v103, v7
	v_cmp_lt_i32_e32 vcc, 1, v15
                                        ; implicit-def: $vgpr8
	s_and_saveexec_b64 s[4:5], vcc
	s_xor_b64 s[4:5], exec, s[4:5]
	s_cbranch_execz .LBB57_32
; %bb.27:                               ;   in Loop: Header=BB57_6 Depth=1
	v_cmp_lt_i32_e32 vcc, 2, v15
                                        ; implicit-def: $vgpr8
	s_and_saveexec_b64 s[8:9], vcc
	s_xor_b64 s[8:9], exec, s[8:9]
; %bb.28:                               ;   in Loop: Header=BB57_6 Depth=1
	v_xor_b32_e32 v0, v100, v9
	v_xor_b32_e32 v0, v0, v70
	v_mul_hi_u32 v0, v0, s33
	v_xor_b32_e32 v0, v0, v72
	v_xor_b32_e32 v8, v93, v0
; %bb.29:                               ;   in Loop: Header=BB57_6 Depth=1
	s_andn2_saveexec_b64 s[8:9], s[8:9]
; %bb.30:                               ;   in Loop: Header=BB57_6 Depth=1
	v_mov_b32_e32 v8, v6
	v_mov_b32_e32 v6, v10
	;; [unrolled: 1-line block ×4, first 2 shown]
; %bb.31:                               ;   in Loop: Header=BB57_6 Depth=1
	s_or_b64 exec, exec, s[8:9]
                                        ; implicit-def: $vgpr15
.LBB57_32:                              ;   in Loop: Header=BB57_6 Depth=1
	s_andn2_saveexec_b64 s[4:5], s[4:5]
	s_cbranch_execz .LBB57_36
; %bb.33:                               ;   in Loop: Header=BB57_6 Depth=1
	v_cmp_eq_u32_e32 vcc, 1, v15
	v_mov_b32_e32 v8, v3
	v_mov_b32_e32 v6, v2
	;; [unrolled: 1-line block ×3, first 2 shown]
	s_and_saveexec_b64 s[8:9], vcc
; %bb.34:                               ;   in Loop: Header=BB57_6 Depth=1
	v_mov_b32_e32 v8, v10
	v_mov_b32_e32 v6, v3
	;; [unrolled: 1-line block ×4, first 2 shown]
; %bb.35:                               ;   in Loop: Header=BB57_6 Depth=1
	s_or_b64 exec, exec, s[8:9]
	v_mov_b32_e32 v3, v0
	v_mov_b32_e32 v10, v7
.LBB57_36:                              ;   in Loop: Header=BB57_6 Depth=1
	s_or_b64 exec, exec, s[4:5]
	v_mov_b32_e32 v11, v14
	v_lshlrev_b64 v[0:1], 21, v[10:11]
	v_xor_b32_e32 v2, v0, v3
	v_cvt_f64_u32_e32 v[0:1], v1
	v_ldexp_f64 v[0:1], v[0:1], 32
	v_cvt_f64_u32_e32 v[2:3], v2
	v_add_f64 v[0:1], v[0:1], v[2:3]
	v_mov_b32_e32 v2, 0
	v_mov_b32_e32 v3, 0x3ca00000
	v_fmac_f64_e32 v[2:3], 0x3ca00000, v[0:1]
	v_mov_b32_e32 v9, v14
	v_lshlrev_b64 v[0:1], 21, v[8:9]
	v_frexp_mant_f64_e32 v[8:9], v[2:3]
	v_cmp_gt_f64_e32 vcc, s[34:35], v[8:9]
	v_cndmask_b32_e64 v15, v88, 2.0, vcc
	v_frexp_exp_i32_f64_e32 v10, v[2:3]
	v_mul_f64 v[8:9], v[8:9], v[14:15]
	v_subbrev_co_u32_e32 v15, vcc, 0, v10, vcc
	v_add_f64 v[10:11], v[8:9], 1.0
	v_rcp_f64_e32 v[70:71], v[10:11]
	v_add_f64 v[74:75], v[10:11], -1.0
	v_add_f64 v[72:73], v[8:9], -1.0
	v_add_f64 v[8:9], v[8:9], -v[74:75]
	v_fma_f64 v[74:75], -v[10:11], v[70:71], 1.0
	v_fmac_f64_e32 v[70:71], v[74:75], v[70:71]
	v_fma_f64 v[74:75], -v[10:11], v[70:71], 1.0
	v_fmac_f64_e32 v[70:71], v[74:75], v[70:71]
	v_mul_f64 v[74:75], v[72:73], v[70:71]
	v_mul_f64 v[76:77], v[10:11], v[74:75]
	v_fma_f64 v[10:11], v[74:75], v[10:11], -v[76:77]
	v_fmac_f64_e32 v[10:11], v[74:75], v[8:9]
	v_add_f64 v[8:9], v[76:77], v[10:11]
	v_add_f64 v[78:79], v[72:73], -v[8:9]
	v_add_f64 v[76:77], v[8:9], -v[76:77]
	;; [unrolled: 1-line block ×5, first 2 shown]
	v_add_f64 v[8:9], v[10:11], v[8:9]
	v_add_f64 v[8:9], v[78:79], v[8:9]
	v_mul_f64 v[8:9], v[70:71], v[8:9]
	v_add_f64 v[10:11], v[74:75], v[8:9]
	v_add_f64 v[70:71], v[10:11], -v[74:75]
	v_add_f64 v[8:9], v[8:9], -v[70:71]
	v_mul_f64 v[70:71], v[10:11], v[10:11]
	v_pk_mov_b32 v[72:73], v[18:19], v[18:19] op_sel:[0,1]
	v_fmac_f64_e32 v[72:73], s[38:39], v[70:71]
	v_pk_mov_b32 v[74:75], v[20:21], v[20:21] op_sel:[0,1]
	v_fmac_f64_e32 v[74:75], v[70:71], v[72:73]
	;; [unrolled: 2-line block ×6, first 2 shown]
	v_ldexp_f64 v[72:73], v[10:11], 1
	v_mul_f64 v[10:11], v[10:11], v[70:71]
	v_mul_f64 v[10:11], v[10:11], v[74:75]
	v_add_f64 v[70:71], v[72:73], v[10:11]
	v_add_f64 v[72:73], v[70:71], -v[72:73]
	v_ldexp_f64 v[8:9], v[8:9], 1
	v_add_f64 v[10:11], v[10:11], -v[72:73]
	v_add_f64 v[8:9], v[8:9], v[10:11]
	v_add_f64 v[10:11], v[70:71], v[8:9]
	v_add_f64 v[70:71], v[10:11], -v[70:71]
	v_add_f64 v[8:9], v[8:9], -v[70:71]
	v_cvt_f64_i32_e32 v[70:71], v15
	v_mul_f64 v[72:73], v[70:71], s[50:51]
	v_fma_f64 v[74:75], v[70:71], s[50:51], -v[72:73]
	v_fmac_f64_e32 v[74:75], s[52:53], v[70:71]
	v_add_f64 v[70:71], v[72:73], v[74:75]
	v_add_f64 v[72:73], v[70:71], -v[72:73]
	v_add_f64 v[72:73], v[74:75], -v[72:73]
	v_add_f64 v[74:75], v[70:71], v[10:11]
	v_add_f64 v[76:77], v[74:75], -v[70:71]
	v_add_f64 v[78:79], v[74:75], -v[76:77]
	;; [unrolled: 1-line block ×4, first 2 shown]
	v_add_f64 v[10:11], v[10:11], v[70:71]
	v_add_f64 v[70:71], v[72:73], v[8:9]
	v_add_f64 v[76:77], v[70:71], -v[72:73]
	v_add_f64 v[78:79], v[70:71], -v[76:77]
	v_add_f64 v[10:11], v[70:71], v[10:11]
	v_add_f64 v[72:73], v[72:73], -v[78:79]
	v_add_f64 v[8:9], v[8:9], -v[76:77]
	v_add_f64 v[70:71], v[74:75], v[10:11]
	v_add_f64 v[8:9], v[8:9], v[72:73]
	v_add_f64 v[72:73], v[70:71], -v[74:75]
	v_add_f64 v[10:11], v[10:11], -v[72:73]
	s_mov_b32 s12, 0
	v_add_f64 v[8:9], v[8:9], v[10:11]
	s_mov_b32 s13, 0x7ff00000
	v_add_f64 v[8:9], v[70:71], v[8:9]
	v_cmp_eq_f64_e32 vcc, s[12:13], v[2:3]
	v_cndmask_b32_e32 v9, v9, v3, vcc
	v_cndmask_b32_e32 v8, v8, v2, vcc
	v_mul_f64 v[8:9], v[8:9], -2.0
	v_cmp_neq_f64_e32 vcc, 0, v[2:3]
	s_mov_b32 s4, 0
	v_cndmask_b32_e32 v3, v91, v9, vcc
	v_cndmask_b32_e32 v2, 0, v8, vcc
	s_brev_b32 s5, 8
	v_cmp_gt_f64_e32 vcc, s[4:5], v[2:3]
	v_cndmask_b32_e64 v8, 0, 1, vcc
	v_lshlrev_b32_e32 v8, 8, v8
	v_ldexp_f64 v[2:3], v[2:3], v8
	v_xor_b32_e32 v6, v0, v6
	v_cvt_f64_u32_e32 v[0:1], v1
	v_rsq_f64_e32 v[8:9], v[2:3]
	v_ldexp_f64 v[0:1], v[0:1], 32
	v_cvt_f64_u32_e32 v[6:7], v6
	v_add_f64 v[0:1], v[0:1], v[6:7]
	v_mov_b32_e32 v6, 0
	v_mov_b32_e32 v7, 0x3cb00000
	v_fmac_f64_e32 v[6:7], 0x3cb00000, v[0:1]
	v_mul_f64 v[0:1], v[2:3], v[8:9]
	v_mul_f64 v[8:9], v[8:9], 0.5
	v_fma_f64 v[10:11], -v[8:9], v[0:1], 0.5
	v_fmac_f64_e32 v[0:1], v[0:1], v[10:11]
	v_fma_f64 v[70:71], -v[0:1], v[0:1], v[2:3]
	v_fmac_f64_e32 v[8:9], v[8:9], v[10:11]
	v_fmac_f64_e32 v[0:1], v[70:71], v[8:9]
	v_fma_f64 v[10:11], -v[0:1], v[0:1], v[2:3]
	v_fmac_f64_e32 v[0:1], v[10:11], v[8:9]
	v_cndmask_b32_e32 v8, 0, v87, vcc
	v_ldexp_f64 v[0:1], v[0:1], v8
	v_cmp_class_f64_e32 vcc, v[2:3], v86
	v_cndmask_b32_e32 v1, v1, v3, vcc
	v_cndmask_b32_e32 v0, v0, v2, vcc
	v_mul_f64 v[2:3], v[6:7], 0.5
	v_fract_f64_e32 v[8:9], v[2:3]
	v_add_f64 v[8:9], v[8:9], v[8:9]
	v_cmp_neq_f64_e32 vcc, s[12:13], v[2:3]
	v_cndmask_b32_e32 v2, 0, v8, vcc
	v_cndmask_b32_e32 v3, 0, v9, vcc
	v_cmp_lt_f64_e32 vcc, 1.0, v[6:7]
	v_cndmask_b32_e32 v3, v7, v3, vcc
	v_cndmask_b32_e32 v2, v6, v2, vcc
	v_add_f64 v[8:9], v[2:3], v[2:3]
	v_rndne_f64_e32 v[8:9], v[8:9]
	v_fmac_f64_e32 v[2:3], -0.5, v[8:9]
	s_mov_b32 s8, 0xf99eb0bb
	v_cvt_i32_f64_e32 v15, v[8:9]
	v_mul_f64 v[8:9], v[2:3], v[2:3]
	v_pk_mov_b32 v[10:11], v[48:49], v[48:49] op_sel:[0,1]
	s_mov_b32 s9, 0x3f3e357e
	v_fmac_f64_e32 v[10:11], s[8:9], v[8:9]
	v_pk_mov_b32 v[70:71], v[50:51], v[50:51] op_sel:[0,1]
	v_fmac_f64_e32 v[70:71], v[8:9], v[10:11]
	v_pk_mov_b32 v[10:11], v[52:53], v[52:53] op_sel:[0,1]
	;; [unrolled: 2-line block ×4, first 2 shown]
	v_fmac_f64_e32 v[10:11], v[8:9], v[70:71]
	v_mul_f64 v[70:71], v[2:3], v[8:9]
	s_mov_b32 s8, 0x54442d18
	v_mul_f64 v[10:11], v[70:71], v[10:11]
	s_mov_b32 s9, 0x400921fb
	v_fmac_f64_e32 v[10:11], s[8:9], v[2:3]
	s_mov_b32 s8, 0x2e21c33
	v_pk_mov_b32 v[2:3], v[58:59], v[58:59] op_sel:[0,1]
	s_mov_b32 s9, 0xbf1b1673
	v_fmac_f64_e32 v[2:3], s[8:9], v[8:9]
	v_pk_mov_b32 v[70:71], v[60:61], v[60:61] op_sel:[0,1]
	v_fmac_f64_e32 v[70:71], v[8:9], v[2:3]
	v_pk_mov_b32 v[2:3], v[62:63], v[62:63] op_sel:[0,1]
	;; [unrolled: 2-line block ×5, first 2 shown]
	v_fmac_f64_e32 v[70:71], v[8:9], v[2:3]
	v_fma_f64 v[2:3], v[8:9], v[70:71], 1.0
	v_and_b32_e32 v9, 1, v15
	v_lshlrev_b32_e32 v8, 30, v15
	v_cmp_eq_u32_e32 vcc, 0, v9
	v_cndmask_b32_e32 v10, v2, v10, vcc
	v_cndmask_b32_e32 v2, v3, v11, vcc
	v_xor_b32_e32 v3, v8, v7
	v_and_b32_e32 v3, 0x80000000, v3
	v_cmp_gt_f64_e32 vcc, s[4:5], v[4:5]
	v_xor_b32_e32 v11, v2, v3
	v_cndmask_b32_e64 v2, 0, 1, vcc
	v_lshlrev_b32_e32 v2, 8, v2
	v_ldexp_f64 v[2:3], v[4:5], v2
	v_rsq_f64_e32 v[8:9], v[2:3]
	v_cmp_lg_f64_e64 s[4:5], s[12:13], v[6:7]
	v_cndmask_b32_e64 v6, 0, v10, s[4:5]
	v_cndmask_b32_e64 v7, v89, v11, s[4:5]
	v_mul_f64 v[0:1], v[0:1], v[6:7]
	v_mul_f64 v[6:7], v[2:3], v[8:9]
	v_mul_f64 v[8:9], v[8:9], 0.5
	v_fma_f64 v[10:11], -v[8:9], v[6:7], 0.5
	v_fmac_f64_e32 v[6:7], v[6:7], v[10:11]
	v_fma_f64 v[70:71], -v[6:7], v[6:7], v[2:3]
	v_fmac_f64_e32 v[8:9], v[8:9], v[10:11]
	v_fmac_f64_e32 v[6:7], v[70:71], v[8:9]
	v_fma_f64 v[10:11], -v[6:7], v[6:7], v[2:3]
	v_fmac_f64_e32 v[6:7], v[10:11], v[8:9]
	v_cndmask_b32_e32 v8, 0, v87, vcc
	v_ldexp_f64 v[6:7], v[6:7], v8
	v_cmp_class_f64_e32 vcc, v[2:3], v86
	v_cndmask_b32_e32 v3, v7, v3, vcc
	v_cndmask_b32_e32 v2, v6, v2, vcc
	v_fmac_f64_e32 v[4:5], v[2:3], v[0:1]
	v_trunc_f64_e32 v[0:1], v[4:5]
	v_add_f64 v[2:3], v[4:5], -v[0:1]
	v_cmp_ge_f64_e64 vcc, |v[2:3]|, 0.5
	v_cndmask_b32_e32 v2, 0, v88, vcc
	s_brev_b32 s4, -2
	v_bfi_b32 v15, s4, v2, v5
	v_add_f64 v[0:1], v[0:1], v[14:15]
	v_cvt_u32_f64_e32 v73, v[0:1]
.LBB57_37:                              ;   in Loop: Header=BB57_6 Depth=1
	s_or_b64 exec, exec, s[0:1]
                                        ; implicit-def: $vgpr4_vgpr5
                                        ; implicit-def: $vgpr70_vgpr71
                                        ; implicit-def: $vgpr15
                                        ; implicit-def: $vgpr94
                                        ; implicit-def: $vgpr95
                                        ; implicit-def: $vgpr103
                                        ; implicit-def: $vgpr93
                                        ; implicit-def: $vgpr3
                                        ; implicit-def: $vgpr96
                                        ; implicit-def: $vgpr97
                                        ; implicit-def: $vgpr98
                                        ; implicit-def: $vgpr99
                                        ; implicit-def: $vgpr101
                                        ; implicit-def: $vgpr102
                                        ; implicit-def: $vgpr104
                                        ; implicit-def: $vgpr105
                                        ; implicit-def: $vgpr106
                                        ; implicit-def: $vgpr107
                                        ; implicit-def: $vgpr108
                                        ; implicit-def: $vgpr109
                                        ; implicit-def: $vgpr110
                                        ; implicit-def: $vgpr111
                                        ; implicit-def: $vgpr100
                                        ; implicit-def: $vgpr112
.LBB57_38:                              ;   in Loop: Header=BB57_6 Depth=1
	s_andn2_saveexec_b64 s[0:1], s[54:55]
	s_cbranch_execz .LBB57_4
; %bb.39:                               ;   in Loop: Header=BB57_6 Depth=1
	v_readlane_b32 s4, v132, 13
	v_readlane_b32 s5, v132, 14
	s_mov_b32 s4, s56
	v_mul_f64 v[6:7], v[4:5], s[4:5]
	v_rndne_f64_e32 v[6:7], v[6:7]
	s_mov_b32 s58, s50
	v_fma_f64 v[10:11], v[6:7], s[58:59], -v[4:5]
	s_mov_b32 s60, s52
	v_fmac_f64_e32 v[10:11], s[60:61], v[6:7]
	v_pk_mov_b32 v[8:9], v[30:31], v[30:31] op_sel:[0,1]
	v_fmac_f64_e32 v[8:9], s[62:63], v[10:11]
	v_pk_mov_b32 v[72:73], v[32:33], v[32:33] op_sel:[0,1]
	;; [unrolled: 2-line block ×9, first 2 shown]
	v_fmac_f64_e32 v[74:75], v[10:11], v[72:73]
	s_mov_b32 s9, s5
	v_fma_f64 v[72:73], v[10:11], v[74:75], 1.0
	s_mov_b32 s4, 0
	v_fma_f64 v[10:11], v[10:11], v[72:73], 1.0
	v_cvt_i32_f64_e32 v6, v[6:7]
	s_mov_b32 s5, 0x4090cc00
	v_mov_b32_e32 v8, 0
	v_ldexp_f64 v[6:7], v[10:11], v6
	v_cmp_nlt_f64_e32 vcc, s[4:5], v[4:5]
	v_writelane_b32 v132, s8, 13
	v_mov_b32_e32 v9, 0x3ff00000
	v_mov_b32_e32 v76, 0
	v_cndmask_b32_e32 v11, 0, v7, vcc
	v_cndmask_b32_e32 v10, 0, v6, vcc
	s_mov_b32 s12, -1
	s_mov_b64 s[4:5], 0
	v_mov_b32_e32 v77, v17
	v_writelane_b32 v132, s9, 14
	s_branch .LBB57_41
.LBB57_40:                              ;   in Loop: Header=BB57_41 Depth=2
	s_or_b64 exec, exec, s[8:9]
	v_cmp_eq_u32_e32 vcc, 1, v15
	v_cndmask_b32_e32 v0, v0, v1, vcc
	v_cmp_eq_u32_e32 vcc, 2, v15
	v_cndmask_b32_e32 v0, v0, v2, vcc
	;; [unrolled: 2-line block ×6, first 2 shown]
	v_lshrrev_b32_e32 v0, 11, v0
	v_cvt_f64_u32_e32 v[0:1], v0
	v_ldexp_f64 v[0:1], v[0:1], 32
	v_cvt_f64_u32_e32 v[2:3], v2
	v_add_f64 v[0:1], v[0:1], v[2:3]
	v_mov_b32_e32 v2, 0
	v_mov_b32_e32 v3, 0x3ca00000
	v_fmac_f64_e32 v[2:3], 0x3ca00000, v[0:1]
	v_mul_f64 v[8:9], v[8:9], v[2:3]
	v_cmp_ngt_f64_e32 vcc, v[8:9], v[10:11]
	s_add_i32 s12, s12, 1
	s_or_b64 s[4:5], vcc, s[4:5]
	v_mov_b32_e32 v73, s12
	v_mov_b32_e32 v15, v79
	v_mov_b32_e32 v0, v75
	v_mov_b32_e32 v1, v74
	v_mov_b32_e32 v2, v80
	v_mov_b32_e32 v3, v72
	s_andn2_b64 exec, exec, s[4:5]
	s_cbranch_execz .LBB57_3
.LBB57_41:                              ;   Parent Loop BB57_6 Depth=1
                                        ; =>  This Inner Loop Header: Depth=2
	v_add_u32_e32 v78, 1, v15
	v_pk_mov_b32 v[6:7], v[2:3], v[2:3] op_sel:[0,1]
	v_cmp_eq_u32_e32 vcc, 4, v78
	v_pk_mov_b32 v[4:5], v[0:1], v[0:1] op_sel:[0,1]
	v_mov_b32_e32 v75, v0
	v_mov_b32_e32 v74, v1
	;; [unrolled: 1-line block ×4, first 2 shown]
	s_and_saveexec_b64 s[8:9], vcc
	s_cbranch_execz .LBB57_43
; %bb.42:                               ;   in Loop: Header=BB57_41 Depth=2
	v_add_co_u32_e32 v94, vcc, 1, v94
	v_cndmask_b32_e64 v4, 0, 1, vcc
	v_addc_co_u32_e32 v95, vcc, 0, v95, vcc
	v_cmp_eq_u32_e32 vcc, 0, v95
	v_cndmask_b32_e32 v4, 0, v4, vcc
	v_add_u32_e32 v77, v4, v77
	v_cmp_eq_u32_e32 vcc, 0, v77
	v_cndmask_b32_e32 v4, 0, v4, vcc
	v_add_u32_e32 v76, v4, v76
	v_mad_u64_u32 v[4:5], s[14:15], v94, s33, 0
	v_mad_u64_u32 v[6:7], s[14:15], v77, s11, 0
	v_xor_b32_e32 v5, v5, v71
	v_xor_b32_e32 v7, v7, v70
	v_xor_b32_e32 v5, v76, v5
	v_xor_b32_e32 v7, v95, v7
	v_mad_u64_u32 v[74:75], s[14:15], v5, s11, 0
	v_mad_u64_u32 v[72:73], s[14:15], v7, s33, 0
	v_xor_b32_e32 v5, v96, v75
	v_xor_b32_e32 v5, v5, v6
	v_xor_b32_e32 v6, v97, v73
	v_xor_b32_e32 v6, v6, v4
	;; [unrolled: 6-line block ×10, first 2 shown]
	v_mov_b32_e32 v78, 0
	v_mov_b32_e32 v5, v74
	;; [unrolled: 1-line block ×5, first 2 shown]
.LBB57_43:                              ;   in Loop: Header=BB57_41 Depth=2
	s_or_b64 exec, exec, s[8:9]
	v_add_u32_e32 v79, 1, v78
	v_cmp_eq_u32_e32 vcc, 4, v79
	s_and_saveexec_b64 s[8:9], vcc
	s_cbranch_execz .LBB57_40
; %bb.44:                               ;   in Loop: Header=BB57_41 Depth=2
	v_add_co_u32_e32 v94, vcc, 1, v94
	v_cndmask_b32_e64 v72, 0, 1, vcc
	v_addc_co_u32_e32 v95, vcc, 0, v95, vcc
	v_cmp_eq_u32_e32 vcc, 0, v95
	v_cndmask_b32_e32 v72, 0, v72, vcc
	v_add_u32_e32 v77, v72, v77
	v_cmp_eq_u32_e32 vcc, 0, v77
	v_cndmask_b32_e32 v72, 0, v72, vcc
	v_add_u32_e32 v76, v72, v76
	v_mad_u64_u32 v[72:73], s[14:15], v94, s33, 0
	v_mad_u64_u32 v[74:75], s[14:15], v77, s11, 0
	v_xor_b32_e32 v73, v73, v71
	v_xor_b32_e32 v75, v75, v70
	v_xor_b32_e32 v73, v76, v73
	v_xor_b32_e32 v75, v95, v75
	v_mad_u64_u32 v[82:83], s[14:15], v73, s11, 0
	v_mad_u64_u32 v[80:81], s[14:15], v75, s33, 0
	v_xor_b32_e32 v73, v96, v83
	v_xor_b32_e32 v73, v73, v74
	v_xor_b32_e32 v74, v97, v81
	v_xor_b32_e32 v74, v74, v72
	;; [unrolled: 6-line block ×9, first 2 shown]
	v_mad_u64_u32 v[72:73], s[14:15], v72, s33, 0
	v_mad_u64_u32 v[74:75], s[14:15], v74, s11, 0
	v_xor_b32_e32 v75, v75, v114
	v_xor_b32_e32 v73, v73, v84
	v_mov_b32_e32 v79, 0
	v_xor_b32_e32 v75, v103, v75
	v_xor_b32_e32 v80, v93, v73
	s_branch .LBB57_40
.LBB57_45:
	s_or_b64 exec, exec, s[6:7]
	s_and_b64 exec, exec, s[94:95]
	s_cbranch_execnz .LBB57_48
.LBB57_46:
	s_endpgm
.LBB57_47:
	s_mov_b64 s[94:95], -1
	s_and_b64 exec, exec, s[94:95]
	s_cbranch_execz .LBB57_46
.LBB57_48:
	s_trap 2
	; divergent unreachable
	s_endpgm
	.section	.rodata,"a",@progbits
	.p2align	6, 0x0
	.amdhsa_kernel _ZN2at4cuda12_GLOBAL__N_121kernelPointwiseApply2IZN12_GLOBAL__N_119poisson_cuda_kernelIdEEvRKNS_10TensorBaseES7_NS_15PhiloxCudaStateEEUlRdRKdE_ddjLi1ELi1ELi1ELi512ELi2EEEvNS0_6detail10TensorInfoIT0_T2_EENSE_IT1_SG_EESG_T_
		.amdhsa_group_segment_fixed_size 0
		.amdhsa_private_segment_fixed_size 0
		.amdhsa_kernarg_size 728
		.amdhsa_user_sgpr_count 6
		.amdhsa_user_sgpr_private_segment_buffer 1
		.amdhsa_user_sgpr_dispatch_ptr 0
		.amdhsa_user_sgpr_queue_ptr 0
		.amdhsa_user_sgpr_kernarg_segment_ptr 1
		.amdhsa_user_sgpr_dispatch_id 0
		.amdhsa_user_sgpr_flat_scratch_init 0
		.amdhsa_user_sgpr_kernarg_preload_length 0
		.amdhsa_user_sgpr_kernarg_preload_offset 0
		.amdhsa_user_sgpr_private_segment_size 0
		.amdhsa_uses_dynamic_stack 0
		.amdhsa_system_sgpr_private_segment_wavefront_offset 0
		.amdhsa_system_sgpr_workgroup_id_x 1
		.amdhsa_system_sgpr_workgroup_id_y 0
		.amdhsa_system_sgpr_workgroup_id_z 0
		.amdhsa_system_sgpr_workgroup_info 0
		.amdhsa_system_vgpr_workitem_id 0
		.amdhsa_next_free_vgpr 133
		.amdhsa_next_free_sgpr 96
		.amdhsa_accum_offset 136
		.amdhsa_reserve_vcc 1
		.amdhsa_reserve_flat_scratch 0
		.amdhsa_float_round_mode_32 0
		.amdhsa_float_round_mode_16_64 0
		.amdhsa_float_denorm_mode_32 3
		.amdhsa_float_denorm_mode_16_64 3
		.amdhsa_dx10_clamp 1
		.amdhsa_ieee_mode 1
		.amdhsa_fp16_overflow 0
		.amdhsa_tg_split 0
		.amdhsa_exception_fp_ieee_invalid_op 0
		.amdhsa_exception_fp_denorm_src 0
		.amdhsa_exception_fp_ieee_div_zero 0
		.amdhsa_exception_fp_ieee_overflow 0
		.amdhsa_exception_fp_ieee_underflow 0
		.amdhsa_exception_fp_ieee_inexact 0
		.amdhsa_exception_int_div_zero 0
	.end_amdhsa_kernel
	.section	.text._ZN2at4cuda12_GLOBAL__N_121kernelPointwiseApply2IZN12_GLOBAL__N_119poisson_cuda_kernelIdEEvRKNS_10TensorBaseES7_NS_15PhiloxCudaStateEEUlRdRKdE_ddjLi1ELi1ELi1ELi512ELi2EEEvNS0_6detail10TensorInfoIT0_T2_EENSE_IT1_SG_EESG_T_,"axG",@progbits,_ZN2at4cuda12_GLOBAL__N_121kernelPointwiseApply2IZN12_GLOBAL__N_119poisson_cuda_kernelIdEEvRKNS_10TensorBaseES7_NS_15PhiloxCudaStateEEUlRdRKdE_ddjLi1ELi1ELi1ELi512ELi2EEEvNS0_6detail10TensorInfoIT0_T2_EENSE_IT1_SG_EESG_T_,comdat
.Lfunc_end57:
	.size	_ZN2at4cuda12_GLOBAL__N_121kernelPointwiseApply2IZN12_GLOBAL__N_119poisson_cuda_kernelIdEEvRKNS_10TensorBaseES7_NS_15PhiloxCudaStateEEUlRdRKdE_ddjLi1ELi1ELi1ELi512ELi2EEEvNS0_6detail10TensorInfoIT0_T2_EENSE_IT1_SG_EESG_T_, .Lfunc_end57-_ZN2at4cuda12_GLOBAL__N_121kernelPointwiseApply2IZN12_GLOBAL__N_119poisson_cuda_kernelIdEEvRKNS_10TensorBaseES7_NS_15PhiloxCudaStateEEUlRdRKdE_ddjLi1ELi1ELi1ELi512ELi2EEEvNS0_6detail10TensorInfoIT0_T2_EENSE_IT1_SG_EESG_T_
                                        ; -- End function
	.section	.AMDGPU.csdata,"",@progbits
; Kernel info:
; codeLenInByte = 13320
; NumSgprs: 100
; NumVgprs: 133
; NumAgprs: 0
; TotalNumVgprs: 133
; ScratchSize: 0
; MemoryBound: 0
; FloatMode: 240
; IeeeMode: 1
; LDSByteSize: 0 bytes/workgroup (compile time only)
; SGPRBlocks: 12
; VGPRBlocks: 16
; NumSGPRsForWavesPerEU: 100
; NumVGPRsForWavesPerEU: 133
; AccumOffset: 136
; Occupancy: 3
; WaveLimiterHint : 1
; COMPUTE_PGM_RSRC2:SCRATCH_EN: 0
; COMPUTE_PGM_RSRC2:USER_SGPR: 6
; COMPUTE_PGM_RSRC2:TRAP_HANDLER: 0
; COMPUTE_PGM_RSRC2:TGID_X_EN: 1
; COMPUTE_PGM_RSRC2:TGID_Y_EN: 0
; COMPUTE_PGM_RSRC2:TGID_Z_EN: 0
; COMPUTE_PGM_RSRC2:TIDIG_COMP_CNT: 0
; COMPUTE_PGM_RSRC3_GFX90A:ACCUM_OFFSET: 33
; COMPUTE_PGM_RSRC3_GFX90A:TG_SPLIT: 0
	.section	.text._ZN2at4cuda12_GLOBAL__N_121kernelPointwiseApply2IZN12_GLOBAL__N_119poisson_cuda_kernelIdEEvRKNS_10TensorBaseES7_NS_15PhiloxCudaStateEEUlRdRKdE_ddjLi1ELi2ELi1ELi512ELi2EEEvNS0_6detail10TensorInfoIT0_T2_EENSE_IT1_SG_EESG_T_,"axG",@progbits,_ZN2at4cuda12_GLOBAL__N_121kernelPointwiseApply2IZN12_GLOBAL__N_119poisson_cuda_kernelIdEEvRKNS_10TensorBaseES7_NS_15PhiloxCudaStateEEUlRdRKdE_ddjLi1ELi2ELi1ELi512ELi2EEEvNS0_6detail10TensorInfoIT0_T2_EENSE_IT1_SG_EESG_T_,comdat
	.globl	_ZN2at4cuda12_GLOBAL__N_121kernelPointwiseApply2IZN12_GLOBAL__N_119poisson_cuda_kernelIdEEvRKNS_10TensorBaseES7_NS_15PhiloxCudaStateEEUlRdRKdE_ddjLi1ELi2ELi1ELi512ELi2EEEvNS0_6detail10TensorInfoIT0_T2_EENSE_IT1_SG_EESG_T_ ; -- Begin function _ZN2at4cuda12_GLOBAL__N_121kernelPointwiseApply2IZN12_GLOBAL__N_119poisson_cuda_kernelIdEEvRKNS_10TensorBaseES7_NS_15PhiloxCudaStateEEUlRdRKdE_ddjLi1ELi2ELi1ELi512ELi2EEEvNS0_6detail10TensorInfoIT0_T2_EENSE_IT1_SG_EESG_T_
	.p2align	8
	.type	_ZN2at4cuda12_GLOBAL__N_121kernelPointwiseApply2IZN12_GLOBAL__N_119poisson_cuda_kernelIdEEvRKNS_10TensorBaseES7_NS_15PhiloxCudaStateEEUlRdRKdE_ddjLi1ELi2ELi1ELi512ELi2EEEvNS0_6detail10TensorInfoIT0_T2_EENSE_IT1_SG_EESG_T_,@function
_ZN2at4cuda12_GLOBAL__N_121kernelPointwiseApply2IZN12_GLOBAL__N_119poisson_cuda_kernelIdEEvRKNS_10TensorBaseES7_NS_15PhiloxCudaStateEEUlRdRKdE_ddjLi1ELi2ELi1ELi512ELi2EEEvNS0_6detail10TensorInfoIT0_T2_EENSE_IT1_SG_EESG_T_: ; @_ZN2at4cuda12_GLOBAL__N_121kernelPointwiseApply2IZN12_GLOBAL__N_119poisson_cuda_kernelIdEEvRKNS_10TensorBaseES7_NS_15PhiloxCudaStateEEUlRdRKdE_ddjLi1ELi2ELi1ELi512ELi2EEEvNS0_6detail10TensorInfoIT0_T2_EENSE_IT1_SG_EESG_T_
; %bb.0:
	s_load_dword s2, s[4:5], 0x1e4
	s_load_dword s33, s[4:5], 0x1b0
	s_add_u32 s0, s4, 0x1d8
	s_addc_u32 s1, s5, 0
	s_waitcnt lgkmcnt(0)
	s_and_b32 s2, s2, 0xffff
	s_mul_i32 s6, s6, s2
	v_add_u32_e32 v17, s6, v0
	v_cmp_gt_u32_e32 vcc, s33, v17
	s_and_saveexec_b64 s[6:7], vcc
	s_cbranch_execz .LBB58_47
; %bb.1:
	s_load_dwordx2 s[6:7], s[4:5], 0x0
	s_load_dwordx4 s[16:19], s[4:5], 0x1b8
                                        ; implicit-def: $vgpr134 : SGPR spill to VGPR lane
                                        ; kill: killed $sgpr0 killed $sgpr1
	s_mov_b32 s9, 0xcd9e8d57
	s_mov_b32 s26, 0
	;; [unrolled: 1-line block ×3, first 2 shown]
	s_waitcnt lgkmcnt(0)
	v_writelane_b32 v134, s6, 0
	v_writelane_b32 v134, s7, 1
	s_load_dword s49, s[4:5], 0x6c
	s_load_dwordx2 s[12:13], s[4:5], 0xd8
	s_load_dword s8, s[4:5], 0xe4
	s_load_dwordx2 s[6:7], s[4:5], 0x144
	s_mov_b32 s36, 0x6b47b09a
	s_mov_b32 s38, 0xbf559e2b
	;; [unrolled: 1-line block ×3, first 2 shown]
	s_waitcnt lgkmcnt(0)
	v_cvt_f32_u32_e32 v0, s8
	v_writelane_b32 v134, s6, 2
	v_writelane_b32 v134, s7, 3
	s_load_dword s3, s[0:1], 0x0
	s_load_dwordx2 s[6:7], s[4:5], 0x1c8
	v_writelane_b32 v134, s16, 4
	v_writelane_b32 v134, s17, 5
	;; [unrolled: 1-line block ×4, first 2 shown]
	v_rcp_iflag_f32_e32 v0, v0
	s_waitcnt lgkmcnt(0)
	v_writelane_b32 v134, s6, 8
	v_writelane_b32 v134, s7, 9
	s_load_dword s6, s[4:5], 0x1d0
	v_mul_f32_e32 v0, 0x4f7ffffe, v0
	s_getpc_b64 s[0:1]
	s_add_u32 s0, s0, .str@rel32@lo+4
	s_addc_u32 s1, s1, .str@rel32@hi+12
	v_cvt_u32_f32_e32 v0, v0
	s_cmp_eq_u64 s[0:1], 0
	s_cselect_b64 s[0:1], -1, 0
	s_waitcnt lgkmcnt(0)
	s_bitcmp1_b32 s6, 0
	v_mad_u64_u32 v[12:13], s[6:7], v17, s9, 0
	s_mul_i32 s2, s3, s2
	v_writelane_b32 v134, s2, 10
	s_cselect_b64 s[2:3], -1, 0
	s_sub_i32 s6, 0, s8
	v_mul_lo_u32 v1, s6, v0
	v_mul_hi_u32 v1, v0, v1
	v_mov_b32_e32 v16, v13
	v_add_u32_e32 v13, v0, v1
	v_cndmask_b32_e64 v0, 0, 1, s[2:3]
	v_cmp_ne_u32_e64 s[2:3], 1, v0
	v_writelane_b32 v134, s2, 11
	v_writelane_b32 v134, s3, 12
	s_mov_b32 s42, 0x16291751
	s_mov_b32 s44, 0x9b27acf1
	;; [unrolled: 1-line block ×7, first 2 shown]
	s_xor_b64 s[64:65], s[0:1], -1
	s_mov_b32 s66, 0
	s_mov_b32 s68, 0
	s_mov_b32 s70, 0
	s_mov_b32 s72, 0x8f3faeef
	s_mov_b32 s74, 0
	s_mov_b32 s76, 0x4e4e324f
	s_mov_b32 s78, 0
	s_mov_b32 s80, 0x992b2855
	s_mov_b32 s82, 0
	s_mov_b32 s84, 0x7f8b9c81
	s_mov_b32 s86, 0x51a32f5d
	s_mov_b32 s88, 0x61d3b4d8
	s_mov_b32 s90, 0x8ed4171b
	s_mov_b32 s92, 0xb6c30b05
	s_movk_i32 s94, 0xf950
	s_mov_b32 s24, 0xc864beb5
	s_mov_b32 s20, 0
	;; [unrolled: 1-line block ×4, first 2 shown]
                                        ; kill: killed $sgpr4 killed $sgpr5
	s_mov_b64 s[4:5], 0
	v_mov_b32_e32 v14, 0
	v_mov_b32_e32 v88, s13
	s_mov_b32 s11, 0xd2511f53
	s_mov_b32 s27, 0x40080000
	;; [unrolled: 1-line block ×12, first 2 shown]
	s_movk_i32 s10, 0x204
	s_mov_b32 s57, 0x3ff71547
	s_mov_b32 s59, 0xbfe62e42
	;; [unrolled: 1-line block ×4, first 2 shown]
	v_mov_b32_e32 v18, 0x6b47b09a
	v_mov_b32_e32 v20, 0xd7f4df2e
	;; [unrolled: 1-line block ×59, first 2 shown]
	s_mov_b32 s67, 0x40900000
	s_mov_b32 s69, 0xc090cc00
	;; [unrolled: 1-line block ×19, first 2 shown]
	v_writelane_b32 v134, s0, 13
                                        ; implicit-def: $sgpr16_sgpr17
                                        ; implicit-def: $sgpr18_sgpr19
	v_writelane_b32 v134, s1, 14
	s_branch .LBB58_5
.LBB58_2:                               ;   in Loop: Header=BB58_5 Depth=1
	s_or_b64 exec, exec, s[2:3]
	v_readlane_b32 s12, v134, 13
	v_readlane_b32 s13, v134, 14
.LBB58_3:                               ;   in Loop: Header=BB58_5 Depth=1
	s_or_b64 exec, exec, s[0:1]
	v_readlane_b32 s0, v134, 0
	v_lshlrev_b64 v[0:1], 3, v[70:71]
	v_readlane_b32 s1, v134, 1
	v_mov_b32_e32 v2, s1
	v_add_co_u32_e32 v0, vcc, s0, v0
	v_readlane_b32 s0, v134, 10
	v_addc_co_u32_e32 v1, vcc, v2, v1, vcc
	v_add_u32_e32 v95, s0, v95
	v_cmp_le_u32_e32 vcc, s33, v95
	v_cvt_f64_u32_e32 v[2:3], v75
	s_andn2_b64 s[18:19], s[18:19], exec
	s_orn2_b64 s[0:1], vcc, exec
	global_store_dwordx2 v[0:1], v[2:3], off
.LBB58_4:                               ;   in Loop: Header=BB58_5 Depth=1
	s_or_b64 exec, exec, s[30:31]
	s_and_b64 s[0:1], exec, s[0:1]
	s_or_b64 s[4:5], s[0:1], s[4:5]
	s_andn2_b64 s[0:1], s[16:17], exec
	s_and_b64 s[2:3], s[18:19], exec
	s_or_b64 s[16:17], s[0:1], s[2:3]
	s_andn2_b64 exec, exec, s[4:5]
	s_cbranch_execz .LBB58_46
.LBB58_5:                               ; =>This Loop Header: Depth=1
                                        ;     Child Loop BB58_13 Depth 2
                                        ;     Child Loop BB58_42 Depth 2
	v_sub_u32_e32 v0, s33, v95
	v_pk_mov_b32 v[70:71], 0, 0
	v_cmp_lt_i32_e32 vcc, 0, v0
	v_pk_mov_b32 v[0:1], v[70:71], v[70:71] op_sel:[0,1]
	s_and_saveexec_b64 s[0:1], vcc
	s_cbranch_execz .LBB58_7
; %bb.6:                                ;   in Loop: Header=BB58_5 Depth=1
	v_mul_hi_u32 v0, v95, v13
	v_mul_lo_u32 v1, v0, s8
	v_sub_u32_e32 v1, v95, v1
	v_add_u32_e32 v2, 1, v0
	v_cmp_le_u32_e32 vcc, s8, v1
	v_cndmask_b32_e32 v0, v0, v2, vcc
	v_subrev_u32_e32 v2, s8, v1
	v_cndmask_b32_e32 v1, v1, v2, vcc
	v_add_u32_e32 v2, 1, v0
	v_cmp_le_u32_e32 vcc, s8, v1
	v_cndmask_b32_e32 v1, v0, v2, vcc
	v_mul_lo_u32 v0, v1, s8
	v_readlane_b32 s2, v134, 2
	v_sub_u32_e32 v0, v95, v0
	v_readlane_b32 s3, v134, 3
	v_mul_lo_u32 v0, v0, s3
	v_mad_u64_u32 v[0:1], s[2:3], v1, s2, v[0:1]
	v_mul_lo_u32 v70, v95, s49
	v_mov_b32_e32 v71, v14
	v_mov_b32_e32 v1, v14
.LBB58_7:                               ;   in Loop: Header=BB58_5 Depth=1
	s_or_b64 exec, exec, s[0:1]
	v_lshlrev_b64 v[0:1], 3, v[0:1]
	v_add_co_u32_e32 v0, vcc, s12, v0
	v_addc_co_u32_e32 v1, vcc, v88, v1, vcc
	global_load_dwordx2 v[4:5], v[0:1], off
	s_mov_b64 s[0:1], -1
	s_or_b64 s[18:19], s[18:19], exec
	s_waitcnt vmcnt(0)
	v_cmp_le_f64_e32 vcc, 0, v[4:5]
	s_and_b64 s[2:3], s[64:65], vcc
	s_and_saveexec_b64 s[30:31], s[2:3]
	s_cbranch_execz .LBB58_4
; %bb.8:                                ;   in Loop: Header=BB58_5 Depth=1
	v_readlane_b32 s0, v134, 11
	v_readlane_b32 s1, v134, 12
	s_and_b64 vcc, exec, s[0:1]
	v_readlane_b32 s0, v134, 4
	v_readlane_b32 s1, v134, 5
	;; [unrolled: 1-line block ×4, first 2 shown]
	v_pk_mov_b32 v[0:1], s[2:3], s[2:3] op_sel:[0,1]
	v_pk_mov_b32 v[72:73], s[0:1], s[0:1] op_sel:[0,1]
	s_cbranch_vccnz .LBB58_10
; %bb.9:                                ;   in Loop: Header=BB58_5 Depth=1
	v_readlane_b32 s0, v134, 4
	v_readlane_b32 s2, v134, 6
	;; [unrolled: 1-line block ×3, first 2 shown]
	v_pk_mov_b32 v[0:1], s[2:3], s[2:3] op_sel:[0,1]
	v_readlane_b32 s1, v134, 5
	flat_load_dwordx2 v[0:1], v[0:1]
	v_pk_mov_b32 v[2:3], s[0:1], s[0:1] op_sel:[0,1]
	flat_load_dwordx2 v[72:73], v[2:3]
	v_readlane_b32 s0, v134, 8
	v_readlane_b32 s1, v134, 9
	v_mov_b32_e32 v2, s1
	s_waitcnt vmcnt(0) lgkmcnt(0)
	v_add_co_u32_e32 v0, vcc, s0, v0
	v_addc_co_u32_e32 v1, vcc, v1, v2, vcc
.LBB58_10:                              ;   in Loop: Header=BB58_5 Depth=1
	v_alignbit_b32 v97, v1, v0, 2
	v_and_b32_e32 v15, 3, v0
	v_lshrrev_b32_e32 v98, 2, v1
	v_mad_u64_u32 v[0:1], s[0:1], v97, s11, 0
	v_xor_b32_e32 v3, v16, v72
	v_mov_b32_e32 v2, v73
	v_xor_b32_e32 v1, v1, v73
	s_mov_b32 s0, 0xbb67ae85
	v_xor_b32_e32 v3, v3, v98
	v_add_co_u32_e32 v100, vcc, s0, v2
	v_mad_u64_u32 v[6:7], s[0:1], v3, s11, 0
	v_mad_u64_u32 v[8:9], s[0:1], v1, s9, 0
	v_add_co_u32_e32 v99, vcc, 0x9e3779b9, v72
	v_xor_b32_e32 v1, v12, v9
	v_xor_b32_e32 v3, v100, v7
	s_mov_b32 s0, 0x3c6ef372
	v_xor_b32_e32 v1, v1, v99
	v_xor_b32_e32 v3, v3, v0
	v_add_co_u32_e32 v101, vcc, s0, v72
	s_mov_b32 s0, 0x76cf5d0a
	v_add_co_u32_e32 v102, vcc, s0, v2
	v_mad_u64_u32 v[0:1], s[0:1], v1, s11, 0
	v_mad_u64_u32 v[10:11], s[0:1], v3, s9, 0
	v_xor_b32_e32 v3, v101, v11
	v_xor_b32_e32 v1, v102, v1
	s_mov_b32 s0, 0xdaa66d2b
	v_xor_b32_e32 v3, v3, v8
	v_xor_b32_e32 v1, v1, v6
	v_add_co_u32_e32 v104, vcc, s0, v72
	s_mov_b32 s0, 0x32370b8f
	v_add_co_u32_e32 v105, vcc, s0, v2
	v_mad_u64_u32 v[6:7], s[0:1], v3, s11, 0
	v_mad_u64_u32 v[8:9], s[0:1], v1, s9, 0
	;; [unrolled: 10-line block ×7, first 2 shown]
	v_xor_b32_e32 v1, v103, v1
	v_xor_b32_e32 v3, v115, v3
	;; [unrolled: 1-line block ×4, first 2 shown]
	v_mad_u64_u32 v[6:7], s[0:1], v1, s11, 0
	v_mad_u64_u32 v[8:9], s[0:1], v8, s9, 0
	s_mov_b32 s0, 0
	v_add_u32_e32 v106, 0x8ff34781, v72
	v_add_u32_e32 v96, 0x96a522ad, v73
	v_xor_b32_e32 v0, v9, v0
	v_xor_b32_e32 v2, v7, v2
	s_mov_b32 s1, 0x40500000
	v_mov_b32_e32 v3, v6
	v_mov_b32_e32 v1, v8
	v_xor_b32_e32 v0, v106, v0
	v_xor_b32_e32 v2, v96, v2
	v_cmp_ngt_f64_e32 vcc, s[0:1], v[4:5]
                                        ; implicit-def: $vgpr75
	s_and_saveexec_b64 s[0:1], vcc
	s_xor_b64 s[54:55], exec, s[0:1]
	s_cbranch_execz .LBB58_39
; %bb.11:                               ;   in Loop: Header=BB58_5 Depth=1
	s_mov_b32 s0, 0
	s_mov_b32 s1, 0x40af4000
	v_cmp_ge_f64_e32 vcc, s[0:1], v[4:5]
                                        ; implicit-def: $vgpr75
	s_and_saveexec_b64 s[0:1], vcc
	s_xor_b64 s[6:7], exec, s[0:1]
	s_cbranch_execz .LBB58_26
; %bb.12:                               ;   in Loop: Header=BB58_5 Depth=1
	s_mov_b32 s12, 0xae147ae1
	s_mov_b32 s13, 0xc00ae147
	v_div_scale_f64 v[6:7], s[0:1], v[4:5], v[4:5], s[12:13]
	v_rcp_f64_e32 v[8:9], v[6:7]
	s_mov_b32 s0, 0
	v_mul_f64 v[76:77], v[4:5], s[26:27]
	s_brev_b32 s1, 8
	v_cmp_gt_f64_e64 s[2:3], s[0:1], v[76:77]
	v_cndmask_b32_e64 v78, 0, 1, s[2:3]
	v_fma_f64 v[74:75], -v[6:7], v[8:9], 1.0
	v_lshlrev_b32_e32 v78, 8, v78
	v_fmac_f64_e32 v[8:9], v[8:9], v[74:75]
	v_ldexp_f64 v[76:77], v[76:77], v78
	v_fma_f64 v[74:75], -v[6:7], v[8:9], 1.0
	v_rsq_f64_e32 v[78:79], v[76:77]
	v_div_scale_f64 v[10:11], vcc, s[12:13], v[4:5], s[12:13]
	v_fmac_f64_e32 v[8:9], v[8:9], v[74:75]
	v_mul_f64 v[74:75], v[10:11], v[8:9]
	v_fma_f64 v[6:7], -v[6:7], v[74:75], v[10:11]
	s_nop 0
	v_div_fmas_f64 v[6:7], v[6:7], v[8:9], v[74:75]
	v_mul_f64 v[8:9], v[76:77], v[78:79]
	v_mul_f64 v[10:11], v[78:79], 0.5
	v_fma_f64 v[74:75], -v[10:11], v[8:9], 0.5
	v_fmac_f64_e32 v[8:9], v[8:9], v[74:75]
	v_fma_f64 v[78:79], -v[8:9], v[8:9], v[76:77]
	v_fmac_f64_e32 v[10:11], v[10:11], v[74:75]
	v_fmac_f64_e32 v[8:9], v[78:79], v[10:11]
	v_fma_f64 v[74:75], -v[8:9], v[8:9], v[76:77]
	v_fmac_f64_e32 v[8:9], v[74:75], v[10:11]
	v_cndmask_b32_e64 v10, 0, v90, s[2:3]
	v_ldexp_f64 v[8:9], v[8:9], v10
	v_cmp_class_f64_e32 vcc, v[76:77], v89
	s_mov_b32 s2, 0x54442d18
	v_cndmask_b32_e32 v9, v9, v77, vcc
	v_cndmask_b32_e32 v8, v8, v76, vcc
	s_mov_b32 s3, 0x400921fb
	v_div_scale_f64 v[10:11], s[0:1], v[8:9], v[8:9], s[2:3]
	v_rcp_f64_e32 v[76:77], v[10:11]
	s_mov_b32 s0, 0x95810625
	v_div_fixup_f64 v[6:7], v[6:7], v[4:5], s[12:13]
	s_mov_b32 s1, 0x3fe88b43
	v_fma_f64 v[78:79], -v[10:11], v[76:77], 1.0
	v_fmac_f64_e32 v[76:77], v[76:77], v[78:79]
	v_fma_f64 v[78:79], -v[10:11], v[76:77], 1.0
	v_fmac_f64_e32 v[76:77], v[76:77], v[78:79]
	v_div_scale_f64 v[78:79], vcc, s[2:3], v[8:9], s[2:3]
	v_mul_f64 v[80:81], v[78:79], v[76:77]
	v_fma_f64 v[10:11], -v[10:11], v[80:81], v[78:79]
	v_add_f64 v[6:7], v[6:7], s[0:1]
	s_nop 0
	v_div_fmas_f64 v[10:11], v[10:11], v[76:77], v[80:81]
	v_div_fixup_f64 v[76:77], v[10:11], v[8:9], s[2:3]
	v_frexp_mant_f64_e32 v[8:9], v[6:7]
	v_cmp_gt_f64_e32 vcc, s[34:35], v[8:9]
	v_mov_b32_e32 v74, 0
	v_cndmask_b32_e64 v75, v91, 2.0, vcc
	v_frexp_exp_i32_f64_e32 v10, v[6:7]
	v_mul_f64 v[8:9], v[8:9], v[74:75]
	v_subbrev_co_u32_e32 v75, vcc, 0, v10, vcc
	v_add_f64 v[10:11], v[8:9], 1.0
	v_rcp_f64_e32 v[80:81], v[10:11]
	v_add_f64 v[84:85], v[10:11], -1.0
	v_add_f64 v[82:83], v[8:9], -1.0
	v_add_f64 v[8:9], v[8:9], -v[84:85]
	v_fma_f64 v[84:85], -v[10:11], v[80:81], 1.0
	v_fmac_f64_e32 v[80:81], v[84:85], v[80:81]
	v_fma_f64 v[84:85], -v[10:11], v[80:81], 1.0
	v_fmac_f64_e32 v[80:81], v[84:85], v[80:81]
	v_mul_f64 v[84:85], v[82:83], v[80:81]
	v_mul_f64 v[86:87], v[10:11], v[84:85]
	v_fma_f64 v[10:11], v[84:85], v[10:11], -v[86:87]
	v_fmac_f64_e32 v[10:11], v[84:85], v[8:9]
	v_add_f64 v[8:9], v[86:87], v[10:11]
	v_add_f64 v[116:117], v[82:83], -v[8:9]
	v_add_f64 v[86:87], v[8:9], -v[86:87]
	;; [unrolled: 1-line block ×5, first 2 shown]
	v_add_f64 v[8:9], v[10:11], v[8:9]
	v_add_f64 v[8:9], v[116:117], v[8:9]
	v_mul_f64 v[8:9], v[80:81], v[8:9]
	v_add_f64 v[10:11], v[84:85], v[8:9]
	v_add_f64 v[80:81], v[10:11], -v[84:85]
	v_add_f64 v[8:9], v[8:9], -v[80:81]
	v_mul_f64 v[80:81], v[10:11], v[10:11]
	v_pk_mov_b32 v[82:83], s[36:37], s[36:37] op_sel:[0,1]
	v_fma_f64 v[84:85], s[38:39], v[80:81], v[82:83]
	v_fma_f64 v[84:85], v[80:81], v[84:85], s[40:41]
	;; [unrolled: 1-line block ×4, first 2 shown]
	s_mov_b32 s28, s49
	v_fma_f64 v[84:85], v[80:81], v[84:85], s[46:47]
	s_mov_b32 s49, s35
	v_fma_f64 v[84:85], v[80:81], v[84:85], s[48:49]
	v_ldexp_f64 v[86:87], v[10:11], 1
	v_mul_f64 v[10:11], v[10:11], v[80:81]
	v_mul_f64 v[10:11], v[10:11], v[84:85]
	v_add_f64 v[80:81], v[86:87], v[10:11]
	v_add_f64 v[84:85], v[80:81], -v[86:87]
	v_ldexp_f64 v[8:9], v[8:9], 1
	v_add_f64 v[10:11], v[10:11], -v[84:85]
	v_add_f64 v[8:9], v[8:9], v[10:11]
	v_add_f64 v[10:11], v[80:81], v[8:9]
	v_add_f64 v[80:81], v[10:11], -v[80:81]
	v_add_f64 v[8:9], v[8:9], -v[80:81]
	v_cvt_f64_i32_e32 v[80:81], v75
	v_mul_f64 v[84:85], v[80:81], s[50:51]
	v_fma_f64 v[86:87], v[80:81], s[50:51], -v[84:85]
	v_fmac_f64_e32 v[86:87], s[52:53], v[80:81]
	v_add_f64 v[80:81], v[84:85], v[86:87]
	v_add_f64 v[84:85], v[80:81], -v[84:85]
	v_add_f64 v[84:85], v[86:87], -v[84:85]
	v_add_f64 v[86:87], v[80:81], v[10:11]
	v_add_f64 v[116:117], v[86:87], -v[80:81]
	v_add_f64 v[118:119], v[86:87], -v[116:117]
	;; [unrolled: 1-line block ×4, first 2 shown]
	v_add_f64 v[10:11], v[10:11], v[80:81]
	v_add_f64 v[80:81], v[84:85], v[8:9]
	v_add_f64 v[116:117], v[80:81], -v[84:85]
	v_add_f64 v[118:119], v[80:81], -v[116:117]
	v_add_f64 v[10:11], v[80:81], v[10:11]
	v_add_f64 v[84:85], v[84:85], -v[118:119]
	v_add_f64 v[8:9], v[8:9], -v[116:117]
	v_add_f64 v[80:81], v[86:87], v[10:11]
	v_add_f64 v[8:9], v[8:9], v[84:85]
	v_add_f64 v[84:85], v[80:81], -v[86:87]
	v_add_f64 v[10:11], v[10:11], -v[84:85]
	v_add_f64 v[8:9], v[8:9], v[10:11]
	v_add_f64 v[8:9], v[80:81], v[8:9]
	v_cmp_class_f64_e64 vcc, v[6:7], s10
	v_cndmask_b32_e32 v8, v8, v6, vcc
	v_cndmask_b32_e32 v9, v9, v7, vcc
	v_cmp_ngt_f64_e32 vcc, 0, v[6:7]
	v_cndmask_b32_e32 v9, v92, v9, vcc
	v_cmp_nge_f64_e32 vcc, 0, v[6:7]
	v_cndmask_b32_e32 v8, 0, v8, vcc
	v_cmp_neq_f64_e32 vcc, 0, v[6:7]
	v_cndmask_b32_e32 v9, v93, v9, vcc
	v_add_f64 v[6:7], v[8:9], -v[4:5]
	v_frexp_mant_f64_e32 v[8:9], v[76:77]
	v_cmp_gt_f64_e32 vcc, s[34:35], v[8:9]
	v_cndmask_b32_e64 v75, v91, 2.0, vcc
	v_frexp_exp_i32_f64_e32 v10, v[76:77]
	v_mul_f64 v[8:9], v[8:9], v[74:75]
	v_subbrev_co_u32_e32 v75, vcc, 0, v10, vcc
	v_add_f64 v[10:11], v[8:9], 1.0
	v_rcp_f64_e32 v[80:81], v[10:11]
	v_add_f64 v[86:87], v[10:11], -1.0
	v_add_f64 v[84:85], v[8:9], -1.0
	v_add_f64 v[8:9], v[8:9], -v[86:87]
	v_fma_f64 v[86:87], -v[10:11], v[80:81], 1.0
	v_fmac_f64_e32 v[80:81], v[86:87], v[80:81]
	v_fma_f64 v[86:87], -v[10:11], v[80:81], 1.0
	v_fmac_f64_e32 v[80:81], v[86:87], v[80:81]
	v_mul_f64 v[86:87], v[84:85], v[80:81]
	v_mul_f64 v[116:117], v[10:11], v[86:87]
	v_fma_f64 v[10:11], v[86:87], v[10:11], -v[116:117]
	v_fmac_f64_e32 v[10:11], v[86:87], v[8:9]
	v_add_f64 v[8:9], v[116:117], v[10:11]
	v_add_f64 v[118:119], v[84:85], -v[8:9]
	v_add_f64 v[116:117], v[8:9], -v[116:117]
	;; [unrolled: 1-line block ×5, first 2 shown]
	v_add_f64 v[8:9], v[10:11], v[8:9]
	v_add_f64 v[8:9], v[118:119], v[8:9]
	v_mul_f64 v[8:9], v[80:81], v[8:9]
	v_add_f64 v[10:11], v[86:87], v[8:9]
	v_add_f64 v[80:81], v[10:11], -v[86:87]
	v_add_f64 v[8:9], v[8:9], -v[80:81]
	v_mul_f64 v[80:81], v[10:11], v[10:11]
	v_fma_f64 v[84:85], s[38:39], v[80:81], v[82:83]
	v_fma_f64 v[84:85], v[80:81], v[84:85], s[40:41]
	;; [unrolled: 1-line block ×6, first 2 shown]
	v_ldexp_f64 v[86:87], v[10:11], 1
	v_mul_f64 v[10:11], v[10:11], v[80:81]
	v_mul_f64 v[10:11], v[10:11], v[84:85]
	v_add_f64 v[80:81], v[86:87], v[10:11]
	v_add_f64 v[84:85], v[80:81], -v[86:87]
	v_ldexp_f64 v[8:9], v[8:9], 1
	v_add_f64 v[10:11], v[10:11], -v[84:85]
	v_add_f64 v[8:9], v[8:9], v[10:11]
	v_add_f64 v[10:11], v[80:81], v[8:9]
	v_add_f64 v[80:81], v[10:11], -v[80:81]
	v_add_f64 v[8:9], v[8:9], -v[80:81]
	v_cvt_f64_i32_e32 v[80:81], v75
	v_mul_f64 v[84:85], v[80:81], s[50:51]
	v_fma_f64 v[86:87], v[80:81], s[50:51], -v[84:85]
	v_fmac_f64_e32 v[86:87], s[52:53], v[80:81]
	v_add_f64 v[80:81], v[84:85], v[86:87]
	v_add_f64 v[84:85], v[80:81], -v[84:85]
	v_add_f64 v[84:85], v[86:87], -v[84:85]
	v_add_f64 v[86:87], v[80:81], v[10:11]
	v_add_f64 v[116:117], v[86:87], -v[80:81]
	v_add_f64 v[118:119], v[86:87], -v[116:117]
	;; [unrolled: 1-line block ×4, first 2 shown]
	v_add_f64 v[10:11], v[10:11], v[80:81]
	v_add_f64 v[80:81], v[84:85], v[8:9]
	v_add_f64 v[116:117], v[80:81], -v[84:85]
	v_add_f64 v[118:119], v[80:81], -v[116:117]
	v_add_f64 v[10:11], v[80:81], v[10:11]
	v_add_f64 v[84:85], v[84:85], -v[118:119]
	v_add_f64 v[8:9], v[8:9], -v[116:117]
	v_add_f64 v[80:81], v[86:87], v[10:11]
	v_add_f64 v[8:9], v[8:9], v[84:85]
	v_add_f64 v[84:85], v[80:81], -v[86:87]
	v_add_f64 v[10:11], v[10:11], -v[84:85]
	s_mov_b32 s0, 0
	v_add_f64 v[8:9], v[8:9], v[10:11]
	s_mov_b32 s1, 0x7ff00000
	v_add_f64 v[8:9], v[80:81], v[8:9]
	v_cmp_eq_f64_e32 vcc, s[0:1], v[76:77]
	v_cndmask_b32_e32 v8, v8, v76, vcc
	v_cndmask_b32_e32 v9, v9, v77, vcc
	v_cmp_neq_f64_e32 vcc, 0, v[76:77]
	v_cndmask_b32_e32 v9, v93, v9, vcc
	v_cndmask_b32_e32 v8, 0, v8, vcc
	v_mul_f64 v[78:79], v[4:5], v[76:77]
	v_add_f64 v[80:81], v[6:7], -v[8:9]
	v_frexp_exp_i32_f64_e32 v6, v[4:5]
	v_frexp_mant_f64_e32 v[4:5], v[4:5]
	v_cmp_gt_f64_e32 vcc, s[34:35], v[4:5]
	v_cndmask_b32_e64 v75, v91, 2.0, vcc
	v_mul_f64 v[4:5], v[4:5], v[74:75]
	v_subbrev_co_u32_e32 v75, vcc, 0, v6, vcc
	v_add_f64 v[6:7], v[4:5], 1.0
	v_rcp_f64_e32 v[8:9], v[6:7]
	v_add_f64 v[84:85], v[6:7], -1.0
	v_add_f64 v[10:11], v[4:5], -1.0
	v_add_f64 v[4:5], v[4:5], -v[84:85]
	v_fma_f64 v[84:85], -v[6:7], v[8:9], 1.0
	v_fmac_f64_e32 v[8:9], v[84:85], v[8:9]
	v_fma_f64 v[84:85], -v[6:7], v[8:9], 1.0
	v_fmac_f64_e32 v[8:9], v[84:85], v[8:9]
	v_mul_f64 v[84:85], v[10:11], v[8:9]
	v_mul_f64 v[86:87], v[6:7], v[84:85]
	v_fma_f64 v[6:7], v[84:85], v[6:7], -v[86:87]
	v_fmac_f64_e32 v[6:7], v[84:85], v[4:5]
	v_add_f64 v[4:5], v[86:87], v[6:7]
	v_add_f64 v[116:117], v[10:11], -v[4:5]
	v_add_f64 v[86:87], v[4:5], -v[86:87]
	;; [unrolled: 1-line block ×5, first 2 shown]
	v_add_f64 v[4:5], v[6:7], v[4:5]
	v_add_f64 v[4:5], v[116:117], v[4:5]
	v_mul_f64 v[4:5], v[8:9], v[4:5]
	v_add_f64 v[6:7], v[84:85], v[4:5]
	v_add_f64 v[8:9], v[6:7], -v[84:85]
	v_add_f64 v[4:5], v[4:5], -v[8:9]
	v_mul_f64 v[8:9], v[6:7], v[6:7]
	v_fmac_f64_e32 v[82:83], s[38:39], v[8:9]
	v_fma_f64 v[10:11], v[8:9], v[82:83], s[40:41]
	v_fma_f64 v[10:11], v[8:9], v[10:11], s[42:43]
	;; [unrolled: 1-line block ×5, first 2 shown]
	v_ldexp_f64 v[82:83], v[6:7], 1
	v_mul_f64 v[6:7], v[6:7], v[8:9]
	v_mul_f64 v[6:7], v[6:7], v[10:11]
	v_add_f64 v[8:9], v[82:83], v[6:7]
	v_add_f64 v[10:11], v[8:9], -v[82:83]
	v_ldexp_f64 v[4:5], v[4:5], 1
	v_add_f64 v[6:7], v[6:7], -v[10:11]
	v_add_f64 v[4:5], v[4:5], v[6:7]
	v_add_f64 v[6:7], v[8:9], v[4:5]
	v_add_f64 v[8:9], v[6:7], -v[8:9]
	v_add_f64 v[4:5], v[4:5], -v[8:9]
	v_cvt_f64_i32_e32 v[8:9], v75
	v_mul_f64 v[10:11], v[8:9], s[50:51]
	v_fma_f64 v[82:83], v[8:9], s[50:51], -v[10:11]
	v_fmac_f64_e32 v[82:83], s[52:53], v[8:9]
	v_add_f64 v[8:9], v[10:11], v[82:83]
	v_add_f64 v[10:11], v[8:9], -v[10:11]
	v_add_f64 v[10:11], v[82:83], -v[10:11]
	v_add_f64 v[82:83], v[8:9], v[6:7]
	v_add_f64 v[84:85], v[82:83], -v[8:9]
	v_add_f64 v[86:87], v[82:83], -v[84:85]
	;; [unrolled: 1-line block ×4, first 2 shown]
	v_add_f64 v[6:7], v[6:7], v[8:9]
	v_add_f64 v[8:9], v[10:11], v[4:5]
	v_add_f64 v[84:85], v[8:9], -v[10:11]
	v_add_f64 v[86:87], v[8:9], -v[84:85]
	v_add_f64 v[6:7], v[8:9], v[6:7]
	v_add_f64 v[10:11], v[10:11], -v[86:87]
	v_add_f64 v[4:5], v[4:5], -v[84:85]
	v_add_f64 v[8:9], v[82:83], v[6:7]
	v_add_f64 v[4:5], v[4:5], v[10:11]
	v_add_f64 v[10:11], v[8:9], -v[82:83]
	v_add_f64 v[6:7], v[6:7], -v[10:11]
	v_add_f64 v[4:5], v[4:5], v[6:7]
	v_add_f64 v[82:83], v[8:9], v[4:5]
	s_mov_b64 s[14:15], 0
	s_mov_b64 s[12:13], 0
	v_mov_b32_e32 v116, v17
                                        ; implicit-def: $vgpr75
.LBB58_13:                              ;   Parent Loop BB58_5 Depth=1
                                        ; =>  This Inner Loop Header: Depth=2
	v_add_u32_e32 v117, 1, v15
	v_pk_mov_b32 v[10:11], v[2:3], v[2:3] op_sel:[0,1]
	v_cmp_eq_u32_e32 vcc, 4, v117
	v_pk_mov_b32 v[8:9], v[0:1], v[0:1] op_sel:[0,1]
	v_mov_b32_e32 v87, v0
	v_mov_b32_e32 v86, v1
	;; [unrolled: 1-line block ×4, first 2 shown]
	s_and_saveexec_b64 s[0:1], vcc
	s_cbranch_execz .LBB58_15
; %bb.14:                               ;   in Loop: Header=BB58_13 Depth=2
	v_add_co_u32_e32 v97, vcc, 1, v97
	v_cndmask_b32_e64 v4, 0, 1, vcc
	v_addc_co_u32_e32 v98, vcc, 0, v98, vcc
	v_cmp_eq_u32_e32 vcc, 0, v98
	v_cndmask_b32_e32 v4, 0, v4, vcc
	v_add_u32_e32 v116, v4, v116
	v_cmp_eq_u32_e32 vcc, 0, v116
	v_cndmask_b32_e32 v4, 0, v4, vcc
	v_add_u32_e32 v74, v4, v74
	v_mad_u64_u32 v[4:5], s[2:3], v97, s11, 0
	v_mad_u64_u32 v[6:7], s[2:3], v116, s9, 0
	v_xor_b32_e32 v5, v5, v73
	v_xor_b32_e32 v7, v7, v72
	v_xor_b32_e32 v5, v74, v5
	v_xor_b32_e32 v7, v98, v7
	v_mad_u64_u32 v[10:11], s[2:3], v5, s9, 0
	v_mad_u64_u32 v[8:9], s[2:3], v7, s11, 0
	v_xor_b32_e32 v5, v99, v11
	v_xor_b32_e32 v5, v5, v6
	v_xor_b32_e32 v6, v100, v9
	v_xor_b32_e32 v6, v6, v4
	;; [unrolled: 6-line block ×10, first 2 shown]
	v_mov_b32_e32 v117, 0
	v_mov_b32_e32 v9, v86
	;; [unrolled: 1-line block ×5, first 2 shown]
.LBB58_15:                              ;   in Loop: Header=BB58_13 Depth=2
	s_or_b64 exec, exec, s[0:1]
	v_add_u32_e32 v118, 1, v117
	v_pk_mov_b32 v[4:5], v[8:9], v[8:9] op_sel:[0,1]
	v_cmp_eq_u32_e32 vcc, 4, v118
	v_pk_mov_b32 v[6:7], v[10:11], v[10:11] op_sel:[0,1]
	s_and_saveexec_b64 s[0:1], vcc
	s_cbranch_execz .LBB58_17
; %bb.16:                               ;   in Loop: Header=BB58_13 Depth=2
	v_add_co_u32_e32 v97, vcc, 1, v97
	v_cndmask_b32_e64 v4, 0, 1, vcc
	v_addc_co_u32_e32 v98, vcc, 0, v98, vcc
	v_cmp_eq_u32_e32 vcc, 0, v98
	v_cndmask_b32_e32 v4, 0, v4, vcc
	v_add_u32_e32 v116, v4, v116
	v_cmp_eq_u32_e32 vcc, 0, v116
	v_cndmask_b32_e32 v4, 0, v4, vcc
	v_add_u32_e32 v74, v4, v74
	v_mad_u64_u32 v[4:5], s[2:3], v97, s11, 0
	v_mad_u64_u32 v[6:7], s[2:3], v116, s9, 0
	v_xor_b32_e32 v5, v5, v73
	v_xor_b32_e32 v7, v7, v72
	v_xor_b32_e32 v5, v74, v5
	v_xor_b32_e32 v7, v98, v7
	v_mad_u64_u32 v[86:87], s[2:3], v5, s9, 0
	v_mad_u64_u32 v[84:85], s[2:3], v7, s11, 0
	v_xor_b32_e32 v5, v99, v87
	v_xor_b32_e32 v5, v5, v6
	v_xor_b32_e32 v6, v100, v85
	v_xor_b32_e32 v6, v6, v4
	;; [unrolled: 6-line block ×10, first 2 shown]
	v_mov_b32_e32 v118, 0
	v_mov_b32_e32 v5, v86
	;; [unrolled: 1-line block ×5, first 2 shown]
.LBB58_17:                              ;   in Loop: Header=BB58_13 Depth=2
	s_or_b64 exec, exec, s[0:1]
	v_cmp_eq_u32_e32 vcc, 1, v15
	v_cndmask_b32_e32 v0, v0, v1, vcc
	v_cmp_eq_u32_e32 vcc, 2, v15
	v_cndmask_b32_e32 v0, v0, v2, vcc
	;; [unrolled: 2-line block ×6, first 2 shown]
	v_lshrrev_b32_e32 v0, 11, v0
	v_cvt_f64_u32_e32 v[0:1], v0
	v_ldexp_f64 v[0:1], v[0:1], 32
	v_cvt_f64_u32_e32 v[2:3], v2
	v_add_f64 v[0:1], v[0:1], v[2:3]
	v_mov_b32_e32 v2, 0
	v_mov_b32_e32 v3, 0x3ca00000
	v_fmac_f64_e32 v[2:3], 0x3ca00000, v[0:1]
	v_add_f64 v[0:1], -v[2:3], 1.0
	v_div_scale_f64 v[8:9], s[0:1], v[2:3], v[2:3], v[0:1]
	v_rcp_f64_e32 v[10:11], v[8:9]
	v_mov_b32_e32 v119, 2
	v_fma_f64 v[120:121], -v[8:9], v[10:11], 1.0
	v_fmac_f64_e32 v[10:11], v[10:11], v[120:121]
	v_fma_f64 v[120:121], -v[8:9], v[10:11], 1.0
	v_fmac_f64_e32 v[10:11], v[10:11], v[120:121]
	v_div_scale_f64 v[120:121], vcc, v[0:1], v[2:3], v[0:1]
	v_mul_f64 v[122:123], v[120:121], v[10:11]
	v_fma_f64 v[8:9], -v[8:9], v[122:123], v[120:121]
	s_nop 1
	v_div_fmas_f64 v[8:9], v[8:9], v[10:11], v[122:123]
	v_div_fixup_f64 v[0:1], v[8:9], v[2:3], v[0:1]
	v_frexp_mant_f64_e32 v[2:3], v[0:1]
	v_cmp_gt_f64_e32 vcc, s[34:35], v[2:3]
	v_cndmask_b32_e64 v15, v91, 2.0, vcc
	v_frexp_exp_i32_f64_e32 v8, v[0:1]
	v_mul_f64 v[2:3], v[2:3], v[14:15]
	v_subbrev_co_u32_e32 v15, vcc, 0, v8, vcc
	v_add_f64 v[8:9], v[2:3], 1.0
	v_rcp_f64_e32 v[10:11], v[8:9]
	v_add_f64 v[122:123], v[8:9], -1.0
	v_add_f64 v[120:121], v[2:3], -1.0
	v_add_f64 v[2:3], v[2:3], -v[122:123]
	v_fma_f64 v[122:123], -v[8:9], v[10:11], 1.0
	v_fmac_f64_e32 v[10:11], v[122:123], v[10:11]
	v_fma_f64 v[122:123], -v[8:9], v[10:11], 1.0
	v_fmac_f64_e32 v[10:11], v[122:123], v[10:11]
	v_mul_f64 v[122:123], v[120:121], v[10:11]
	v_mul_f64 v[124:125], v[8:9], v[122:123]
	v_fma_f64 v[8:9], v[122:123], v[8:9], -v[124:125]
	v_fmac_f64_e32 v[8:9], v[122:123], v[2:3]
	v_add_f64 v[2:3], v[124:125], v[8:9]
	v_add_f64 v[126:127], v[120:121], -v[2:3]
	v_add_f64 v[124:125], v[2:3], -v[124:125]
	;; [unrolled: 1-line block ×5, first 2 shown]
	v_add_f64 v[2:3], v[8:9], v[2:3]
	v_add_f64 v[2:3], v[126:127], v[2:3]
	v_mul_f64 v[2:3], v[10:11], v[2:3]
	v_add_f64 v[8:9], v[122:123], v[2:3]
	v_add_f64 v[10:11], v[8:9], -v[122:123]
	v_add_f64 v[2:3], v[2:3], -v[10:11]
	v_mul_f64 v[10:11], v[8:9], v[8:9]
	v_pk_mov_b32 v[120:121], v[18:19], v[18:19] op_sel:[0,1]
	v_fmac_f64_e32 v[120:121], s[38:39], v[10:11]
	v_pk_mov_b32 v[122:123], v[20:21], v[20:21] op_sel:[0,1]
	v_fmac_f64_e32 v[122:123], v[10:11], v[120:121]
	;; [unrolled: 2-line block ×6, first 2 shown]
	v_ldexp_f64 v[120:121], v[8:9], 1
	v_mul_f64 v[8:9], v[8:9], v[10:11]
	v_mul_f64 v[8:9], v[8:9], v[122:123]
	v_add_f64 v[10:11], v[120:121], v[8:9]
	v_add_f64 v[120:121], v[10:11], -v[120:121]
	v_ldexp_f64 v[2:3], v[2:3], 1
	v_add_f64 v[8:9], v[8:9], -v[120:121]
	v_add_f64 v[2:3], v[2:3], v[8:9]
	v_add_f64 v[8:9], v[10:11], v[2:3]
	v_add_f64 v[10:11], v[8:9], -v[10:11]
	v_add_f64 v[2:3], v[2:3], -v[10:11]
	v_cvt_f64_i32_e32 v[10:11], v15
	v_mul_f64 v[120:121], v[10:11], s[50:51]
	v_fma_f64 v[122:123], v[10:11], s[50:51], -v[120:121]
	v_fmac_f64_e32 v[122:123], s[52:53], v[10:11]
	v_add_f64 v[10:11], v[120:121], v[122:123]
	v_add_f64 v[120:121], v[10:11], -v[120:121]
	v_add_f64 v[120:121], v[122:123], -v[120:121]
	v_add_f64 v[122:123], v[10:11], v[8:9]
	v_add_f64 v[124:125], v[122:123], -v[10:11]
	v_add_f64 v[126:127], v[122:123], -v[124:125]
	;; [unrolled: 1-line block ×4, first 2 shown]
	v_add_f64 v[8:9], v[8:9], v[10:11]
	v_add_f64 v[10:11], v[120:121], v[2:3]
	v_add_f64 v[124:125], v[10:11], -v[120:121]
	v_add_f64 v[126:127], v[10:11], -v[124:125]
	v_add_f64 v[8:9], v[10:11], v[8:9]
	v_add_f64 v[120:121], v[120:121], -v[126:127]
	v_add_f64 v[2:3], v[2:3], -v[124:125]
	v_add_f64 v[10:11], v[122:123], v[8:9]
	v_add_f64 v[2:3], v[2:3], v[120:121]
	v_add_f64 v[120:121], v[10:11], -v[122:123]
	v_add_f64 v[8:9], v[8:9], -v[120:121]
	v_add_f64 v[2:3], v[2:3], v[8:9]
	v_add_f64 v[2:3], v[10:11], v[2:3]
	v_cmp_class_f64_e64 vcc, v[0:1], s10
	v_cndmask_b32_e32 v2, v2, v0, vcc
	v_cndmask_b32_e32 v3, v3, v1, vcc
	v_cmp_ngt_f64_e32 vcc, 0, v[0:1]
	v_cndmask_b32_e32 v3, v92, v3, vcc
	v_cmp_nge_f64_e32 vcc, 0, v[0:1]
	v_cndmask_b32_e32 v2, 0, v2, vcc
	v_cmp_neq_f64_e32 vcc, 0, v[0:1]
	v_cndmask_b32_e32 v3, v93, v3, vcc
	v_add_f64 v[0:1], v[78:79], -v[2:3]
	v_div_scale_f64 v[2:3], s[0:1], v[76:77], v[76:77], v[0:1]
	v_rcp_f64_e32 v[8:9], v[2:3]
	v_fma_f64 v[10:11], -v[2:3], v[8:9], 1.0
	v_fmac_f64_e32 v[8:9], v[8:9], v[10:11]
	v_fma_f64 v[10:11], -v[2:3], v[8:9], 1.0
	v_fmac_f64_e32 v[8:9], v[8:9], v[10:11]
	v_div_scale_f64 v[10:11], vcc, v[0:1], v[76:77], v[0:1]
	v_mul_f64 v[120:121], v[10:11], v[8:9]
	v_fma_f64 v[2:3], -v[2:3], v[120:121], v[10:11]
	s_nop 1
	v_div_fmas_f64 v[2:3], v[2:3], v[8:9], v[120:121]
	v_div_fixup_f64 v[10:11], v[2:3], v[76:77], v[0:1]
	v_add_f64 v[0:1], v[10:11], 0.5
	v_floor_f64_e32 v[8:9], v[0:1]
	v_cmp_ngt_f64_e32 vcc, 0, v[8:9]
	s_and_saveexec_b64 s[0:1], vcc
	s_cbranch_execz .LBB58_23
; %bb.18:                               ;   in Loop: Header=BB58_13 Depth=2
	v_add_u32_e32 v15, 1, v118
	v_pk_mov_b32 v[0:1], v[4:5], v[4:5] op_sel:[0,1]
	v_cmp_eq_u32_e32 vcc, 4, v15
	v_pk_mov_b32 v[2:3], v[6:7], v[6:7] op_sel:[0,1]
	s_and_saveexec_b64 s[2:3], vcc
	s_cbranch_execz .LBB58_20
; %bb.19:                               ;   in Loop: Header=BB58_13 Depth=2
	v_add_co_u32_e32 v97, vcc, 1, v97
	v_cndmask_b32_e64 v0, 0, 1, vcc
	v_addc_co_u32_e32 v98, vcc, 0, v98, vcc
	v_cmp_eq_u32_e32 vcc, 0, v98
	v_cndmask_b32_e32 v0, 0, v0, vcc
	v_add_u32_e32 v116, v0, v116
	v_cmp_eq_u32_e32 vcc, 0, v116
	v_cndmask_b32_e32 v0, 0, v0, vcc
	v_add_u32_e32 v74, v0, v74
	v_mad_u64_u32 v[0:1], vcc, v97, s11, 0
	v_mad_u64_u32 v[2:3], vcc, v116, s9, 0
	v_xor_b32_e32 v1, v1, v73
	v_xor_b32_e32 v3, v3, v72
	v_xor_b32_e32 v1, v74, v1
	v_xor_b32_e32 v3, v98, v3
	v_mad_u64_u32 v[86:87], vcc, v1, s9, 0
	v_mad_u64_u32 v[84:85], vcc, v3, s11, 0
	v_xor_b32_e32 v1, v99, v87
	v_xor_b32_e32 v1, v1, v2
	v_xor_b32_e32 v2, v100, v85
	v_xor_b32_e32 v2, v2, v0
	;; [unrolled: 6-line block ×10, first 2 shown]
	v_mov_b32_e32 v15, 0
	v_mov_b32_e32 v1, v86
	;; [unrolled: 1-line block ×5, first 2 shown]
.LBB58_20:                              ;   in Loop: Header=BB58_13 Depth=2
	s_or_b64 exec, exec, s[2:3]
	v_add_u32_e32 v117, 1, v15
	v_cmp_eq_u32_e32 vcc, 4, v117
	s_and_saveexec_b64 s[2:3], vcc
	s_cbranch_execz .LBB58_22
; %bb.21:                               ;   in Loop: Header=BB58_13 Depth=2
	v_add_co_u32_e32 v97, vcc, 1, v97
	v_cndmask_b32_e64 v84, 0, 1, vcc
	v_addc_co_u32_e32 v98, vcc, 0, v98, vcc
	v_cmp_eq_u32_e32 vcc, 0, v98
	v_cndmask_b32_e32 v84, 0, v84, vcc
	v_add_u32_e32 v116, v84, v116
	v_cmp_eq_u32_e32 vcc, 0, v116
	v_cndmask_b32_e32 v84, 0, v84, vcc
	v_add_u32_e32 v74, v84, v74
	v_mad_u64_u32 v[84:85], vcc, v97, s11, 0
	v_mad_u64_u32 v[86:87], vcc, v116, s9, 0
	v_xor_b32_e32 v85, v85, v73
	v_xor_b32_e32 v87, v87, v72
	v_xor_b32_e32 v85, v74, v85
	v_xor_b32_e32 v87, v98, v87
	v_mad_u64_u32 v[122:123], vcc, v85, s9, 0
	v_mad_u64_u32 v[120:121], vcc, v87, s11, 0
	v_xor_b32_e32 v85, v99, v123
	v_xor_b32_e32 v85, v85, v86
	v_xor_b32_e32 v86, v100, v121
	v_xor_b32_e32 v86, v86, v84
	;; [unrolled: 6-line block ×9, first 2 shown]
	v_mad_u64_u32 v[84:85], vcc, v84, s11, 0
	v_mad_u64_u32 v[86:87], vcc, v86, s9, 0
	v_xor_b32_e32 v87, v87, v126
	v_xor_b32_e32 v85, v85, v124
	v_mov_b32_e32 v117, 0
	v_xor_b32_e32 v87, v106, v87
	v_xor_b32_e32 v85, v96, v85
.LBB58_22:                              ;   in Loop: Header=BB58_13 Depth=2
	s_or_b64 exec, exec, s[2:3]
	v_cmp_eq_u32_e32 vcc, 1, v118
	v_cndmask_b32_e32 v4, v4, v5, vcc
	v_cmp_eq_u32_e32 vcc, 2, v118
	v_cndmask_b32_e32 v4, v4, v6, vcc
	;; [unrolled: 2-line block ×6, first 2 shown]
	v_lshrrev_b32_e32 v0, 11, v0
	v_cvt_f64_u32_e32 v[0:1], v0
	v_ldexp_f64 v[0:1], v[0:1], 32
	v_cvt_f64_u32_e32 v[2:3], v4
	v_add_f64 v[0:1], v[0:1], v[2:3]
	v_mov_b32_e32 v2, 0
	v_mov_b32_e32 v3, 0x3ca00000
	v_fma_f64 v[4:5], -v[76:77], v[10:11], v[78:79]
	v_fmac_f64_e32 v[2:3], 0x3ca00000, v[0:1]
	v_mul_f64 v[0:1], v[4:5], s[56:57]
	v_rndne_f64_e32 v[0:1], v[0:1]
	s_mov_b32 s58, s50
	v_fma_f64 v[6:7], s[58:59], v[0:1], v[4:5]
	s_mov_b32 s60, s52
	v_fmac_f64_e32 v[6:7], s[60:61], v[0:1]
	v_pk_mov_b32 v[10:11], v[30:31], v[30:31] op_sel:[0,1]
	v_fmac_f64_e32 v[10:11], s[62:63], v[6:7]
	v_pk_mov_b32 v[118:119], v[32:33], v[32:33] op_sel:[0,1]
	;; [unrolled: 2-line block ×9, first 2 shown]
	v_fmac_f64_e32 v[10:11], v[6:7], v[118:119]
	v_fma_f64 v[10:11], v[6:7], v[10:11], 1.0
	v_fma_f64 v[6:7], v[6:7], v[10:11], 1.0
	v_cvt_i32_f64_e32 v0, v[0:1]
	v_ldexp_f64 v[0:1], v[6:7], v0
	v_add_f64 v[0:1], v[0:1], 1.0
	v_cmp_nlt_f64_e32 vcc, s[66:67], v[4:5]
	v_cmp_ngt_f64_e64 s[2:3], s[68:69], v[4:5]
	v_cndmask_b32_e32 v1, v94, v1, vcc
	s_and_b64 vcc, s[2:3], vcc
	v_cndmask_b32_e64 v1, v91, v1, s[2:3]
	v_cndmask_b32_e32 v0, 0, v0, vcc
	v_mul_f64 v[0:1], v[0:1], v[0:1]
	v_div_scale_f64 v[6:7], s[2:3], v[0:1], v[0:1], v[2:3]
	v_rcp_f64_e32 v[10:11], v[6:7]
	s_mov_b32 s49, s35
	v_fma_f64 v[118:119], -v[6:7], v[10:11], 1.0
	v_fmac_f64_e32 v[10:11], v[10:11], v[118:119]
	v_fma_f64 v[118:119], -v[6:7], v[10:11], 1.0
	v_fmac_f64_e32 v[10:11], v[10:11], v[118:119]
	v_div_scale_f64 v[118:119], vcc, v[2:3], v[0:1], v[2:3]
	v_mul_f64 v[120:121], v[118:119], v[10:11]
	v_fma_f64 v[6:7], -v[6:7], v[120:121], v[118:119]
	s_nop 1
	v_div_fmas_f64 v[6:7], v[6:7], v[10:11], v[120:121]
	v_div_fixup_f64 v[2:3], v[6:7], v[0:1], v[2:3]
	v_frexp_mant_f64_e32 v[0:1], v[2:3]
	v_cmp_gt_f64_e32 vcc, s[34:35], v[0:1]
	v_cndmask_b32_e64 v15, v91, 2.0, vcc
	v_frexp_exp_i32_f64_e32 v6, v[2:3]
	v_mul_f64 v[0:1], v[0:1], v[14:15]
	v_subbrev_co_u32_e32 v15, vcc, 0, v6, vcc
	v_add_f64 v[6:7], v[0:1], 1.0
	v_rcp_f64_e32 v[10:11], v[6:7]
	v_add_f64 v[120:121], v[6:7], -1.0
	v_add_f64 v[118:119], v[0:1], -1.0
	v_add_f64 v[0:1], v[0:1], -v[120:121]
	v_fma_f64 v[120:121], -v[6:7], v[10:11], 1.0
	v_fmac_f64_e32 v[10:11], v[120:121], v[10:11]
	v_fma_f64 v[120:121], -v[6:7], v[10:11], 1.0
	v_fmac_f64_e32 v[10:11], v[120:121], v[10:11]
	v_mul_f64 v[120:121], v[118:119], v[10:11]
	v_mul_f64 v[122:123], v[6:7], v[120:121]
	v_fma_f64 v[6:7], v[120:121], v[6:7], -v[122:123]
	v_fmac_f64_e32 v[6:7], v[120:121], v[0:1]
	v_add_f64 v[0:1], v[122:123], v[6:7]
	v_add_f64 v[124:125], v[118:119], -v[0:1]
	v_add_f64 v[122:123], v[0:1], -v[122:123]
	;; [unrolled: 1-line block ×5, first 2 shown]
	v_add_f64 v[0:1], v[6:7], v[0:1]
	v_add_f64 v[0:1], v[124:125], v[0:1]
	v_mul_f64 v[0:1], v[10:11], v[0:1]
	v_add_f64 v[6:7], v[120:121], v[0:1]
	v_add_f64 v[10:11], v[6:7], -v[120:121]
	v_add_f64 v[10:11], v[0:1], -v[10:11]
	v_mul_f64 v[118:119], v[6:7], v[6:7]
	v_pk_mov_b32 v[0:1], s[36:37], s[36:37] op_sel:[0,1]
	v_fma_f64 v[120:121], s[38:39], v[118:119], v[0:1]
	v_fma_f64 v[120:121], v[118:119], v[120:121], s[40:41]
	;; [unrolled: 1-line block ×6, first 2 shown]
	v_ldexp_f64 v[122:123], v[6:7], 1
	v_mul_f64 v[6:7], v[6:7], v[118:119]
	v_mul_f64 v[6:7], v[6:7], v[120:121]
	v_add_f64 v[118:119], v[122:123], v[6:7]
	v_add_f64 v[120:121], v[118:119], -v[122:123]
	v_ldexp_f64 v[10:11], v[10:11], 1
	v_add_f64 v[6:7], v[6:7], -v[120:121]
	v_add_f64 v[6:7], v[10:11], v[6:7]
	v_add_f64 v[10:11], v[118:119], v[6:7]
	v_add_f64 v[118:119], v[10:11], -v[118:119]
	v_add_f64 v[6:7], v[6:7], -v[118:119]
	v_cvt_f64_i32_e32 v[118:119], v15
	v_mul_f64 v[120:121], v[118:119], s[50:51]
	v_fma_f64 v[122:123], v[118:119], s[50:51], -v[120:121]
	v_fmac_f64_e32 v[122:123], s[52:53], v[118:119]
	v_add_f64 v[118:119], v[120:121], v[122:123]
	v_add_f64 v[120:121], v[118:119], -v[120:121]
	v_add_f64 v[120:121], v[122:123], -v[120:121]
	v_add_f64 v[122:123], v[118:119], v[10:11]
	v_add_f64 v[124:125], v[122:123], -v[118:119]
	v_add_f64 v[126:127], v[122:123], -v[124:125]
	;; [unrolled: 1-line block ×4, first 2 shown]
	v_add_f64 v[10:11], v[10:11], v[118:119]
	v_add_f64 v[118:119], v[120:121], v[6:7]
	v_add_f64 v[124:125], v[118:119], -v[120:121]
	v_add_f64 v[126:127], v[118:119], -v[124:125]
	v_add_f64 v[10:11], v[118:119], v[10:11]
	v_add_f64 v[120:121], v[120:121], -v[126:127]
	v_add_f64 v[6:7], v[6:7], -v[124:125]
	v_add_f64 v[118:119], v[122:123], v[10:11]
	v_add_f64 v[6:7], v[6:7], v[120:121]
	v_add_f64 v[120:121], v[118:119], -v[122:123]
	v_add_f64 v[10:11], v[10:11], -v[120:121]
	v_add_f64 v[6:7], v[6:7], v[10:11]
	v_add_f64 v[6:7], v[118:119], v[6:7]
	v_cmp_class_f64_e64 vcc, v[2:3], s10
	v_cndmask_b32_e32 v15, v6, v2, vcc
	v_cndmask_b32_e32 v6, v7, v3, vcc
	v_cmp_neq_f64_e32 vcc, 0, v[2:3]
	v_cndmask_b32_e32 v3, v93, v6, vcc
	v_add_f64 v[6:7], v[8:9], 1.0
	v_add_f64 v[6:7], v[6:7], -1.0
	v_add_f64 v[118:119], v[6:7], s[70:71]
	v_div_scale_f64 v[10:11], s[2:3], v[118:119], v[118:119], s[72:73]
	v_rcp_f64_e32 v[120:121], v[10:11]
	v_cndmask_b32_e32 v2, 0, v15, vcc
	v_add_f64 v[2:3], v[4:5], v[2:3]
	v_fma_f64 v[4:5], v[82:83], v[8:9], v[80:81]
	v_fma_f64 v[122:123], -v[10:11], v[120:121], 1.0
	v_fmac_f64_e32 v[120:121], v[120:121], v[122:123]
	v_fma_f64 v[122:123], -v[10:11], v[120:121], 1.0
	v_fmac_f64_e32 v[120:121], v[120:121], v[122:123]
	v_div_scale_f64 v[122:123], vcc, s[72:73], v[118:119], s[72:73]
	v_mul_f64 v[124:125], v[122:123], v[120:121]
	v_fma_f64 v[122:123], -v[10:11], v[124:125], v[122:123]
	v_add_f64 v[10:11], v[6:7], s[74:75]
	v_div_scale_f64 v[126:127], s[2:3], v[10:11], v[10:11], s[76:77]
	v_rcp_f64_e32 v[128:129], v[126:127]
	v_div_fmas_f64 v[120:121], v[122:123], v[120:121], v[124:125]
	v_div_fixup_f64 v[118:119], v[120:121], v[118:119], s[72:73]
	v_add_f64 v[124:125], v[6:7], s[78:79]
	v_fma_f64 v[120:121], -v[126:127], v[128:129], 1.0
	v_fmac_f64_e32 v[128:129], v[128:129], v[120:121]
	v_fma_f64 v[120:121], -v[126:127], v[128:129], 1.0
	v_fmac_f64_e32 v[128:129], v[128:129], v[120:121]
	v_div_scale_f64 v[120:121], vcc, s[76:77], v[10:11], s[76:77]
	v_mul_f64 v[122:123], v[120:121], v[128:129]
	v_fma_f64 v[120:121], -v[126:127], v[122:123], v[120:121]
	v_div_scale_f64 v[126:127], s[2:3], v[124:125], v[124:125], s[80:81]
	v_rcp_f64_e32 v[130:131], v[126:127]
	v_div_fmas_f64 v[120:121], v[120:121], v[128:129], v[122:123]
	v_add_f64 v[118:119], v[118:119], 0
	v_div_fixup_f64 v[120:121], v[120:121], v[10:11], s[76:77]
	v_add_f64 v[118:119], v[120:121], v[118:119]
	v_fma_f64 v[120:121], -v[126:127], v[130:131], 1.0
	v_fmac_f64_e32 v[130:131], v[130:131], v[120:121]
	v_fma_f64 v[120:121], -v[126:127], v[130:131], 1.0
	v_fmac_f64_e32 v[130:131], v[130:131], v[120:121]
	v_div_scale_f64 v[120:121], vcc, s[80:81], v[124:125], s[80:81]
	v_mul_f64 v[122:123], v[120:121], v[130:131]
	v_fma_f64 v[120:121], -v[126:127], v[122:123], v[120:121]
	v_add_f64 v[126:127], v[6:7], s[82:83]
	v_div_scale_f64 v[128:129], s[2:3], v[126:127], v[126:127], s[84:85]
	v_rcp_f64_e32 v[132:133], v[128:129]
	v_div_fmas_f64 v[120:121], v[120:121], v[130:131], v[122:123]
	v_div_fixup_f64 v[120:121], v[120:121], v[124:125], s[80:81]
	v_add_f64 v[118:119], v[118:119], v[120:121]
	v_fma_f64 v[120:121], -v[128:129], v[132:133], 1.0
	v_fmac_f64_e32 v[132:133], v[132:133], v[120:121]
	v_fma_f64 v[120:121], -v[128:129], v[132:133], 1.0
	v_fmac_f64_e32 v[132:133], v[132:133], v[120:121]
	v_div_scale_f64 v[120:121], vcc, s[84:85], v[126:127], s[84:85]
	v_mul_f64 v[122:123], v[120:121], v[132:133]
	v_add_f64 v[124:125], v[6:7], 4.0
	v_fma_f64 v[120:121], -v[128:129], v[122:123], v[120:121]
	v_div_scale_f64 v[128:129], s[2:3], v[124:125], v[124:125], s[86:87]
	v_rcp_f64_e32 v[130:131], v[128:129]
	v_div_fmas_f64 v[120:121], v[120:121], v[132:133], v[122:123]
	v_div_fixup_f64 v[120:121], v[120:121], v[126:127], s[84:85]
	v_add_f64 v[118:119], v[120:121], v[118:119]
	v_fma_f64 v[120:121], -v[128:129], v[130:131], 1.0
	v_fmac_f64_e32 v[130:131], v[130:131], v[120:121]
	v_fma_f64 v[120:121], -v[128:129], v[130:131], 1.0
	v_fmac_f64_e32 v[130:131], v[130:131], v[120:121]
	v_div_scale_f64 v[120:121], vcc, s[86:87], v[124:125], s[86:87]
	v_mul_f64 v[122:123], v[120:121], v[130:131]
	v_add_f64 v[126:127], v[6:7], s[26:27]
	v_fma_f64 v[120:121], -v[128:129], v[122:123], v[120:121]
	v_div_scale_f64 v[128:129], s[2:3], v[126:127], v[126:127], s[88:89]
	v_rcp_f64_e32 v[132:133], v[128:129]
	v_div_fmas_f64 v[120:121], v[120:121], v[130:131], v[122:123]
	v_div_fixup_f64 v[120:121], v[120:121], v[124:125], s[86:87]
	v_add_f64 v[118:119], v[118:119], v[120:121]
	v_fma_f64 v[120:121], -v[128:129], v[132:133], 1.0
	v_fmac_f64_e32 v[132:133], v[132:133], v[120:121]
	v_fma_f64 v[120:121], -v[128:129], v[132:133], 1.0
	v_fmac_f64_e32 v[132:133], v[132:133], v[120:121]
	v_div_scale_f64 v[120:121], vcc, s[88:89], v[126:127], s[88:89]
	v_mul_f64 v[122:123], v[120:121], v[132:133]
	v_add_f64 v[124:125], v[6:7], 2.0
	v_fma_f64 v[120:121], -v[128:129], v[122:123], v[120:121]
	v_div_scale_f64 v[128:129], s[2:3], v[124:125], v[124:125], s[90:91]
	v_rcp_f64_e32 v[130:131], v[128:129]
	v_div_fmas_f64 v[120:121], v[120:121], v[132:133], v[122:123]
	v_div_fixup_f64 v[120:121], v[120:121], v[126:127], s[88:89]
	v_add_f64 v[118:119], v[120:121], v[118:119]
	v_fma_f64 v[120:121], -v[128:129], v[130:131], 1.0
	v_fmac_f64_e32 v[130:131], v[130:131], v[120:121]
	v_fma_f64 v[120:121], -v[128:129], v[130:131], 1.0
	v_fmac_f64_e32 v[130:131], v[130:131], v[120:121]
	v_div_scale_f64 v[120:121], vcc, s[90:91], v[124:125], s[90:91]
	v_mul_f64 v[122:123], v[120:121], v[130:131]
	v_add_f64 v[126:127], v[6:7], 1.0
	v_fma_f64 v[120:121], -v[128:129], v[122:123], v[120:121]
	v_div_scale_f64 v[128:129], s[2:3], v[126:127], v[126:127], s[92:93]
	v_rcp_f64_e32 v[132:133], v[128:129]
	v_div_fmas_f64 v[120:121], v[120:121], v[130:131], v[122:123]
	v_div_fixup_f64 v[120:121], v[120:121], v[124:125], s[90:91]
	v_add_f64 v[118:119], v[118:119], v[120:121]
	v_fma_f64 v[120:121], -v[128:129], v[132:133], 1.0
	v_fmac_f64_e32 v[132:133], v[132:133], v[120:121]
	v_fma_f64 v[120:121], -v[128:129], v[132:133], 1.0
	v_fmac_f64_e32 v[132:133], v[132:133], v[120:121]
	v_div_scale_f64 v[120:121], vcc, s[92:93], v[126:127], s[92:93]
	v_mul_f64 v[122:123], v[120:121], v[132:133]
	v_fma_f64 v[120:121], -v[128:129], v[122:123], v[120:121]
	v_add_f64 v[10:11], v[10:11], 0.5
	s_nop 0
	v_div_fmas_f64 v[120:121], v[120:121], v[132:133], v[122:123]
	v_div_fixup_f64 v[120:121], v[120:121], v[126:127], s[92:93]
	v_add_f64 v[118:119], v[120:121], v[118:119]
	v_add_f64 v[118:119], v[118:119], s[94:95]
	v_frexp_mant_f64_e32 v[120:121], v[118:119]
	v_cmp_gt_f64_e32 vcc, s[34:35], v[120:121]
	v_cndmask_b32_e64 v15, v91, 2.0, vcc
	v_frexp_exp_i32_f64_e32 v122, v[118:119]
	v_mul_f64 v[120:121], v[120:121], v[14:15]
	v_subbrev_co_u32_e32 v15, vcc, 0, v122, vcc
	v_add_f64 v[122:123], v[120:121], 1.0
	v_rcp_f64_e32 v[124:125], v[122:123]
	v_add_f64 v[128:129], v[122:123], -1.0
	v_add_f64 v[126:127], v[120:121], -1.0
	v_add_f64 v[120:121], v[120:121], -v[128:129]
	v_fma_f64 v[128:129], -v[122:123], v[124:125], 1.0
	v_fmac_f64_e32 v[124:125], v[128:129], v[124:125]
	v_fma_f64 v[128:129], -v[122:123], v[124:125], 1.0
	v_fmac_f64_e32 v[124:125], v[128:129], v[124:125]
	v_mul_f64 v[128:129], v[126:127], v[124:125]
	v_mul_f64 v[130:131], v[122:123], v[128:129]
	v_fma_f64 v[122:123], v[128:129], v[122:123], -v[130:131]
	v_fmac_f64_e32 v[122:123], v[128:129], v[120:121]
	v_add_f64 v[120:121], v[130:131], v[122:123]
	v_add_f64 v[132:133], v[126:127], -v[120:121]
	v_add_f64 v[130:131], v[120:121], -v[130:131]
	;; [unrolled: 1-line block ×5, first 2 shown]
	v_add_f64 v[120:121], v[122:123], v[120:121]
	v_add_f64 v[120:121], v[132:133], v[120:121]
	v_mul_f64 v[120:121], v[124:125], v[120:121]
	v_add_f64 v[122:123], v[128:129], v[120:121]
	v_add_f64 v[124:125], v[122:123], -v[128:129]
	v_add_f64 v[120:121], v[120:121], -v[124:125]
	v_mul_f64 v[124:125], v[122:123], v[122:123]
	v_fma_f64 v[126:127], s[38:39], v[124:125], v[0:1]
	v_fma_f64 v[126:127], v[124:125], v[126:127], s[40:41]
	;; [unrolled: 1-line block ×6, first 2 shown]
	v_ldexp_f64 v[128:129], v[122:123], 1
	v_mul_f64 v[122:123], v[122:123], v[124:125]
	v_mul_f64 v[122:123], v[122:123], v[126:127]
	v_add_f64 v[124:125], v[128:129], v[122:123]
	v_add_f64 v[126:127], v[124:125], -v[128:129]
	v_ldexp_f64 v[120:121], v[120:121], 1
	v_add_f64 v[122:123], v[122:123], -v[126:127]
	v_add_f64 v[120:121], v[120:121], v[122:123]
	v_add_f64 v[122:123], v[124:125], v[120:121]
	v_add_f64 v[124:125], v[122:123], -v[124:125]
	v_add_f64 v[120:121], v[120:121], -v[124:125]
	v_cvt_f64_i32_e32 v[124:125], v15
	v_mul_f64 v[126:127], v[124:125], s[50:51]
	v_fma_f64 v[128:129], v[124:125], s[50:51], -v[126:127]
	v_fmac_f64_e32 v[128:129], s[52:53], v[124:125]
	v_add_f64 v[124:125], v[126:127], v[128:129]
	v_add_f64 v[126:127], v[124:125], -v[126:127]
	v_add_f64 v[126:127], v[128:129], -v[126:127]
	v_add_f64 v[128:129], v[124:125], v[122:123]
	v_add_f64 v[130:131], v[128:129], -v[124:125]
	v_add_f64 v[132:133], v[128:129], -v[130:131]
	;; [unrolled: 1-line block ×4, first 2 shown]
	v_add_f64 v[122:123], v[122:123], v[124:125]
	v_add_f64 v[124:125], v[126:127], v[120:121]
	v_add_f64 v[130:131], v[124:125], -v[126:127]
	v_add_f64 v[132:133], v[124:125], -v[130:131]
	v_add_f64 v[122:123], v[124:125], v[122:123]
	v_add_f64 v[126:127], v[126:127], -v[132:133]
	v_add_f64 v[120:121], v[120:121], -v[130:131]
	v_add_f64 v[124:125], v[128:129], v[122:123]
	v_add_f64 v[120:121], v[120:121], v[126:127]
	v_add_f64 v[126:127], v[124:125], -v[128:129]
	v_add_f64 v[122:123], v[122:123], -v[126:127]
	v_add_f64 v[120:121], v[120:121], v[122:123]
	v_add_f64 v[120:121], v[124:125], v[120:121]
	v_cmp_class_f64_e64 vcc, v[118:119], s10
	v_div_scale_f64 v[122:123], s[2:3], s[22:23], s[22:23], v[10:11]
	v_cndmask_b32_e32 v121, v121, v119, vcc
	v_cndmask_b32_e32 v120, v120, v118, vcc
	v_rcp_f64_e32 v[124:125], v[122:123]
	v_add_f64 v[120:121], v[120:121], s[24:25]
	v_add_f64 v[120:121], v[120:121], s[20:21]
	v_cmp_ngt_f64_e32 vcc, 0, v[118:119]
	v_cndmask_b32_e32 v15, v92, v121, vcc
	v_cmp_nge_f64_e32 vcc, 0, v[118:119]
	v_cndmask_b32_e32 v120, 0, v120, vcc
	v_cmp_neq_f64_e32 vcc, 0, v[118:119]
	v_fma_f64 v[118:119], -v[122:123], v[124:125], 1.0
	v_fmac_f64_e32 v[124:125], v[124:125], v[118:119]
	v_fma_f64 v[118:119], -v[122:123], v[124:125], 1.0
	v_cndmask_b32_e32 v121, v93, v15, vcc
	v_fmac_f64_e32 v[124:125], v[124:125], v[118:119]
	v_div_scale_f64 v[118:119], vcc, v[10:11], s[22:23], v[10:11]
	v_mul_f64 v[126:127], v[118:119], v[124:125]
	v_fma_f64 v[118:119], -v[122:123], v[126:127], v[118:119]
	v_add_f64 v[6:7], v[6:7], 0.5
	s_nop 0
	v_div_fmas_f64 v[118:119], v[118:119], v[124:125], v[126:127]
	v_div_fixup_f64 v[10:11], v[118:119], s[22:23], v[10:11]
	v_frexp_mant_f64_e32 v[118:119], v[10:11]
	v_cmp_gt_f64_e32 vcc, s[34:35], v[118:119]
	v_cndmask_b32_e64 v15, v91, 2.0, vcc
	v_frexp_exp_i32_f64_e32 v122, v[10:11]
	v_mul_f64 v[118:119], v[118:119], v[14:15]
	v_subbrev_co_u32_e32 v15, vcc, 0, v122, vcc
	v_add_f64 v[122:123], v[118:119], 1.0
	v_rcp_f64_e32 v[124:125], v[122:123]
	v_add_f64 v[128:129], v[122:123], -1.0
	v_add_f64 v[126:127], v[118:119], -1.0
	v_add_f64 v[118:119], v[118:119], -v[128:129]
	v_fma_f64 v[128:129], -v[122:123], v[124:125], 1.0
	v_fmac_f64_e32 v[124:125], v[128:129], v[124:125]
	v_fma_f64 v[128:129], -v[122:123], v[124:125], 1.0
	v_fmac_f64_e32 v[124:125], v[128:129], v[124:125]
	v_mul_f64 v[128:129], v[126:127], v[124:125]
	v_mul_f64 v[130:131], v[122:123], v[128:129]
	v_fma_f64 v[122:123], v[128:129], v[122:123], -v[130:131]
	v_fmac_f64_e32 v[122:123], v[128:129], v[118:119]
	v_add_f64 v[118:119], v[130:131], v[122:123]
	v_add_f64 v[132:133], v[126:127], -v[118:119]
	v_add_f64 v[130:131], v[118:119], -v[130:131]
	;; [unrolled: 1-line block ×5, first 2 shown]
	v_add_f64 v[118:119], v[122:123], v[118:119]
	v_add_f64 v[118:119], v[132:133], v[118:119]
	v_mul_f64 v[118:119], v[124:125], v[118:119]
	v_add_f64 v[122:123], v[128:129], v[118:119]
	v_add_f64 v[124:125], v[122:123], -v[128:129]
	v_add_f64 v[118:119], v[118:119], -v[124:125]
	v_mul_f64 v[124:125], v[122:123], v[122:123]
	v_fmac_f64_e32 v[0:1], s[38:39], v[124:125]
	v_fma_f64 v[0:1], v[124:125], v[0:1], s[40:41]
	v_fma_f64 v[0:1], v[124:125], v[0:1], s[42:43]
	v_fma_f64 v[0:1], v[124:125], v[0:1], s[44:45]
	v_fma_f64 v[0:1], v[124:125], v[0:1], s[46:47]
	v_fma_f64 v[0:1], v[124:125], v[0:1], s[48:49]
	v_ldexp_f64 v[126:127], v[122:123], 1
	v_mul_f64 v[122:123], v[122:123], v[124:125]
	v_mul_f64 v[0:1], v[122:123], v[0:1]
	v_add_f64 v[122:123], v[126:127], v[0:1]
	v_add_f64 v[124:125], v[122:123], -v[126:127]
	v_ldexp_f64 v[118:119], v[118:119], 1
	v_add_f64 v[0:1], v[0:1], -v[124:125]
	v_add_f64 v[0:1], v[118:119], v[0:1]
	v_add_f64 v[118:119], v[122:123], v[0:1]
	v_add_f64 v[122:123], v[118:119], -v[122:123]
	v_add_f64 v[0:1], v[0:1], -v[122:123]
	v_cvt_f64_i32_e32 v[122:123], v15
	v_mul_f64 v[124:125], v[122:123], s[50:51]
	v_fma_f64 v[126:127], v[122:123], s[50:51], -v[124:125]
	v_fmac_f64_e32 v[126:127], s[52:53], v[122:123]
	v_add_f64 v[122:123], v[124:125], v[126:127]
	v_add_f64 v[124:125], v[122:123], -v[124:125]
	v_add_f64 v[124:125], v[126:127], -v[124:125]
	v_add_f64 v[126:127], v[122:123], v[118:119]
	v_add_f64 v[128:129], v[126:127], -v[122:123]
	v_add_f64 v[130:131], v[126:127], -v[128:129]
	;; [unrolled: 1-line block ×4, first 2 shown]
	v_add_f64 v[118:119], v[118:119], v[122:123]
	v_add_f64 v[122:123], v[124:125], v[0:1]
	v_add_f64 v[128:129], v[122:123], -v[124:125]
	v_add_f64 v[130:131], v[122:123], -v[128:129]
	v_add_f64 v[118:119], v[122:123], v[118:119]
	v_add_f64 v[124:125], v[124:125], -v[130:131]
	v_add_f64 v[0:1], v[0:1], -v[128:129]
	v_add_f64 v[122:123], v[126:127], v[118:119]
	v_add_f64 v[0:1], v[0:1], v[124:125]
	v_add_f64 v[124:125], v[122:123], -v[126:127]
	v_add_f64 v[118:119], v[118:119], -v[124:125]
	v_add_f64 v[0:1], v[0:1], v[118:119]
	v_add_f64 v[0:1], v[122:123], v[0:1]
	v_cmp_class_f64_e64 vcc, v[10:11], s10
	v_cndmask_b32_e32 v0, v0, v10, vcc
	v_cndmask_b32_e32 v1, v1, v11, vcc
	v_cmp_ngt_f64_e32 vcc, 0, v[10:11]
	v_cndmask_b32_e32 v1, v92, v1, vcc
	v_cmp_nge_f64_e32 vcc, 0, v[10:11]
	v_cndmask_b32_e32 v0, 0, v0, vcc
	v_cmp_neq_f64_e32 vcc, 0, v[10:11]
	v_cndmask_b32_e32 v1, v93, v1, vcc
	v_fmac_f64_e32 v[120:121], v[6:7], v[0:1]
	v_add_f64 v[0:1], v[4:5], -v[120:121]
	v_cvt_u32_f64_e32 v4, v[8:9]
	v_cmp_le_f64_e32 vcc, v[2:3], v[0:1]
	v_cndmask_b32_e64 v119, 0, 1, vcc
	v_cndmask_b32_e32 v75, v75, v4, vcc
	v_mov_b32_e32 v118, v117
.LBB58_23:                              ;   in Loop: Header=BB58_13 Depth=2
	s_or_b64 exec, exec, s[0:1]
	v_cmp_gt_i32_e32 vcc, 2, v119
	s_or_b64 s[12:13], vcc, s[12:13]
	v_mov_b32_e32 v15, v118
	v_mov_b32_e32 v0, v87
	;; [unrolled: 1-line block ×5, first 2 shown]
	s_andn2_b64 exec, exec, s[12:13]
	s_cbranch_execnz .LBB58_13
; %bb.24:                               ;   in Loop: Header=BB58_13 Depth=2
	s_or_b64 exec, exec, s[12:13]
	v_cmp_ne_u32_e32 vcc, 0, v119
	s_or_b64 s[14:15], vcc, s[14:15]
	s_mov_b64 s[12:13], 0
	v_mov_b32_e32 v15, v118
	v_mov_b32_e32 v0, v87
	;; [unrolled: 1-line block ×5, first 2 shown]
	s_andn2_b64 exec, exec, s[14:15]
	s_cbranch_execnz .LBB58_13
; %bb.25:                               ;   in Loop: Header=BB58_5 Depth=1
	s_or_b64 exec, exec, s[14:15]
	s_mov_b32 s49, s28
	v_readlane_b32 s12, v134, 13
                                        ; implicit-def: $vgpr4_vgpr5
                                        ; implicit-def: $vgpr72_vgpr73
                                        ; implicit-def: $vgpr15
                                        ; implicit-def: $vgpr97
                                        ; implicit-def: $vgpr98
                                        ; implicit-def: $vgpr106
                                        ; implicit-def: $vgpr96
                                        ; implicit-def: $vgpr3
                                        ; implicit-def: $vgpr99
                                        ; implicit-def: $vgpr100
                                        ; implicit-def: $vgpr101
                                        ; implicit-def: $vgpr102
                                        ; implicit-def: $vgpr104
                                        ; implicit-def: $vgpr105
                                        ; implicit-def: $vgpr107
                                        ; implicit-def: $vgpr108
                                        ; implicit-def: $vgpr109
                                        ; implicit-def: $vgpr110
                                        ; implicit-def: $vgpr111
                                        ; implicit-def: $vgpr112
                                        ; implicit-def: $vgpr113
                                        ; implicit-def: $vgpr114
                                        ; implicit-def: $vgpr103
                                        ; implicit-def: $vgpr115
	v_readlane_b32 s13, v134, 14
.LBB58_26:                              ;   in Loop: Header=BB58_5 Depth=1
	s_andn2_saveexec_b64 s[0:1], s[6:7]
	s_cbranch_execz .LBB58_38
; %bb.27:                               ;   in Loop: Header=BB58_5 Depth=1
	v_add_co_u32_e32 v6, vcc, 1, v97
	v_cndmask_b32_e64 v7, 0, 1, vcc
	v_addc_co_u32_e32 v10, vcc, 0, v98, vcc
	v_cmp_eq_u32_e32 vcc, 0, v10
	v_cndmask_b32_e32 v7, 0, v7, vcc
	v_add_u32_e32 v8, v7, v17
	v_cmp_eq_u32_e32 vcc, 0, v8
	v_cndmask_b32_e32 v11, 0, v7, vcc
	v_mad_u64_u32 v[6:7], s[2:3], v6, s11, 0
	v_mad_u64_u32 v[8:9], s[2:3], v8, s9, 0
	v_xor_b32_e32 v7, v7, v73
	v_xor_b32_e32 v9, v9, v72
	v_xor_b32_e32 v7, v11, v7
	v_xor_b32_e32 v9, v10, v9
	v_mad_u64_u32 v[72:73], s[2:3], v7, s9, 0
	v_mad_u64_u32 v[10:11], s[2:3], v9, s11, 0
	v_xor_b32_e32 v7, v99, v73
	v_xor_b32_e32 v7, v7, v8
	v_xor_b32_e32 v8, v100, v11
	v_xor_b32_e32 v8, v8, v6
	v_mad_u64_u32 v[6:7], s[2:3], v7, s11, 0
	v_mad_u64_u32 v[8:9], s[2:3], v8, s9, 0
	v_xor_b32_e32 v7, v102, v7
	v_xor_b32_e32 v9, v101, v9
	v_xor_b32_e32 v7, v7, v10
	v_xor_b32_e32 v9, v9, v72
	v_mad_u64_u32 v[72:73], s[2:3], v7, s9, 0
	v_mad_u64_u32 v[10:11], s[2:3], v9, s11, 0
	v_xor_b32_e32 v7, v104, v73
	v_xor_b32_e32 v7, v7, v8
	v_xor_b32_e32 v8, v105, v11
	v_xor_b32_e32 v8, v8, v6
	v_mad_u64_u32 v[6:7], s[2:3], v7, s11, 0
	v_mad_u64_u32 v[8:9], s[2:3], v8, s9, 0
	v_xor_b32_e32 v7, v108, v7
	v_xor_b32_e32 v9, v107, v9
	v_xor_b32_e32 v7, v7, v10
	v_xor_b32_e32 v9, v9, v72
	v_mad_u64_u32 v[72:73], s[2:3], v7, s9, 0
	v_mad_u64_u32 v[10:11], s[2:3], v9, s11, 0
	v_xor_b32_e32 v7, v109, v73
	v_xor_b32_e32 v7, v7, v8
	v_xor_b32_e32 v8, v110, v11
	v_xor_b32_e32 v8, v8, v6
	v_mad_u64_u32 v[6:7], s[2:3], v7, s11, 0
	v_mad_u64_u32 v[8:9], s[2:3], v8, s9, 0
	v_xor_b32_e32 v7, v112, v7
	v_xor_b32_e32 v9, v111, v9
	v_xor_b32_e32 v7, v7, v10
	v_xor_b32_e32 v9, v9, v72
	v_mad_u64_u32 v[72:73], s[2:3], v7, s9, 0
	v_mad_u64_u32 v[10:11], s[2:3], v9, s11, 0
	v_xor_b32_e32 v7, v113, v73
	v_xor_b32_e32 v7, v7, v8
	v_xor_b32_e32 v8, v114, v11
	v_xor_b32_e32 v6, v8, v6
	v_mad_u64_u32 v[74:75], s[2:3], v7, s11, 0
	v_mad_u64_u32 v[8:9], s[2:3], v6, s9, 0
	v_xor_b32_e32 v6, v115, v75
	v_xor_b32_e32 v6, v6, v10
	v_mad_u64_u32 v[6:7], s[2:3], v6, s9, 0
	v_xor_b32_e32 v7, v7, v8
	v_xor_b32_e32 v10, v106, v7
	v_cmp_lt_i32_e32 vcc, 1, v15
                                        ; implicit-def: $vgpr8
	s_and_saveexec_b64 s[2:3], vcc
	s_xor_b64 s[2:3], exec, s[2:3]
	s_cbranch_execz .LBB58_33
; %bb.28:                               ;   in Loop: Header=BB58_5 Depth=1
	v_cmp_lt_i32_e32 vcc, 2, v15
                                        ; implicit-def: $vgpr8
	s_and_saveexec_b64 s[6:7], vcc
	s_xor_b64 s[6:7], exec, s[6:7]
; %bb.29:                               ;   in Loop: Header=BB58_5 Depth=1
	v_xor_b32_e32 v0, v103, v9
	v_xor_b32_e32 v0, v0, v72
	v_mul_hi_u32 v0, v0, s11
	v_xor_b32_e32 v0, v0, v74
	v_xor_b32_e32 v8, v96, v0
; %bb.30:                               ;   in Loop: Header=BB58_5 Depth=1
	s_andn2_saveexec_b64 s[6:7], s[6:7]
; %bb.31:                               ;   in Loop: Header=BB58_5 Depth=1
	v_mov_b32_e32 v8, v6
	v_mov_b32_e32 v6, v10
	;; [unrolled: 1-line block ×4, first 2 shown]
; %bb.32:                               ;   in Loop: Header=BB58_5 Depth=1
	s_or_b64 exec, exec, s[6:7]
	v_readlane_b32 s12, v134, 13
                                        ; implicit-def: $vgpr15
	v_readlane_b32 s13, v134, 14
.LBB58_33:                              ;   in Loop: Header=BB58_5 Depth=1
	s_andn2_saveexec_b64 s[2:3], s[2:3]
	s_cbranch_execz .LBB58_37
; %bb.34:                               ;   in Loop: Header=BB58_5 Depth=1
	v_cmp_eq_u32_e32 vcc, 1, v15
	v_mov_b32_e32 v8, v3
	v_mov_b32_e32 v6, v2
	;; [unrolled: 1-line block ×3, first 2 shown]
	s_and_saveexec_b64 s[6:7], vcc
; %bb.35:                               ;   in Loop: Header=BB58_5 Depth=1
	v_mov_b32_e32 v8, v10
	v_mov_b32_e32 v6, v3
	;; [unrolled: 1-line block ×4, first 2 shown]
; %bb.36:                               ;   in Loop: Header=BB58_5 Depth=1
	s_or_b64 exec, exec, s[6:7]
	v_mov_b32_e32 v3, v0
	v_mov_b32_e32 v10, v7
	v_readlane_b32 s12, v134, 13
	v_readlane_b32 s13, v134, 14
.LBB58_37:                              ;   in Loop: Header=BB58_5 Depth=1
	s_or_b64 exec, exec, s[2:3]
	v_mov_b32_e32 v11, v14
	v_lshlrev_b64 v[0:1], 21, v[10:11]
	v_xor_b32_e32 v2, v0, v3
	v_cvt_f64_u32_e32 v[0:1], v1
	v_ldexp_f64 v[0:1], v[0:1], 32
	v_cvt_f64_u32_e32 v[2:3], v2
	v_add_f64 v[0:1], v[0:1], v[2:3]
	v_mov_b32_e32 v2, 0
	v_mov_b32_e32 v3, 0x3ca00000
	v_fmac_f64_e32 v[2:3], 0x3ca00000, v[0:1]
	v_mov_b32_e32 v9, v14
	v_lshlrev_b64 v[0:1], 21, v[8:9]
	v_frexp_mant_f64_e32 v[8:9], v[2:3]
	v_cmp_gt_f64_e32 vcc, s[34:35], v[8:9]
	v_cndmask_b32_e64 v15, v91, 2.0, vcc
	v_frexp_exp_i32_f64_e32 v10, v[2:3]
	v_mul_f64 v[8:9], v[8:9], v[14:15]
	v_subbrev_co_u32_e32 v15, vcc, 0, v10, vcc
	v_add_f64 v[10:11], v[8:9], 1.0
	v_rcp_f64_e32 v[72:73], v[10:11]
	v_add_f64 v[76:77], v[10:11], -1.0
	v_add_f64 v[74:75], v[8:9], -1.0
	v_add_f64 v[8:9], v[8:9], -v[76:77]
	v_fma_f64 v[76:77], -v[10:11], v[72:73], 1.0
	v_fmac_f64_e32 v[72:73], v[76:77], v[72:73]
	v_fma_f64 v[76:77], -v[10:11], v[72:73], 1.0
	v_fmac_f64_e32 v[72:73], v[76:77], v[72:73]
	v_mul_f64 v[76:77], v[74:75], v[72:73]
	v_mul_f64 v[78:79], v[10:11], v[76:77]
	v_fma_f64 v[10:11], v[76:77], v[10:11], -v[78:79]
	v_fmac_f64_e32 v[10:11], v[76:77], v[8:9]
	v_add_f64 v[8:9], v[78:79], v[10:11]
	v_add_f64 v[80:81], v[74:75], -v[8:9]
	v_add_f64 v[78:79], v[8:9], -v[78:79]
	;; [unrolled: 1-line block ×5, first 2 shown]
	v_add_f64 v[8:9], v[10:11], v[8:9]
	v_add_f64 v[8:9], v[80:81], v[8:9]
	v_mul_f64 v[8:9], v[72:73], v[8:9]
	v_add_f64 v[10:11], v[76:77], v[8:9]
	v_add_f64 v[72:73], v[10:11], -v[76:77]
	v_add_f64 v[8:9], v[8:9], -v[72:73]
	v_mul_f64 v[72:73], v[10:11], v[10:11]
	v_pk_mov_b32 v[74:75], v[18:19], v[18:19] op_sel:[0,1]
	v_fmac_f64_e32 v[74:75], s[38:39], v[72:73]
	v_pk_mov_b32 v[76:77], v[20:21], v[20:21] op_sel:[0,1]
	v_fmac_f64_e32 v[76:77], v[72:73], v[74:75]
	;; [unrolled: 2-line block ×6, first 2 shown]
	v_ldexp_f64 v[74:75], v[10:11], 1
	v_mul_f64 v[10:11], v[10:11], v[72:73]
	v_mul_f64 v[10:11], v[10:11], v[76:77]
	v_add_f64 v[72:73], v[74:75], v[10:11]
	v_add_f64 v[74:75], v[72:73], -v[74:75]
	v_ldexp_f64 v[8:9], v[8:9], 1
	v_add_f64 v[10:11], v[10:11], -v[74:75]
	v_add_f64 v[8:9], v[8:9], v[10:11]
	v_add_f64 v[10:11], v[72:73], v[8:9]
	v_add_f64 v[72:73], v[10:11], -v[72:73]
	v_add_f64 v[8:9], v[8:9], -v[72:73]
	v_cvt_f64_i32_e32 v[72:73], v15
	v_mul_f64 v[74:75], v[72:73], s[50:51]
	v_fma_f64 v[76:77], v[72:73], s[50:51], -v[74:75]
	v_fmac_f64_e32 v[76:77], s[52:53], v[72:73]
	v_add_f64 v[72:73], v[74:75], v[76:77]
	v_add_f64 v[74:75], v[72:73], -v[74:75]
	v_add_f64 v[74:75], v[76:77], -v[74:75]
	v_add_f64 v[76:77], v[72:73], v[10:11]
	v_add_f64 v[78:79], v[76:77], -v[72:73]
	v_add_f64 v[80:81], v[76:77], -v[78:79]
	;; [unrolled: 1-line block ×4, first 2 shown]
	v_add_f64 v[10:11], v[10:11], v[72:73]
	v_add_f64 v[72:73], v[74:75], v[8:9]
	v_add_f64 v[78:79], v[72:73], -v[74:75]
	v_add_f64 v[80:81], v[72:73], -v[78:79]
	v_add_f64 v[10:11], v[72:73], v[10:11]
	v_add_f64 v[74:75], v[74:75], -v[80:81]
	v_add_f64 v[8:9], v[8:9], -v[78:79]
	v_add_f64 v[72:73], v[76:77], v[10:11]
	v_add_f64 v[8:9], v[8:9], v[74:75]
	v_add_f64 v[74:75], v[72:73], -v[76:77]
	v_add_f64 v[10:11], v[10:11], -v[74:75]
	s_mov_b32 s14, 0
	v_add_f64 v[8:9], v[8:9], v[10:11]
	s_mov_b32 s15, 0x7ff00000
	v_add_f64 v[8:9], v[72:73], v[8:9]
	v_cmp_eq_f64_e32 vcc, s[14:15], v[2:3]
	v_cndmask_b32_e32 v9, v9, v3, vcc
	v_cndmask_b32_e32 v8, v8, v2, vcc
	v_mul_f64 v[8:9], v[8:9], -2.0
	v_cmp_neq_f64_e32 vcc, 0, v[2:3]
	s_mov_b32 s2, 0
	v_cndmask_b32_e32 v3, v94, v9, vcc
	v_cndmask_b32_e32 v2, 0, v8, vcc
	s_brev_b32 s3, 8
	v_cmp_gt_f64_e32 vcc, s[2:3], v[2:3]
	v_cndmask_b32_e64 v8, 0, 1, vcc
	v_lshlrev_b32_e32 v8, 8, v8
	v_ldexp_f64 v[2:3], v[2:3], v8
	v_xor_b32_e32 v6, v0, v6
	v_cvt_f64_u32_e32 v[0:1], v1
	v_rsq_f64_e32 v[8:9], v[2:3]
	v_ldexp_f64 v[0:1], v[0:1], 32
	v_cvt_f64_u32_e32 v[6:7], v6
	v_add_f64 v[0:1], v[0:1], v[6:7]
	v_mov_b32_e32 v6, 0
	v_mov_b32_e32 v7, 0x3cb00000
	v_fmac_f64_e32 v[6:7], 0x3cb00000, v[0:1]
	v_mul_f64 v[0:1], v[2:3], v[8:9]
	v_mul_f64 v[8:9], v[8:9], 0.5
	v_fma_f64 v[10:11], -v[8:9], v[0:1], 0.5
	v_fmac_f64_e32 v[0:1], v[0:1], v[10:11]
	v_fma_f64 v[72:73], -v[0:1], v[0:1], v[2:3]
	v_fmac_f64_e32 v[8:9], v[8:9], v[10:11]
	v_fmac_f64_e32 v[0:1], v[72:73], v[8:9]
	v_fma_f64 v[10:11], -v[0:1], v[0:1], v[2:3]
	v_fmac_f64_e32 v[0:1], v[10:11], v[8:9]
	v_cndmask_b32_e32 v8, 0, v90, vcc
	v_ldexp_f64 v[0:1], v[0:1], v8
	v_cmp_class_f64_e32 vcc, v[2:3], v89
	v_cndmask_b32_e32 v1, v1, v3, vcc
	v_cndmask_b32_e32 v0, v0, v2, vcc
	v_mul_f64 v[2:3], v[6:7], 0.5
	v_fract_f64_e32 v[8:9], v[2:3]
	v_add_f64 v[8:9], v[8:9], v[8:9]
	v_cmp_neq_f64_e32 vcc, s[14:15], v[2:3]
	v_cndmask_b32_e32 v2, 0, v8, vcc
	v_cndmask_b32_e32 v3, 0, v9, vcc
	v_cmp_lt_f64_e32 vcc, 1.0, v[6:7]
	v_cndmask_b32_e32 v3, v7, v3, vcc
	v_cndmask_b32_e32 v2, v6, v2, vcc
	v_add_f64 v[8:9], v[2:3], v[2:3]
	v_rndne_f64_e32 v[8:9], v[8:9]
	v_fmac_f64_e32 v[2:3], -0.5, v[8:9]
	s_mov_b32 s6, 0xf99eb0bb
	v_cvt_i32_f64_e32 v15, v[8:9]
	v_mul_f64 v[8:9], v[2:3], v[2:3]
	v_pk_mov_b32 v[10:11], v[48:49], v[48:49] op_sel:[0,1]
	s_mov_b32 s7, 0x3f3e357e
	v_fmac_f64_e32 v[10:11], s[6:7], v[8:9]
	v_pk_mov_b32 v[72:73], v[50:51], v[50:51] op_sel:[0,1]
	v_fmac_f64_e32 v[72:73], v[8:9], v[10:11]
	v_pk_mov_b32 v[10:11], v[52:53], v[52:53] op_sel:[0,1]
	;; [unrolled: 2-line block ×4, first 2 shown]
	v_fmac_f64_e32 v[10:11], v[8:9], v[72:73]
	v_mul_f64 v[72:73], v[2:3], v[8:9]
	s_mov_b32 s6, 0x54442d18
	v_mul_f64 v[10:11], v[72:73], v[10:11]
	s_mov_b32 s7, 0x400921fb
	v_fmac_f64_e32 v[10:11], s[6:7], v[2:3]
	s_mov_b32 s6, 0x2e21c33
	v_pk_mov_b32 v[2:3], v[58:59], v[58:59] op_sel:[0,1]
	s_mov_b32 s7, 0xbf1b1673
	v_fmac_f64_e32 v[2:3], s[6:7], v[8:9]
	v_pk_mov_b32 v[72:73], v[60:61], v[60:61] op_sel:[0,1]
	v_fmac_f64_e32 v[72:73], v[8:9], v[2:3]
	v_pk_mov_b32 v[2:3], v[62:63], v[62:63] op_sel:[0,1]
	;; [unrolled: 2-line block ×5, first 2 shown]
	v_fmac_f64_e32 v[72:73], v[8:9], v[2:3]
	v_fma_f64 v[2:3], v[8:9], v[72:73], 1.0
	v_and_b32_e32 v9, 1, v15
	v_lshlrev_b32_e32 v8, 30, v15
	v_cmp_eq_u32_e32 vcc, 0, v9
	v_cndmask_b32_e32 v10, v2, v10, vcc
	v_cndmask_b32_e32 v2, v3, v11, vcc
	v_xor_b32_e32 v3, v8, v7
	v_and_b32_e32 v3, 0x80000000, v3
	v_cmp_gt_f64_e32 vcc, s[2:3], v[4:5]
	v_xor_b32_e32 v11, v2, v3
	v_cndmask_b32_e64 v2, 0, 1, vcc
	v_lshlrev_b32_e32 v2, 8, v2
	v_ldexp_f64 v[2:3], v[4:5], v2
	v_rsq_f64_e32 v[8:9], v[2:3]
	v_cmp_lg_f64_e64 s[2:3], s[14:15], v[6:7]
	v_cndmask_b32_e64 v6, 0, v10, s[2:3]
	v_cndmask_b32_e64 v7, v92, v11, s[2:3]
	v_mul_f64 v[0:1], v[0:1], v[6:7]
	v_mul_f64 v[6:7], v[2:3], v[8:9]
	v_mul_f64 v[8:9], v[8:9], 0.5
	v_fma_f64 v[10:11], -v[8:9], v[6:7], 0.5
	v_fmac_f64_e32 v[6:7], v[6:7], v[10:11]
	v_fma_f64 v[72:73], -v[6:7], v[6:7], v[2:3]
	v_fmac_f64_e32 v[8:9], v[8:9], v[10:11]
	v_fmac_f64_e32 v[6:7], v[72:73], v[8:9]
	v_fma_f64 v[10:11], -v[6:7], v[6:7], v[2:3]
	v_fmac_f64_e32 v[6:7], v[10:11], v[8:9]
	v_cndmask_b32_e32 v8, 0, v90, vcc
	v_ldexp_f64 v[6:7], v[6:7], v8
	v_cmp_class_f64_e32 vcc, v[2:3], v89
	v_cndmask_b32_e32 v3, v7, v3, vcc
	v_cndmask_b32_e32 v2, v6, v2, vcc
	v_fmac_f64_e32 v[4:5], v[2:3], v[0:1]
	v_trunc_f64_e32 v[0:1], v[4:5]
	v_add_f64 v[2:3], v[4:5], -v[0:1]
	v_cmp_ge_f64_e64 vcc, |v[2:3]|, 0.5
	v_cndmask_b32_e32 v2, 0, v91, vcc
	s_brev_b32 s2, -2
	v_bfi_b32 v15, s2, v2, v5
	v_add_f64 v[0:1], v[0:1], v[14:15]
	v_cvt_u32_f64_e32 v75, v[0:1]
.LBB58_38:                              ;   in Loop: Header=BB58_5 Depth=1
	s_or_b64 exec, exec, s[0:1]
                                        ; implicit-def: $vgpr4_vgpr5
                                        ; implicit-def: $vgpr72_vgpr73
                                        ; implicit-def: $vgpr15
                                        ; implicit-def: $vgpr97
                                        ; implicit-def: $vgpr98
                                        ; implicit-def: $vgpr106
                                        ; implicit-def: $vgpr96
                                        ; implicit-def: $vgpr3
                                        ; implicit-def: $vgpr99
                                        ; implicit-def: $vgpr100
                                        ; implicit-def: $vgpr101
                                        ; implicit-def: $vgpr102
                                        ; implicit-def: $vgpr104
                                        ; implicit-def: $vgpr105
                                        ; implicit-def: $vgpr107
                                        ; implicit-def: $vgpr108
                                        ; implicit-def: $vgpr109
                                        ; implicit-def: $vgpr110
                                        ; implicit-def: $vgpr111
                                        ; implicit-def: $vgpr112
                                        ; implicit-def: $vgpr113
                                        ; implicit-def: $vgpr114
                                        ; implicit-def: $vgpr103
                                        ; implicit-def: $vgpr115
.LBB58_39:                              ;   in Loop: Header=BB58_5 Depth=1
	s_andn2_saveexec_b64 s[0:1], s[54:55]
	s_cbranch_execz .LBB58_3
; %bb.40:                               ;   in Loop: Header=BB58_5 Depth=1
	s_mov_b32 s28, s56
	v_mul_f64 v[6:7], v[4:5], s[28:29]
	v_rndne_f64_e32 v[6:7], v[6:7]
	s_mov_b32 s58, s50
	v_fma_f64 v[10:11], v[6:7], s[58:59], -v[4:5]
	s_mov_b32 s60, s52
	v_fmac_f64_e32 v[10:11], s[60:61], v[6:7]
	v_pk_mov_b32 v[8:9], v[30:31], v[30:31] op_sel:[0,1]
	v_fmac_f64_e32 v[8:9], s[62:63], v[10:11]
	v_pk_mov_b32 v[74:75], v[32:33], v[32:33] op_sel:[0,1]
	;; [unrolled: 2-line block ×9, first 2 shown]
	s_mov_b32 s2, 0
	v_fmac_f64_e32 v[76:77], v[10:11], v[74:75]
	s_mov_b32 s3, 0xc0900000
	v_fma_f64 v[74:75], v[10:11], v[76:77], 1.0
	v_cmp_ngt_f64_e32 vcc, s[2:3], v[4:5]
	s_mov_b32 s2, 0
	v_fma_f64 v[10:11], v[10:11], v[74:75], 1.0
	v_cvt_i32_f64_e32 v6, v[6:7]
	s_mov_b32 s3, 0x4090cc00
	v_ldexp_f64 v[6:7], v[10:11], v6
	v_cmp_nlt_f64_e64 s[2:3], s[2:3], v[4:5]
	v_mov_b32_e32 v8, 0
	v_cndmask_b32_e32 v7, v94, v7, vcc
	s_and_b64 vcc, s[2:3], vcc
	v_mov_b32_e32 v9, 0x3ff00000
	v_mov_b32_e32 v78, 0
	v_cndmask_b32_e64 v11, 0, v7, s[2:3]
	v_cndmask_b32_e32 v10, 0, v6, vcc
	s_mov_b32 s12, -1
	s_mov_b64 s[2:3], 0
	v_mov_b32_e32 v79, v17
	s_branch .LBB58_42
.LBB58_41:                              ;   in Loop: Header=BB58_42 Depth=2
	s_or_b64 exec, exec, s[6:7]
	v_cmp_eq_u32_e32 vcc, 1, v15
	v_cndmask_b32_e32 v0, v0, v1, vcc
	v_cmp_eq_u32_e32 vcc, 2, v15
	v_cndmask_b32_e32 v0, v0, v2, vcc
	;; [unrolled: 2-line block ×6, first 2 shown]
	v_lshrrev_b32_e32 v0, 11, v0
	v_cvt_f64_u32_e32 v[0:1], v0
	v_ldexp_f64 v[0:1], v[0:1], 32
	v_cvt_f64_u32_e32 v[2:3], v2
	v_add_f64 v[0:1], v[0:1], v[2:3]
	v_mov_b32_e32 v2, 0
	v_mov_b32_e32 v3, 0x3ca00000
	v_fmac_f64_e32 v[2:3], 0x3ca00000, v[0:1]
	v_mul_f64 v[8:9], v[8:9], v[2:3]
	v_cmp_ngt_f64_e32 vcc, v[8:9], v[10:11]
	s_add_i32 s12, s12, 1
	s_or_b64 s[2:3], vcc, s[2:3]
	v_mov_b32_e32 v75, s12
	v_mov_b32_e32 v15, v81
	;; [unrolled: 1-line block ×6, first 2 shown]
	s_andn2_b64 exec, exec, s[2:3]
	s_cbranch_execz .LBB58_2
.LBB58_42:                              ;   Parent Loop BB58_5 Depth=1
                                        ; =>  This Inner Loop Header: Depth=2
	v_add_u32_e32 v80, 1, v15
	v_pk_mov_b32 v[6:7], v[2:3], v[2:3] op_sel:[0,1]
	v_cmp_eq_u32_e32 vcc, 4, v80
	v_pk_mov_b32 v[4:5], v[0:1], v[0:1] op_sel:[0,1]
	v_mov_b32_e32 v77, v0
	v_mov_b32_e32 v76, v1
	v_mov_b32_e32 v82, v2
	v_mov_b32_e32 v74, v3
	s_and_saveexec_b64 s[6:7], vcc
	s_cbranch_execz .LBB58_44
; %bb.43:                               ;   in Loop: Header=BB58_42 Depth=2
	v_add_co_u32_e32 v97, vcc, 1, v97
	v_cndmask_b32_e64 v4, 0, 1, vcc
	v_addc_co_u32_e32 v98, vcc, 0, v98, vcc
	v_cmp_eq_u32_e32 vcc, 0, v98
	v_cndmask_b32_e32 v4, 0, v4, vcc
	v_add_u32_e32 v79, v4, v79
	v_cmp_eq_u32_e32 vcc, 0, v79
	v_cndmask_b32_e32 v4, 0, v4, vcc
	v_add_u32_e32 v78, v4, v78
	v_mad_u64_u32 v[4:5], s[14:15], v97, s11, 0
	v_mad_u64_u32 v[6:7], s[14:15], v79, s9, 0
	v_xor_b32_e32 v5, v5, v73
	v_xor_b32_e32 v7, v7, v72
	v_xor_b32_e32 v5, v78, v5
	v_xor_b32_e32 v7, v98, v7
	v_mad_u64_u32 v[76:77], s[14:15], v5, s9, 0
	v_mad_u64_u32 v[74:75], s[14:15], v7, s11, 0
	v_xor_b32_e32 v5, v99, v77
	v_xor_b32_e32 v5, v5, v6
	v_xor_b32_e32 v6, v100, v75
	v_xor_b32_e32 v6, v6, v4
	;; [unrolled: 6-line block ×10, first 2 shown]
	v_mov_b32_e32 v80, 0
	v_mov_b32_e32 v5, v76
	;; [unrolled: 1-line block ×5, first 2 shown]
.LBB58_44:                              ;   in Loop: Header=BB58_42 Depth=2
	s_or_b64 exec, exec, s[6:7]
	v_add_u32_e32 v81, 1, v80
	v_cmp_eq_u32_e32 vcc, 4, v81
	s_and_saveexec_b64 s[6:7], vcc
	s_cbranch_execz .LBB58_41
; %bb.45:                               ;   in Loop: Header=BB58_42 Depth=2
	v_add_co_u32_e32 v97, vcc, 1, v97
	v_cndmask_b32_e64 v74, 0, 1, vcc
	v_addc_co_u32_e32 v98, vcc, 0, v98, vcc
	v_cmp_eq_u32_e32 vcc, 0, v98
	v_cndmask_b32_e32 v74, 0, v74, vcc
	v_add_u32_e32 v79, v74, v79
	v_cmp_eq_u32_e32 vcc, 0, v79
	v_cndmask_b32_e32 v74, 0, v74, vcc
	v_add_u32_e32 v78, v74, v78
	v_mad_u64_u32 v[74:75], s[14:15], v97, s11, 0
	v_mad_u64_u32 v[76:77], s[14:15], v79, s9, 0
	v_xor_b32_e32 v75, v75, v73
	v_xor_b32_e32 v77, v77, v72
	v_xor_b32_e32 v75, v78, v75
	v_xor_b32_e32 v77, v98, v77
	v_mad_u64_u32 v[84:85], s[14:15], v75, s9, 0
	v_mad_u64_u32 v[82:83], s[14:15], v77, s11, 0
	v_xor_b32_e32 v75, v99, v85
	v_xor_b32_e32 v75, v75, v76
	v_xor_b32_e32 v76, v100, v83
	v_xor_b32_e32 v76, v76, v74
	;; [unrolled: 6-line block ×9, first 2 shown]
	v_mad_u64_u32 v[74:75], s[14:15], v74, s11, 0
	v_mad_u64_u32 v[76:77], s[14:15], v76, s9, 0
	v_xor_b32_e32 v77, v77, v116
	v_xor_b32_e32 v75, v75, v86
	v_mov_b32_e32 v81, 0
	v_xor_b32_e32 v77, v106, v77
	v_xor_b32_e32 v82, v96, v75
	s_branch .LBB58_41
.LBB58_46:
	s_or_b64 exec, exec, s[4:5]
	s_and_saveexec_b64 s[0:1], s[16:17]
	s_xor_b64 s[0:1], exec, s[0:1]
	s_cbranch_execnz .LBB58_48
.LBB58_47:
	s_endpgm
.LBB58_48:
	s_trap 2
	; divergent unreachable
	s_endpgm
	.section	.rodata,"a",@progbits
	.p2align	6, 0x0
	.amdhsa_kernel _ZN2at4cuda12_GLOBAL__N_121kernelPointwiseApply2IZN12_GLOBAL__N_119poisson_cuda_kernelIdEEvRKNS_10TensorBaseES7_NS_15PhiloxCudaStateEEUlRdRKdE_ddjLi1ELi2ELi1ELi512ELi2EEEvNS0_6detail10TensorInfoIT0_T2_EENSE_IT1_SG_EESG_T_
		.amdhsa_group_segment_fixed_size 0
		.amdhsa_private_segment_fixed_size 0
		.amdhsa_kernarg_size 728
		.amdhsa_user_sgpr_count 6
		.amdhsa_user_sgpr_private_segment_buffer 1
		.amdhsa_user_sgpr_dispatch_ptr 0
		.amdhsa_user_sgpr_queue_ptr 0
		.amdhsa_user_sgpr_kernarg_segment_ptr 1
		.amdhsa_user_sgpr_dispatch_id 0
		.amdhsa_user_sgpr_flat_scratch_init 0
		.amdhsa_user_sgpr_kernarg_preload_length 0
		.amdhsa_user_sgpr_kernarg_preload_offset 0
		.amdhsa_user_sgpr_private_segment_size 0
		.amdhsa_uses_dynamic_stack 0
		.amdhsa_system_sgpr_private_segment_wavefront_offset 0
		.amdhsa_system_sgpr_workgroup_id_x 1
		.amdhsa_system_sgpr_workgroup_id_y 0
		.amdhsa_system_sgpr_workgroup_id_z 0
		.amdhsa_system_sgpr_workgroup_info 0
		.amdhsa_system_vgpr_workitem_id 0
		.amdhsa_next_free_vgpr 135
		.amdhsa_next_free_sgpr 96
		.amdhsa_accum_offset 136
		.amdhsa_reserve_vcc 1
		.amdhsa_reserve_flat_scratch 0
		.amdhsa_float_round_mode_32 0
		.amdhsa_float_round_mode_16_64 0
		.amdhsa_float_denorm_mode_32 3
		.amdhsa_float_denorm_mode_16_64 3
		.amdhsa_dx10_clamp 1
		.amdhsa_ieee_mode 1
		.amdhsa_fp16_overflow 0
		.amdhsa_tg_split 0
		.amdhsa_exception_fp_ieee_invalid_op 0
		.amdhsa_exception_fp_denorm_src 0
		.amdhsa_exception_fp_ieee_div_zero 0
		.amdhsa_exception_fp_ieee_overflow 0
		.amdhsa_exception_fp_ieee_underflow 0
		.amdhsa_exception_fp_ieee_inexact 0
		.amdhsa_exception_int_div_zero 0
	.end_amdhsa_kernel
	.section	.text._ZN2at4cuda12_GLOBAL__N_121kernelPointwiseApply2IZN12_GLOBAL__N_119poisson_cuda_kernelIdEEvRKNS_10TensorBaseES7_NS_15PhiloxCudaStateEEUlRdRKdE_ddjLi1ELi2ELi1ELi512ELi2EEEvNS0_6detail10TensorInfoIT0_T2_EENSE_IT1_SG_EESG_T_,"axG",@progbits,_ZN2at4cuda12_GLOBAL__N_121kernelPointwiseApply2IZN12_GLOBAL__N_119poisson_cuda_kernelIdEEvRKNS_10TensorBaseES7_NS_15PhiloxCudaStateEEUlRdRKdE_ddjLi1ELi2ELi1ELi512ELi2EEEvNS0_6detail10TensorInfoIT0_T2_EENSE_IT1_SG_EESG_T_,comdat
.Lfunc_end58:
	.size	_ZN2at4cuda12_GLOBAL__N_121kernelPointwiseApply2IZN12_GLOBAL__N_119poisson_cuda_kernelIdEEvRKNS_10TensorBaseES7_NS_15PhiloxCudaStateEEUlRdRKdE_ddjLi1ELi2ELi1ELi512ELi2EEEvNS0_6detail10TensorInfoIT0_T2_EENSE_IT1_SG_EESG_T_, .Lfunc_end58-_ZN2at4cuda12_GLOBAL__N_121kernelPointwiseApply2IZN12_GLOBAL__N_119poisson_cuda_kernelIdEEvRKNS_10TensorBaseES7_NS_15PhiloxCudaStateEEUlRdRKdE_ddjLi1ELi2ELi1ELi512ELi2EEEvNS0_6detail10TensorInfoIT0_T2_EENSE_IT1_SG_EESG_T_
                                        ; -- End function
	.section	.AMDGPU.csdata,"",@progbits
; Kernel info:
; codeLenInByte = 13500
; NumSgprs: 100
; NumVgprs: 135
; NumAgprs: 0
; TotalNumVgprs: 135
; ScratchSize: 0
; MemoryBound: 0
; FloatMode: 240
; IeeeMode: 1
; LDSByteSize: 0 bytes/workgroup (compile time only)
; SGPRBlocks: 12
; VGPRBlocks: 16
; NumSGPRsForWavesPerEU: 100
; NumVGPRsForWavesPerEU: 135
; AccumOffset: 136
; Occupancy: 3
; WaveLimiterHint : 1
; COMPUTE_PGM_RSRC2:SCRATCH_EN: 0
; COMPUTE_PGM_RSRC2:USER_SGPR: 6
; COMPUTE_PGM_RSRC2:TRAP_HANDLER: 0
; COMPUTE_PGM_RSRC2:TGID_X_EN: 1
; COMPUTE_PGM_RSRC2:TGID_Y_EN: 0
; COMPUTE_PGM_RSRC2:TGID_Z_EN: 0
; COMPUTE_PGM_RSRC2:TIDIG_COMP_CNT: 0
; COMPUTE_PGM_RSRC3_GFX90A:ACCUM_OFFSET: 33
; COMPUTE_PGM_RSRC3_GFX90A:TG_SPLIT: 0
	.section	.text._ZN2at4cuda12_GLOBAL__N_121kernelPointwiseApply2IZN12_GLOBAL__N_119poisson_cuda_kernelIdEEvRKNS_10TensorBaseES7_NS_15PhiloxCudaStateEEUlRdRKdE_ddjLi1ELin1ELi1ELi512ELi2EEEvNS0_6detail10TensorInfoIT0_T2_EENSE_IT1_SG_EESG_T_,"axG",@progbits,_ZN2at4cuda12_GLOBAL__N_121kernelPointwiseApply2IZN12_GLOBAL__N_119poisson_cuda_kernelIdEEvRKNS_10TensorBaseES7_NS_15PhiloxCudaStateEEUlRdRKdE_ddjLi1ELin1ELi1ELi512ELi2EEEvNS0_6detail10TensorInfoIT0_T2_EENSE_IT1_SG_EESG_T_,comdat
	.globl	_ZN2at4cuda12_GLOBAL__N_121kernelPointwiseApply2IZN12_GLOBAL__N_119poisson_cuda_kernelIdEEvRKNS_10TensorBaseES7_NS_15PhiloxCudaStateEEUlRdRKdE_ddjLi1ELin1ELi1ELi512ELi2EEEvNS0_6detail10TensorInfoIT0_T2_EENSE_IT1_SG_EESG_T_ ; -- Begin function _ZN2at4cuda12_GLOBAL__N_121kernelPointwiseApply2IZN12_GLOBAL__N_119poisson_cuda_kernelIdEEvRKNS_10TensorBaseES7_NS_15PhiloxCudaStateEEUlRdRKdE_ddjLi1ELin1ELi1ELi512ELi2EEEvNS0_6detail10TensorInfoIT0_T2_EENSE_IT1_SG_EESG_T_
	.p2align	8
	.type	_ZN2at4cuda12_GLOBAL__N_121kernelPointwiseApply2IZN12_GLOBAL__N_119poisson_cuda_kernelIdEEvRKNS_10TensorBaseES7_NS_15PhiloxCudaStateEEUlRdRKdE_ddjLi1ELin1ELi1ELi512ELi2EEEvNS0_6detail10TensorInfoIT0_T2_EENSE_IT1_SG_EESG_T_,@function
_ZN2at4cuda12_GLOBAL__N_121kernelPointwiseApply2IZN12_GLOBAL__N_119poisson_cuda_kernelIdEEvRKNS_10TensorBaseES7_NS_15PhiloxCudaStateEEUlRdRKdE_ddjLi1ELin1ELi1ELi512ELi2EEEvNS0_6detail10TensorInfoIT0_T2_EENSE_IT1_SG_EESG_T_: ; @_ZN2at4cuda12_GLOBAL__N_121kernelPointwiseApply2IZN12_GLOBAL__N_119poisson_cuda_kernelIdEEvRKNS_10TensorBaseES7_NS_15PhiloxCudaStateEEUlRdRKdE_ddjLi1ELin1ELi1ELi512ELi2EEEvNS0_6detail10TensorInfoIT0_T2_EENSE_IT1_SG_EESG_T_
; %bb.0:
	s_load_dword s2, s[4:5], 0x1e4
	s_load_dword s33, s[4:5], 0x1b0
	s_add_u32 s0, s4, 0x1d8
	s_addc_u32 s1, s5, 0
	s_waitcnt lgkmcnt(0)
	s_and_b32 s2, s2, 0xffff
	s_mul_i32 s6, s6, s2
	v_add_u32_e32 v17, s6, v0
	v_cmp_gt_u32_e32 vcc, s33, v17
	s_and_saveexec_b64 s[6:7], vcc
	s_cbranch_execz .LBB59_50
; %bb.1:
	s_load_dwordx4 s[16:19], s[4:5], 0x1b8
                                        ; implicit-def: $vgpr134 : SGPR spill to VGPR lane
	s_load_dword s8, s[4:5], 0x1d0
                                        ; kill: killed $sgpr0 killed $sgpr1
	s_add_u32 s9, s4, 0xd8
	s_addc_u32 s12, s5, 0
	s_mov_b32 s28, 0
	s_waitcnt lgkmcnt(0)
	v_writelane_b32 v134, s16, 0
	v_writelane_b32 v134, s17, 1
	;; [unrolled: 1-line block ×4, first 2 shown]
	s_load_dword s3, s[4:5], 0x1a8
	s_load_dwordx2 s[16:17], s[4:5], 0x0
	s_load_dword s6, s[4:5], 0x6c
	s_mov_b32 s36, 0x55555555
	s_mov_b32 s38, 0x6b47b09a
	s_waitcnt lgkmcnt(0)
	s_cmp_gt_i32 s3, 1
	s_load_dwordx2 s[68:69], s[4:5], 0xd8
	v_writelane_b32 v134, s6, 4
	s_load_dword s13, s[0:1], 0x0
	s_load_dwordx2 s[6:7], s[4:5], 0x1c8
	s_mov_b32 s40, 0xbf559e2b
	s_load_dword s0, s[4:5], 0x144
	s_mov_b32 s42, 0xd7f4df2e
	s_mov_b32 s44, 0x16291751
	s_waitcnt lgkmcnt(0)
	v_writelane_b32 v134, s6, 5
	v_writelane_b32 v134, s7, 6
	v_writelane_b32 v134, s0, 7
	s_cselect_b64 s[6:7], -1, 0
	s_getpc_b64 s[0:1]
	s_add_u32 s0, s0, .str@rel32@lo+4
	s_addc_u32 s1, s1, .str@rel32@hi+12
	s_cmp_eq_u64 s[0:1], 0
	s_cselect_b64 s[0:1], -1, 0
	s_bitcmp1_b32 s8, 0
	s_cselect_b64 s[10:11], -1, 0
	v_writelane_b32 v134, s10, 8
	s_mov_b32 s8, 0xcd9e8d57
	v_writelane_b32 v134, s11, 9
	v_mad_u64_u32 v[12:13], s[10:11], v17, s8, 0
	s_mul_i32 s10, s13, s2
	s_add_i32 s2, s3, 1
	v_writelane_b32 v134, s2, 10
	s_add_i32 s2, s3, -1
	s_mov_b32 s3, 0
	s_lshl_b64 s[2:3], s[2:3], 2
	s_add_u32 s2, s2, s9
	s_addc_u32 s3, s3, s12
	s_add_u32 s2, s2, 8
	s_addc_u32 s3, s3, 0
	v_writelane_b32 v134, s2, 11
	v_writelane_b32 v134, s3, 12
	s_xor_b64 s[0:1], s[0:1], -1
	v_cndmask_b32_e64 v0, 0, 1, s[6:7]
	v_writelane_b32 v134, s0, 13
	v_writelane_b32 v134, s1, 14
	v_cmp_ne_u32_e64 s[0:1], 1, v0
	v_writelane_b32 v134, s0, 15
	s_mov_b32 s46, 0x9b27acf1
	s_mov_b32 s48, 0x998ef7b6
	;; [unrolled: 1-line block ×7, first 2 shown]
	v_writelane_b32 v134, s1, 16
	s_mov_b32 s70, 0
	s_mov_b32 s72, 0
	;; [unrolled: 1-line block ×13, first 2 shown]
	s_movk_i32 s26, 0xf950
	s_mov_b32 s22, 0xc864beb5
	s_mov_b32 s24, 0
	;; [unrolled: 1-line block ×3, first 2 shown]
                                        ; kill: killed $sgpr4 killed $sgpr5
	s_mov_b64 s[4:5], 0
	v_mov_b32_e32 v14, 0
	v_mov_b32_e32 v16, v13
	s_mov_b32 s11, 0xd2511f53
	s_mov_b32 s29, 0x40080000
	;; [unrolled: 1-line block ×12, first 2 shown]
	s_movk_i32 s9, 0x204
	s_mov_b32 s59, 0x3ff71547
	s_mov_b32 s61, 0xbfe62e42
	;; [unrolled: 1-line block ×5, first 2 shown]
	v_mov_b32_e32 v18, 0x6b47b09a
	v_mov_b32_e32 v20, 0xd7f4df2e
	;; [unrolled: 1-line block ×27, first 2 shown]
	s_mov_b32 s69, s10
	v_mov_b32_e32 v88, 0x260
	v_mov_b32_e32 v89, 0xffffff80
	;; [unrolled: 1-line block ×33, first 2 shown]
	s_mov_b32 s10, 0xdb3d7428
	s_mov_b32 s71, 0xc090cc00
	;; [unrolled: 1-line block ×19, first 2 shown]
	v_writelane_b32 v134, s16, 17
                                        ; implicit-def: $sgpr20_sgpr21
                                        ; implicit-def: $sgpr34_sgpr35
	v_writelane_b32 v134, s17, 18
	s_branch .LBB59_5
.LBB59_2:                               ;   in Loop: Header=BB59_5 Depth=1
	s_or_b64 exec, exec, s[2:3]
.LBB59_3:                               ;   in Loop: Header=BB59_5 Depth=1
	s_or_b64 exec, exec, s[0:1]
	v_lshlrev_b64 v[0:1], 3, v[70:71]
	v_mov_b32_e32 v2, s17
	v_add_co_u32_e32 v0, vcc, s16, v0
	v_addc_co_u32_e32 v1, vcc, v2, v1, vcc
	v_add_u32_e32 v94, s69, v94
	v_cmp_le_u32_e32 vcc, s33, v94
	v_cvt_f64_u32_e32 v[2:3], v75
	s_andn2_b64 s[34:35], s[34:35], exec
	s_orn2_b64 s[0:1], vcc, exec
	global_store_dwordx2 v[0:1], v[2:3], off
.LBB59_4:                               ;   in Loop: Header=BB59_5 Depth=1
	s_or_b64 exec, exec, s[56:57]
	s_and_b64 s[0:1], exec, s[0:1]
	s_or_b64 s[4:5], s[0:1], s[4:5]
	s_andn2_b64 s[0:1], s[20:21], exec
	s_and_b64 s[2:3], s[34:35], exec
	s_or_b64 s[20:21], s[0:1], s[2:3]
	s_andn2_b64 exec, exec, s[4:5]
	s_cbranch_execz .LBB59_49
.LBB59_5:                               ; =>This Loop Header: Depth=1
                                        ;     Child Loop BB59_8 Depth 2
                                        ;     Child Loop BB59_16 Depth 2
	;; [unrolled: 1-line block ×3, first 2 shown]
	v_sub_u32_e32 v0, s33, v94
	v_cmp_lt_i32_e32 vcc, 0, v0
	v_pk_mov_b32 v[0:1], 0, 0
	v_pk_mov_b32 v[70:71], v[0:1], v[0:1] op_sel:[0,1]
	s_and_saveexec_b64 s[0:1], vcc
	s_cbranch_execz .LBB59_10
; %bb.6:                                ;   in Loop: Header=BB59_5 Depth=1
	v_readlane_b32 s2, v134, 15
	v_readlane_b32 s3, v134, 16
	s_and_b64 vcc, exec, s[2:3]
	v_mov_b32_e32 v0, 0
	v_mov_b32_e32 v2, v94
	s_cbranch_vccnz .LBB59_9
; %bb.7:                                ;   in Loop: Header=BB59_5 Depth=1
	v_readlane_b32 s2, v134, 11
	v_mov_b32_e32 v0, 0
	v_readlane_b32 s3, v134, 12
	v_readlane_b32 s6, v134, 10
	v_mov_b32_e32 v2, v94
.LBB59_8:                               ;   Parent Loop BB59_5 Depth=1
                                        ; =>  This Inner Loop Header: Depth=2
	s_load_dword s7, s[2:3], 0x0
	s_load_dword s12, s[2:3], 0x64
	v_mov_b32_e32 v1, v2
	s_add_i32 s6, s6, -1
	s_waitcnt lgkmcnt(0)
	v_cvt_f32_u32_e32 v2, s7
	s_sub_i32 s14, 0, s7
	s_add_u32 s2, s2, -4
	s_addc_u32 s3, s3, -1
	v_rcp_iflag_f32_e32 v2, v2
	s_cmp_gt_u32 s6, 2
	v_mul_f32_e32 v2, 0x4f7ffffe, v2
	v_cvt_u32_f32_e32 v2, v2
	v_mul_lo_u32 v3, s14, v2
	v_mul_hi_u32 v3, v2, v3
	v_add_u32_e32 v2, v2, v3
	v_mul_hi_u32 v2, v1, v2
	v_mul_lo_u32 v3, v2, s7
	v_sub_u32_e32 v3, v1, v3
	v_add_u32_e32 v4, 1, v2
	v_subrev_u32_e32 v5, s7, v3
	v_cmp_le_u32_e32 vcc, s7, v3
	v_cndmask_b32_e32 v2, v2, v4, vcc
	v_cndmask_b32_e32 v3, v3, v5, vcc
	v_add_u32_e32 v4, 1, v2
	v_cmp_le_u32_e32 vcc, s7, v3
	v_cndmask_b32_e32 v2, v2, v4, vcc
	v_mul_lo_u32 v3, v2, s7
	v_sub_u32_e32 v1, v1, v3
	v_mad_u64_u32 v[0:1], s[14:15], s12, v1, v[0:1]
	s_cbranch_scc1 .LBB59_8
.LBB59_9:                               ;   in Loop: Header=BB59_5 Depth=1
	v_readlane_b32 s2, v134, 4
	v_mul_lo_u32 v70, v94, s2
	v_readlane_b32 s2, v134, 7
	v_mad_u64_u32 v[0:1], s[2:3], s2, v2, v[0:1]
	v_mov_b32_e32 v71, v14
	v_mov_b32_e32 v1, v14
.LBB59_10:                              ;   in Loop: Header=BB59_5 Depth=1
	s_or_b64 exec, exec, s[0:1]
	v_lshlrev_b64 v[0:1], 3, v[0:1]
	v_add_co_u32_e32 v0, vcc, s68, v0
	v_addc_co_u32_e32 v1, vcc, v13, v1, vcc
	global_load_dwordx2 v[4:5], v[0:1], off
	v_readlane_b32 s2, v134, 13
	v_readlane_b32 s3, v134, 14
	s_mov_b64 s[0:1], -1
	s_or_b64 s[34:35], s[34:35], exec
	s_waitcnt vmcnt(0)
	v_cmp_le_f64_e32 vcc, 0, v[4:5]
	s_and_b64 s[2:3], s[2:3], vcc
	s_and_saveexec_b64 s[56:57], s[2:3]
	s_cbranch_execz .LBB59_4
; %bb.11:                               ;   in Loop: Header=BB59_5 Depth=1
	v_readlane_b32 s0, v134, 8
	v_readlane_b32 s1, v134, 9
	s_andn2_b64 vcc, exec, s[0:1]
	v_readlane_b32 s0, v134, 0
	v_readlane_b32 s1, v134, 1
	;; [unrolled: 1-line block ×4, first 2 shown]
	v_pk_mov_b32 v[0:1], s[2:3], s[2:3] op_sel:[0,1]
	v_pk_mov_b32 v[72:73], s[0:1], s[0:1] op_sel:[0,1]
	s_cbranch_vccnz .LBB59_13
; %bb.12:                               ;   in Loop: Header=BB59_5 Depth=1
	v_readlane_b32 s0, v134, 0
	v_readlane_b32 s2, v134, 2
	;; [unrolled: 1-line block ×3, first 2 shown]
	v_pk_mov_b32 v[0:1], s[2:3], s[2:3] op_sel:[0,1]
	v_readlane_b32 s1, v134, 1
	flat_load_dwordx2 v[0:1], v[0:1]
	v_pk_mov_b32 v[2:3], s[0:1], s[0:1] op_sel:[0,1]
	flat_load_dwordx2 v[72:73], v[2:3]
	v_readlane_b32 s0, v134, 5
	v_readlane_b32 s1, v134, 6
	v_mov_b32_e32 v2, s1
	s_waitcnt vmcnt(0) lgkmcnt(0)
	v_add_co_u32_e32 v0, vcc, s0, v0
	v_addc_co_u32_e32 v1, vcc, v1, v2, vcc
.LBB59_13:                              ;   in Loop: Header=BB59_5 Depth=1
	v_alignbit_b32 v96, v1, v0, 2
	v_and_b32_e32 v15, 3, v0
	v_lshrrev_b32_e32 v97, 2, v1
	v_mad_u64_u32 v[0:1], s[0:1], v96, s11, 0
	v_xor_b32_e32 v3, v16, v72
	v_mov_b32_e32 v2, v73
	v_xor_b32_e32 v1, v1, v73
	s_mov_b32 s0, 0xbb67ae85
	v_xor_b32_e32 v3, v3, v97
	v_add_co_u32_e32 v99, vcc, s0, v2
	v_mad_u64_u32 v[6:7], s[0:1], v3, s11, 0
	v_mad_u64_u32 v[8:9], s[0:1], v1, s8, 0
	v_add_co_u32_e32 v98, vcc, 0x9e3779b9, v72
	v_xor_b32_e32 v1, v12, v9
	v_xor_b32_e32 v3, v99, v7
	s_mov_b32 s0, 0x3c6ef372
	v_xor_b32_e32 v1, v1, v98
	v_xor_b32_e32 v3, v3, v0
	v_add_co_u32_e32 v100, vcc, s0, v72
	s_mov_b32 s0, 0x76cf5d0a
	v_add_co_u32_e32 v101, vcc, s0, v2
	v_mad_u64_u32 v[0:1], s[0:1], v1, s11, 0
	v_mad_u64_u32 v[10:11], s[0:1], v3, s8, 0
	v_xor_b32_e32 v3, v100, v11
	v_xor_b32_e32 v1, v101, v1
	s_mov_b32 s0, 0xdaa66d2b
	v_xor_b32_e32 v3, v3, v8
	v_xor_b32_e32 v1, v1, v6
	v_add_co_u32_e32 v103, vcc, s0, v72
	s_mov_b32 s0, 0x32370b8f
	v_add_co_u32_e32 v104, vcc, s0, v2
	v_mad_u64_u32 v[6:7], s[0:1], v3, s11, 0
	v_mad_u64_u32 v[8:9], s[0:1], v1, s8, 0
	;; [unrolled: 10-line block ×6, first 2 shown]
	v_xor_b32_e32 v1, v112, v9
	v_xor_b32_e32 v3, v113, v7
	;; [unrolled: 1-line block ×4, first 2 shown]
	s_mov_b32 s0, 0xf1bbcdc8
	v_add_co_u32_e32 v102, vcc, s0, v72
	v_add_co_u32_e32 v114, vcc, s10, v2
	v_mad_u64_u32 v[2:3], s[0:1], v1, s11, 0
	v_mad_u64_u32 v[0:1], s[0:1], v0, s8, 0
	v_xor_b32_e32 v1, v102, v1
	v_xor_b32_e32 v3, v114, v3
	;; [unrolled: 1-line block ×4, first 2 shown]
	v_mad_u64_u32 v[6:7], s[0:1], v1, s11, 0
	v_mad_u64_u32 v[8:9], s[0:1], v8, s8, 0
	s_mov_b32 s0, 0
	v_add_u32_e32 v105, 0x8ff34781, v72
	v_add_u32_e32 v95, 0x96a522ad, v73
	v_xor_b32_e32 v0, v9, v0
	v_xor_b32_e32 v2, v7, v2
	s_mov_b32 s1, 0x40500000
	v_mov_b32_e32 v3, v6
	v_mov_b32_e32 v1, v8
	v_xor_b32_e32 v0, v105, v0
	v_xor_b32_e32 v2, v95, v2
	v_cmp_ngt_f64_e32 vcc, s[0:1], v[4:5]
                                        ; implicit-def: $vgpr75
	s_and_saveexec_b64 s[0:1], vcc
	s_xor_b64 s[18:19], exec, s[0:1]
	s_cbranch_execz .LBB59_42
; %bb.14:                               ;   in Loop: Header=BB59_5 Depth=1
	s_mov_b32 s0, 0
	s_mov_b32 s1, 0x40af4000
	v_cmp_ge_f64_e32 vcc, s[0:1], v[4:5]
                                        ; implicit-def: $vgpr75
	s_and_saveexec_b64 s[0:1], vcc
	s_xor_b64 s[6:7], exec, s[0:1]
	s_cbranch_execz .LBB59_29
; %bb.15:                               ;   in Loop: Header=BB59_5 Depth=1
	s_mov_b32 s14, 0xae147ae1
	s_mov_b32 s15, 0xc00ae147
	v_div_scale_f64 v[6:7], s[0:1], v[4:5], v[4:5], s[14:15]
	v_rcp_f64_e32 v[8:9], v[6:7]
	s_mov_b32 s0, 0
	v_mul_f64 v[76:77], v[4:5], s[28:29]
	s_brev_b32 s1, 8
	v_cmp_gt_f64_e64 s[2:3], s[0:1], v[76:77]
	v_cndmask_b32_e64 v78, 0, 1, s[2:3]
	v_fma_f64 v[74:75], -v[6:7], v[8:9], 1.0
	v_lshlrev_b32_e32 v78, 8, v78
	v_fmac_f64_e32 v[8:9], v[8:9], v[74:75]
	v_ldexp_f64 v[76:77], v[76:77], v78
	v_fma_f64 v[74:75], -v[6:7], v[8:9], 1.0
	v_rsq_f64_e32 v[78:79], v[76:77]
	v_div_scale_f64 v[10:11], vcc, s[14:15], v[4:5], s[14:15]
	v_fmac_f64_e32 v[8:9], v[8:9], v[74:75]
	v_mul_f64 v[74:75], v[10:11], v[8:9]
	v_fma_f64 v[6:7], -v[6:7], v[74:75], v[10:11]
	s_nop 0
	v_div_fmas_f64 v[6:7], v[6:7], v[8:9], v[74:75]
	v_mul_f64 v[8:9], v[76:77], v[78:79]
	v_mul_f64 v[10:11], v[78:79], 0.5
	v_fma_f64 v[74:75], -v[10:11], v[8:9], 0.5
	v_fmac_f64_e32 v[8:9], v[8:9], v[74:75]
	v_fma_f64 v[78:79], -v[8:9], v[8:9], v[76:77]
	v_fmac_f64_e32 v[10:11], v[10:11], v[74:75]
	v_fmac_f64_e32 v[8:9], v[78:79], v[10:11]
	v_fma_f64 v[74:75], -v[8:9], v[8:9], v[76:77]
	v_fmac_f64_e32 v[8:9], v[74:75], v[10:11]
	v_cndmask_b32_e64 v10, 0, v89, s[2:3]
	v_ldexp_f64 v[8:9], v[8:9], v10
	v_cmp_class_f64_e32 vcc, v[76:77], v88
	s_mov_b32 s2, 0x54442d18
	v_cndmask_b32_e32 v9, v9, v77, vcc
	v_cndmask_b32_e32 v8, v8, v76, vcc
	s_mov_b32 s3, 0x400921fb
	v_div_scale_f64 v[10:11], s[0:1], v[8:9], v[8:9], s[2:3]
	v_rcp_f64_e32 v[76:77], v[10:11]
	s_mov_b32 s0, 0x95810625
	v_div_fixup_f64 v[6:7], v[6:7], v[4:5], s[14:15]
	s_mov_b32 s1, 0x3fe88b43
	v_fma_f64 v[78:79], -v[10:11], v[76:77], 1.0
	v_fmac_f64_e32 v[76:77], v[76:77], v[78:79]
	v_fma_f64 v[78:79], -v[10:11], v[76:77], 1.0
	v_fmac_f64_e32 v[76:77], v[76:77], v[78:79]
	v_div_scale_f64 v[78:79], vcc, s[2:3], v[8:9], s[2:3]
	v_mul_f64 v[80:81], v[78:79], v[76:77]
	v_fma_f64 v[10:11], -v[10:11], v[80:81], v[78:79]
	v_add_f64 v[6:7], v[6:7], s[0:1]
	s_nop 0
	v_div_fmas_f64 v[10:11], v[10:11], v[76:77], v[80:81]
	v_div_fixup_f64 v[76:77], v[10:11], v[8:9], s[2:3]
	v_frexp_mant_f64_e32 v[8:9], v[6:7]
	v_cmp_gt_f64_e32 vcc, s[36:37], v[8:9]
	v_mov_b32_e32 v74, 0
	v_cndmask_b32_e64 v75, v90, 2.0, vcc
	v_frexp_exp_i32_f64_e32 v10, v[6:7]
	v_mul_f64 v[8:9], v[8:9], v[74:75]
	v_subbrev_co_u32_e32 v75, vcc, 0, v10, vcc
	v_add_f64 v[10:11], v[8:9], 1.0
	v_rcp_f64_e32 v[80:81], v[10:11]
	v_add_f64 v[84:85], v[10:11], -1.0
	v_add_f64 v[82:83], v[8:9], -1.0
	v_add_f64 v[8:9], v[8:9], -v[84:85]
	v_fma_f64 v[84:85], -v[10:11], v[80:81], 1.0
	v_fmac_f64_e32 v[80:81], v[84:85], v[80:81]
	v_fma_f64 v[84:85], -v[10:11], v[80:81], 1.0
	v_fmac_f64_e32 v[80:81], v[84:85], v[80:81]
	v_mul_f64 v[84:85], v[82:83], v[80:81]
	v_mul_f64 v[86:87], v[10:11], v[84:85]
	v_fma_f64 v[10:11], v[84:85], v[10:11], -v[86:87]
	v_fmac_f64_e32 v[10:11], v[84:85], v[8:9]
	v_add_f64 v[8:9], v[86:87], v[10:11]
	v_add_f64 v[116:117], v[82:83], -v[8:9]
	v_add_f64 v[86:87], v[8:9], -v[86:87]
	;; [unrolled: 1-line block ×5, first 2 shown]
	v_add_f64 v[8:9], v[10:11], v[8:9]
	v_add_f64 v[8:9], v[116:117], v[8:9]
	v_mul_f64 v[8:9], v[80:81], v[8:9]
	v_add_f64 v[10:11], v[84:85], v[8:9]
	v_add_f64 v[80:81], v[10:11], -v[84:85]
	v_add_f64 v[8:9], v[8:9], -v[80:81]
	v_mul_f64 v[80:81], v[10:11], v[10:11]
	v_pk_mov_b32 v[82:83], s[38:39], s[38:39] op_sel:[0,1]
	v_fma_f64 v[84:85], s[40:41], v[80:81], v[82:83]
	v_fma_f64 v[84:85], v[80:81], v[84:85], s[42:43]
	;; [unrolled: 1-line block ×5, first 2 shown]
	s_mov_b32 s51, s37
	v_fma_f64 v[84:85], v[80:81], v[84:85], s[50:51]
	v_ldexp_f64 v[86:87], v[10:11], 1
	v_mul_f64 v[10:11], v[10:11], v[80:81]
	v_mul_f64 v[10:11], v[10:11], v[84:85]
	v_add_f64 v[80:81], v[86:87], v[10:11]
	v_add_f64 v[84:85], v[80:81], -v[86:87]
	v_ldexp_f64 v[8:9], v[8:9], 1
	v_add_f64 v[10:11], v[10:11], -v[84:85]
	v_add_f64 v[8:9], v[8:9], v[10:11]
	v_add_f64 v[10:11], v[80:81], v[8:9]
	v_add_f64 v[80:81], v[10:11], -v[80:81]
	v_add_f64 v[8:9], v[8:9], -v[80:81]
	v_cvt_f64_i32_e32 v[80:81], v75
	v_mul_f64 v[84:85], v[80:81], s[52:53]
	v_fma_f64 v[86:87], v[80:81], s[52:53], -v[84:85]
	v_fmac_f64_e32 v[86:87], s[54:55], v[80:81]
	v_add_f64 v[80:81], v[84:85], v[86:87]
	v_add_f64 v[84:85], v[80:81], -v[84:85]
	v_add_f64 v[84:85], v[86:87], -v[84:85]
	v_add_f64 v[86:87], v[80:81], v[10:11]
	v_add_f64 v[116:117], v[86:87], -v[80:81]
	v_add_f64 v[118:119], v[86:87], -v[116:117]
	;; [unrolled: 1-line block ×4, first 2 shown]
	v_add_f64 v[10:11], v[10:11], v[80:81]
	v_add_f64 v[80:81], v[84:85], v[8:9]
	v_add_f64 v[116:117], v[80:81], -v[84:85]
	v_add_f64 v[118:119], v[80:81], -v[116:117]
	v_add_f64 v[10:11], v[80:81], v[10:11]
	v_add_f64 v[84:85], v[84:85], -v[118:119]
	v_add_f64 v[8:9], v[8:9], -v[116:117]
	v_add_f64 v[80:81], v[86:87], v[10:11]
	v_add_f64 v[8:9], v[8:9], v[84:85]
	v_add_f64 v[84:85], v[80:81], -v[86:87]
	v_add_f64 v[10:11], v[10:11], -v[84:85]
	v_add_f64 v[8:9], v[8:9], v[10:11]
	v_add_f64 v[8:9], v[80:81], v[8:9]
	v_cmp_class_f64_e64 vcc, v[6:7], s9
	v_cndmask_b32_e32 v8, v8, v6, vcc
	v_cndmask_b32_e32 v9, v9, v7, vcc
	v_cmp_ngt_f64_e32 vcc, 0, v[6:7]
	v_cndmask_b32_e32 v9, v91, v9, vcc
	v_cmp_nge_f64_e32 vcc, 0, v[6:7]
	v_cndmask_b32_e32 v8, 0, v8, vcc
	v_cmp_neq_f64_e32 vcc, 0, v[6:7]
	v_cndmask_b32_e32 v9, v92, v9, vcc
	v_add_f64 v[6:7], v[8:9], -v[4:5]
	v_frexp_mant_f64_e32 v[8:9], v[76:77]
	v_cmp_gt_f64_e32 vcc, s[36:37], v[8:9]
	v_cndmask_b32_e64 v75, v90, 2.0, vcc
	v_frexp_exp_i32_f64_e32 v10, v[76:77]
	v_mul_f64 v[8:9], v[8:9], v[74:75]
	v_subbrev_co_u32_e32 v75, vcc, 0, v10, vcc
	v_add_f64 v[10:11], v[8:9], 1.0
	v_rcp_f64_e32 v[80:81], v[10:11]
	v_add_f64 v[86:87], v[10:11], -1.0
	v_add_f64 v[84:85], v[8:9], -1.0
	v_add_f64 v[8:9], v[8:9], -v[86:87]
	v_fma_f64 v[86:87], -v[10:11], v[80:81], 1.0
	v_fmac_f64_e32 v[80:81], v[86:87], v[80:81]
	v_fma_f64 v[86:87], -v[10:11], v[80:81], 1.0
	v_fmac_f64_e32 v[80:81], v[86:87], v[80:81]
	v_mul_f64 v[86:87], v[84:85], v[80:81]
	v_mul_f64 v[116:117], v[10:11], v[86:87]
	v_fma_f64 v[10:11], v[86:87], v[10:11], -v[116:117]
	v_fmac_f64_e32 v[10:11], v[86:87], v[8:9]
	v_add_f64 v[8:9], v[116:117], v[10:11]
	v_add_f64 v[118:119], v[84:85], -v[8:9]
	v_add_f64 v[116:117], v[8:9], -v[116:117]
	;; [unrolled: 1-line block ×5, first 2 shown]
	v_add_f64 v[8:9], v[10:11], v[8:9]
	v_add_f64 v[8:9], v[118:119], v[8:9]
	v_mul_f64 v[8:9], v[80:81], v[8:9]
	v_add_f64 v[10:11], v[86:87], v[8:9]
	v_add_f64 v[80:81], v[10:11], -v[86:87]
	v_add_f64 v[8:9], v[8:9], -v[80:81]
	v_mul_f64 v[80:81], v[10:11], v[10:11]
	v_fma_f64 v[84:85], s[40:41], v[80:81], v[82:83]
	v_fma_f64 v[84:85], v[80:81], v[84:85], s[42:43]
	;; [unrolled: 1-line block ×6, first 2 shown]
	v_ldexp_f64 v[86:87], v[10:11], 1
	v_mul_f64 v[10:11], v[10:11], v[80:81]
	v_mul_f64 v[10:11], v[10:11], v[84:85]
	v_add_f64 v[80:81], v[86:87], v[10:11]
	v_add_f64 v[84:85], v[80:81], -v[86:87]
	v_ldexp_f64 v[8:9], v[8:9], 1
	v_add_f64 v[10:11], v[10:11], -v[84:85]
	v_add_f64 v[8:9], v[8:9], v[10:11]
	v_add_f64 v[10:11], v[80:81], v[8:9]
	v_add_f64 v[80:81], v[10:11], -v[80:81]
	v_add_f64 v[8:9], v[8:9], -v[80:81]
	v_cvt_f64_i32_e32 v[80:81], v75
	v_mul_f64 v[84:85], v[80:81], s[52:53]
	v_fma_f64 v[86:87], v[80:81], s[52:53], -v[84:85]
	v_fmac_f64_e32 v[86:87], s[54:55], v[80:81]
	v_add_f64 v[80:81], v[84:85], v[86:87]
	v_add_f64 v[84:85], v[80:81], -v[84:85]
	v_add_f64 v[84:85], v[86:87], -v[84:85]
	v_add_f64 v[86:87], v[80:81], v[10:11]
	v_add_f64 v[116:117], v[86:87], -v[80:81]
	v_add_f64 v[118:119], v[86:87], -v[116:117]
	;; [unrolled: 1-line block ×4, first 2 shown]
	v_add_f64 v[10:11], v[10:11], v[80:81]
	v_add_f64 v[80:81], v[84:85], v[8:9]
	v_add_f64 v[116:117], v[80:81], -v[84:85]
	v_add_f64 v[118:119], v[80:81], -v[116:117]
	v_add_f64 v[10:11], v[80:81], v[10:11]
	v_add_f64 v[84:85], v[84:85], -v[118:119]
	v_add_f64 v[8:9], v[8:9], -v[116:117]
	v_add_f64 v[80:81], v[86:87], v[10:11]
	v_add_f64 v[8:9], v[8:9], v[84:85]
	v_add_f64 v[84:85], v[80:81], -v[86:87]
	v_add_f64 v[10:11], v[10:11], -v[84:85]
	s_mov_b32 s0, 0
	v_add_f64 v[8:9], v[8:9], v[10:11]
	s_mov_b32 s1, 0x7ff00000
	v_add_f64 v[8:9], v[80:81], v[8:9]
	v_cmp_eq_f64_e32 vcc, s[0:1], v[76:77]
	v_cndmask_b32_e32 v8, v8, v76, vcc
	v_cndmask_b32_e32 v9, v9, v77, vcc
	v_cmp_neq_f64_e32 vcc, 0, v[76:77]
	v_cndmask_b32_e32 v9, v92, v9, vcc
	v_cndmask_b32_e32 v8, 0, v8, vcc
	v_mul_f64 v[78:79], v[4:5], v[76:77]
	v_add_f64 v[80:81], v[6:7], -v[8:9]
	v_frexp_exp_i32_f64_e32 v6, v[4:5]
	v_frexp_mant_f64_e32 v[4:5], v[4:5]
	v_cmp_gt_f64_e32 vcc, s[36:37], v[4:5]
	v_cndmask_b32_e64 v75, v90, 2.0, vcc
	v_mul_f64 v[4:5], v[4:5], v[74:75]
	v_subbrev_co_u32_e32 v75, vcc, 0, v6, vcc
	v_add_f64 v[6:7], v[4:5], 1.0
	v_rcp_f64_e32 v[8:9], v[6:7]
	v_add_f64 v[84:85], v[6:7], -1.0
	v_add_f64 v[10:11], v[4:5], -1.0
	v_add_f64 v[4:5], v[4:5], -v[84:85]
	v_fma_f64 v[84:85], -v[6:7], v[8:9], 1.0
	v_fmac_f64_e32 v[8:9], v[84:85], v[8:9]
	v_fma_f64 v[84:85], -v[6:7], v[8:9], 1.0
	v_fmac_f64_e32 v[8:9], v[84:85], v[8:9]
	v_mul_f64 v[84:85], v[10:11], v[8:9]
	v_mul_f64 v[86:87], v[6:7], v[84:85]
	v_fma_f64 v[6:7], v[84:85], v[6:7], -v[86:87]
	v_fmac_f64_e32 v[6:7], v[84:85], v[4:5]
	v_add_f64 v[4:5], v[86:87], v[6:7]
	v_add_f64 v[116:117], v[10:11], -v[4:5]
	v_add_f64 v[86:87], v[4:5], -v[86:87]
	;; [unrolled: 1-line block ×5, first 2 shown]
	v_add_f64 v[4:5], v[6:7], v[4:5]
	v_add_f64 v[4:5], v[116:117], v[4:5]
	v_mul_f64 v[4:5], v[8:9], v[4:5]
	v_add_f64 v[6:7], v[84:85], v[4:5]
	v_add_f64 v[8:9], v[6:7], -v[84:85]
	v_add_f64 v[4:5], v[4:5], -v[8:9]
	v_mul_f64 v[8:9], v[6:7], v[6:7]
	v_fmac_f64_e32 v[82:83], s[40:41], v[8:9]
	v_fma_f64 v[10:11], v[8:9], v[82:83], s[42:43]
	v_fma_f64 v[10:11], v[8:9], v[10:11], s[44:45]
	;; [unrolled: 1-line block ×5, first 2 shown]
	v_ldexp_f64 v[82:83], v[6:7], 1
	v_mul_f64 v[6:7], v[6:7], v[8:9]
	v_mul_f64 v[6:7], v[6:7], v[10:11]
	v_add_f64 v[8:9], v[82:83], v[6:7]
	v_add_f64 v[10:11], v[8:9], -v[82:83]
	v_ldexp_f64 v[4:5], v[4:5], 1
	v_add_f64 v[6:7], v[6:7], -v[10:11]
	v_add_f64 v[4:5], v[4:5], v[6:7]
	v_add_f64 v[6:7], v[8:9], v[4:5]
	v_add_f64 v[8:9], v[6:7], -v[8:9]
	v_add_f64 v[4:5], v[4:5], -v[8:9]
	v_cvt_f64_i32_e32 v[8:9], v75
	v_mul_f64 v[10:11], v[8:9], s[52:53]
	v_fma_f64 v[82:83], v[8:9], s[52:53], -v[10:11]
	v_fmac_f64_e32 v[82:83], s[54:55], v[8:9]
	v_add_f64 v[8:9], v[10:11], v[82:83]
	v_add_f64 v[10:11], v[8:9], -v[10:11]
	v_add_f64 v[10:11], v[82:83], -v[10:11]
	v_add_f64 v[82:83], v[8:9], v[6:7]
	v_add_f64 v[84:85], v[82:83], -v[8:9]
	v_add_f64 v[86:87], v[82:83], -v[84:85]
	;; [unrolled: 1-line block ×4, first 2 shown]
	v_add_f64 v[6:7], v[6:7], v[8:9]
	v_add_f64 v[8:9], v[10:11], v[4:5]
	v_add_f64 v[84:85], v[8:9], -v[10:11]
	v_add_f64 v[86:87], v[8:9], -v[84:85]
	v_add_f64 v[6:7], v[8:9], v[6:7]
	v_add_f64 v[10:11], v[10:11], -v[86:87]
	v_add_f64 v[4:5], v[4:5], -v[84:85]
	v_add_f64 v[8:9], v[82:83], v[6:7]
	v_add_f64 v[4:5], v[4:5], v[10:11]
	v_add_f64 v[10:11], v[8:9], -v[82:83]
	v_add_f64 v[6:7], v[6:7], -v[10:11]
	v_add_f64 v[4:5], v[4:5], v[6:7]
	v_add_f64 v[82:83], v[8:9], v[4:5]
	s_mov_b64 s[14:15], 0
	s_mov_b64 s[16:17], 0
	v_mov_b32_e32 v115, v17
                                        ; implicit-def: $vgpr75
.LBB59_16:                              ;   Parent Loop BB59_5 Depth=1
                                        ; =>  This Inner Loop Header: Depth=2
	v_add_u32_e32 v116, 1, v15
	v_pk_mov_b32 v[10:11], v[2:3], v[2:3] op_sel:[0,1]
	v_cmp_eq_u32_e32 vcc, 4, v116
	v_pk_mov_b32 v[8:9], v[0:1], v[0:1] op_sel:[0,1]
	v_mov_b32_e32 v87, v0
	v_mov_b32_e32 v86, v1
	;; [unrolled: 1-line block ×4, first 2 shown]
	s_and_saveexec_b64 s[0:1], vcc
	s_cbranch_execz .LBB59_18
; %bb.17:                               ;   in Loop: Header=BB59_16 Depth=2
	v_add_co_u32_e32 v96, vcc, 1, v96
	v_cndmask_b32_e64 v4, 0, 1, vcc
	v_addc_co_u32_e32 v97, vcc, 0, v97, vcc
	v_cmp_eq_u32_e32 vcc, 0, v97
	v_cndmask_b32_e32 v4, 0, v4, vcc
	v_add_u32_e32 v115, v4, v115
	v_cmp_eq_u32_e32 vcc, 0, v115
	v_cndmask_b32_e32 v4, 0, v4, vcc
	v_add_u32_e32 v74, v4, v74
	v_mad_u64_u32 v[4:5], s[2:3], v96, s11, 0
	v_mad_u64_u32 v[6:7], s[2:3], v115, s8, 0
	v_xor_b32_e32 v5, v5, v73
	v_xor_b32_e32 v7, v7, v72
	v_xor_b32_e32 v5, v74, v5
	v_xor_b32_e32 v7, v97, v7
	v_mad_u64_u32 v[10:11], s[2:3], v5, s8, 0
	v_mad_u64_u32 v[8:9], s[2:3], v7, s11, 0
	v_xor_b32_e32 v5, v98, v11
	v_xor_b32_e32 v5, v5, v6
	v_xor_b32_e32 v6, v99, v9
	v_xor_b32_e32 v6, v6, v4
	;; [unrolled: 6-line block ×10, first 2 shown]
	v_mov_b32_e32 v116, 0
	v_mov_b32_e32 v9, v86
	;; [unrolled: 1-line block ×5, first 2 shown]
.LBB59_18:                              ;   in Loop: Header=BB59_16 Depth=2
	s_or_b64 exec, exec, s[0:1]
	v_add_u32_e32 v117, 1, v116
	v_pk_mov_b32 v[4:5], v[8:9], v[8:9] op_sel:[0,1]
	v_cmp_eq_u32_e32 vcc, 4, v117
	v_pk_mov_b32 v[6:7], v[10:11], v[10:11] op_sel:[0,1]
	s_and_saveexec_b64 s[0:1], vcc
	s_cbranch_execz .LBB59_20
; %bb.19:                               ;   in Loop: Header=BB59_16 Depth=2
	v_add_co_u32_e32 v96, vcc, 1, v96
	v_cndmask_b32_e64 v4, 0, 1, vcc
	v_addc_co_u32_e32 v97, vcc, 0, v97, vcc
	v_cmp_eq_u32_e32 vcc, 0, v97
	v_cndmask_b32_e32 v4, 0, v4, vcc
	v_add_u32_e32 v115, v4, v115
	v_cmp_eq_u32_e32 vcc, 0, v115
	v_cndmask_b32_e32 v4, 0, v4, vcc
	v_add_u32_e32 v74, v4, v74
	v_mad_u64_u32 v[4:5], s[2:3], v96, s11, 0
	v_mad_u64_u32 v[6:7], s[2:3], v115, s8, 0
	v_xor_b32_e32 v5, v5, v73
	v_xor_b32_e32 v7, v7, v72
	v_xor_b32_e32 v5, v74, v5
	v_xor_b32_e32 v7, v97, v7
	v_mad_u64_u32 v[86:87], s[2:3], v5, s8, 0
	v_mad_u64_u32 v[84:85], s[2:3], v7, s11, 0
	v_xor_b32_e32 v5, v98, v87
	v_xor_b32_e32 v5, v5, v6
	v_xor_b32_e32 v6, v99, v85
	v_xor_b32_e32 v6, v6, v4
	;; [unrolled: 6-line block ×10, first 2 shown]
	v_mov_b32_e32 v117, 0
	v_mov_b32_e32 v5, v86
	;; [unrolled: 1-line block ×5, first 2 shown]
.LBB59_20:                              ;   in Loop: Header=BB59_16 Depth=2
	s_or_b64 exec, exec, s[0:1]
	v_cmp_eq_u32_e32 vcc, 1, v15
	v_cndmask_b32_e32 v0, v0, v1, vcc
	v_cmp_eq_u32_e32 vcc, 2, v15
	v_cndmask_b32_e32 v0, v0, v2, vcc
	;; [unrolled: 2-line block ×6, first 2 shown]
	v_lshrrev_b32_e32 v0, 11, v0
	v_cvt_f64_u32_e32 v[0:1], v0
	v_ldexp_f64 v[0:1], v[0:1], 32
	v_cvt_f64_u32_e32 v[2:3], v2
	v_add_f64 v[0:1], v[0:1], v[2:3]
	v_mov_b32_e32 v2, 0
	v_mov_b32_e32 v3, 0x3ca00000
	v_fmac_f64_e32 v[2:3], 0x3ca00000, v[0:1]
	v_add_f64 v[0:1], -v[2:3], 1.0
	v_div_scale_f64 v[8:9], s[0:1], v[2:3], v[2:3], v[0:1]
	v_rcp_f64_e32 v[10:11], v[8:9]
	v_fma_f64 v[118:119], -v[8:9], v[10:11], 1.0
	v_fmac_f64_e32 v[10:11], v[10:11], v[118:119]
	v_fma_f64 v[118:119], -v[8:9], v[10:11], 1.0
	v_fmac_f64_e32 v[10:11], v[10:11], v[118:119]
	v_div_scale_f64 v[118:119], vcc, v[0:1], v[2:3], v[0:1]
	v_mul_f64 v[120:121], v[118:119], v[10:11]
	v_fma_f64 v[8:9], -v[8:9], v[120:121], v[118:119]
	s_nop 1
	v_div_fmas_f64 v[8:9], v[8:9], v[10:11], v[120:121]
	v_div_fixup_f64 v[0:1], v[8:9], v[2:3], v[0:1]
	v_frexp_mant_f64_e32 v[2:3], v[0:1]
	v_cmp_gt_f64_e32 vcc, s[36:37], v[2:3]
	v_cndmask_b32_e64 v15, v90, 2.0, vcc
	v_frexp_exp_i32_f64_e32 v8, v[0:1]
	v_mul_f64 v[2:3], v[2:3], v[14:15]
	v_subbrev_co_u32_e32 v15, vcc, 0, v8, vcc
	v_add_f64 v[8:9], v[2:3], 1.0
	v_rcp_f64_e32 v[10:11], v[8:9]
	v_add_f64 v[120:121], v[8:9], -1.0
	v_add_f64 v[118:119], v[2:3], -1.0
	v_add_f64 v[2:3], v[2:3], -v[120:121]
	v_fma_f64 v[120:121], -v[8:9], v[10:11], 1.0
	v_fmac_f64_e32 v[10:11], v[120:121], v[10:11]
	v_fma_f64 v[120:121], -v[8:9], v[10:11], 1.0
	v_fmac_f64_e32 v[10:11], v[120:121], v[10:11]
	v_mul_f64 v[120:121], v[118:119], v[10:11]
	v_mul_f64 v[122:123], v[8:9], v[120:121]
	v_fma_f64 v[8:9], v[120:121], v[8:9], -v[122:123]
	v_fmac_f64_e32 v[8:9], v[120:121], v[2:3]
	v_add_f64 v[2:3], v[122:123], v[8:9]
	v_add_f64 v[124:125], v[118:119], -v[2:3]
	v_add_f64 v[122:123], v[2:3], -v[122:123]
	;; [unrolled: 1-line block ×5, first 2 shown]
	v_add_f64 v[2:3], v[8:9], v[2:3]
	v_add_f64 v[2:3], v[124:125], v[2:3]
	v_mul_f64 v[2:3], v[10:11], v[2:3]
	v_add_f64 v[8:9], v[120:121], v[2:3]
	v_add_f64 v[10:11], v[8:9], -v[120:121]
	v_add_f64 v[2:3], v[2:3], -v[10:11]
	v_mul_f64 v[10:11], v[8:9], v[8:9]
	v_pk_mov_b32 v[118:119], v[18:19], v[18:19] op_sel:[0,1]
	v_fmac_f64_e32 v[118:119], s[40:41], v[10:11]
	v_pk_mov_b32 v[120:121], v[20:21], v[20:21] op_sel:[0,1]
	v_fmac_f64_e32 v[120:121], v[10:11], v[118:119]
	v_pk_mov_b32 v[118:119], v[22:23], v[22:23] op_sel:[0,1]
	v_fmac_f64_e32 v[118:119], v[10:11], v[120:121]
	v_pk_mov_b32 v[120:121], v[24:25], v[24:25] op_sel:[0,1]
	v_fmac_f64_e32 v[120:121], v[10:11], v[118:119]
	v_pk_mov_b32 v[118:119], v[26:27], v[26:27] op_sel:[0,1]
	v_fmac_f64_e32 v[118:119], v[10:11], v[120:121]
	v_pk_mov_b32 v[120:121], v[28:29], v[28:29] op_sel:[0,1]
	v_fmac_f64_e32 v[120:121], v[10:11], v[118:119]
	v_ldexp_f64 v[118:119], v[8:9], 1
	v_mul_f64 v[8:9], v[8:9], v[10:11]
	v_mul_f64 v[8:9], v[8:9], v[120:121]
	v_add_f64 v[10:11], v[118:119], v[8:9]
	v_add_f64 v[118:119], v[10:11], -v[118:119]
	v_ldexp_f64 v[2:3], v[2:3], 1
	v_add_f64 v[8:9], v[8:9], -v[118:119]
	v_add_f64 v[2:3], v[2:3], v[8:9]
	v_add_f64 v[8:9], v[10:11], v[2:3]
	v_add_f64 v[10:11], v[8:9], -v[10:11]
	v_add_f64 v[2:3], v[2:3], -v[10:11]
	v_cvt_f64_i32_e32 v[10:11], v15
	v_mul_f64 v[118:119], v[10:11], s[52:53]
	v_fma_f64 v[120:121], v[10:11], s[52:53], -v[118:119]
	v_fmac_f64_e32 v[120:121], s[54:55], v[10:11]
	v_add_f64 v[10:11], v[118:119], v[120:121]
	v_add_f64 v[118:119], v[10:11], -v[118:119]
	v_add_f64 v[118:119], v[120:121], -v[118:119]
	v_add_f64 v[120:121], v[10:11], v[8:9]
	v_add_f64 v[122:123], v[120:121], -v[10:11]
	v_add_f64 v[124:125], v[120:121], -v[122:123]
	;; [unrolled: 1-line block ×4, first 2 shown]
	v_add_f64 v[8:9], v[8:9], v[10:11]
	v_add_f64 v[10:11], v[118:119], v[2:3]
	v_add_f64 v[122:123], v[10:11], -v[118:119]
	v_add_f64 v[124:125], v[10:11], -v[122:123]
	v_add_f64 v[8:9], v[10:11], v[8:9]
	v_add_f64 v[118:119], v[118:119], -v[124:125]
	v_add_f64 v[2:3], v[2:3], -v[122:123]
	v_add_f64 v[10:11], v[120:121], v[8:9]
	v_add_f64 v[2:3], v[2:3], v[118:119]
	v_add_f64 v[118:119], v[10:11], -v[120:121]
	v_add_f64 v[8:9], v[8:9], -v[118:119]
	v_add_f64 v[2:3], v[2:3], v[8:9]
	v_add_f64 v[2:3], v[10:11], v[2:3]
	v_cmp_class_f64_e64 vcc, v[0:1], s9
	v_cndmask_b32_e32 v2, v2, v0, vcc
	v_cndmask_b32_e32 v3, v3, v1, vcc
	v_cmp_ngt_f64_e32 vcc, 0, v[0:1]
	v_cndmask_b32_e32 v3, v91, v3, vcc
	v_cmp_nge_f64_e32 vcc, 0, v[0:1]
	v_cndmask_b32_e32 v2, 0, v2, vcc
	v_cmp_neq_f64_e32 vcc, 0, v[0:1]
	v_cndmask_b32_e32 v3, v92, v3, vcc
	v_add_f64 v[0:1], v[78:79], -v[2:3]
	v_div_scale_f64 v[2:3], s[0:1], v[76:77], v[76:77], v[0:1]
	v_rcp_f64_e32 v[8:9], v[2:3]
	v_fma_f64 v[10:11], -v[2:3], v[8:9], 1.0
	v_fmac_f64_e32 v[8:9], v[8:9], v[10:11]
	v_fma_f64 v[10:11], -v[2:3], v[8:9], 1.0
	v_fmac_f64_e32 v[8:9], v[8:9], v[10:11]
	v_div_scale_f64 v[10:11], vcc, v[0:1], v[76:77], v[0:1]
	v_mul_f64 v[118:119], v[10:11], v[8:9]
	v_fma_f64 v[2:3], -v[2:3], v[118:119], v[10:11]
	s_nop 1
	v_div_fmas_f64 v[2:3], v[2:3], v[8:9], v[118:119]
	v_div_fixup_f64 v[10:11], v[2:3], v[76:77], v[0:1]
	v_add_f64 v[0:1], v[10:11], 0.5
	v_floor_f64_e32 v[8:9], v[0:1]
	v_cmp_ngt_f64_e32 vcc, 0, v[8:9]
	v_mov_b32_e32 v118, 2
	s_and_saveexec_b64 s[0:1], vcc
	s_cbranch_execz .LBB59_26
; %bb.21:                               ;   in Loop: Header=BB59_16 Depth=2
	v_add_u32_e32 v15, 1, v117
	v_pk_mov_b32 v[0:1], v[4:5], v[4:5] op_sel:[0,1]
	v_cmp_eq_u32_e32 vcc, 4, v15
	v_pk_mov_b32 v[2:3], v[6:7], v[6:7] op_sel:[0,1]
	s_and_saveexec_b64 s[2:3], vcc
	s_cbranch_execz .LBB59_23
; %bb.22:                               ;   in Loop: Header=BB59_16 Depth=2
	v_add_co_u32_e32 v96, vcc, 1, v96
	v_cndmask_b32_e64 v0, 0, 1, vcc
	v_addc_co_u32_e32 v97, vcc, 0, v97, vcc
	v_cmp_eq_u32_e32 vcc, 0, v97
	v_cndmask_b32_e32 v0, 0, v0, vcc
	v_add_u32_e32 v115, v0, v115
	v_cmp_eq_u32_e32 vcc, 0, v115
	v_cndmask_b32_e32 v0, 0, v0, vcc
	v_add_u32_e32 v74, v0, v74
	v_mad_u64_u32 v[0:1], vcc, v96, s11, 0
	v_mad_u64_u32 v[2:3], vcc, v115, s8, 0
	v_xor_b32_e32 v1, v1, v73
	v_xor_b32_e32 v3, v3, v72
	v_xor_b32_e32 v1, v74, v1
	v_xor_b32_e32 v3, v97, v3
	v_mad_u64_u32 v[86:87], vcc, v1, s8, 0
	v_mad_u64_u32 v[84:85], vcc, v3, s11, 0
	v_xor_b32_e32 v1, v98, v87
	v_xor_b32_e32 v1, v1, v2
	v_xor_b32_e32 v2, v99, v85
	v_xor_b32_e32 v2, v2, v0
	;; [unrolled: 6-line block ×10, first 2 shown]
	v_mov_b32_e32 v15, 0
	v_mov_b32_e32 v1, v86
	;; [unrolled: 1-line block ×5, first 2 shown]
.LBB59_23:                              ;   in Loop: Header=BB59_16 Depth=2
	s_or_b64 exec, exec, s[2:3]
	v_add_u32_e32 v116, 1, v15
	v_cmp_eq_u32_e32 vcc, 4, v116
	s_and_saveexec_b64 s[2:3], vcc
	s_cbranch_execz .LBB59_25
; %bb.24:                               ;   in Loop: Header=BB59_16 Depth=2
	v_add_co_u32_e32 v96, vcc, 1, v96
	v_cndmask_b32_e64 v84, 0, 1, vcc
	v_addc_co_u32_e32 v97, vcc, 0, v97, vcc
	v_cmp_eq_u32_e32 vcc, 0, v97
	v_cndmask_b32_e32 v84, 0, v84, vcc
	v_add_u32_e32 v115, v84, v115
	v_cmp_eq_u32_e32 vcc, 0, v115
	v_cndmask_b32_e32 v84, 0, v84, vcc
	v_add_u32_e32 v74, v84, v74
	v_mad_u64_u32 v[84:85], vcc, v96, s11, 0
	v_mad_u64_u32 v[86:87], vcc, v115, s8, 0
	v_xor_b32_e32 v85, v85, v73
	v_xor_b32_e32 v87, v87, v72
	v_xor_b32_e32 v85, v74, v85
	v_xor_b32_e32 v87, v97, v87
	v_mad_u64_u32 v[120:121], vcc, v85, s8, 0
	v_mad_u64_u32 v[118:119], vcc, v87, s11, 0
	v_xor_b32_e32 v85, v98, v121
	v_xor_b32_e32 v85, v85, v86
	v_xor_b32_e32 v86, v99, v119
	v_xor_b32_e32 v86, v86, v84
	;; [unrolled: 6-line block ×9, first 2 shown]
	v_mad_u64_u32 v[84:85], vcc, v84, s11, 0
	v_mad_u64_u32 v[86:87], vcc, v86, s8, 0
	v_xor_b32_e32 v87, v87, v124
	v_xor_b32_e32 v85, v85, v122
	v_mov_b32_e32 v116, 0
	v_xor_b32_e32 v87, v105, v87
	v_xor_b32_e32 v85, v95, v85
.LBB59_25:                              ;   in Loop: Header=BB59_16 Depth=2
	s_or_b64 exec, exec, s[2:3]
	v_cmp_eq_u32_e32 vcc, 1, v117
	v_cndmask_b32_e32 v4, v4, v5, vcc
	v_cmp_eq_u32_e32 vcc, 2, v117
	v_cndmask_b32_e32 v4, v4, v6, vcc
	;; [unrolled: 2-line block ×6, first 2 shown]
	v_lshrrev_b32_e32 v0, 11, v0
	v_cvt_f64_u32_e32 v[0:1], v0
	v_ldexp_f64 v[0:1], v[0:1], 32
	v_cvt_f64_u32_e32 v[2:3], v4
	v_add_f64 v[0:1], v[0:1], v[2:3]
	v_mov_b32_e32 v2, 0
	v_mov_b32_e32 v3, 0x3ca00000
	v_fma_f64 v[4:5], -v[76:77], v[10:11], v[78:79]
	v_fmac_f64_e32 v[2:3], 0x3ca00000, v[0:1]
	v_mul_f64 v[0:1], v[4:5], s[58:59]
	v_rndne_f64_e32 v[0:1], v[0:1]
	s_mov_b32 s60, s52
	v_fma_f64 v[6:7], s[60:61], v[0:1], v[4:5]
	s_mov_b32 s62, s54
	v_fmac_f64_e32 v[6:7], s[62:63], v[0:1]
	v_pk_mov_b32 v[10:11], v[30:31], v[30:31] op_sel:[0,1]
	v_fmac_f64_e32 v[10:11], s[64:65], v[6:7]
	v_pk_mov_b32 v[118:119], v[32:33], v[32:33] op_sel:[0,1]
	;; [unrolled: 2-line block ×9, first 2 shown]
	v_fmac_f64_e32 v[10:11], v[6:7], v[118:119]
	v_fma_f64 v[10:11], v[6:7], v[10:11], 1.0
	v_fma_f64 v[6:7], v[6:7], v[10:11], 1.0
	v_cvt_i32_f64_e32 v0, v[0:1]
	v_ldexp_f64 v[0:1], v[6:7], v0
	v_add_f64 v[0:1], v[0:1], 1.0
	v_cmp_nlt_f64_e32 vcc, s[66:67], v[4:5]
	v_cmp_ngt_f64_e64 s[2:3], s[70:71], v[4:5]
	v_cndmask_b32_e32 v1, v93, v1, vcc
	s_and_b64 vcc, s[2:3], vcc
	v_cndmask_b32_e64 v1, v90, v1, s[2:3]
	v_cndmask_b32_e32 v0, 0, v0, vcc
	v_mul_f64 v[0:1], v[0:1], v[0:1]
	v_div_scale_f64 v[6:7], s[2:3], v[0:1], v[0:1], v[2:3]
	v_rcp_f64_e32 v[10:11], v[6:7]
	s_mov_b32 s51, s37
	v_fma_f64 v[118:119], -v[6:7], v[10:11], 1.0
	v_fmac_f64_e32 v[10:11], v[10:11], v[118:119]
	v_fma_f64 v[118:119], -v[6:7], v[10:11], 1.0
	v_fmac_f64_e32 v[10:11], v[10:11], v[118:119]
	v_div_scale_f64 v[118:119], vcc, v[2:3], v[0:1], v[2:3]
	v_mul_f64 v[120:121], v[118:119], v[10:11]
	v_fma_f64 v[6:7], -v[6:7], v[120:121], v[118:119]
	s_nop 1
	v_div_fmas_f64 v[6:7], v[6:7], v[10:11], v[120:121]
	v_div_fixup_f64 v[2:3], v[6:7], v[0:1], v[2:3]
	v_frexp_mant_f64_e32 v[0:1], v[2:3]
	v_cmp_gt_f64_e32 vcc, s[36:37], v[0:1]
	v_cndmask_b32_e64 v15, v90, 2.0, vcc
	v_frexp_exp_i32_f64_e32 v6, v[2:3]
	v_mul_f64 v[0:1], v[0:1], v[14:15]
	v_subbrev_co_u32_e32 v15, vcc, 0, v6, vcc
	v_add_f64 v[6:7], v[0:1], 1.0
	v_rcp_f64_e32 v[10:11], v[6:7]
	v_add_f64 v[120:121], v[6:7], -1.0
	v_add_f64 v[118:119], v[0:1], -1.0
	v_add_f64 v[0:1], v[0:1], -v[120:121]
	v_fma_f64 v[120:121], -v[6:7], v[10:11], 1.0
	v_fmac_f64_e32 v[10:11], v[120:121], v[10:11]
	v_fma_f64 v[120:121], -v[6:7], v[10:11], 1.0
	v_fmac_f64_e32 v[10:11], v[120:121], v[10:11]
	v_mul_f64 v[120:121], v[118:119], v[10:11]
	v_mul_f64 v[122:123], v[6:7], v[120:121]
	v_fma_f64 v[6:7], v[120:121], v[6:7], -v[122:123]
	v_fmac_f64_e32 v[6:7], v[120:121], v[0:1]
	v_add_f64 v[0:1], v[122:123], v[6:7]
	v_add_f64 v[124:125], v[118:119], -v[0:1]
	v_add_f64 v[122:123], v[0:1], -v[122:123]
	;; [unrolled: 1-line block ×5, first 2 shown]
	v_add_f64 v[0:1], v[6:7], v[0:1]
	v_add_f64 v[0:1], v[124:125], v[0:1]
	v_mul_f64 v[0:1], v[10:11], v[0:1]
	v_add_f64 v[6:7], v[120:121], v[0:1]
	v_add_f64 v[10:11], v[6:7], -v[120:121]
	v_add_f64 v[10:11], v[0:1], -v[10:11]
	v_mul_f64 v[118:119], v[6:7], v[6:7]
	v_pk_mov_b32 v[0:1], s[38:39], s[38:39] op_sel:[0,1]
	v_fma_f64 v[120:121], s[40:41], v[118:119], v[0:1]
	v_fma_f64 v[120:121], v[118:119], v[120:121], s[42:43]
	;; [unrolled: 1-line block ×6, first 2 shown]
	v_ldexp_f64 v[122:123], v[6:7], 1
	v_mul_f64 v[6:7], v[6:7], v[118:119]
	v_mul_f64 v[6:7], v[6:7], v[120:121]
	v_add_f64 v[118:119], v[122:123], v[6:7]
	v_add_f64 v[120:121], v[118:119], -v[122:123]
	v_ldexp_f64 v[10:11], v[10:11], 1
	v_add_f64 v[6:7], v[6:7], -v[120:121]
	v_add_f64 v[6:7], v[10:11], v[6:7]
	v_add_f64 v[10:11], v[118:119], v[6:7]
	v_add_f64 v[118:119], v[10:11], -v[118:119]
	v_add_f64 v[6:7], v[6:7], -v[118:119]
	v_cvt_f64_i32_e32 v[118:119], v15
	v_mul_f64 v[120:121], v[118:119], s[52:53]
	v_fma_f64 v[122:123], v[118:119], s[52:53], -v[120:121]
	v_fmac_f64_e32 v[122:123], s[54:55], v[118:119]
	v_add_f64 v[118:119], v[120:121], v[122:123]
	v_add_f64 v[120:121], v[118:119], -v[120:121]
	v_add_f64 v[120:121], v[122:123], -v[120:121]
	v_add_f64 v[122:123], v[118:119], v[10:11]
	v_add_f64 v[124:125], v[122:123], -v[118:119]
	v_add_f64 v[126:127], v[122:123], -v[124:125]
	;; [unrolled: 1-line block ×4, first 2 shown]
	v_add_f64 v[10:11], v[10:11], v[118:119]
	v_add_f64 v[118:119], v[120:121], v[6:7]
	v_add_f64 v[124:125], v[118:119], -v[120:121]
	v_add_f64 v[126:127], v[118:119], -v[124:125]
	v_add_f64 v[10:11], v[118:119], v[10:11]
	v_add_f64 v[120:121], v[120:121], -v[126:127]
	v_add_f64 v[6:7], v[6:7], -v[124:125]
	v_add_f64 v[118:119], v[122:123], v[10:11]
	v_add_f64 v[6:7], v[6:7], v[120:121]
	v_add_f64 v[120:121], v[118:119], -v[122:123]
	v_add_f64 v[10:11], v[10:11], -v[120:121]
	v_add_f64 v[6:7], v[6:7], v[10:11]
	v_add_f64 v[6:7], v[118:119], v[6:7]
	v_cmp_class_f64_e64 vcc, v[2:3], s9
	v_cndmask_b32_e32 v15, v6, v2, vcc
	v_cndmask_b32_e32 v6, v7, v3, vcc
	v_cmp_neq_f64_e32 vcc, 0, v[2:3]
	v_cndmask_b32_e32 v3, v92, v6, vcc
	v_add_f64 v[6:7], v[8:9], 1.0
	v_add_f64 v[6:7], v[6:7], -1.0
	v_add_f64 v[118:119], v[6:7], s[72:73]
	v_div_scale_f64 v[10:11], s[2:3], v[118:119], v[118:119], s[74:75]
	v_rcp_f64_e32 v[120:121], v[10:11]
	v_cndmask_b32_e32 v2, 0, v15, vcc
	v_add_f64 v[2:3], v[4:5], v[2:3]
	v_fma_f64 v[4:5], v[82:83], v[8:9], v[80:81]
	v_fma_f64 v[122:123], -v[10:11], v[120:121], 1.0
	v_fmac_f64_e32 v[120:121], v[120:121], v[122:123]
	v_fma_f64 v[122:123], -v[10:11], v[120:121], 1.0
	v_fmac_f64_e32 v[120:121], v[120:121], v[122:123]
	v_div_scale_f64 v[122:123], vcc, s[74:75], v[118:119], s[74:75]
	v_mul_f64 v[124:125], v[122:123], v[120:121]
	v_fma_f64 v[122:123], -v[10:11], v[124:125], v[122:123]
	v_add_f64 v[10:11], v[6:7], s[76:77]
	v_div_scale_f64 v[126:127], s[2:3], v[10:11], v[10:11], s[78:79]
	v_rcp_f64_e32 v[128:129], v[126:127]
	v_div_fmas_f64 v[120:121], v[122:123], v[120:121], v[124:125]
	v_div_fixup_f64 v[118:119], v[120:121], v[118:119], s[74:75]
	v_add_f64 v[124:125], v[6:7], s[80:81]
	v_fma_f64 v[120:121], -v[126:127], v[128:129], 1.0
	v_fmac_f64_e32 v[128:129], v[128:129], v[120:121]
	v_fma_f64 v[120:121], -v[126:127], v[128:129], 1.0
	v_fmac_f64_e32 v[128:129], v[128:129], v[120:121]
	v_div_scale_f64 v[120:121], vcc, s[78:79], v[10:11], s[78:79]
	v_mul_f64 v[122:123], v[120:121], v[128:129]
	v_fma_f64 v[120:121], -v[126:127], v[122:123], v[120:121]
	v_div_scale_f64 v[126:127], s[2:3], v[124:125], v[124:125], s[82:83]
	v_rcp_f64_e32 v[130:131], v[126:127]
	v_div_fmas_f64 v[120:121], v[120:121], v[128:129], v[122:123]
	v_add_f64 v[118:119], v[118:119], 0
	v_div_fixup_f64 v[120:121], v[120:121], v[10:11], s[78:79]
	v_add_f64 v[118:119], v[120:121], v[118:119]
	v_fma_f64 v[120:121], -v[126:127], v[130:131], 1.0
	v_fmac_f64_e32 v[130:131], v[130:131], v[120:121]
	v_fma_f64 v[120:121], -v[126:127], v[130:131], 1.0
	v_fmac_f64_e32 v[130:131], v[130:131], v[120:121]
	v_div_scale_f64 v[120:121], vcc, s[82:83], v[124:125], s[82:83]
	v_mul_f64 v[122:123], v[120:121], v[130:131]
	v_fma_f64 v[120:121], -v[126:127], v[122:123], v[120:121]
	v_add_f64 v[126:127], v[6:7], s[84:85]
	v_div_scale_f64 v[128:129], s[2:3], v[126:127], v[126:127], s[86:87]
	v_rcp_f64_e32 v[132:133], v[128:129]
	v_div_fmas_f64 v[120:121], v[120:121], v[130:131], v[122:123]
	v_div_fixup_f64 v[120:121], v[120:121], v[124:125], s[82:83]
	v_add_f64 v[118:119], v[118:119], v[120:121]
	v_fma_f64 v[120:121], -v[128:129], v[132:133], 1.0
	v_fmac_f64_e32 v[132:133], v[132:133], v[120:121]
	v_fma_f64 v[120:121], -v[128:129], v[132:133], 1.0
	v_fmac_f64_e32 v[132:133], v[132:133], v[120:121]
	v_div_scale_f64 v[120:121], vcc, s[86:87], v[126:127], s[86:87]
	v_mul_f64 v[122:123], v[120:121], v[132:133]
	v_add_f64 v[124:125], v[6:7], 4.0
	v_fma_f64 v[120:121], -v[128:129], v[122:123], v[120:121]
	v_div_scale_f64 v[128:129], s[2:3], v[124:125], v[124:125], s[88:89]
	v_rcp_f64_e32 v[130:131], v[128:129]
	v_div_fmas_f64 v[120:121], v[120:121], v[132:133], v[122:123]
	v_div_fixup_f64 v[120:121], v[120:121], v[126:127], s[86:87]
	v_add_f64 v[118:119], v[120:121], v[118:119]
	v_fma_f64 v[120:121], -v[128:129], v[130:131], 1.0
	v_fmac_f64_e32 v[130:131], v[130:131], v[120:121]
	v_fma_f64 v[120:121], -v[128:129], v[130:131], 1.0
	v_fmac_f64_e32 v[130:131], v[130:131], v[120:121]
	v_div_scale_f64 v[120:121], vcc, s[88:89], v[124:125], s[88:89]
	v_mul_f64 v[122:123], v[120:121], v[130:131]
	v_add_f64 v[126:127], v[6:7], s[28:29]
	v_fma_f64 v[120:121], -v[128:129], v[122:123], v[120:121]
	v_div_scale_f64 v[128:129], s[2:3], v[126:127], v[126:127], s[90:91]
	v_rcp_f64_e32 v[132:133], v[128:129]
	v_div_fmas_f64 v[120:121], v[120:121], v[130:131], v[122:123]
	v_div_fixup_f64 v[120:121], v[120:121], v[124:125], s[88:89]
	v_add_f64 v[118:119], v[118:119], v[120:121]
	v_fma_f64 v[120:121], -v[128:129], v[132:133], 1.0
	v_fmac_f64_e32 v[132:133], v[132:133], v[120:121]
	v_fma_f64 v[120:121], -v[128:129], v[132:133], 1.0
	v_fmac_f64_e32 v[132:133], v[132:133], v[120:121]
	v_div_scale_f64 v[120:121], vcc, s[90:91], v[126:127], s[90:91]
	v_mul_f64 v[122:123], v[120:121], v[132:133]
	v_add_f64 v[124:125], v[6:7], 2.0
	v_fma_f64 v[120:121], -v[128:129], v[122:123], v[120:121]
	v_div_scale_f64 v[128:129], s[2:3], v[124:125], v[124:125], s[92:93]
	v_rcp_f64_e32 v[130:131], v[128:129]
	v_div_fmas_f64 v[120:121], v[120:121], v[132:133], v[122:123]
	v_div_fixup_f64 v[120:121], v[120:121], v[126:127], s[90:91]
	v_add_f64 v[118:119], v[120:121], v[118:119]
	v_fma_f64 v[120:121], -v[128:129], v[130:131], 1.0
	v_fmac_f64_e32 v[130:131], v[130:131], v[120:121]
	v_fma_f64 v[120:121], -v[128:129], v[130:131], 1.0
	v_fmac_f64_e32 v[130:131], v[130:131], v[120:121]
	v_div_scale_f64 v[120:121], vcc, s[92:93], v[124:125], s[92:93]
	v_mul_f64 v[122:123], v[120:121], v[130:131]
	v_add_f64 v[126:127], v[6:7], 1.0
	v_fma_f64 v[120:121], -v[128:129], v[122:123], v[120:121]
	v_div_scale_f64 v[128:129], s[2:3], v[126:127], v[126:127], s[94:95]
	v_rcp_f64_e32 v[132:133], v[128:129]
	v_div_fmas_f64 v[120:121], v[120:121], v[130:131], v[122:123]
	v_div_fixup_f64 v[120:121], v[120:121], v[124:125], s[92:93]
	v_add_f64 v[118:119], v[118:119], v[120:121]
	v_fma_f64 v[120:121], -v[128:129], v[132:133], 1.0
	v_fmac_f64_e32 v[132:133], v[132:133], v[120:121]
	v_fma_f64 v[120:121], -v[128:129], v[132:133], 1.0
	v_fmac_f64_e32 v[132:133], v[132:133], v[120:121]
	v_div_scale_f64 v[120:121], vcc, s[94:95], v[126:127], s[94:95]
	v_mul_f64 v[122:123], v[120:121], v[132:133]
	v_fma_f64 v[120:121], -v[128:129], v[122:123], v[120:121]
	v_add_f64 v[10:11], v[10:11], 0.5
	s_nop 0
	v_div_fmas_f64 v[120:121], v[120:121], v[132:133], v[122:123]
	v_div_fixup_f64 v[120:121], v[120:121], v[126:127], s[94:95]
	v_add_f64 v[118:119], v[120:121], v[118:119]
	v_add_f64 v[118:119], v[118:119], s[26:27]
	v_frexp_mant_f64_e32 v[120:121], v[118:119]
	v_cmp_gt_f64_e32 vcc, s[36:37], v[120:121]
	v_cndmask_b32_e64 v15, v90, 2.0, vcc
	v_mul_f64 v[120:121], v[120:121], v[14:15]
	v_add_f64 v[122:123], v[120:121], 1.0
	v_rcp_f64_e32 v[124:125], v[122:123]
	v_add_f64 v[128:129], v[122:123], -1.0
	v_add_f64 v[126:127], v[120:121], -1.0
	v_add_f64 v[120:121], v[120:121], -v[128:129]
	v_fma_f64 v[128:129], -v[122:123], v[124:125], 1.0
	v_fmac_f64_e32 v[124:125], v[128:129], v[124:125]
	v_fma_f64 v[128:129], -v[122:123], v[124:125], 1.0
	v_fmac_f64_e32 v[124:125], v[128:129], v[124:125]
	v_mul_f64 v[128:129], v[126:127], v[124:125]
	v_mul_f64 v[130:131], v[122:123], v[128:129]
	v_fma_f64 v[122:123], v[128:129], v[122:123], -v[130:131]
	v_fmac_f64_e32 v[122:123], v[128:129], v[120:121]
	v_add_f64 v[120:121], v[130:131], v[122:123]
	v_add_f64 v[132:133], v[126:127], -v[120:121]
	v_add_f64 v[130:131], v[120:121], -v[130:131]
	;; [unrolled: 1-line block ×5, first 2 shown]
	v_add_f64 v[120:121], v[122:123], v[120:121]
	v_add_f64 v[120:121], v[132:133], v[120:121]
	v_mul_f64 v[120:121], v[124:125], v[120:121]
	v_add_f64 v[122:123], v[128:129], v[120:121]
	v_add_f64 v[124:125], v[122:123], -v[128:129]
	v_add_f64 v[120:121], v[120:121], -v[124:125]
	v_mul_f64 v[124:125], v[122:123], v[122:123]
	v_fma_f64 v[126:127], s[40:41], v[124:125], v[0:1]
	v_fma_f64 v[126:127], v[124:125], v[126:127], s[42:43]
	;; [unrolled: 1-line block ×6, first 2 shown]
	v_ldexp_f64 v[128:129], v[122:123], 1
	v_mul_f64 v[122:123], v[122:123], v[124:125]
	v_mul_f64 v[122:123], v[122:123], v[126:127]
	v_add_f64 v[124:125], v[128:129], v[122:123]
	v_add_f64 v[126:127], v[124:125], -v[128:129]
	v_ldexp_f64 v[120:121], v[120:121], 1
	v_add_f64 v[122:123], v[122:123], -v[126:127]
	v_add_f64 v[120:121], v[120:121], v[122:123]
	v_frexp_exp_i32_f64_e32 v117, v[118:119]
	v_add_f64 v[122:123], v[124:125], v[120:121]
	v_subbrev_co_u32_e32 v15, vcc, 0, v117, vcc
	v_add_f64 v[124:125], v[122:123], -v[124:125]
	v_add_f64 v[120:121], v[120:121], -v[124:125]
	v_cvt_f64_i32_e32 v[124:125], v15
	v_mul_f64 v[126:127], v[124:125], s[52:53]
	v_fma_f64 v[128:129], v[124:125], s[52:53], -v[126:127]
	v_fmac_f64_e32 v[128:129], s[54:55], v[124:125]
	v_add_f64 v[124:125], v[126:127], v[128:129]
	v_add_f64 v[126:127], v[124:125], -v[126:127]
	v_add_f64 v[126:127], v[128:129], -v[126:127]
	v_add_f64 v[128:129], v[124:125], v[122:123]
	v_add_f64 v[130:131], v[128:129], -v[124:125]
	v_add_f64 v[132:133], v[128:129], -v[130:131]
	;; [unrolled: 1-line block ×4, first 2 shown]
	v_add_f64 v[122:123], v[122:123], v[124:125]
	v_add_f64 v[124:125], v[126:127], v[120:121]
	v_add_f64 v[130:131], v[124:125], -v[126:127]
	v_add_f64 v[132:133], v[124:125], -v[130:131]
	v_add_f64 v[122:123], v[124:125], v[122:123]
	v_add_f64 v[126:127], v[126:127], -v[132:133]
	v_add_f64 v[120:121], v[120:121], -v[130:131]
	v_add_f64 v[124:125], v[128:129], v[122:123]
	v_add_f64 v[120:121], v[120:121], v[126:127]
	v_add_f64 v[126:127], v[124:125], -v[128:129]
	v_add_f64 v[122:123], v[122:123], -v[126:127]
	v_add_f64 v[120:121], v[120:121], v[122:123]
	v_add_f64 v[120:121], v[124:125], v[120:121]
	v_cmp_class_f64_e64 vcc, v[118:119], s9
	v_div_scale_f64 v[122:123], s[2:3], s[30:31], s[30:31], v[10:11]
	v_cndmask_b32_e32 v121, v121, v119, vcc
	v_cndmask_b32_e32 v120, v120, v118, vcc
	v_rcp_f64_e32 v[124:125], v[122:123]
	v_add_f64 v[120:121], v[120:121], s[22:23]
	v_add_f64 v[120:121], v[120:121], s[24:25]
	v_cmp_ngt_f64_e32 vcc, 0, v[118:119]
	v_cndmask_b32_e32 v15, v91, v121, vcc
	v_cmp_nge_f64_e32 vcc, 0, v[118:119]
	v_cndmask_b32_e32 v120, 0, v120, vcc
	v_cmp_neq_f64_e32 vcc, 0, v[118:119]
	v_fma_f64 v[118:119], -v[122:123], v[124:125], 1.0
	v_fmac_f64_e32 v[124:125], v[124:125], v[118:119]
	v_fma_f64 v[118:119], -v[122:123], v[124:125], 1.0
	v_cndmask_b32_e32 v121, v92, v15, vcc
	v_fmac_f64_e32 v[124:125], v[124:125], v[118:119]
	v_div_scale_f64 v[118:119], vcc, v[10:11], s[30:31], v[10:11]
	v_mul_f64 v[126:127], v[118:119], v[124:125]
	v_fma_f64 v[118:119], -v[122:123], v[126:127], v[118:119]
	v_add_f64 v[6:7], v[6:7], 0.5
	s_nop 0
	v_div_fmas_f64 v[118:119], v[118:119], v[124:125], v[126:127]
	v_div_fixup_f64 v[10:11], v[118:119], s[30:31], v[10:11]
	v_frexp_mant_f64_e32 v[118:119], v[10:11]
	v_cmp_gt_f64_e32 vcc, s[36:37], v[118:119]
	v_cndmask_b32_e64 v15, v90, 2.0, vcc
	v_mul_f64 v[118:119], v[118:119], v[14:15]
	v_add_f64 v[122:123], v[118:119], 1.0
	v_rcp_f64_e32 v[124:125], v[122:123]
	v_add_f64 v[128:129], v[122:123], -1.0
	v_add_f64 v[126:127], v[118:119], -1.0
	v_add_f64 v[118:119], v[118:119], -v[128:129]
	v_fma_f64 v[128:129], -v[122:123], v[124:125], 1.0
	v_fmac_f64_e32 v[124:125], v[128:129], v[124:125]
	v_fma_f64 v[128:129], -v[122:123], v[124:125], 1.0
	v_fmac_f64_e32 v[124:125], v[128:129], v[124:125]
	v_mul_f64 v[128:129], v[126:127], v[124:125]
	v_mul_f64 v[130:131], v[122:123], v[128:129]
	v_fma_f64 v[122:123], v[128:129], v[122:123], -v[130:131]
	v_fmac_f64_e32 v[122:123], v[128:129], v[118:119]
	v_add_f64 v[118:119], v[130:131], v[122:123]
	v_add_f64 v[132:133], v[126:127], -v[118:119]
	v_add_f64 v[130:131], v[118:119], -v[130:131]
	v_add_f64 v[126:127], v[126:127], -v[132:133]
	v_add_f64 v[118:119], v[126:127], -v[118:119]
	v_add_f64 v[122:123], v[130:131], -v[122:123]
	v_add_f64 v[118:119], v[122:123], v[118:119]
	v_add_f64 v[118:119], v[132:133], v[118:119]
	v_mul_f64 v[118:119], v[124:125], v[118:119]
	v_add_f64 v[122:123], v[128:129], v[118:119]
	v_add_f64 v[124:125], v[122:123], -v[128:129]
	v_add_f64 v[118:119], v[118:119], -v[124:125]
	v_mul_f64 v[124:125], v[122:123], v[122:123]
	v_fmac_f64_e32 v[0:1], s[40:41], v[124:125]
	v_fma_f64 v[0:1], v[124:125], v[0:1], s[42:43]
	v_fma_f64 v[0:1], v[124:125], v[0:1], s[44:45]
	;; [unrolled: 1-line block ×5, first 2 shown]
	v_ldexp_f64 v[126:127], v[122:123], 1
	v_mul_f64 v[122:123], v[122:123], v[124:125]
	v_mul_f64 v[0:1], v[122:123], v[0:1]
	v_add_f64 v[122:123], v[126:127], v[0:1]
	v_add_f64 v[124:125], v[122:123], -v[126:127]
	v_ldexp_f64 v[118:119], v[118:119], 1
	v_add_f64 v[0:1], v[0:1], -v[124:125]
	v_add_f64 v[0:1], v[118:119], v[0:1]
	v_frexp_exp_i32_f64_e32 v117, v[10:11]
	v_add_f64 v[118:119], v[122:123], v[0:1]
	v_subbrev_co_u32_e32 v15, vcc, 0, v117, vcc
	v_add_f64 v[122:123], v[118:119], -v[122:123]
	v_add_f64 v[0:1], v[0:1], -v[122:123]
	v_cvt_f64_i32_e32 v[122:123], v15
	v_mul_f64 v[124:125], v[122:123], s[52:53]
	v_fma_f64 v[126:127], v[122:123], s[52:53], -v[124:125]
	v_fmac_f64_e32 v[126:127], s[54:55], v[122:123]
	v_add_f64 v[122:123], v[124:125], v[126:127]
	v_add_f64 v[124:125], v[122:123], -v[124:125]
	v_add_f64 v[124:125], v[126:127], -v[124:125]
	v_add_f64 v[126:127], v[122:123], v[118:119]
	v_add_f64 v[128:129], v[126:127], -v[122:123]
	v_add_f64 v[130:131], v[126:127], -v[128:129]
	;; [unrolled: 1-line block ×4, first 2 shown]
	v_add_f64 v[118:119], v[118:119], v[122:123]
	v_add_f64 v[122:123], v[124:125], v[0:1]
	v_add_f64 v[128:129], v[122:123], -v[124:125]
	v_add_f64 v[130:131], v[122:123], -v[128:129]
	v_add_f64 v[118:119], v[122:123], v[118:119]
	v_add_f64 v[124:125], v[124:125], -v[130:131]
	v_add_f64 v[0:1], v[0:1], -v[128:129]
	v_add_f64 v[122:123], v[126:127], v[118:119]
	v_add_f64 v[0:1], v[0:1], v[124:125]
	v_add_f64 v[124:125], v[122:123], -v[126:127]
	v_add_f64 v[118:119], v[118:119], -v[124:125]
	v_add_f64 v[0:1], v[0:1], v[118:119]
	v_add_f64 v[0:1], v[122:123], v[0:1]
	v_cmp_class_f64_e64 vcc, v[10:11], s9
	v_cndmask_b32_e32 v0, v0, v10, vcc
	v_cndmask_b32_e32 v1, v1, v11, vcc
	v_cmp_ngt_f64_e32 vcc, 0, v[10:11]
	v_cndmask_b32_e32 v1, v91, v1, vcc
	v_cmp_nge_f64_e32 vcc, 0, v[10:11]
	v_cndmask_b32_e32 v0, 0, v0, vcc
	v_cmp_neq_f64_e32 vcc, 0, v[10:11]
	v_cndmask_b32_e32 v1, v92, v1, vcc
	v_fmac_f64_e32 v[120:121], v[6:7], v[0:1]
	v_add_f64 v[0:1], v[4:5], -v[120:121]
	v_cvt_u32_f64_e32 v4, v[8:9]
	v_cmp_le_f64_e32 vcc, v[2:3], v[0:1]
	v_cndmask_b32_e64 v118, 0, 1, vcc
	v_cndmask_b32_e32 v75, v75, v4, vcc
	v_mov_b32_e32 v117, v116
.LBB59_26:                              ;   in Loop: Header=BB59_16 Depth=2
	s_or_b64 exec, exec, s[0:1]
	v_cmp_gt_i32_e32 vcc, 2, v118
	s_or_b64 s[16:17], vcc, s[16:17]
	v_mov_b32_e32 v15, v117
	v_mov_b32_e32 v0, v87
	;; [unrolled: 1-line block ×5, first 2 shown]
	s_andn2_b64 exec, exec, s[16:17]
	s_cbranch_execnz .LBB59_16
; %bb.27:                               ;   in Loop: Header=BB59_16 Depth=2
	s_or_b64 exec, exec, s[16:17]
	v_cmp_ne_u32_e32 vcc, 0, v118
	s_or_b64 s[14:15], vcc, s[14:15]
	s_mov_b64 s[16:17], 0
	v_mov_b32_e32 v15, v117
	v_mov_b32_e32 v0, v87
	;; [unrolled: 1-line block ×5, first 2 shown]
	s_andn2_b64 exec, exec, s[14:15]
	s_cbranch_execnz .LBB59_16
; %bb.28:                               ;   in Loop: Header=BB59_5 Depth=1
	s_or_b64 exec, exec, s[14:15]
	v_readlane_b32 s16, v134, 17
	v_readlane_b32 s17, v134, 18
                                        ; implicit-def: $vgpr4_vgpr5
                                        ; implicit-def: $vgpr72_vgpr73
                                        ; implicit-def: $vgpr15
                                        ; implicit-def: $vgpr96
                                        ; implicit-def: $vgpr97
                                        ; implicit-def: $vgpr105
                                        ; implicit-def: $vgpr95
                                        ; implicit-def: $vgpr3
                                        ; implicit-def: $vgpr98
                                        ; implicit-def: $vgpr99
                                        ; implicit-def: $vgpr100
                                        ; implicit-def: $vgpr101
                                        ; implicit-def: $vgpr103
                                        ; implicit-def: $vgpr104
                                        ; implicit-def: $vgpr106
                                        ; implicit-def: $vgpr107
                                        ; implicit-def: $vgpr108
                                        ; implicit-def: $vgpr109
                                        ; implicit-def: $vgpr110
                                        ; implicit-def: $vgpr111
                                        ; implicit-def: $vgpr112
                                        ; implicit-def: $vgpr113
                                        ; implicit-def: $vgpr102
                                        ; implicit-def: $vgpr114
.LBB59_29:                              ;   in Loop: Header=BB59_5 Depth=1
	s_andn2_saveexec_b64 s[0:1], s[6:7]
	s_cbranch_execz .LBB59_41
; %bb.30:                               ;   in Loop: Header=BB59_5 Depth=1
	v_add_co_u32_e32 v6, vcc, 1, v96
	v_cndmask_b32_e64 v7, 0, 1, vcc
	v_addc_co_u32_e32 v10, vcc, 0, v97, vcc
	v_cmp_eq_u32_e32 vcc, 0, v10
	v_cndmask_b32_e32 v7, 0, v7, vcc
	v_add_u32_e32 v8, v7, v17
	v_cmp_eq_u32_e32 vcc, 0, v8
	v_cndmask_b32_e32 v11, 0, v7, vcc
	v_mad_u64_u32 v[6:7], s[2:3], v6, s11, 0
	v_mad_u64_u32 v[8:9], s[2:3], v8, s8, 0
	v_xor_b32_e32 v7, v7, v73
	v_xor_b32_e32 v9, v9, v72
	v_xor_b32_e32 v7, v11, v7
	v_xor_b32_e32 v9, v10, v9
	v_mad_u64_u32 v[72:73], s[2:3], v7, s8, 0
	v_mad_u64_u32 v[10:11], s[2:3], v9, s11, 0
	v_xor_b32_e32 v7, v98, v73
	v_xor_b32_e32 v7, v7, v8
	v_xor_b32_e32 v8, v99, v11
	v_xor_b32_e32 v8, v8, v6
	v_mad_u64_u32 v[6:7], s[2:3], v7, s11, 0
	v_mad_u64_u32 v[8:9], s[2:3], v8, s8, 0
	v_xor_b32_e32 v7, v101, v7
	v_xor_b32_e32 v9, v100, v9
	v_xor_b32_e32 v7, v7, v10
	v_xor_b32_e32 v9, v9, v72
	v_mad_u64_u32 v[72:73], s[2:3], v7, s8, 0
	v_mad_u64_u32 v[10:11], s[2:3], v9, s11, 0
	v_xor_b32_e32 v7, v103, v73
	v_xor_b32_e32 v7, v7, v8
	v_xor_b32_e32 v8, v104, v11
	v_xor_b32_e32 v8, v8, v6
	v_mad_u64_u32 v[6:7], s[2:3], v7, s11, 0
	v_mad_u64_u32 v[8:9], s[2:3], v8, s8, 0
	v_xor_b32_e32 v7, v107, v7
	v_xor_b32_e32 v9, v106, v9
	v_xor_b32_e32 v7, v7, v10
	v_xor_b32_e32 v9, v9, v72
	v_mad_u64_u32 v[72:73], s[2:3], v7, s8, 0
	v_mad_u64_u32 v[10:11], s[2:3], v9, s11, 0
	v_xor_b32_e32 v7, v108, v73
	v_xor_b32_e32 v7, v7, v8
	v_xor_b32_e32 v8, v109, v11
	v_xor_b32_e32 v8, v8, v6
	v_mad_u64_u32 v[6:7], s[2:3], v7, s11, 0
	v_mad_u64_u32 v[8:9], s[2:3], v8, s8, 0
	v_xor_b32_e32 v7, v111, v7
	v_xor_b32_e32 v9, v110, v9
	v_xor_b32_e32 v7, v7, v10
	v_xor_b32_e32 v9, v9, v72
	v_mad_u64_u32 v[72:73], s[2:3], v7, s8, 0
	v_mad_u64_u32 v[10:11], s[2:3], v9, s11, 0
	v_xor_b32_e32 v7, v112, v73
	v_xor_b32_e32 v7, v7, v8
	v_xor_b32_e32 v8, v113, v11
	v_xor_b32_e32 v6, v8, v6
	v_mad_u64_u32 v[74:75], s[2:3], v7, s11, 0
	v_mad_u64_u32 v[8:9], s[2:3], v6, s8, 0
	v_xor_b32_e32 v6, v114, v75
	v_xor_b32_e32 v6, v6, v10
	v_mad_u64_u32 v[6:7], s[2:3], v6, s8, 0
	v_xor_b32_e32 v7, v7, v8
	v_xor_b32_e32 v10, v105, v7
	v_cmp_lt_i32_e32 vcc, 1, v15
                                        ; implicit-def: $vgpr8
	s_and_saveexec_b64 s[2:3], vcc
	s_xor_b64 s[2:3], exec, s[2:3]
	s_cbranch_execz .LBB59_36
; %bb.31:                               ;   in Loop: Header=BB59_5 Depth=1
	v_cmp_lt_i32_e32 vcc, 2, v15
                                        ; implicit-def: $vgpr8
	s_and_saveexec_b64 s[6:7], vcc
	s_xor_b64 s[6:7], exec, s[6:7]
; %bb.32:                               ;   in Loop: Header=BB59_5 Depth=1
	v_xor_b32_e32 v0, v102, v9
	v_xor_b32_e32 v0, v0, v72
	v_mul_hi_u32 v0, v0, s11
	v_xor_b32_e32 v0, v0, v74
	v_xor_b32_e32 v8, v95, v0
; %bb.33:                               ;   in Loop: Header=BB59_5 Depth=1
	s_andn2_saveexec_b64 s[6:7], s[6:7]
; %bb.34:                               ;   in Loop: Header=BB59_5 Depth=1
	v_mov_b32_e32 v8, v6
	v_mov_b32_e32 v6, v10
	;; [unrolled: 1-line block ×4, first 2 shown]
; %bb.35:                               ;   in Loop: Header=BB59_5 Depth=1
	s_or_b64 exec, exec, s[6:7]
                                        ; implicit-def: $vgpr15
.LBB59_36:                              ;   in Loop: Header=BB59_5 Depth=1
	s_andn2_saveexec_b64 s[2:3], s[2:3]
	s_cbranch_execz .LBB59_40
; %bb.37:                               ;   in Loop: Header=BB59_5 Depth=1
	v_cmp_eq_u32_e32 vcc, 1, v15
	v_mov_b32_e32 v8, v3
	v_mov_b32_e32 v6, v2
	v_mov_b32_e32 v7, v1
	s_and_saveexec_b64 s[6:7], vcc
; %bb.38:                               ;   in Loop: Header=BB59_5 Depth=1
	v_mov_b32_e32 v8, v10
	v_mov_b32_e32 v6, v3
	;; [unrolled: 1-line block ×4, first 2 shown]
; %bb.39:                               ;   in Loop: Header=BB59_5 Depth=1
	s_or_b64 exec, exec, s[6:7]
	v_mov_b32_e32 v3, v0
	v_mov_b32_e32 v10, v7
.LBB59_40:                              ;   in Loop: Header=BB59_5 Depth=1
	s_or_b64 exec, exec, s[2:3]
	v_mov_b32_e32 v11, v14
	v_lshlrev_b64 v[0:1], 21, v[10:11]
	v_xor_b32_e32 v2, v0, v3
	v_cvt_f64_u32_e32 v[0:1], v1
	v_ldexp_f64 v[0:1], v[0:1], 32
	v_cvt_f64_u32_e32 v[2:3], v2
	v_add_f64 v[0:1], v[0:1], v[2:3]
	v_mov_b32_e32 v2, 0
	v_mov_b32_e32 v3, 0x3ca00000
	v_fmac_f64_e32 v[2:3], 0x3ca00000, v[0:1]
	v_mov_b32_e32 v9, v14
	v_lshlrev_b64 v[0:1], 21, v[8:9]
	v_frexp_mant_f64_e32 v[8:9], v[2:3]
	v_cmp_gt_f64_e32 vcc, s[36:37], v[8:9]
	v_cndmask_b32_e64 v15, v90, 2.0, vcc
	v_frexp_exp_i32_f64_e32 v10, v[2:3]
	v_mul_f64 v[8:9], v[8:9], v[14:15]
	v_subbrev_co_u32_e32 v15, vcc, 0, v10, vcc
	v_add_f64 v[10:11], v[8:9], 1.0
	v_rcp_f64_e32 v[72:73], v[10:11]
	v_add_f64 v[76:77], v[10:11], -1.0
	v_add_f64 v[74:75], v[8:9], -1.0
	v_add_f64 v[8:9], v[8:9], -v[76:77]
	v_fma_f64 v[76:77], -v[10:11], v[72:73], 1.0
	v_fmac_f64_e32 v[72:73], v[76:77], v[72:73]
	v_fma_f64 v[76:77], -v[10:11], v[72:73], 1.0
	v_fmac_f64_e32 v[72:73], v[76:77], v[72:73]
	v_mul_f64 v[76:77], v[74:75], v[72:73]
	v_mul_f64 v[78:79], v[10:11], v[76:77]
	v_fma_f64 v[10:11], v[76:77], v[10:11], -v[78:79]
	v_fmac_f64_e32 v[10:11], v[76:77], v[8:9]
	v_add_f64 v[8:9], v[78:79], v[10:11]
	v_add_f64 v[80:81], v[74:75], -v[8:9]
	v_add_f64 v[78:79], v[8:9], -v[78:79]
	v_add_f64 v[74:75], v[74:75], -v[80:81]
	v_add_f64 v[8:9], v[74:75], -v[8:9]
	v_add_f64 v[10:11], v[78:79], -v[10:11]
	v_add_f64 v[8:9], v[10:11], v[8:9]
	v_add_f64 v[8:9], v[80:81], v[8:9]
	v_mul_f64 v[8:9], v[72:73], v[8:9]
	v_add_f64 v[10:11], v[76:77], v[8:9]
	v_add_f64 v[72:73], v[10:11], -v[76:77]
	v_add_f64 v[8:9], v[8:9], -v[72:73]
	v_mul_f64 v[72:73], v[10:11], v[10:11]
	v_pk_mov_b32 v[74:75], v[18:19], v[18:19] op_sel:[0,1]
	v_fmac_f64_e32 v[74:75], s[40:41], v[72:73]
	v_pk_mov_b32 v[76:77], v[20:21], v[20:21] op_sel:[0,1]
	v_fmac_f64_e32 v[76:77], v[72:73], v[74:75]
	;; [unrolled: 2-line block ×6, first 2 shown]
	v_ldexp_f64 v[74:75], v[10:11], 1
	v_mul_f64 v[10:11], v[10:11], v[72:73]
	v_mul_f64 v[10:11], v[10:11], v[76:77]
	v_add_f64 v[72:73], v[74:75], v[10:11]
	v_add_f64 v[74:75], v[72:73], -v[74:75]
	v_ldexp_f64 v[8:9], v[8:9], 1
	v_add_f64 v[10:11], v[10:11], -v[74:75]
	v_add_f64 v[8:9], v[8:9], v[10:11]
	v_add_f64 v[10:11], v[72:73], v[8:9]
	v_add_f64 v[72:73], v[10:11], -v[72:73]
	v_add_f64 v[8:9], v[8:9], -v[72:73]
	v_cvt_f64_i32_e32 v[72:73], v15
	v_mul_f64 v[74:75], v[72:73], s[52:53]
	v_fma_f64 v[76:77], v[72:73], s[52:53], -v[74:75]
	v_fmac_f64_e32 v[76:77], s[54:55], v[72:73]
	v_add_f64 v[72:73], v[74:75], v[76:77]
	v_add_f64 v[74:75], v[72:73], -v[74:75]
	v_add_f64 v[74:75], v[76:77], -v[74:75]
	v_add_f64 v[76:77], v[72:73], v[10:11]
	v_add_f64 v[78:79], v[76:77], -v[72:73]
	v_add_f64 v[80:81], v[76:77], -v[78:79]
	;; [unrolled: 1-line block ×4, first 2 shown]
	v_add_f64 v[10:11], v[10:11], v[72:73]
	v_add_f64 v[72:73], v[74:75], v[8:9]
	v_add_f64 v[78:79], v[72:73], -v[74:75]
	v_add_f64 v[80:81], v[72:73], -v[78:79]
	v_add_f64 v[10:11], v[72:73], v[10:11]
	v_add_f64 v[74:75], v[74:75], -v[80:81]
	v_add_f64 v[8:9], v[8:9], -v[78:79]
	v_add_f64 v[72:73], v[76:77], v[10:11]
	v_add_f64 v[8:9], v[8:9], v[74:75]
	v_add_f64 v[74:75], v[72:73], -v[76:77]
	v_add_f64 v[10:11], v[10:11], -v[74:75]
	s_mov_b32 s14, 0
	v_add_f64 v[8:9], v[8:9], v[10:11]
	s_mov_b32 s15, 0x7ff00000
	v_add_f64 v[8:9], v[72:73], v[8:9]
	v_cmp_eq_f64_e32 vcc, s[14:15], v[2:3]
	v_cndmask_b32_e32 v9, v9, v3, vcc
	v_cndmask_b32_e32 v8, v8, v2, vcc
	v_mul_f64 v[8:9], v[8:9], -2.0
	v_cmp_neq_f64_e32 vcc, 0, v[2:3]
	s_mov_b32 s2, 0
	v_cndmask_b32_e32 v3, v93, v9, vcc
	v_cndmask_b32_e32 v2, 0, v8, vcc
	s_brev_b32 s3, 8
	v_cmp_gt_f64_e32 vcc, s[2:3], v[2:3]
	v_cndmask_b32_e64 v8, 0, 1, vcc
	v_lshlrev_b32_e32 v8, 8, v8
	v_ldexp_f64 v[2:3], v[2:3], v8
	v_xor_b32_e32 v6, v0, v6
	v_cvt_f64_u32_e32 v[0:1], v1
	v_rsq_f64_e32 v[8:9], v[2:3]
	v_ldexp_f64 v[0:1], v[0:1], 32
	v_cvt_f64_u32_e32 v[6:7], v6
	v_add_f64 v[0:1], v[0:1], v[6:7]
	v_mov_b32_e32 v6, 0
	v_mov_b32_e32 v7, 0x3cb00000
	v_fmac_f64_e32 v[6:7], 0x3cb00000, v[0:1]
	v_mul_f64 v[0:1], v[2:3], v[8:9]
	v_mul_f64 v[8:9], v[8:9], 0.5
	v_fma_f64 v[10:11], -v[8:9], v[0:1], 0.5
	v_fmac_f64_e32 v[0:1], v[0:1], v[10:11]
	v_fma_f64 v[72:73], -v[0:1], v[0:1], v[2:3]
	v_fmac_f64_e32 v[8:9], v[8:9], v[10:11]
	v_fmac_f64_e32 v[0:1], v[72:73], v[8:9]
	v_fma_f64 v[10:11], -v[0:1], v[0:1], v[2:3]
	v_fmac_f64_e32 v[0:1], v[10:11], v[8:9]
	v_cndmask_b32_e32 v8, 0, v89, vcc
	v_ldexp_f64 v[0:1], v[0:1], v8
	v_cmp_class_f64_e32 vcc, v[2:3], v88
	v_cndmask_b32_e32 v1, v1, v3, vcc
	v_cndmask_b32_e32 v0, v0, v2, vcc
	v_mul_f64 v[2:3], v[6:7], 0.5
	v_fract_f64_e32 v[8:9], v[2:3]
	v_add_f64 v[8:9], v[8:9], v[8:9]
	v_cmp_neq_f64_e32 vcc, s[14:15], v[2:3]
	v_cndmask_b32_e32 v2, 0, v8, vcc
	v_cndmask_b32_e32 v3, 0, v9, vcc
	v_cmp_lt_f64_e32 vcc, 1.0, v[6:7]
	v_cndmask_b32_e32 v3, v7, v3, vcc
	v_cndmask_b32_e32 v2, v6, v2, vcc
	v_add_f64 v[8:9], v[2:3], v[2:3]
	v_rndne_f64_e32 v[8:9], v[8:9]
	v_fmac_f64_e32 v[2:3], -0.5, v[8:9]
	s_mov_b32 s6, 0xf99eb0bb
	v_cvt_i32_f64_e32 v15, v[8:9]
	v_mul_f64 v[8:9], v[2:3], v[2:3]
	v_pk_mov_b32 v[10:11], v[48:49], v[48:49] op_sel:[0,1]
	s_mov_b32 s7, 0x3f3e357e
	v_fmac_f64_e32 v[10:11], s[6:7], v[8:9]
	v_pk_mov_b32 v[72:73], v[50:51], v[50:51] op_sel:[0,1]
	v_fmac_f64_e32 v[72:73], v[8:9], v[10:11]
	v_pk_mov_b32 v[10:11], v[52:53], v[52:53] op_sel:[0,1]
	;; [unrolled: 2-line block ×4, first 2 shown]
	v_fmac_f64_e32 v[10:11], v[8:9], v[72:73]
	v_mul_f64 v[72:73], v[2:3], v[8:9]
	s_mov_b32 s6, 0x54442d18
	v_mul_f64 v[10:11], v[72:73], v[10:11]
	s_mov_b32 s7, 0x400921fb
	v_fmac_f64_e32 v[10:11], s[6:7], v[2:3]
	s_mov_b32 s6, 0x2e21c33
	v_pk_mov_b32 v[2:3], v[58:59], v[58:59] op_sel:[0,1]
	s_mov_b32 s7, 0xbf1b1673
	v_fmac_f64_e32 v[2:3], s[6:7], v[8:9]
	v_pk_mov_b32 v[72:73], v[60:61], v[60:61] op_sel:[0,1]
	v_fmac_f64_e32 v[72:73], v[8:9], v[2:3]
	v_pk_mov_b32 v[2:3], v[62:63], v[62:63] op_sel:[0,1]
	;; [unrolled: 2-line block ×5, first 2 shown]
	v_fmac_f64_e32 v[72:73], v[8:9], v[2:3]
	v_fma_f64 v[2:3], v[8:9], v[72:73], 1.0
	v_and_b32_e32 v9, 1, v15
	v_lshlrev_b32_e32 v8, 30, v15
	v_cmp_eq_u32_e32 vcc, 0, v9
	v_cndmask_b32_e32 v10, v2, v10, vcc
	v_cndmask_b32_e32 v2, v3, v11, vcc
	v_xor_b32_e32 v3, v8, v7
	v_and_b32_e32 v3, 0x80000000, v3
	v_cmp_gt_f64_e32 vcc, s[2:3], v[4:5]
	v_xor_b32_e32 v11, v2, v3
	v_cndmask_b32_e64 v2, 0, 1, vcc
	v_lshlrev_b32_e32 v2, 8, v2
	v_ldexp_f64 v[2:3], v[4:5], v2
	v_rsq_f64_e32 v[8:9], v[2:3]
	v_cmp_lg_f64_e64 s[2:3], s[14:15], v[6:7]
	v_cndmask_b32_e64 v6, 0, v10, s[2:3]
	v_cndmask_b32_e64 v7, v91, v11, s[2:3]
	v_mul_f64 v[0:1], v[0:1], v[6:7]
	v_mul_f64 v[6:7], v[2:3], v[8:9]
	v_mul_f64 v[8:9], v[8:9], 0.5
	v_fma_f64 v[10:11], -v[8:9], v[6:7], 0.5
	v_fmac_f64_e32 v[6:7], v[6:7], v[10:11]
	v_fma_f64 v[72:73], -v[6:7], v[6:7], v[2:3]
	v_fmac_f64_e32 v[8:9], v[8:9], v[10:11]
	v_fmac_f64_e32 v[6:7], v[72:73], v[8:9]
	v_fma_f64 v[10:11], -v[6:7], v[6:7], v[2:3]
	v_fmac_f64_e32 v[6:7], v[10:11], v[8:9]
	v_cndmask_b32_e32 v8, 0, v89, vcc
	v_ldexp_f64 v[6:7], v[6:7], v8
	v_cmp_class_f64_e32 vcc, v[2:3], v88
	v_cndmask_b32_e32 v3, v7, v3, vcc
	v_cndmask_b32_e32 v2, v6, v2, vcc
	v_fmac_f64_e32 v[4:5], v[2:3], v[0:1]
	v_trunc_f64_e32 v[0:1], v[4:5]
	v_add_f64 v[2:3], v[4:5], -v[0:1]
	v_cmp_ge_f64_e64 vcc, |v[2:3]|, 0.5
	v_cndmask_b32_e32 v2, 0, v90, vcc
	s_brev_b32 s2, -2
	v_bfi_b32 v15, s2, v2, v5
	v_add_f64 v[0:1], v[0:1], v[14:15]
	v_cvt_u32_f64_e32 v75, v[0:1]
.LBB59_41:                              ;   in Loop: Header=BB59_5 Depth=1
	s_or_b64 exec, exec, s[0:1]
                                        ; implicit-def: $vgpr4_vgpr5
                                        ; implicit-def: $vgpr72_vgpr73
                                        ; implicit-def: $vgpr15
                                        ; implicit-def: $vgpr96
                                        ; implicit-def: $vgpr97
                                        ; implicit-def: $vgpr105
                                        ; implicit-def: $vgpr95
                                        ; implicit-def: $vgpr3
                                        ; implicit-def: $vgpr98
                                        ; implicit-def: $vgpr99
                                        ; implicit-def: $vgpr100
                                        ; implicit-def: $vgpr101
                                        ; implicit-def: $vgpr103
                                        ; implicit-def: $vgpr104
                                        ; implicit-def: $vgpr106
                                        ; implicit-def: $vgpr107
                                        ; implicit-def: $vgpr108
                                        ; implicit-def: $vgpr109
                                        ; implicit-def: $vgpr110
                                        ; implicit-def: $vgpr111
                                        ; implicit-def: $vgpr112
                                        ; implicit-def: $vgpr113
                                        ; implicit-def: $vgpr102
                                        ; implicit-def: $vgpr114
.LBB59_42:                              ;   in Loop: Header=BB59_5 Depth=1
	s_andn2_saveexec_b64 s[0:1], s[18:19]
	s_cbranch_execz .LBB59_3
; %bb.43:                               ;   in Loop: Header=BB59_5 Depth=1
	s_mov_b32 s12, s58
	v_mul_f64 v[6:7], v[4:5], s[12:13]
	v_rndne_f64_e32 v[6:7], v[6:7]
	s_mov_b32 s60, s52
	v_fma_f64 v[10:11], v[6:7], s[60:61], -v[4:5]
	s_mov_b32 s62, s54
	v_fmac_f64_e32 v[10:11], s[62:63], v[6:7]
	v_pk_mov_b32 v[8:9], v[30:31], v[30:31] op_sel:[0,1]
	v_fmac_f64_e32 v[8:9], s[64:65], v[10:11]
	v_pk_mov_b32 v[74:75], v[32:33], v[32:33] op_sel:[0,1]
	;; [unrolled: 2-line block ×9, first 2 shown]
	s_mov_b32 s2, 0
	v_fmac_f64_e32 v[76:77], v[10:11], v[74:75]
	s_mov_b32 s3, 0xc0900000
	v_fma_f64 v[74:75], v[10:11], v[76:77], 1.0
	v_cmp_ngt_f64_e32 vcc, s[2:3], v[4:5]
	s_mov_b32 s2, 0
	v_fma_f64 v[10:11], v[10:11], v[74:75], 1.0
	v_cvt_i32_f64_e32 v6, v[6:7]
	s_mov_b32 s3, 0x4090cc00
	v_ldexp_f64 v[6:7], v[10:11], v6
	v_cmp_nlt_f64_e64 s[2:3], s[2:3], v[4:5]
	v_mov_b32_e32 v8, 0
	v_cndmask_b32_e32 v7, v93, v7, vcc
	s_and_b64 vcc, s[2:3], vcc
	v_mov_b32_e32 v9, 0x3ff00000
	v_mov_b32_e32 v78, 0
	v_cndmask_b32_e64 v11, 0, v7, s[2:3]
	v_cndmask_b32_e32 v10, 0, v6, vcc
	s_mov_b32 s12, -1
	s_mov_b64 s[2:3], 0
	v_mov_b32_e32 v79, v17
	s_branch .LBB59_45
.LBB59_44:                              ;   in Loop: Header=BB59_45 Depth=2
	s_or_b64 exec, exec, s[6:7]
	v_cmp_eq_u32_e32 vcc, 1, v15
	v_cndmask_b32_e32 v0, v0, v1, vcc
	v_cmp_eq_u32_e32 vcc, 2, v15
	v_cndmask_b32_e32 v0, v0, v2, vcc
	;; [unrolled: 2-line block ×6, first 2 shown]
	v_lshrrev_b32_e32 v0, 11, v0
	v_cvt_f64_u32_e32 v[0:1], v0
	v_ldexp_f64 v[0:1], v[0:1], 32
	v_cvt_f64_u32_e32 v[2:3], v2
	v_add_f64 v[0:1], v[0:1], v[2:3]
	v_mov_b32_e32 v2, 0
	v_mov_b32_e32 v3, 0x3ca00000
	v_fmac_f64_e32 v[2:3], 0x3ca00000, v[0:1]
	v_mul_f64 v[8:9], v[8:9], v[2:3]
	v_cmp_ngt_f64_e32 vcc, v[8:9], v[10:11]
	s_add_i32 s12, s12, 1
	s_or_b64 s[2:3], vcc, s[2:3]
	v_mov_b32_e32 v75, s12
	v_mov_b32_e32 v15, v81
	;; [unrolled: 1-line block ×6, first 2 shown]
	s_andn2_b64 exec, exec, s[2:3]
	s_cbranch_execz .LBB59_2
.LBB59_45:                              ;   Parent Loop BB59_5 Depth=1
                                        ; =>  This Inner Loop Header: Depth=2
	v_add_u32_e32 v80, 1, v15
	v_pk_mov_b32 v[6:7], v[2:3], v[2:3] op_sel:[0,1]
	v_cmp_eq_u32_e32 vcc, 4, v80
	v_pk_mov_b32 v[4:5], v[0:1], v[0:1] op_sel:[0,1]
	v_mov_b32_e32 v77, v0
	v_mov_b32_e32 v76, v1
	;; [unrolled: 1-line block ×4, first 2 shown]
	s_and_saveexec_b64 s[6:7], vcc
	s_cbranch_execz .LBB59_47
; %bb.46:                               ;   in Loop: Header=BB59_45 Depth=2
	v_add_co_u32_e32 v96, vcc, 1, v96
	v_cndmask_b32_e64 v4, 0, 1, vcc
	v_addc_co_u32_e32 v97, vcc, 0, v97, vcc
	v_cmp_eq_u32_e32 vcc, 0, v97
	v_cndmask_b32_e32 v4, 0, v4, vcc
	v_add_u32_e32 v79, v4, v79
	v_cmp_eq_u32_e32 vcc, 0, v79
	v_cndmask_b32_e32 v4, 0, v4, vcc
	v_add_u32_e32 v78, v4, v78
	v_mad_u64_u32 v[4:5], s[14:15], v96, s11, 0
	v_mad_u64_u32 v[6:7], s[14:15], v79, s8, 0
	v_xor_b32_e32 v5, v5, v73
	v_xor_b32_e32 v7, v7, v72
	v_xor_b32_e32 v5, v78, v5
	v_xor_b32_e32 v7, v97, v7
	v_mad_u64_u32 v[76:77], s[14:15], v5, s8, 0
	v_mad_u64_u32 v[74:75], s[14:15], v7, s11, 0
	v_xor_b32_e32 v5, v98, v77
	v_xor_b32_e32 v5, v5, v6
	v_xor_b32_e32 v6, v99, v75
	v_xor_b32_e32 v6, v6, v4
	;; [unrolled: 6-line block ×10, first 2 shown]
	v_mov_b32_e32 v80, 0
	v_mov_b32_e32 v5, v76
	;; [unrolled: 1-line block ×5, first 2 shown]
.LBB59_47:                              ;   in Loop: Header=BB59_45 Depth=2
	s_or_b64 exec, exec, s[6:7]
	v_add_u32_e32 v81, 1, v80
	v_cmp_eq_u32_e32 vcc, 4, v81
	s_and_saveexec_b64 s[6:7], vcc
	s_cbranch_execz .LBB59_44
; %bb.48:                               ;   in Loop: Header=BB59_45 Depth=2
	v_add_co_u32_e32 v96, vcc, 1, v96
	v_cndmask_b32_e64 v74, 0, 1, vcc
	v_addc_co_u32_e32 v97, vcc, 0, v97, vcc
	v_cmp_eq_u32_e32 vcc, 0, v97
	v_cndmask_b32_e32 v74, 0, v74, vcc
	v_add_u32_e32 v79, v74, v79
	v_cmp_eq_u32_e32 vcc, 0, v79
	v_cndmask_b32_e32 v74, 0, v74, vcc
	v_add_u32_e32 v78, v74, v78
	v_mad_u64_u32 v[74:75], s[14:15], v96, s11, 0
	v_mad_u64_u32 v[76:77], s[14:15], v79, s8, 0
	v_xor_b32_e32 v75, v75, v73
	v_xor_b32_e32 v77, v77, v72
	v_xor_b32_e32 v75, v78, v75
	v_xor_b32_e32 v77, v97, v77
	v_mad_u64_u32 v[84:85], s[14:15], v75, s8, 0
	v_mad_u64_u32 v[82:83], s[14:15], v77, s11, 0
	v_xor_b32_e32 v75, v98, v85
	v_xor_b32_e32 v75, v75, v76
	v_xor_b32_e32 v76, v99, v83
	v_xor_b32_e32 v76, v76, v74
	;; [unrolled: 6-line block ×9, first 2 shown]
	v_mad_u64_u32 v[74:75], s[14:15], v74, s11, 0
	v_mad_u64_u32 v[76:77], s[14:15], v76, s8, 0
	v_xor_b32_e32 v77, v77, v116
	v_xor_b32_e32 v75, v75, v86
	v_mov_b32_e32 v81, 0
	v_xor_b32_e32 v77, v105, v77
	v_xor_b32_e32 v82, v95, v75
	s_branch .LBB59_44
.LBB59_49:
	s_or_b64 exec, exec, s[4:5]
	s_and_saveexec_b64 s[0:1], s[20:21]
	s_xor_b64 s[0:1], exec, s[0:1]
	s_cbranch_execnz .LBB59_51
.LBB59_50:
	s_endpgm
.LBB59_51:
	s_trap 2
	; divergent unreachable
	s_endpgm
	.section	.rodata,"a",@progbits
	.p2align	6, 0x0
	.amdhsa_kernel _ZN2at4cuda12_GLOBAL__N_121kernelPointwiseApply2IZN12_GLOBAL__N_119poisson_cuda_kernelIdEEvRKNS_10TensorBaseES7_NS_15PhiloxCudaStateEEUlRdRKdE_ddjLi1ELin1ELi1ELi512ELi2EEEvNS0_6detail10TensorInfoIT0_T2_EENSE_IT1_SG_EESG_T_
		.amdhsa_group_segment_fixed_size 0
		.amdhsa_private_segment_fixed_size 0
		.amdhsa_kernarg_size 728
		.amdhsa_user_sgpr_count 6
		.amdhsa_user_sgpr_private_segment_buffer 1
		.amdhsa_user_sgpr_dispatch_ptr 0
		.amdhsa_user_sgpr_queue_ptr 0
		.amdhsa_user_sgpr_kernarg_segment_ptr 1
		.amdhsa_user_sgpr_dispatch_id 0
		.amdhsa_user_sgpr_flat_scratch_init 0
		.amdhsa_user_sgpr_kernarg_preload_length 0
		.amdhsa_user_sgpr_kernarg_preload_offset 0
		.amdhsa_user_sgpr_private_segment_size 0
		.amdhsa_uses_dynamic_stack 0
		.amdhsa_system_sgpr_private_segment_wavefront_offset 0
		.amdhsa_system_sgpr_workgroup_id_x 1
		.amdhsa_system_sgpr_workgroup_id_y 0
		.amdhsa_system_sgpr_workgroup_id_z 0
		.amdhsa_system_sgpr_workgroup_info 0
		.amdhsa_system_vgpr_workitem_id 0
		.amdhsa_next_free_vgpr 135
		.amdhsa_next_free_sgpr 96
		.amdhsa_accum_offset 136
		.amdhsa_reserve_vcc 1
		.amdhsa_reserve_flat_scratch 0
		.amdhsa_float_round_mode_32 0
		.amdhsa_float_round_mode_16_64 0
		.amdhsa_float_denorm_mode_32 3
		.amdhsa_float_denorm_mode_16_64 3
		.amdhsa_dx10_clamp 1
		.amdhsa_ieee_mode 1
		.amdhsa_fp16_overflow 0
		.amdhsa_tg_split 0
		.amdhsa_exception_fp_ieee_invalid_op 0
		.amdhsa_exception_fp_denorm_src 0
		.amdhsa_exception_fp_ieee_div_zero 0
		.amdhsa_exception_fp_ieee_overflow 0
		.amdhsa_exception_fp_ieee_underflow 0
		.amdhsa_exception_fp_ieee_inexact 0
		.amdhsa_exception_int_div_zero 0
	.end_amdhsa_kernel
	.section	.text._ZN2at4cuda12_GLOBAL__N_121kernelPointwiseApply2IZN12_GLOBAL__N_119poisson_cuda_kernelIdEEvRKNS_10TensorBaseES7_NS_15PhiloxCudaStateEEUlRdRKdE_ddjLi1ELin1ELi1ELi512ELi2EEEvNS0_6detail10TensorInfoIT0_T2_EENSE_IT1_SG_EESG_T_,"axG",@progbits,_ZN2at4cuda12_GLOBAL__N_121kernelPointwiseApply2IZN12_GLOBAL__N_119poisson_cuda_kernelIdEEvRKNS_10TensorBaseES7_NS_15PhiloxCudaStateEEUlRdRKdE_ddjLi1ELin1ELi1ELi512ELi2EEEvNS0_6detail10TensorInfoIT0_T2_EENSE_IT1_SG_EESG_T_,comdat
.Lfunc_end59:
	.size	_ZN2at4cuda12_GLOBAL__N_121kernelPointwiseApply2IZN12_GLOBAL__N_119poisson_cuda_kernelIdEEvRKNS_10TensorBaseES7_NS_15PhiloxCudaStateEEUlRdRKdE_ddjLi1ELin1ELi1ELi512ELi2EEEvNS0_6detail10TensorInfoIT0_T2_EENSE_IT1_SG_EESG_T_, .Lfunc_end59-_ZN2at4cuda12_GLOBAL__N_121kernelPointwiseApply2IZN12_GLOBAL__N_119poisson_cuda_kernelIdEEvRKNS_10TensorBaseES7_NS_15PhiloxCudaStateEEUlRdRKdE_ddjLi1ELin1ELi1ELi512ELi2EEEvNS0_6detail10TensorInfoIT0_T2_EENSE_IT1_SG_EESG_T_
                                        ; -- End function
	.section	.AMDGPU.csdata,"",@progbits
; Kernel info:
; codeLenInByte = 13624
; NumSgprs: 100
; NumVgprs: 135
; NumAgprs: 0
; TotalNumVgprs: 135
; ScratchSize: 0
; MemoryBound: 0
; FloatMode: 240
; IeeeMode: 1
; LDSByteSize: 0 bytes/workgroup (compile time only)
; SGPRBlocks: 12
; VGPRBlocks: 16
; NumSGPRsForWavesPerEU: 100
; NumVGPRsForWavesPerEU: 135
; AccumOffset: 136
; Occupancy: 3
; WaveLimiterHint : 1
; COMPUTE_PGM_RSRC2:SCRATCH_EN: 0
; COMPUTE_PGM_RSRC2:USER_SGPR: 6
; COMPUTE_PGM_RSRC2:TRAP_HANDLER: 0
; COMPUTE_PGM_RSRC2:TGID_X_EN: 1
; COMPUTE_PGM_RSRC2:TGID_Y_EN: 0
; COMPUTE_PGM_RSRC2:TGID_Z_EN: 0
; COMPUTE_PGM_RSRC2:TIDIG_COMP_CNT: 0
; COMPUTE_PGM_RSRC3_GFX90A:ACCUM_OFFSET: 33
; COMPUTE_PGM_RSRC3_GFX90A:TG_SPLIT: 0
	.section	.text._ZN2at4cuda12_GLOBAL__N_121kernelPointwiseApply2IZN12_GLOBAL__N_119poisson_cuda_kernelIdEEvRKNS_10TensorBaseES7_NS_15PhiloxCudaStateEEUlRdRKdE_ddjLi2ELi1ELi1ELi512ELi2EEEvNS0_6detail10TensorInfoIT0_T2_EENSE_IT1_SG_EESG_T_,"axG",@progbits,_ZN2at4cuda12_GLOBAL__N_121kernelPointwiseApply2IZN12_GLOBAL__N_119poisson_cuda_kernelIdEEvRKNS_10TensorBaseES7_NS_15PhiloxCudaStateEEUlRdRKdE_ddjLi2ELi1ELi1ELi512ELi2EEEvNS0_6detail10TensorInfoIT0_T2_EENSE_IT1_SG_EESG_T_,comdat
	.globl	_ZN2at4cuda12_GLOBAL__N_121kernelPointwiseApply2IZN12_GLOBAL__N_119poisson_cuda_kernelIdEEvRKNS_10TensorBaseES7_NS_15PhiloxCudaStateEEUlRdRKdE_ddjLi2ELi1ELi1ELi512ELi2EEEvNS0_6detail10TensorInfoIT0_T2_EENSE_IT1_SG_EESG_T_ ; -- Begin function _ZN2at4cuda12_GLOBAL__N_121kernelPointwiseApply2IZN12_GLOBAL__N_119poisson_cuda_kernelIdEEvRKNS_10TensorBaseES7_NS_15PhiloxCudaStateEEUlRdRKdE_ddjLi2ELi1ELi1ELi512ELi2EEEvNS0_6detail10TensorInfoIT0_T2_EENSE_IT1_SG_EESG_T_
	.p2align	8
	.type	_ZN2at4cuda12_GLOBAL__N_121kernelPointwiseApply2IZN12_GLOBAL__N_119poisson_cuda_kernelIdEEvRKNS_10TensorBaseES7_NS_15PhiloxCudaStateEEUlRdRKdE_ddjLi2ELi1ELi1ELi512ELi2EEEvNS0_6detail10TensorInfoIT0_T2_EENSE_IT1_SG_EESG_T_,@function
_ZN2at4cuda12_GLOBAL__N_121kernelPointwiseApply2IZN12_GLOBAL__N_119poisson_cuda_kernelIdEEvRKNS_10TensorBaseES7_NS_15PhiloxCudaStateEEUlRdRKdE_ddjLi2ELi1ELi1ELi512ELi2EEEvNS0_6detail10TensorInfoIT0_T2_EENSE_IT1_SG_EESG_T_: ; @_ZN2at4cuda12_GLOBAL__N_121kernelPointwiseApply2IZN12_GLOBAL__N_119poisson_cuda_kernelIdEEvRKNS_10TensorBaseES7_NS_15PhiloxCudaStateEEUlRdRKdE_ddjLi2ELi1ELi1ELi512ELi2EEEvNS0_6detail10TensorInfoIT0_T2_EENSE_IT1_SG_EESG_T_
; %bb.0:
	s_load_dword s2, s[4:5], 0x1e4
	s_load_dword s33, s[4:5], 0x1b0
	s_add_u32 s0, s4, 0x1d8
	s_addc_u32 s1, s5, 0
	s_waitcnt lgkmcnt(0)
	s_and_b32 s2, s2, 0xffff
	s_mul_i32 s6, s6, s2
	v_add_u32_e32 v17, s6, v0
	v_cmp_gt_u32_e32 vcc, s33, v17
	s_and_saveexec_b64 s[6:7], vcc
	s_cbranch_execz .LBB60_47
; %bb.1:
	s_load_dwordx2 s[6:7], s[4:5], 0x0
                                        ; implicit-def: $vgpr134 : SGPR spill to VGPR lane
                                        ; kill: killed $sgpr0 killed $sgpr1
	s_mov_b32 s10, 0xcd9e8d57
	s_mov_b32 s26, 0
	;; [unrolled: 1-line block ×4, first 2 shown]
	s_waitcnt lgkmcnt(0)
	v_writelane_b32 v134, s6, 0
	v_writelane_b32 v134, s7, 1
	s_load_dword s8, s[4:5], 0xc
	s_load_dwordx2 s[6:7], s[4:5], 0x6c
	s_load_dwordx2 s[28:29], s[4:5], 0xd8
	s_load_dword s9, s[4:5], 0x144
	s_load_dwordx4 s[12:15], s[4:5], 0x1b8
	s_mov_b32 s38, 0xbf559e2b
	s_mov_b32 s40, 0xd7f4df2e
	s_waitcnt lgkmcnt(0)
	v_cvt_f32_u32_e32 v0, s8
	v_writelane_b32 v134, s6, 2
	v_writelane_b32 v134, s7, 3
	s_load_dword s3, s[0:1], 0x0
	s_load_dwordx2 s[6:7], s[4:5], 0x1c8
	v_writelane_b32 v134, s12, 4
	v_writelane_b32 v134, s13, 5
	;; [unrolled: 1-line block ×4, first 2 shown]
	v_rcp_iflag_f32_e32 v0, v0
	s_waitcnt lgkmcnt(0)
	v_writelane_b32 v134, s6, 8
	v_writelane_b32 v134, s7, 9
	s_load_dword s6, s[4:5], 0x1d0
	v_mul_f32_e32 v0, 0x4f7ffffe, v0
	s_getpc_b64 s[0:1]
	s_add_u32 s0, s0, .str@rel32@lo+4
	s_addc_u32 s1, s1, .str@rel32@hi+12
	v_cvt_u32_f32_e32 v0, v0
	s_cmp_eq_u64 s[0:1], 0
	s_cselect_b64 s[0:1], -1, 0
	s_waitcnt lgkmcnt(0)
	s_bitcmp1_b32 s6, 0
	v_mad_u64_u32 v[12:13], s[6:7], v17, s10, 0
	s_mul_i32 s49, s3, s2
	s_cselect_b64 s[2:3], -1, 0
	s_sub_i32 s6, 0, s8
	v_mul_lo_u32 v1, s6, v0
	v_mul_hi_u32 v1, v0, v1
	v_mov_b32_e32 v16, v13
	v_add_u32_e32 v13, v0, v1
	v_cndmask_b32_e64 v0, 0, 1, s[2:3]
	v_cmp_ne_u32_e64 s[2:3], 1, v0
	v_writelane_b32 v134, s2, 10
	v_writelane_b32 v134, s3, 11
	s_xor_b64 s[64:65], s[0:1], -1
	s_mov_b32 s1, 0xbff71547
	s_mov_b32 s42, 0x16291751
	;; [unrolled: 1-line block ×22, first 2 shown]
	s_movk_i32 s94, 0xf950
	s_mov_b32 s24, 0xc864beb5
	s_mov_b32 s20, 0
	;; [unrolled: 1-line block ×3, first 2 shown]
	v_writelane_b32 v134, s0, 12
                                        ; kill: killed $sgpr4 killed $sgpr5
	s_mov_b64 s[4:5], 0
	v_mov_b32_e32 v14, 0
	v_mov_b32_e32 v88, s29
	s_mov_b32 s29, s9
	s_mov_b32 s11, 0xd2511f53
	;; [unrolled: 1-line block ×13, first 2 shown]
	s_movk_i32 s9, 0x204
	s_mov_b32 s57, 0x3ff71547
	s_mov_b32 s59, 0xbfe62e42
	;; [unrolled: 1-line block ×4, first 2 shown]
	v_mov_b32_e32 v18, 0x6b47b09a
	v_mov_b32_e32 v20, 0xd7f4df2e
	v_mov_b32_e32 v22, 0x16291751
	v_mov_b32_e32 v24, 0x9b27acf1
	v_mov_b32_e32 v26, 0x998ef7b6
	v_mov_b32_e32 v28, 0x55555780
	v_mov_b32_e32 v30, 0xfca7ab0c
	v_mov_b32_e32 v32, 0x623fde64
	v_mov_b32_e32 v34, 0x7c89e6b0
	v_mov_b32_e32 v36, 0x14761f6e
	v_mov_b32_e32 v38, 0x1852b7b0
	v_mov_b32_e32 v40, 0x11122322
	v_mov_b32_e32 v42, 0x555502a1
	v_mov_b32_e32 v44, 0x55555511
	v_mov_b32_e32 v46, 11
	v_mov_b32_e32 v48, 0x6fdffd2b
	v_mov_b32_e32 v50, 0xd5f14825
	v_mov_b32_e32 v52, 0xcdfe9424
	v_mov_b32_e32 v54, 0x67754fff
	v_mov_b32_e32 v56, 0xe625be09
	v_mov_b32_e32 v58, 0xca1d4f33
	v_mov_b32_e32 v60, 0x7294bff9
	v_mov_b32_e32 v62, 0x67b90b37
	v_mov_b32_e32 v64, 0x7e3c325b
	v_mov_b32_e32 v66, 0x81b5a67
	v_mov_b32_e32 v68, 0xc9be45de
	v_mov_b32_e32 v89, 0x260
	v_mov_b32_e32 v90, 0xffffff80
	v_mov_b32_e32 v91, 0x3ff00000
	v_mov_b32_e32 v92, 0x7ff80000
	v_mov_b32_e32 v93, 0xfff00000
	v_mov_b32_e32 v94, 0x7ff00000
	v_mov_b32_e32 v95, v17
	v_mov_b32_e32 v19, 0x3fc38538
	v_mov_b32_e32 v21, 0x3fc7474d
	v_mov_b32_e32 v23, 0x3fcc71c0
	v_mov_b32_e32 v25, 0x3fd24924
	v_mov_b32_e32 v27, 0x3fd99999
	v_mov_b32_e32 v29, 0x3fe55555
	v_mov_b32_e32 v31, 0x3e928af3
	v_mov_b32_e32 v33, 0x3ec71dee
	v_mov_b32_e32 v35, 0x3efa0199
	v_mov_b32_e32 v37, 0x3f2a01a0
	v_mov_b32_e32 v39, 0x3f56c16c
	v_mov_b32_e32 v41, 0x3f811111
	v_mov_b32_e32 v43, 0x3fa55555
	v_mov_b32_e32 v45, 0x3fc55555
	v_mov_b32_e32 v47, 0x3fe00000
	v_mov_b32_e32 v49, 0xbf7e2fe7
	v_mov_b32_e32 v51, 0x3fb50782
	v_mov_b32_e32 v53, 0xbfe32d2c
	v_mov_b32_e32 v55, 0x400466bc
	v_mov_b32_e32 v57, 0xc014abbc
	v_mov_b32_e32 v59, 0x3f5f9c89
	v_mov_b32_e32 v61, 0xbf9a6d1e
	v_mov_b32_e32 v63, 0x3fce1f50
	v_mov_b32_e32 v65, 0xbff55d3c
	v_mov_b32_e32 v67, 0x40103c1f
	v_mov_b32_e32 v69, 0xc013bd3c
	s_mov_b32 s67, 0x40900000
	s_mov_b32 s69, 0xc090cc00
	;; [unrolled: 1-line block ×18, first 2 shown]
	v_writelane_b32 v134, s1, 13
                                        ; implicit-def: $sgpr16_sgpr17
                                        ; implicit-def: $sgpr18_sgpr19
	v_writelane_b32 v134, s49, 14
	s_branch .LBB60_5
.LBB60_2:                               ;   in Loop: Header=BB60_5 Depth=1
	s_or_b64 exec, exec, s[2:3]
.LBB60_3:                               ;   in Loop: Header=BB60_5 Depth=1
	s_or_b64 exec, exec, s[0:1]
	v_readlane_b32 s0, v134, 0
	v_lshlrev_b64 v[0:1], 3, v[70:71]
	v_readlane_b32 s1, v134, 1
	v_mov_b32_e32 v2, s1
	v_add_co_u32_e32 v0, vcc, s0, v0
	v_addc_co_u32_e32 v1, vcc, v2, v1, vcc
	v_add_u32_e32 v95, s49, v95
	v_cmp_le_u32_e32 vcc, s33, v95
	v_cvt_f64_u32_e32 v[2:3], v75
	s_andn2_b64 s[18:19], s[18:19], exec
	s_orn2_b64 s[0:1], vcc, exec
	global_store_dwordx2 v[0:1], v[2:3], off
.LBB60_4:                               ;   in Loop: Header=BB60_5 Depth=1
	s_or_b64 exec, exec, s[30:31]
	s_and_b64 s[0:1], exec, s[0:1]
	s_or_b64 s[4:5], s[0:1], s[4:5]
	s_andn2_b64 s[0:1], s[16:17], exec
	s_and_b64 s[2:3], s[18:19], exec
	s_or_b64 s[16:17], s[0:1], s[2:3]
	s_andn2_b64 exec, exec, s[4:5]
	s_cbranch_execz .LBB60_46
.LBB60_5:                               ; =>This Loop Header: Depth=1
                                        ;     Child Loop BB60_13 Depth 2
                                        ;     Child Loop BB60_42 Depth 2
	v_sub_u32_e32 v0, s33, v95
	v_cmp_lt_i32_e32 vcc, 0, v0
	v_pk_mov_b32 v[70:71], 0, 0
	s_and_saveexec_b64 s[0:1], vcc
	s_cbranch_execz .LBB60_7
; %bb.6:                                ;   in Loop: Header=BB60_5 Depth=1
	v_mul_hi_u32 v0, v95, v13
	v_mul_lo_u32 v1, v0, s8
	v_sub_u32_e32 v1, v95, v1
	v_add_u32_e32 v2, 1, v0
	v_cmp_le_u32_e64 s[2:3], s8, v1
	v_cndmask_b32_e64 v0, v0, v2, s[2:3]
	v_subrev_u32_e32 v2, s8, v1
	v_cndmask_b32_e64 v1, v1, v2, s[2:3]
	v_add_u32_e32 v2, 1, v0
	v_cmp_le_u32_e64 s[2:3], s8, v1
	v_cndmask_b32_e64 v1, v0, v2, s[2:3]
	v_mul_lo_u32 v0, v1, s8
	v_readlane_b32 s2, v134, 2
	v_sub_u32_e32 v0, v95, v0
	v_readlane_b32 s3, v134, 3
	v_mul_lo_u32 v0, v0, s3
	v_mad_u64_u32 v[70:71], s[2:3], v1, s2, v[0:1]
	v_mov_b32_e32 v71, v14
.LBB60_7:                               ;   in Loop: Header=BB60_5 Depth=1
	s_or_b64 exec, exec, s[0:1]
	v_mul_lo_u32 v0, v95, s29
	v_cndmask_b32_e32 v0, 0, v0, vcc
	v_mov_b32_e32 v1, v14
	v_lshlrev_b64 v[0:1], 3, v[0:1]
	v_add_co_u32_e32 v0, vcc, s28, v0
	v_addc_co_u32_e32 v1, vcc, v88, v1, vcc
	global_load_dwordx2 v[4:5], v[0:1], off
	s_mov_b64 s[0:1], -1
	s_or_b64 s[18:19], s[18:19], exec
	s_waitcnt vmcnt(0)
	v_cmp_le_f64_e32 vcc, 0, v[4:5]
	s_and_b64 s[2:3], s[64:65], vcc
	s_and_saveexec_b64 s[30:31], s[2:3]
	s_cbranch_execz .LBB60_4
; %bb.8:                                ;   in Loop: Header=BB60_5 Depth=1
	v_readlane_b32 s0, v134, 10
	v_readlane_b32 s1, v134, 11
	s_and_b64 vcc, exec, s[0:1]
	v_readlane_b32 s0, v134, 4
	v_readlane_b32 s1, v134, 5
	;; [unrolled: 1-line block ×4, first 2 shown]
	v_pk_mov_b32 v[0:1], s[2:3], s[2:3] op_sel:[0,1]
	v_pk_mov_b32 v[72:73], s[0:1], s[0:1] op_sel:[0,1]
	s_cbranch_vccnz .LBB60_10
; %bb.9:                                ;   in Loop: Header=BB60_5 Depth=1
	v_readlane_b32 s0, v134, 4
	v_readlane_b32 s2, v134, 6
	;; [unrolled: 1-line block ×3, first 2 shown]
	v_pk_mov_b32 v[0:1], s[2:3], s[2:3] op_sel:[0,1]
	v_readlane_b32 s1, v134, 5
	flat_load_dwordx2 v[0:1], v[0:1]
	v_pk_mov_b32 v[2:3], s[0:1], s[0:1] op_sel:[0,1]
	flat_load_dwordx2 v[72:73], v[2:3]
	v_readlane_b32 s0, v134, 8
	v_readlane_b32 s1, v134, 9
	v_mov_b32_e32 v2, s1
	s_waitcnt vmcnt(0) lgkmcnt(0)
	v_add_co_u32_e32 v0, vcc, s0, v0
	v_addc_co_u32_e32 v1, vcc, v1, v2, vcc
.LBB60_10:                              ;   in Loop: Header=BB60_5 Depth=1
	v_alignbit_b32 v97, v1, v0, 2
	v_and_b32_e32 v15, 3, v0
	v_lshrrev_b32_e32 v98, 2, v1
	v_mad_u64_u32 v[0:1], s[0:1], v97, s11, 0
	v_xor_b32_e32 v3, v16, v72
	v_mov_b32_e32 v2, v73
	v_xor_b32_e32 v1, v1, v73
	s_mov_b32 s0, 0xbb67ae85
	v_xor_b32_e32 v3, v3, v98
	v_add_co_u32_e32 v100, vcc, s0, v2
	v_mad_u64_u32 v[6:7], s[0:1], v3, s11, 0
	v_mad_u64_u32 v[8:9], s[0:1], v1, s10, 0
	v_add_co_u32_e32 v99, vcc, 0x9e3779b9, v72
	v_xor_b32_e32 v1, v12, v9
	v_xor_b32_e32 v3, v100, v7
	s_mov_b32 s0, 0x3c6ef372
	v_xor_b32_e32 v1, v1, v99
	v_xor_b32_e32 v3, v3, v0
	v_add_co_u32_e32 v101, vcc, s0, v72
	s_mov_b32 s0, 0x76cf5d0a
	v_add_co_u32_e32 v102, vcc, s0, v2
	v_mad_u64_u32 v[0:1], s[0:1], v1, s11, 0
	v_mad_u64_u32 v[10:11], s[0:1], v3, s10, 0
	v_xor_b32_e32 v3, v101, v11
	v_xor_b32_e32 v1, v102, v1
	s_mov_b32 s0, 0xdaa66d2b
	v_xor_b32_e32 v3, v3, v8
	v_xor_b32_e32 v1, v1, v6
	v_add_co_u32_e32 v104, vcc, s0, v72
	s_mov_b32 s0, 0x32370b8f
	v_add_co_u32_e32 v105, vcc, s0, v2
	v_mad_u64_u32 v[6:7], s[0:1], v3, s11, 0
	v_mad_u64_u32 v[8:9], s[0:1], v1, s10, 0
	;; [unrolled: 10-line block ×7, first 2 shown]
	v_xor_b32_e32 v1, v103, v1
	v_xor_b32_e32 v3, v115, v3
	v_xor_b32_e32 v1, v1, v8
	v_xor_b32_e32 v8, v3, v6
	v_mad_u64_u32 v[6:7], s[0:1], v1, s11, 0
	v_mad_u64_u32 v[8:9], s[0:1], v8, s10, 0
	s_mov_b32 s0, 0
	v_add_u32_e32 v106, 0x8ff34781, v72
	v_add_u32_e32 v96, 0x96a522ad, v73
	v_xor_b32_e32 v0, v9, v0
	v_xor_b32_e32 v2, v7, v2
	s_mov_b32 s1, 0x40500000
	v_mov_b32_e32 v3, v6
	v_mov_b32_e32 v1, v8
	v_xor_b32_e32 v0, v106, v0
	v_xor_b32_e32 v2, v96, v2
	v_cmp_ngt_f64_e32 vcc, s[0:1], v[4:5]
                                        ; implicit-def: $vgpr75
	s_and_saveexec_b64 s[0:1], vcc
	s_xor_b64 s[54:55], exec, s[0:1]
	s_cbranch_execz .LBB60_39
; %bb.11:                               ;   in Loop: Header=BB60_5 Depth=1
	s_mov_b32 s0, 0
	s_mov_b32 s1, 0x40af4000
	v_cmp_ge_f64_e32 vcc, s[0:1], v[4:5]
                                        ; implicit-def: $vgpr75
	s_and_saveexec_b64 s[0:1], vcc
	s_xor_b64 s[6:7], exec, s[0:1]
	s_cbranch_execz .LBB60_26
; %bb.12:                               ;   in Loop: Header=BB60_5 Depth=1
	s_mov_b32 s12, 0xae147ae1
	s_mov_b32 s13, 0xc00ae147
	v_div_scale_f64 v[6:7], s[0:1], v[4:5], v[4:5], s[12:13]
	v_rcp_f64_e32 v[8:9], v[6:7]
	s_mov_b32 s0, 0
	v_mul_f64 v[76:77], v[4:5], s[26:27]
	s_brev_b32 s1, 8
	v_cmp_gt_f64_e64 s[2:3], s[0:1], v[76:77]
	v_cndmask_b32_e64 v78, 0, 1, s[2:3]
	v_fma_f64 v[74:75], -v[6:7], v[8:9], 1.0
	v_lshlrev_b32_e32 v78, 8, v78
	v_fmac_f64_e32 v[8:9], v[8:9], v[74:75]
	v_ldexp_f64 v[76:77], v[76:77], v78
	v_fma_f64 v[74:75], -v[6:7], v[8:9], 1.0
	v_rsq_f64_e32 v[78:79], v[76:77]
	v_div_scale_f64 v[10:11], vcc, s[12:13], v[4:5], s[12:13]
	v_fmac_f64_e32 v[8:9], v[8:9], v[74:75]
	v_mul_f64 v[74:75], v[10:11], v[8:9]
	v_fma_f64 v[6:7], -v[6:7], v[74:75], v[10:11]
	s_nop 0
	v_div_fmas_f64 v[6:7], v[6:7], v[8:9], v[74:75]
	v_mul_f64 v[8:9], v[76:77], v[78:79]
	v_mul_f64 v[10:11], v[78:79], 0.5
	v_fma_f64 v[74:75], -v[10:11], v[8:9], 0.5
	v_fmac_f64_e32 v[8:9], v[8:9], v[74:75]
	v_fma_f64 v[78:79], -v[8:9], v[8:9], v[76:77]
	v_fmac_f64_e32 v[10:11], v[10:11], v[74:75]
	v_fmac_f64_e32 v[8:9], v[78:79], v[10:11]
	v_fma_f64 v[74:75], -v[8:9], v[8:9], v[76:77]
	v_fmac_f64_e32 v[8:9], v[74:75], v[10:11]
	v_cndmask_b32_e64 v10, 0, v90, s[2:3]
	v_ldexp_f64 v[8:9], v[8:9], v10
	v_cmp_class_f64_e32 vcc, v[76:77], v89
	s_mov_b32 s2, 0x54442d18
	v_cndmask_b32_e32 v9, v9, v77, vcc
	v_cndmask_b32_e32 v8, v8, v76, vcc
	s_mov_b32 s3, 0x400921fb
	v_div_scale_f64 v[10:11], s[0:1], v[8:9], v[8:9], s[2:3]
	v_rcp_f64_e32 v[76:77], v[10:11]
	s_mov_b32 s0, 0x95810625
	v_div_fixup_f64 v[6:7], v[6:7], v[4:5], s[12:13]
	s_mov_b32 s1, 0x3fe88b43
	v_fma_f64 v[78:79], -v[10:11], v[76:77], 1.0
	v_fmac_f64_e32 v[76:77], v[76:77], v[78:79]
	v_fma_f64 v[78:79], -v[10:11], v[76:77], 1.0
	v_fmac_f64_e32 v[76:77], v[76:77], v[78:79]
	v_div_scale_f64 v[78:79], vcc, s[2:3], v[8:9], s[2:3]
	v_mul_f64 v[80:81], v[78:79], v[76:77]
	v_fma_f64 v[10:11], -v[10:11], v[80:81], v[78:79]
	v_add_f64 v[6:7], v[6:7], s[0:1]
	s_nop 0
	v_div_fmas_f64 v[10:11], v[10:11], v[76:77], v[80:81]
	v_div_fixup_f64 v[76:77], v[10:11], v[8:9], s[2:3]
	v_frexp_mant_f64_e32 v[8:9], v[6:7]
	v_cmp_gt_f64_e32 vcc, s[34:35], v[8:9]
	v_mov_b32_e32 v74, 0
	v_cndmask_b32_e64 v75, v91, 2.0, vcc
	v_frexp_exp_i32_f64_e32 v10, v[6:7]
	v_mul_f64 v[8:9], v[8:9], v[74:75]
	v_subbrev_co_u32_e32 v75, vcc, 0, v10, vcc
	v_add_f64 v[10:11], v[8:9], 1.0
	v_rcp_f64_e32 v[80:81], v[10:11]
	v_add_f64 v[84:85], v[10:11], -1.0
	v_add_f64 v[82:83], v[8:9], -1.0
	v_add_f64 v[8:9], v[8:9], -v[84:85]
	v_fma_f64 v[84:85], -v[10:11], v[80:81], 1.0
	v_fmac_f64_e32 v[80:81], v[84:85], v[80:81]
	v_fma_f64 v[84:85], -v[10:11], v[80:81], 1.0
	v_fmac_f64_e32 v[80:81], v[84:85], v[80:81]
	v_mul_f64 v[84:85], v[82:83], v[80:81]
	v_mul_f64 v[86:87], v[10:11], v[84:85]
	v_fma_f64 v[10:11], v[84:85], v[10:11], -v[86:87]
	v_fmac_f64_e32 v[10:11], v[84:85], v[8:9]
	v_add_f64 v[8:9], v[86:87], v[10:11]
	v_add_f64 v[116:117], v[82:83], -v[8:9]
	v_add_f64 v[86:87], v[8:9], -v[86:87]
	;; [unrolled: 1-line block ×5, first 2 shown]
	v_add_f64 v[8:9], v[10:11], v[8:9]
	v_add_f64 v[8:9], v[116:117], v[8:9]
	v_mul_f64 v[8:9], v[80:81], v[8:9]
	v_add_f64 v[10:11], v[84:85], v[8:9]
	v_add_f64 v[80:81], v[10:11], -v[84:85]
	v_add_f64 v[8:9], v[8:9], -v[80:81]
	v_mul_f64 v[80:81], v[10:11], v[10:11]
	v_pk_mov_b32 v[82:83], s[36:37], s[36:37] op_sel:[0,1]
	v_fma_f64 v[84:85], s[38:39], v[80:81], v[82:83]
	v_fma_f64 v[84:85], v[80:81], v[84:85], s[40:41]
	;; [unrolled: 1-line block ×5, first 2 shown]
	s_mov_b32 s49, s35
	v_fma_f64 v[84:85], v[80:81], v[84:85], s[48:49]
	v_ldexp_f64 v[86:87], v[10:11], 1
	v_mul_f64 v[10:11], v[10:11], v[80:81]
	v_mul_f64 v[10:11], v[10:11], v[84:85]
	v_add_f64 v[80:81], v[86:87], v[10:11]
	v_add_f64 v[84:85], v[80:81], -v[86:87]
	v_ldexp_f64 v[8:9], v[8:9], 1
	v_add_f64 v[10:11], v[10:11], -v[84:85]
	v_add_f64 v[8:9], v[8:9], v[10:11]
	v_add_f64 v[10:11], v[80:81], v[8:9]
	v_add_f64 v[80:81], v[10:11], -v[80:81]
	v_add_f64 v[8:9], v[8:9], -v[80:81]
	v_cvt_f64_i32_e32 v[80:81], v75
	v_mul_f64 v[84:85], v[80:81], s[50:51]
	v_fma_f64 v[86:87], v[80:81], s[50:51], -v[84:85]
	v_fmac_f64_e32 v[86:87], s[52:53], v[80:81]
	v_add_f64 v[80:81], v[84:85], v[86:87]
	v_add_f64 v[84:85], v[80:81], -v[84:85]
	v_add_f64 v[84:85], v[86:87], -v[84:85]
	v_add_f64 v[86:87], v[80:81], v[10:11]
	v_add_f64 v[116:117], v[86:87], -v[80:81]
	v_add_f64 v[118:119], v[86:87], -v[116:117]
	;; [unrolled: 1-line block ×4, first 2 shown]
	v_add_f64 v[10:11], v[10:11], v[80:81]
	v_add_f64 v[80:81], v[84:85], v[8:9]
	v_add_f64 v[116:117], v[80:81], -v[84:85]
	v_add_f64 v[118:119], v[80:81], -v[116:117]
	v_add_f64 v[10:11], v[80:81], v[10:11]
	v_add_f64 v[84:85], v[84:85], -v[118:119]
	v_add_f64 v[8:9], v[8:9], -v[116:117]
	v_add_f64 v[80:81], v[86:87], v[10:11]
	v_add_f64 v[8:9], v[8:9], v[84:85]
	v_add_f64 v[84:85], v[80:81], -v[86:87]
	v_add_f64 v[10:11], v[10:11], -v[84:85]
	v_add_f64 v[8:9], v[8:9], v[10:11]
	v_add_f64 v[8:9], v[80:81], v[8:9]
	v_cmp_class_f64_e64 vcc, v[6:7], s9
	v_cndmask_b32_e32 v8, v8, v6, vcc
	v_cndmask_b32_e32 v9, v9, v7, vcc
	v_cmp_ngt_f64_e32 vcc, 0, v[6:7]
	v_cndmask_b32_e32 v9, v92, v9, vcc
	v_cmp_nge_f64_e32 vcc, 0, v[6:7]
	v_cndmask_b32_e32 v8, 0, v8, vcc
	v_cmp_neq_f64_e32 vcc, 0, v[6:7]
	v_cndmask_b32_e32 v9, v93, v9, vcc
	v_add_f64 v[6:7], v[8:9], -v[4:5]
	v_frexp_mant_f64_e32 v[8:9], v[76:77]
	v_cmp_gt_f64_e32 vcc, s[34:35], v[8:9]
	v_cndmask_b32_e64 v75, v91, 2.0, vcc
	v_frexp_exp_i32_f64_e32 v10, v[76:77]
	v_mul_f64 v[8:9], v[8:9], v[74:75]
	v_subbrev_co_u32_e32 v75, vcc, 0, v10, vcc
	v_add_f64 v[10:11], v[8:9], 1.0
	v_rcp_f64_e32 v[80:81], v[10:11]
	v_add_f64 v[86:87], v[10:11], -1.0
	v_add_f64 v[84:85], v[8:9], -1.0
	v_add_f64 v[8:9], v[8:9], -v[86:87]
	v_fma_f64 v[86:87], -v[10:11], v[80:81], 1.0
	v_fmac_f64_e32 v[80:81], v[86:87], v[80:81]
	v_fma_f64 v[86:87], -v[10:11], v[80:81], 1.0
	v_fmac_f64_e32 v[80:81], v[86:87], v[80:81]
	v_mul_f64 v[86:87], v[84:85], v[80:81]
	v_mul_f64 v[116:117], v[10:11], v[86:87]
	v_fma_f64 v[10:11], v[86:87], v[10:11], -v[116:117]
	v_fmac_f64_e32 v[10:11], v[86:87], v[8:9]
	v_add_f64 v[8:9], v[116:117], v[10:11]
	v_add_f64 v[118:119], v[84:85], -v[8:9]
	v_add_f64 v[116:117], v[8:9], -v[116:117]
	;; [unrolled: 1-line block ×5, first 2 shown]
	v_add_f64 v[8:9], v[10:11], v[8:9]
	v_add_f64 v[8:9], v[118:119], v[8:9]
	v_mul_f64 v[8:9], v[80:81], v[8:9]
	v_add_f64 v[10:11], v[86:87], v[8:9]
	v_add_f64 v[80:81], v[10:11], -v[86:87]
	v_add_f64 v[8:9], v[8:9], -v[80:81]
	v_mul_f64 v[80:81], v[10:11], v[10:11]
	v_fma_f64 v[84:85], s[38:39], v[80:81], v[82:83]
	v_fma_f64 v[84:85], v[80:81], v[84:85], s[40:41]
	;; [unrolled: 1-line block ×6, first 2 shown]
	v_ldexp_f64 v[86:87], v[10:11], 1
	v_mul_f64 v[10:11], v[10:11], v[80:81]
	v_mul_f64 v[10:11], v[10:11], v[84:85]
	v_add_f64 v[80:81], v[86:87], v[10:11]
	v_add_f64 v[84:85], v[80:81], -v[86:87]
	v_ldexp_f64 v[8:9], v[8:9], 1
	v_add_f64 v[10:11], v[10:11], -v[84:85]
	v_add_f64 v[8:9], v[8:9], v[10:11]
	v_add_f64 v[10:11], v[80:81], v[8:9]
	v_add_f64 v[80:81], v[10:11], -v[80:81]
	v_add_f64 v[8:9], v[8:9], -v[80:81]
	v_cvt_f64_i32_e32 v[80:81], v75
	v_mul_f64 v[84:85], v[80:81], s[50:51]
	v_fma_f64 v[86:87], v[80:81], s[50:51], -v[84:85]
	v_fmac_f64_e32 v[86:87], s[52:53], v[80:81]
	v_add_f64 v[80:81], v[84:85], v[86:87]
	v_add_f64 v[84:85], v[80:81], -v[84:85]
	v_add_f64 v[84:85], v[86:87], -v[84:85]
	v_add_f64 v[86:87], v[80:81], v[10:11]
	v_add_f64 v[116:117], v[86:87], -v[80:81]
	v_add_f64 v[118:119], v[86:87], -v[116:117]
	;; [unrolled: 1-line block ×4, first 2 shown]
	v_add_f64 v[10:11], v[10:11], v[80:81]
	v_add_f64 v[80:81], v[84:85], v[8:9]
	v_add_f64 v[116:117], v[80:81], -v[84:85]
	v_add_f64 v[118:119], v[80:81], -v[116:117]
	v_add_f64 v[10:11], v[80:81], v[10:11]
	v_add_f64 v[84:85], v[84:85], -v[118:119]
	v_add_f64 v[8:9], v[8:9], -v[116:117]
	v_add_f64 v[80:81], v[86:87], v[10:11]
	v_add_f64 v[8:9], v[8:9], v[84:85]
	v_add_f64 v[84:85], v[80:81], -v[86:87]
	v_add_f64 v[10:11], v[10:11], -v[84:85]
	s_mov_b32 s0, 0
	v_add_f64 v[8:9], v[8:9], v[10:11]
	s_mov_b32 s1, 0x7ff00000
	v_add_f64 v[8:9], v[80:81], v[8:9]
	v_cmp_eq_f64_e32 vcc, s[0:1], v[76:77]
	v_cndmask_b32_e32 v8, v8, v76, vcc
	v_cndmask_b32_e32 v9, v9, v77, vcc
	v_cmp_neq_f64_e32 vcc, 0, v[76:77]
	v_cndmask_b32_e32 v9, v93, v9, vcc
	v_cndmask_b32_e32 v8, 0, v8, vcc
	v_mul_f64 v[78:79], v[4:5], v[76:77]
	v_add_f64 v[80:81], v[6:7], -v[8:9]
	v_frexp_exp_i32_f64_e32 v6, v[4:5]
	v_frexp_mant_f64_e32 v[4:5], v[4:5]
	v_cmp_gt_f64_e32 vcc, s[34:35], v[4:5]
	v_cndmask_b32_e64 v75, v91, 2.0, vcc
	v_mul_f64 v[4:5], v[4:5], v[74:75]
	v_subbrev_co_u32_e32 v75, vcc, 0, v6, vcc
	v_add_f64 v[6:7], v[4:5], 1.0
	v_rcp_f64_e32 v[8:9], v[6:7]
	v_add_f64 v[84:85], v[6:7], -1.0
	v_add_f64 v[10:11], v[4:5], -1.0
	v_add_f64 v[4:5], v[4:5], -v[84:85]
	v_fma_f64 v[84:85], -v[6:7], v[8:9], 1.0
	v_fmac_f64_e32 v[8:9], v[84:85], v[8:9]
	v_fma_f64 v[84:85], -v[6:7], v[8:9], 1.0
	v_fmac_f64_e32 v[8:9], v[84:85], v[8:9]
	v_mul_f64 v[84:85], v[10:11], v[8:9]
	v_mul_f64 v[86:87], v[6:7], v[84:85]
	v_fma_f64 v[6:7], v[84:85], v[6:7], -v[86:87]
	v_fmac_f64_e32 v[6:7], v[84:85], v[4:5]
	v_add_f64 v[4:5], v[86:87], v[6:7]
	v_add_f64 v[116:117], v[10:11], -v[4:5]
	v_add_f64 v[86:87], v[4:5], -v[86:87]
	;; [unrolled: 1-line block ×5, first 2 shown]
	v_add_f64 v[4:5], v[6:7], v[4:5]
	v_add_f64 v[4:5], v[116:117], v[4:5]
	v_mul_f64 v[4:5], v[8:9], v[4:5]
	v_add_f64 v[6:7], v[84:85], v[4:5]
	v_add_f64 v[8:9], v[6:7], -v[84:85]
	v_add_f64 v[4:5], v[4:5], -v[8:9]
	v_mul_f64 v[8:9], v[6:7], v[6:7]
	v_fmac_f64_e32 v[82:83], s[38:39], v[8:9]
	v_fma_f64 v[10:11], v[8:9], v[82:83], s[40:41]
	v_fma_f64 v[10:11], v[8:9], v[10:11], s[42:43]
	;; [unrolled: 1-line block ×5, first 2 shown]
	v_ldexp_f64 v[82:83], v[6:7], 1
	v_mul_f64 v[6:7], v[6:7], v[8:9]
	v_mul_f64 v[6:7], v[6:7], v[10:11]
	v_add_f64 v[8:9], v[82:83], v[6:7]
	v_add_f64 v[10:11], v[8:9], -v[82:83]
	v_ldexp_f64 v[4:5], v[4:5], 1
	v_add_f64 v[6:7], v[6:7], -v[10:11]
	v_add_f64 v[4:5], v[4:5], v[6:7]
	v_add_f64 v[6:7], v[8:9], v[4:5]
	v_add_f64 v[8:9], v[6:7], -v[8:9]
	v_add_f64 v[4:5], v[4:5], -v[8:9]
	v_cvt_f64_i32_e32 v[8:9], v75
	v_mul_f64 v[10:11], v[8:9], s[50:51]
	v_fma_f64 v[82:83], v[8:9], s[50:51], -v[10:11]
	v_fmac_f64_e32 v[82:83], s[52:53], v[8:9]
	v_add_f64 v[8:9], v[10:11], v[82:83]
	v_add_f64 v[10:11], v[8:9], -v[10:11]
	v_add_f64 v[10:11], v[82:83], -v[10:11]
	v_add_f64 v[82:83], v[8:9], v[6:7]
	v_add_f64 v[84:85], v[82:83], -v[8:9]
	v_add_f64 v[86:87], v[82:83], -v[84:85]
	;; [unrolled: 1-line block ×4, first 2 shown]
	v_add_f64 v[6:7], v[6:7], v[8:9]
	v_add_f64 v[8:9], v[10:11], v[4:5]
	v_add_f64 v[84:85], v[8:9], -v[10:11]
	v_add_f64 v[86:87], v[8:9], -v[84:85]
	v_add_f64 v[6:7], v[8:9], v[6:7]
	v_add_f64 v[10:11], v[10:11], -v[86:87]
	v_add_f64 v[4:5], v[4:5], -v[84:85]
	v_add_f64 v[8:9], v[82:83], v[6:7]
	v_add_f64 v[4:5], v[4:5], v[10:11]
	v_add_f64 v[10:11], v[8:9], -v[82:83]
	v_add_f64 v[6:7], v[6:7], -v[10:11]
	v_add_f64 v[4:5], v[4:5], v[6:7]
	v_add_f64 v[82:83], v[8:9], v[4:5]
	s_mov_b64 s[12:13], 0
	s_mov_b64 s[14:15], 0
	v_mov_b32_e32 v116, v17
                                        ; implicit-def: $vgpr75
.LBB60_13:                              ;   Parent Loop BB60_5 Depth=1
                                        ; =>  This Inner Loop Header: Depth=2
	v_add_u32_e32 v117, 1, v15
	v_pk_mov_b32 v[10:11], v[2:3], v[2:3] op_sel:[0,1]
	v_cmp_eq_u32_e32 vcc, 4, v117
	v_pk_mov_b32 v[8:9], v[0:1], v[0:1] op_sel:[0,1]
	v_mov_b32_e32 v87, v0
	v_mov_b32_e32 v86, v1
	;; [unrolled: 1-line block ×4, first 2 shown]
	s_and_saveexec_b64 s[0:1], vcc
	s_cbranch_execz .LBB60_15
; %bb.14:                               ;   in Loop: Header=BB60_13 Depth=2
	v_add_co_u32_e32 v97, vcc, 1, v97
	v_cndmask_b32_e64 v4, 0, 1, vcc
	v_addc_co_u32_e32 v98, vcc, 0, v98, vcc
	v_cmp_eq_u32_e32 vcc, 0, v98
	v_cndmask_b32_e32 v4, 0, v4, vcc
	v_add_u32_e32 v116, v4, v116
	v_cmp_eq_u32_e32 vcc, 0, v116
	v_cndmask_b32_e32 v4, 0, v4, vcc
	v_add_u32_e32 v74, v4, v74
	v_mad_u64_u32 v[4:5], s[2:3], v97, s11, 0
	v_mad_u64_u32 v[6:7], s[2:3], v116, s10, 0
	v_xor_b32_e32 v5, v5, v73
	v_xor_b32_e32 v7, v7, v72
	v_xor_b32_e32 v5, v74, v5
	v_xor_b32_e32 v7, v98, v7
	v_mad_u64_u32 v[10:11], s[2:3], v5, s10, 0
	v_mad_u64_u32 v[8:9], s[2:3], v7, s11, 0
	v_xor_b32_e32 v5, v99, v11
	v_xor_b32_e32 v5, v5, v6
	v_xor_b32_e32 v6, v100, v9
	v_xor_b32_e32 v6, v6, v4
	;; [unrolled: 6-line block ×10, first 2 shown]
	v_mov_b32_e32 v117, 0
	v_mov_b32_e32 v9, v86
	v_mov_b32_e32 v11, v84
	v_mov_b32_e32 v87, v8
	v_mov_b32_e32 v85, v10
.LBB60_15:                              ;   in Loop: Header=BB60_13 Depth=2
	s_or_b64 exec, exec, s[0:1]
	v_add_u32_e32 v118, 1, v117
	v_pk_mov_b32 v[4:5], v[8:9], v[8:9] op_sel:[0,1]
	v_cmp_eq_u32_e32 vcc, 4, v118
	v_pk_mov_b32 v[6:7], v[10:11], v[10:11] op_sel:[0,1]
	s_and_saveexec_b64 s[0:1], vcc
	s_cbranch_execz .LBB60_17
; %bb.16:                               ;   in Loop: Header=BB60_13 Depth=2
	v_add_co_u32_e32 v97, vcc, 1, v97
	v_cndmask_b32_e64 v4, 0, 1, vcc
	v_addc_co_u32_e32 v98, vcc, 0, v98, vcc
	v_cmp_eq_u32_e32 vcc, 0, v98
	v_cndmask_b32_e32 v4, 0, v4, vcc
	v_add_u32_e32 v116, v4, v116
	v_cmp_eq_u32_e32 vcc, 0, v116
	v_cndmask_b32_e32 v4, 0, v4, vcc
	v_add_u32_e32 v74, v4, v74
	v_mad_u64_u32 v[4:5], s[2:3], v97, s11, 0
	v_mad_u64_u32 v[6:7], s[2:3], v116, s10, 0
	v_xor_b32_e32 v5, v5, v73
	v_xor_b32_e32 v7, v7, v72
	v_xor_b32_e32 v5, v74, v5
	v_xor_b32_e32 v7, v98, v7
	v_mad_u64_u32 v[86:87], s[2:3], v5, s10, 0
	v_mad_u64_u32 v[84:85], s[2:3], v7, s11, 0
	v_xor_b32_e32 v5, v99, v87
	v_xor_b32_e32 v5, v5, v6
	v_xor_b32_e32 v6, v100, v85
	v_xor_b32_e32 v6, v6, v4
	;; [unrolled: 6-line block ×10, first 2 shown]
	v_mov_b32_e32 v118, 0
	v_mov_b32_e32 v5, v86
	v_mov_b32_e32 v7, v84
	v_mov_b32_e32 v87, v4
	v_mov_b32_e32 v85, v6
.LBB60_17:                              ;   in Loop: Header=BB60_13 Depth=2
	s_or_b64 exec, exec, s[0:1]
	v_cmp_eq_u32_e32 vcc, 1, v15
	v_cndmask_b32_e32 v0, v0, v1, vcc
	v_cmp_eq_u32_e32 vcc, 2, v15
	v_cndmask_b32_e32 v0, v0, v2, vcc
	;; [unrolled: 2-line block ×6, first 2 shown]
	v_lshrrev_b32_e32 v0, 11, v0
	v_cvt_f64_u32_e32 v[0:1], v0
	v_ldexp_f64 v[0:1], v[0:1], 32
	v_cvt_f64_u32_e32 v[2:3], v2
	v_add_f64 v[0:1], v[0:1], v[2:3]
	v_mov_b32_e32 v2, 0
	v_mov_b32_e32 v3, 0x3ca00000
	v_fmac_f64_e32 v[2:3], 0x3ca00000, v[0:1]
	v_add_f64 v[0:1], -v[2:3], 1.0
	v_div_scale_f64 v[8:9], s[0:1], v[2:3], v[2:3], v[0:1]
	v_rcp_f64_e32 v[10:11], v[8:9]
	v_mov_b32_e32 v119, 2
	v_fma_f64 v[120:121], -v[8:9], v[10:11], 1.0
	v_fmac_f64_e32 v[10:11], v[10:11], v[120:121]
	v_fma_f64 v[120:121], -v[8:9], v[10:11], 1.0
	v_fmac_f64_e32 v[10:11], v[10:11], v[120:121]
	v_div_scale_f64 v[120:121], vcc, v[0:1], v[2:3], v[0:1]
	v_mul_f64 v[122:123], v[120:121], v[10:11]
	v_fma_f64 v[8:9], -v[8:9], v[122:123], v[120:121]
	s_nop 1
	v_div_fmas_f64 v[8:9], v[8:9], v[10:11], v[122:123]
	v_div_fixup_f64 v[0:1], v[8:9], v[2:3], v[0:1]
	v_frexp_mant_f64_e32 v[2:3], v[0:1]
	v_cmp_gt_f64_e32 vcc, s[34:35], v[2:3]
	v_cndmask_b32_e64 v15, v91, 2.0, vcc
	v_frexp_exp_i32_f64_e32 v8, v[0:1]
	v_mul_f64 v[2:3], v[2:3], v[14:15]
	v_subbrev_co_u32_e32 v15, vcc, 0, v8, vcc
	v_add_f64 v[8:9], v[2:3], 1.0
	v_rcp_f64_e32 v[10:11], v[8:9]
	v_add_f64 v[122:123], v[8:9], -1.0
	v_add_f64 v[120:121], v[2:3], -1.0
	v_add_f64 v[2:3], v[2:3], -v[122:123]
	v_fma_f64 v[122:123], -v[8:9], v[10:11], 1.0
	v_fmac_f64_e32 v[10:11], v[122:123], v[10:11]
	v_fma_f64 v[122:123], -v[8:9], v[10:11], 1.0
	v_fmac_f64_e32 v[10:11], v[122:123], v[10:11]
	v_mul_f64 v[122:123], v[120:121], v[10:11]
	v_mul_f64 v[124:125], v[8:9], v[122:123]
	v_fma_f64 v[8:9], v[122:123], v[8:9], -v[124:125]
	v_fmac_f64_e32 v[8:9], v[122:123], v[2:3]
	v_add_f64 v[2:3], v[124:125], v[8:9]
	v_add_f64 v[126:127], v[120:121], -v[2:3]
	v_add_f64 v[124:125], v[2:3], -v[124:125]
	;; [unrolled: 1-line block ×5, first 2 shown]
	v_add_f64 v[2:3], v[8:9], v[2:3]
	v_add_f64 v[2:3], v[126:127], v[2:3]
	v_mul_f64 v[2:3], v[10:11], v[2:3]
	v_add_f64 v[8:9], v[122:123], v[2:3]
	v_add_f64 v[10:11], v[8:9], -v[122:123]
	v_add_f64 v[2:3], v[2:3], -v[10:11]
	v_mul_f64 v[10:11], v[8:9], v[8:9]
	v_pk_mov_b32 v[120:121], v[18:19], v[18:19] op_sel:[0,1]
	v_fmac_f64_e32 v[120:121], s[38:39], v[10:11]
	v_pk_mov_b32 v[122:123], v[20:21], v[20:21] op_sel:[0,1]
	v_fmac_f64_e32 v[122:123], v[10:11], v[120:121]
	;; [unrolled: 2-line block ×6, first 2 shown]
	v_ldexp_f64 v[120:121], v[8:9], 1
	v_mul_f64 v[8:9], v[8:9], v[10:11]
	v_mul_f64 v[8:9], v[8:9], v[122:123]
	v_add_f64 v[10:11], v[120:121], v[8:9]
	v_add_f64 v[120:121], v[10:11], -v[120:121]
	v_ldexp_f64 v[2:3], v[2:3], 1
	v_add_f64 v[8:9], v[8:9], -v[120:121]
	v_add_f64 v[2:3], v[2:3], v[8:9]
	v_add_f64 v[8:9], v[10:11], v[2:3]
	v_add_f64 v[10:11], v[8:9], -v[10:11]
	v_add_f64 v[2:3], v[2:3], -v[10:11]
	v_cvt_f64_i32_e32 v[10:11], v15
	v_mul_f64 v[120:121], v[10:11], s[50:51]
	v_fma_f64 v[122:123], v[10:11], s[50:51], -v[120:121]
	v_fmac_f64_e32 v[122:123], s[52:53], v[10:11]
	v_add_f64 v[10:11], v[120:121], v[122:123]
	v_add_f64 v[120:121], v[10:11], -v[120:121]
	v_add_f64 v[120:121], v[122:123], -v[120:121]
	v_add_f64 v[122:123], v[10:11], v[8:9]
	v_add_f64 v[124:125], v[122:123], -v[10:11]
	v_add_f64 v[126:127], v[122:123], -v[124:125]
	;; [unrolled: 1-line block ×4, first 2 shown]
	v_add_f64 v[8:9], v[8:9], v[10:11]
	v_add_f64 v[10:11], v[120:121], v[2:3]
	v_add_f64 v[124:125], v[10:11], -v[120:121]
	v_add_f64 v[126:127], v[10:11], -v[124:125]
	v_add_f64 v[8:9], v[10:11], v[8:9]
	v_add_f64 v[120:121], v[120:121], -v[126:127]
	v_add_f64 v[2:3], v[2:3], -v[124:125]
	v_add_f64 v[10:11], v[122:123], v[8:9]
	v_add_f64 v[2:3], v[2:3], v[120:121]
	v_add_f64 v[120:121], v[10:11], -v[122:123]
	v_add_f64 v[8:9], v[8:9], -v[120:121]
	v_add_f64 v[2:3], v[2:3], v[8:9]
	v_add_f64 v[2:3], v[10:11], v[2:3]
	v_cmp_class_f64_e64 vcc, v[0:1], s9
	v_cndmask_b32_e32 v2, v2, v0, vcc
	v_cndmask_b32_e32 v3, v3, v1, vcc
	v_cmp_ngt_f64_e32 vcc, 0, v[0:1]
	v_cndmask_b32_e32 v3, v92, v3, vcc
	v_cmp_nge_f64_e32 vcc, 0, v[0:1]
	v_cndmask_b32_e32 v2, 0, v2, vcc
	v_cmp_neq_f64_e32 vcc, 0, v[0:1]
	v_cndmask_b32_e32 v3, v93, v3, vcc
	v_add_f64 v[0:1], v[78:79], -v[2:3]
	v_div_scale_f64 v[2:3], s[0:1], v[76:77], v[76:77], v[0:1]
	v_rcp_f64_e32 v[8:9], v[2:3]
	v_fma_f64 v[10:11], -v[2:3], v[8:9], 1.0
	v_fmac_f64_e32 v[8:9], v[8:9], v[10:11]
	v_fma_f64 v[10:11], -v[2:3], v[8:9], 1.0
	v_fmac_f64_e32 v[8:9], v[8:9], v[10:11]
	v_div_scale_f64 v[10:11], vcc, v[0:1], v[76:77], v[0:1]
	v_mul_f64 v[120:121], v[10:11], v[8:9]
	v_fma_f64 v[2:3], -v[2:3], v[120:121], v[10:11]
	s_nop 1
	v_div_fmas_f64 v[2:3], v[2:3], v[8:9], v[120:121]
	v_div_fixup_f64 v[10:11], v[2:3], v[76:77], v[0:1]
	v_add_f64 v[0:1], v[10:11], 0.5
	v_floor_f64_e32 v[8:9], v[0:1]
	v_cmp_ngt_f64_e32 vcc, 0, v[8:9]
	s_and_saveexec_b64 s[0:1], vcc
	s_cbranch_execz .LBB60_23
; %bb.18:                               ;   in Loop: Header=BB60_13 Depth=2
	v_add_u32_e32 v15, 1, v118
	v_pk_mov_b32 v[0:1], v[4:5], v[4:5] op_sel:[0,1]
	v_cmp_eq_u32_e32 vcc, 4, v15
	v_pk_mov_b32 v[2:3], v[6:7], v[6:7] op_sel:[0,1]
	s_and_saveexec_b64 s[2:3], vcc
	s_cbranch_execz .LBB60_20
; %bb.19:                               ;   in Loop: Header=BB60_13 Depth=2
	v_add_co_u32_e32 v97, vcc, 1, v97
	v_cndmask_b32_e64 v0, 0, 1, vcc
	v_addc_co_u32_e32 v98, vcc, 0, v98, vcc
	v_cmp_eq_u32_e32 vcc, 0, v98
	v_cndmask_b32_e32 v0, 0, v0, vcc
	v_add_u32_e32 v116, v0, v116
	v_cmp_eq_u32_e32 vcc, 0, v116
	v_cndmask_b32_e32 v0, 0, v0, vcc
	v_add_u32_e32 v74, v0, v74
	v_mad_u64_u32 v[0:1], vcc, v97, s11, 0
	v_mad_u64_u32 v[2:3], vcc, v116, s10, 0
	v_xor_b32_e32 v1, v1, v73
	v_xor_b32_e32 v3, v3, v72
	v_xor_b32_e32 v1, v74, v1
	v_xor_b32_e32 v3, v98, v3
	v_mad_u64_u32 v[86:87], vcc, v1, s10, 0
	v_mad_u64_u32 v[84:85], vcc, v3, s11, 0
	v_xor_b32_e32 v1, v99, v87
	v_xor_b32_e32 v1, v1, v2
	v_xor_b32_e32 v2, v100, v85
	v_xor_b32_e32 v2, v2, v0
	v_mad_u64_u32 v[0:1], vcc, v1, s11, 0
	v_mad_u64_u32 v[2:3], vcc, v2, s10, 0
	v_xor_b32_e32 v1, v102, v1
	v_xor_b32_e32 v3, v101, v3
	v_xor_b32_e32 v1, v1, v84
	v_xor_b32_e32 v3, v3, v86
	v_mad_u64_u32 v[86:87], vcc, v1, s10, 0
	v_mad_u64_u32 v[84:85], vcc, v3, s11, 0
	v_xor_b32_e32 v1, v104, v87
	v_xor_b32_e32 v1, v1, v2
	v_xor_b32_e32 v2, v105, v85
	v_xor_b32_e32 v2, v2, v0
	v_mad_u64_u32 v[0:1], vcc, v1, s11, 0
	v_mad_u64_u32 v[2:3], vcc, v2, s10, 0
	v_xor_b32_e32 v1, v108, v1
	v_xor_b32_e32 v3, v107, v3
	v_xor_b32_e32 v1, v1, v84
	v_xor_b32_e32 v3, v3, v86
	v_mad_u64_u32 v[86:87], vcc, v1, s10, 0
	v_mad_u64_u32 v[84:85], vcc, v3, s11, 0
	v_xor_b32_e32 v1, v109, v87
	v_xor_b32_e32 v1, v1, v2
	v_xor_b32_e32 v2, v110, v85
	v_xor_b32_e32 v2, v2, v0
	v_mad_u64_u32 v[0:1], vcc, v1, s11, 0
	v_mad_u64_u32 v[2:3], vcc, v2, s10, 0
	v_xor_b32_e32 v1, v112, v1
	v_xor_b32_e32 v3, v111, v3
	v_xor_b32_e32 v1, v1, v84
	v_xor_b32_e32 v3, v3, v86
	v_mad_u64_u32 v[86:87], vcc, v1, s10, 0
	v_mad_u64_u32 v[84:85], vcc, v3, s11, 0
	v_xor_b32_e32 v1, v113, v87
	v_xor_b32_e32 v1, v1, v2
	v_xor_b32_e32 v2, v114, v85
	v_xor_b32_e32 v0, v2, v0
	v_mad_u64_u32 v[2:3], vcc, v1, s11, 0
	v_mad_u64_u32 v[0:1], vcc, v0, s10, 0
	v_xor_b32_e32 v1, v103, v1
	v_xor_b32_e32 v3, v115, v3
	v_xor_b32_e32 v1, v1, v86
	v_xor_b32_e32 v3, v3, v84
	v_mad_u64_u32 v[84:85], vcc, v1, s11, 0
	v_mad_u64_u32 v[86:87], vcc, v3, s10, 0
	v_xor_b32_e32 v0, v87, v0
	v_xor_b32_e32 v1, v85, v2
	v_xor_b32_e32 v0, v106, v0
	v_xor_b32_e32 v2, v96, v1
	v_mov_b32_e32 v15, 0
	v_mov_b32_e32 v1, v86
	v_mov_b32_e32 v3, v84
	v_mov_b32_e32 v87, v0
	v_mov_b32_e32 v85, v2
.LBB60_20:                              ;   in Loop: Header=BB60_13 Depth=2
	s_or_b64 exec, exec, s[2:3]
	v_add_u32_e32 v117, 1, v15
	v_cmp_eq_u32_e32 vcc, 4, v117
	s_and_saveexec_b64 s[2:3], vcc
	s_cbranch_execz .LBB60_22
; %bb.21:                               ;   in Loop: Header=BB60_13 Depth=2
	v_add_co_u32_e32 v97, vcc, 1, v97
	v_cndmask_b32_e64 v84, 0, 1, vcc
	v_addc_co_u32_e32 v98, vcc, 0, v98, vcc
	v_cmp_eq_u32_e32 vcc, 0, v98
	v_cndmask_b32_e32 v84, 0, v84, vcc
	v_add_u32_e32 v116, v84, v116
	v_cmp_eq_u32_e32 vcc, 0, v116
	v_cndmask_b32_e32 v84, 0, v84, vcc
	v_add_u32_e32 v74, v84, v74
	v_mad_u64_u32 v[84:85], vcc, v97, s11, 0
	v_mad_u64_u32 v[86:87], vcc, v116, s10, 0
	v_xor_b32_e32 v85, v85, v73
	v_xor_b32_e32 v87, v87, v72
	v_xor_b32_e32 v85, v74, v85
	v_xor_b32_e32 v87, v98, v87
	v_mad_u64_u32 v[122:123], vcc, v85, s10, 0
	v_mad_u64_u32 v[120:121], vcc, v87, s11, 0
	v_xor_b32_e32 v85, v99, v123
	v_xor_b32_e32 v85, v85, v86
	v_xor_b32_e32 v86, v100, v121
	v_xor_b32_e32 v86, v86, v84
	;; [unrolled: 6-line block ×9, first 2 shown]
	v_mad_u64_u32 v[84:85], vcc, v84, s11, 0
	v_mad_u64_u32 v[86:87], vcc, v86, s10, 0
	v_xor_b32_e32 v87, v87, v126
	v_xor_b32_e32 v85, v85, v124
	v_mov_b32_e32 v117, 0
	v_xor_b32_e32 v87, v106, v87
	v_xor_b32_e32 v85, v96, v85
.LBB60_22:                              ;   in Loop: Header=BB60_13 Depth=2
	s_or_b64 exec, exec, s[2:3]
	v_cmp_eq_u32_e32 vcc, 1, v118
	v_cndmask_b32_e32 v4, v4, v5, vcc
	v_cmp_eq_u32_e32 vcc, 2, v118
	v_cndmask_b32_e32 v4, v4, v6, vcc
	;; [unrolled: 2-line block ×6, first 2 shown]
	v_lshrrev_b32_e32 v0, 11, v0
	v_cvt_f64_u32_e32 v[0:1], v0
	v_ldexp_f64 v[0:1], v[0:1], 32
	v_cvt_f64_u32_e32 v[2:3], v4
	v_add_f64 v[0:1], v[0:1], v[2:3]
	v_mov_b32_e32 v2, 0
	v_mov_b32_e32 v3, 0x3ca00000
	v_fma_f64 v[4:5], -v[76:77], v[10:11], v[78:79]
	v_fmac_f64_e32 v[2:3], 0x3ca00000, v[0:1]
	v_mul_f64 v[0:1], v[4:5], s[56:57]
	v_rndne_f64_e32 v[0:1], v[0:1]
	s_mov_b32 s58, s50
	v_fma_f64 v[6:7], s[58:59], v[0:1], v[4:5]
	s_mov_b32 s60, s52
	v_fmac_f64_e32 v[6:7], s[60:61], v[0:1]
	v_pk_mov_b32 v[10:11], v[30:31], v[30:31] op_sel:[0,1]
	v_fmac_f64_e32 v[10:11], s[62:63], v[6:7]
	v_pk_mov_b32 v[118:119], v[32:33], v[32:33] op_sel:[0,1]
	;; [unrolled: 2-line block ×9, first 2 shown]
	v_fmac_f64_e32 v[10:11], v[6:7], v[118:119]
	v_fma_f64 v[10:11], v[6:7], v[10:11], 1.0
	v_fma_f64 v[6:7], v[6:7], v[10:11], 1.0
	v_cvt_i32_f64_e32 v0, v[0:1]
	v_ldexp_f64 v[0:1], v[6:7], v0
	v_add_f64 v[0:1], v[0:1], 1.0
	v_cmp_nlt_f64_e32 vcc, s[66:67], v[4:5]
	v_cmp_ngt_f64_e64 s[2:3], s[68:69], v[4:5]
	v_cndmask_b32_e32 v1, v94, v1, vcc
	s_and_b64 vcc, s[2:3], vcc
	v_cndmask_b32_e64 v1, v91, v1, s[2:3]
	v_cndmask_b32_e32 v0, 0, v0, vcc
	v_mul_f64 v[0:1], v[0:1], v[0:1]
	v_div_scale_f64 v[6:7], s[2:3], v[0:1], v[0:1], v[2:3]
	v_rcp_f64_e32 v[10:11], v[6:7]
	s_mov_b32 s49, s35
	v_fma_f64 v[118:119], -v[6:7], v[10:11], 1.0
	v_fmac_f64_e32 v[10:11], v[10:11], v[118:119]
	v_fma_f64 v[118:119], -v[6:7], v[10:11], 1.0
	v_fmac_f64_e32 v[10:11], v[10:11], v[118:119]
	v_div_scale_f64 v[118:119], vcc, v[2:3], v[0:1], v[2:3]
	v_mul_f64 v[120:121], v[118:119], v[10:11]
	v_fma_f64 v[6:7], -v[6:7], v[120:121], v[118:119]
	s_nop 1
	v_div_fmas_f64 v[6:7], v[6:7], v[10:11], v[120:121]
	v_div_fixup_f64 v[2:3], v[6:7], v[0:1], v[2:3]
	v_frexp_mant_f64_e32 v[0:1], v[2:3]
	v_cmp_gt_f64_e32 vcc, s[34:35], v[0:1]
	v_cndmask_b32_e64 v15, v91, 2.0, vcc
	v_frexp_exp_i32_f64_e32 v6, v[2:3]
	v_mul_f64 v[0:1], v[0:1], v[14:15]
	v_subbrev_co_u32_e32 v15, vcc, 0, v6, vcc
	v_add_f64 v[6:7], v[0:1], 1.0
	v_rcp_f64_e32 v[10:11], v[6:7]
	v_add_f64 v[120:121], v[6:7], -1.0
	v_add_f64 v[118:119], v[0:1], -1.0
	v_add_f64 v[0:1], v[0:1], -v[120:121]
	v_fma_f64 v[120:121], -v[6:7], v[10:11], 1.0
	v_fmac_f64_e32 v[10:11], v[120:121], v[10:11]
	v_fma_f64 v[120:121], -v[6:7], v[10:11], 1.0
	v_fmac_f64_e32 v[10:11], v[120:121], v[10:11]
	v_mul_f64 v[120:121], v[118:119], v[10:11]
	v_mul_f64 v[122:123], v[6:7], v[120:121]
	v_fma_f64 v[6:7], v[120:121], v[6:7], -v[122:123]
	v_fmac_f64_e32 v[6:7], v[120:121], v[0:1]
	v_add_f64 v[0:1], v[122:123], v[6:7]
	v_add_f64 v[124:125], v[118:119], -v[0:1]
	v_add_f64 v[122:123], v[0:1], -v[122:123]
	;; [unrolled: 1-line block ×5, first 2 shown]
	v_add_f64 v[0:1], v[6:7], v[0:1]
	v_add_f64 v[0:1], v[124:125], v[0:1]
	v_mul_f64 v[0:1], v[10:11], v[0:1]
	v_add_f64 v[6:7], v[120:121], v[0:1]
	v_add_f64 v[10:11], v[6:7], -v[120:121]
	v_add_f64 v[10:11], v[0:1], -v[10:11]
	v_mul_f64 v[118:119], v[6:7], v[6:7]
	v_pk_mov_b32 v[0:1], s[36:37], s[36:37] op_sel:[0,1]
	v_fma_f64 v[120:121], s[38:39], v[118:119], v[0:1]
	v_fma_f64 v[120:121], v[118:119], v[120:121], s[40:41]
	;; [unrolled: 1-line block ×6, first 2 shown]
	v_ldexp_f64 v[122:123], v[6:7], 1
	v_mul_f64 v[6:7], v[6:7], v[118:119]
	v_mul_f64 v[6:7], v[6:7], v[120:121]
	v_add_f64 v[118:119], v[122:123], v[6:7]
	v_add_f64 v[120:121], v[118:119], -v[122:123]
	v_ldexp_f64 v[10:11], v[10:11], 1
	v_add_f64 v[6:7], v[6:7], -v[120:121]
	v_add_f64 v[6:7], v[10:11], v[6:7]
	v_add_f64 v[10:11], v[118:119], v[6:7]
	v_add_f64 v[118:119], v[10:11], -v[118:119]
	v_add_f64 v[6:7], v[6:7], -v[118:119]
	v_cvt_f64_i32_e32 v[118:119], v15
	v_mul_f64 v[120:121], v[118:119], s[50:51]
	v_fma_f64 v[122:123], v[118:119], s[50:51], -v[120:121]
	v_fmac_f64_e32 v[122:123], s[52:53], v[118:119]
	v_add_f64 v[118:119], v[120:121], v[122:123]
	v_add_f64 v[120:121], v[118:119], -v[120:121]
	v_add_f64 v[120:121], v[122:123], -v[120:121]
	v_add_f64 v[122:123], v[118:119], v[10:11]
	v_add_f64 v[124:125], v[122:123], -v[118:119]
	v_add_f64 v[126:127], v[122:123], -v[124:125]
	;; [unrolled: 1-line block ×4, first 2 shown]
	v_add_f64 v[10:11], v[10:11], v[118:119]
	v_add_f64 v[118:119], v[120:121], v[6:7]
	v_add_f64 v[124:125], v[118:119], -v[120:121]
	v_add_f64 v[126:127], v[118:119], -v[124:125]
	v_add_f64 v[10:11], v[118:119], v[10:11]
	v_add_f64 v[120:121], v[120:121], -v[126:127]
	v_add_f64 v[6:7], v[6:7], -v[124:125]
	v_add_f64 v[118:119], v[122:123], v[10:11]
	v_add_f64 v[6:7], v[6:7], v[120:121]
	v_add_f64 v[120:121], v[118:119], -v[122:123]
	v_add_f64 v[10:11], v[10:11], -v[120:121]
	v_add_f64 v[6:7], v[6:7], v[10:11]
	v_add_f64 v[6:7], v[118:119], v[6:7]
	v_cmp_class_f64_e64 vcc, v[2:3], s9
	v_cndmask_b32_e32 v15, v6, v2, vcc
	v_cndmask_b32_e32 v6, v7, v3, vcc
	v_cmp_neq_f64_e32 vcc, 0, v[2:3]
	v_cndmask_b32_e32 v3, v93, v6, vcc
	v_add_f64 v[6:7], v[8:9], 1.0
	v_add_f64 v[6:7], v[6:7], -1.0
	v_add_f64 v[118:119], v[6:7], s[70:71]
	v_div_scale_f64 v[10:11], s[2:3], v[118:119], v[118:119], s[72:73]
	v_rcp_f64_e32 v[120:121], v[10:11]
	v_cndmask_b32_e32 v2, 0, v15, vcc
	v_add_f64 v[2:3], v[4:5], v[2:3]
	v_fma_f64 v[4:5], v[82:83], v[8:9], v[80:81]
	v_fma_f64 v[122:123], -v[10:11], v[120:121], 1.0
	v_fmac_f64_e32 v[120:121], v[120:121], v[122:123]
	v_fma_f64 v[122:123], -v[10:11], v[120:121], 1.0
	v_fmac_f64_e32 v[120:121], v[120:121], v[122:123]
	v_div_scale_f64 v[122:123], vcc, s[72:73], v[118:119], s[72:73]
	v_mul_f64 v[124:125], v[122:123], v[120:121]
	v_fma_f64 v[122:123], -v[10:11], v[124:125], v[122:123]
	v_add_f64 v[10:11], v[6:7], s[74:75]
	v_div_scale_f64 v[126:127], s[2:3], v[10:11], v[10:11], s[76:77]
	v_rcp_f64_e32 v[128:129], v[126:127]
	v_div_fmas_f64 v[120:121], v[122:123], v[120:121], v[124:125]
	v_div_fixup_f64 v[118:119], v[120:121], v[118:119], s[72:73]
	v_add_f64 v[124:125], v[6:7], s[78:79]
	v_fma_f64 v[120:121], -v[126:127], v[128:129], 1.0
	v_fmac_f64_e32 v[128:129], v[128:129], v[120:121]
	v_fma_f64 v[120:121], -v[126:127], v[128:129], 1.0
	v_fmac_f64_e32 v[128:129], v[128:129], v[120:121]
	v_div_scale_f64 v[120:121], vcc, s[76:77], v[10:11], s[76:77]
	v_mul_f64 v[122:123], v[120:121], v[128:129]
	v_fma_f64 v[120:121], -v[126:127], v[122:123], v[120:121]
	v_div_scale_f64 v[126:127], s[2:3], v[124:125], v[124:125], s[80:81]
	v_rcp_f64_e32 v[130:131], v[126:127]
	v_div_fmas_f64 v[120:121], v[120:121], v[128:129], v[122:123]
	v_add_f64 v[118:119], v[118:119], 0
	v_div_fixup_f64 v[120:121], v[120:121], v[10:11], s[76:77]
	v_add_f64 v[118:119], v[120:121], v[118:119]
	v_fma_f64 v[120:121], -v[126:127], v[130:131], 1.0
	v_fmac_f64_e32 v[130:131], v[130:131], v[120:121]
	v_fma_f64 v[120:121], -v[126:127], v[130:131], 1.0
	v_fmac_f64_e32 v[130:131], v[130:131], v[120:121]
	v_div_scale_f64 v[120:121], vcc, s[80:81], v[124:125], s[80:81]
	v_mul_f64 v[122:123], v[120:121], v[130:131]
	v_fma_f64 v[120:121], -v[126:127], v[122:123], v[120:121]
	v_add_f64 v[126:127], v[6:7], s[82:83]
	v_div_scale_f64 v[128:129], s[2:3], v[126:127], v[126:127], s[84:85]
	v_rcp_f64_e32 v[132:133], v[128:129]
	v_div_fmas_f64 v[120:121], v[120:121], v[130:131], v[122:123]
	v_div_fixup_f64 v[120:121], v[120:121], v[124:125], s[80:81]
	v_add_f64 v[118:119], v[118:119], v[120:121]
	v_fma_f64 v[120:121], -v[128:129], v[132:133], 1.0
	v_fmac_f64_e32 v[132:133], v[132:133], v[120:121]
	v_fma_f64 v[120:121], -v[128:129], v[132:133], 1.0
	v_fmac_f64_e32 v[132:133], v[132:133], v[120:121]
	v_div_scale_f64 v[120:121], vcc, s[84:85], v[126:127], s[84:85]
	v_mul_f64 v[122:123], v[120:121], v[132:133]
	v_add_f64 v[124:125], v[6:7], 4.0
	v_fma_f64 v[120:121], -v[128:129], v[122:123], v[120:121]
	v_div_scale_f64 v[128:129], s[2:3], v[124:125], v[124:125], s[86:87]
	v_rcp_f64_e32 v[130:131], v[128:129]
	v_div_fmas_f64 v[120:121], v[120:121], v[132:133], v[122:123]
	v_div_fixup_f64 v[120:121], v[120:121], v[126:127], s[84:85]
	v_add_f64 v[118:119], v[120:121], v[118:119]
	v_fma_f64 v[120:121], -v[128:129], v[130:131], 1.0
	v_fmac_f64_e32 v[130:131], v[130:131], v[120:121]
	v_fma_f64 v[120:121], -v[128:129], v[130:131], 1.0
	v_fmac_f64_e32 v[130:131], v[130:131], v[120:121]
	v_div_scale_f64 v[120:121], vcc, s[86:87], v[124:125], s[86:87]
	v_mul_f64 v[122:123], v[120:121], v[130:131]
	v_add_f64 v[126:127], v[6:7], s[26:27]
	v_fma_f64 v[120:121], -v[128:129], v[122:123], v[120:121]
	v_div_scale_f64 v[128:129], s[2:3], v[126:127], v[126:127], s[88:89]
	v_rcp_f64_e32 v[132:133], v[128:129]
	v_div_fmas_f64 v[120:121], v[120:121], v[130:131], v[122:123]
	v_div_fixup_f64 v[120:121], v[120:121], v[124:125], s[86:87]
	v_add_f64 v[118:119], v[118:119], v[120:121]
	v_fma_f64 v[120:121], -v[128:129], v[132:133], 1.0
	v_fmac_f64_e32 v[132:133], v[132:133], v[120:121]
	v_fma_f64 v[120:121], -v[128:129], v[132:133], 1.0
	v_fmac_f64_e32 v[132:133], v[132:133], v[120:121]
	v_div_scale_f64 v[120:121], vcc, s[88:89], v[126:127], s[88:89]
	v_mul_f64 v[122:123], v[120:121], v[132:133]
	v_add_f64 v[124:125], v[6:7], 2.0
	v_fma_f64 v[120:121], -v[128:129], v[122:123], v[120:121]
	v_div_scale_f64 v[128:129], s[2:3], v[124:125], v[124:125], s[90:91]
	v_rcp_f64_e32 v[130:131], v[128:129]
	v_div_fmas_f64 v[120:121], v[120:121], v[132:133], v[122:123]
	v_div_fixup_f64 v[120:121], v[120:121], v[126:127], s[88:89]
	v_add_f64 v[118:119], v[120:121], v[118:119]
	v_fma_f64 v[120:121], -v[128:129], v[130:131], 1.0
	v_fmac_f64_e32 v[130:131], v[130:131], v[120:121]
	v_fma_f64 v[120:121], -v[128:129], v[130:131], 1.0
	v_fmac_f64_e32 v[130:131], v[130:131], v[120:121]
	v_div_scale_f64 v[120:121], vcc, s[90:91], v[124:125], s[90:91]
	v_mul_f64 v[122:123], v[120:121], v[130:131]
	v_add_f64 v[126:127], v[6:7], 1.0
	v_fma_f64 v[120:121], -v[128:129], v[122:123], v[120:121]
	v_div_scale_f64 v[128:129], s[2:3], v[126:127], v[126:127], s[92:93]
	v_rcp_f64_e32 v[132:133], v[128:129]
	v_div_fmas_f64 v[120:121], v[120:121], v[130:131], v[122:123]
	v_div_fixup_f64 v[120:121], v[120:121], v[124:125], s[90:91]
	v_add_f64 v[118:119], v[118:119], v[120:121]
	v_fma_f64 v[120:121], -v[128:129], v[132:133], 1.0
	v_fmac_f64_e32 v[132:133], v[132:133], v[120:121]
	v_fma_f64 v[120:121], -v[128:129], v[132:133], 1.0
	v_fmac_f64_e32 v[132:133], v[132:133], v[120:121]
	v_div_scale_f64 v[120:121], vcc, s[92:93], v[126:127], s[92:93]
	v_mul_f64 v[122:123], v[120:121], v[132:133]
	v_fma_f64 v[120:121], -v[128:129], v[122:123], v[120:121]
	v_add_f64 v[10:11], v[10:11], 0.5
	s_nop 0
	v_div_fmas_f64 v[120:121], v[120:121], v[132:133], v[122:123]
	v_div_fixup_f64 v[120:121], v[120:121], v[126:127], s[92:93]
	v_add_f64 v[118:119], v[120:121], v[118:119]
	v_add_f64 v[118:119], v[118:119], s[94:95]
	v_frexp_mant_f64_e32 v[120:121], v[118:119]
	v_cmp_gt_f64_e32 vcc, s[34:35], v[120:121]
	v_cndmask_b32_e64 v15, v91, 2.0, vcc
	v_frexp_exp_i32_f64_e32 v122, v[118:119]
	v_mul_f64 v[120:121], v[120:121], v[14:15]
	v_subbrev_co_u32_e32 v15, vcc, 0, v122, vcc
	v_add_f64 v[122:123], v[120:121], 1.0
	v_rcp_f64_e32 v[124:125], v[122:123]
	v_add_f64 v[128:129], v[122:123], -1.0
	v_add_f64 v[126:127], v[120:121], -1.0
	v_add_f64 v[120:121], v[120:121], -v[128:129]
	v_fma_f64 v[128:129], -v[122:123], v[124:125], 1.0
	v_fmac_f64_e32 v[124:125], v[128:129], v[124:125]
	v_fma_f64 v[128:129], -v[122:123], v[124:125], 1.0
	v_fmac_f64_e32 v[124:125], v[128:129], v[124:125]
	v_mul_f64 v[128:129], v[126:127], v[124:125]
	v_mul_f64 v[130:131], v[122:123], v[128:129]
	v_fma_f64 v[122:123], v[128:129], v[122:123], -v[130:131]
	v_fmac_f64_e32 v[122:123], v[128:129], v[120:121]
	v_add_f64 v[120:121], v[130:131], v[122:123]
	v_add_f64 v[132:133], v[126:127], -v[120:121]
	v_add_f64 v[130:131], v[120:121], -v[130:131]
	;; [unrolled: 1-line block ×5, first 2 shown]
	v_add_f64 v[120:121], v[122:123], v[120:121]
	v_add_f64 v[120:121], v[132:133], v[120:121]
	v_mul_f64 v[120:121], v[124:125], v[120:121]
	v_add_f64 v[122:123], v[128:129], v[120:121]
	v_add_f64 v[124:125], v[122:123], -v[128:129]
	v_add_f64 v[120:121], v[120:121], -v[124:125]
	v_mul_f64 v[124:125], v[122:123], v[122:123]
	v_fma_f64 v[126:127], s[38:39], v[124:125], v[0:1]
	v_fma_f64 v[126:127], v[124:125], v[126:127], s[40:41]
	;; [unrolled: 1-line block ×6, first 2 shown]
	v_ldexp_f64 v[128:129], v[122:123], 1
	v_mul_f64 v[122:123], v[122:123], v[124:125]
	v_mul_f64 v[122:123], v[122:123], v[126:127]
	v_add_f64 v[124:125], v[128:129], v[122:123]
	v_add_f64 v[126:127], v[124:125], -v[128:129]
	v_ldexp_f64 v[120:121], v[120:121], 1
	v_add_f64 v[122:123], v[122:123], -v[126:127]
	v_add_f64 v[120:121], v[120:121], v[122:123]
	v_add_f64 v[122:123], v[124:125], v[120:121]
	v_add_f64 v[124:125], v[122:123], -v[124:125]
	v_add_f64 v[120:121], v[120:121], -v[124:125]
	v_cvt_f64_i32_e32 v[124:125], v15
	v_mul_f64 v[126:127], v[124:125], s[50:51]
	v_fma_f64 v[128:129], v[124:125], s[50:51], -v[126:127]
	v_fmac_f64_e32 v[128:129], s[52:53], v[124:125]
	v_add_f64 v[124:125], v[126:127], v[128:129]
	v_add_f64 v[126:127], v[124:125], -v[126:127]
	v_add_f64 v[126:127], v[128:129], -v[126:127]
	v_add_f64 v[128:129], v[124:125], v[122:123]
	v_add_f64 v[130:131], v[128:129], -v[124:125]
	v_add_f64 v[132:133], v[128:129], -v[130:131]
	;; [unrolled: 1-line block ×4, first 2 shown]
	v_add_f64 v[122:123], v[122:123], v[124:125]
	v_add_f64 v[124:125], v[126:127], v[120:121]
	v_add_f64 v[130:131], v[124:125], -v[126:127]
	v_add_f64 v[132:133], v[124:125], -v[130:131]
	v_add_f64 v[122:123], v[124:125], v[122:123]
	v_add_f64 v[126:127], v[126:127], -v[132:133]
	v_add_f64 v[120:121], v[120:121], -v[130:131]
	v_add_f64 v[124:125], v[128:129], v[122:123]
	v_add_f64 v[120:121], v[120:121], v[126:127]
	v_add_f64 v[126:127], v[124:125], -v[128:129]
	v_add_f64 v[122:123], v[122:123], -v[126:127]
	v_add_f64 v[120:121], v[120:121], v[122:123]
	v_add_f64 v[120:121], v[124:125], v[120:121]
	v_cmp_class_f64_e64 vcc, v[118:119], s9
	v_div_scale_f64 v[122:123], s[2:3], s[22:23], s[22:23], v[10:11]
	v_cndmask_b32_e32 v121, v121, v119, vcc
	v_cndmask_b32_e32 v120, v120, v118, vcc
	v_rcp_f64_e32 v[124:125], v[122:123]
	v_add_f64 v[120:121], v[120:121], s[24:25]
	v_add_f64 v[120:121], v[120:121], s[20:21]
	v_cmp_ngt_f64_e32 vcc, 0, v[118:119]
	v_cndmask_b32_e32 v15, v92, v121, vcc
	v_cmp_nge_f64_e32 vcc, 0, v[118:119]
	v_cndmask_b32_e32 v120, 0, v120, vcc
	v_cmp_neq_f64_e32 vcc, 0, v[118:119]
	v_fma_f64 v[118:119], -v[122:123], v[124:125], 1.0
	v_fmac_f64_e32 v[124:125], v[124:125], v[118:119]
	v_fma_f64 v[118:119], -v[122:123], v[124:125], 1.0
	v_cndmask_b32_e32 v121, v93, v15, vcc
	v_fmac_f64_e32 v[124:125], v[124:125], v[118:119]
	v_div_scale_f64 v[118:119], vcc, v[10:11], s[22:23], v[10:11]
	v_mul_f64 v[126:127], v[118:119], v[124:125]
	v_fma_f64 v[118:119], -v[122:123], v[126:127], v[118:119]
	v_add_f64 v[6:7], v[6:7], 0.5
	s_nop 0
	v_div_fmas_f64 v[118:119], v[118:119], v[124:125], v[126:127]
	v_div_fixup_f64 v[10:11], v[118:119], s[22:23], v[10:11]
	v_frexp_mant_f64_e32 v[118:119], v[10:11]
	v_cmp_gt_f64_e32 vcc, s[34:35], v[118:119]
	v_cndmask_b32_e64 v15, v91, 2.0, vcc
	v_frexp_exp_i32_f64_e32 v122, v[10:11]
	v_mul_f64 v[118:119], v[118:119], v[14:15]
	v_subbrev_co_u32_e32 v15, vcc, 0, v122, vcc
	v_add_f64 v[122:123], v[118:119], 1.0
	v_rcp_f64_e32 v[124:125], v[122:123]
	v_add_f64 v[128:129], v[122:123], -1.0
	v_add_f64 v[126:127], v[118:119], -1.0
	v_add_f64 v[118:119], v[118:119], -v[128:129]
	v_fma_f64 v[128:129], -v[122:123], v[124:125], 1.0
	v_fmac_f64_e32 v[124:125], v[128:129], v[124:125]
	v_fma_f64 v[128:129], -v[122:123], v[124:125], 1.0
	v_fmac_f64_e32 v[124:125], v[128:129], v[124:125]
	v_mul_f64 v[128:129], v[126:127], v[124:125]
	v_mul_f64 v[130:131], v[122:123], v[128:129]
	v_fma_f64 v[122:123], v[128:129], v[122:123], -v[130:131]
	v_fmac_f64_e32 v[122:123], v[128:129], v[118:119]
	v_add_f64 v[118:119], v[130:131], v[122:123]
	v_add_f64 v[132:133], v[126:127], -v[118:119]
	v_add_f64 v[130:131], v[118:119], -v[130:131]
	v_add_f64 v[126:127], v[126:127], -v[132:133]
	v_add_f64 v[118:119], v[126:127], -v[118:119]
	v_add_f64 v[122:123], v[130:131], -v[122:123]
	v_add_f64 v[118:119], v[122:123], v[118:119]
	v_add_f64 v[118:119], v[132:133], v[118:119]
	v_mul_f64 v[118:119], v[124:125], v[118:119]
	v_add_f64 v[122:123], v[128:129], v[118:119]
	v_add_f64 v[124:125], v[122:123], -v[128:129]
	v_add_f64 v[118:119], v[118:119], -v[124:125]
	v_mul_f64 v[124:125], v[122:123], v[122:123]
	v_fmac_f64_e32 v[0:1], s[38:39], v[124:125]
	v_fma_f64 v[0:1], v[124:125], v[0:1], s[40:41]
	v_fma_f64 v[0:1], v[124:125], v[0:1], s[42:43]
	;; [unrolled: 1-line block ×5, first 2 shown]
	v_ldexp_f64 v[126:127], v[122:123], 1
	v_mul_f64 v[122:123], v[122:123], v[124:125]
	v_mul_f64 v[0:1], v[122:123], v[0:1]
	v_add_f64 v[122:123], v[126:127], v[0:1]
	v_add_f64 v[124:125], v[122:123], -v[126:127]
	v_ldexp_f64 v[118:119], v[118:119], 1
	v_add_f64 v[0:1], v[0:1], -v[124:125]
	v_add_f64 v[0:1], v[118:119], v[0:1]
	v_add_f64 v[118:119], v[122:123], v[0:1]
	v_add_f64 v[122:123], v[118:119], -v[122:123]
	v_add_f64 v[0:1], v[0:1], -v[122:123]
	v_cvt_f64_i32_e32 v[122:123], v15
	v_mul_f64 v[124:125], v[122:123], s[50:51]
	v_fma_f64 v[126:127], v[122:123], s[50:51], -v[124:125]
	v_fmac_f64_e32 v[126:127], s[52:53], v[122:123]
	v_add_f64 v[122:123], v[124:125], v[126:127]
	v_add_f64 v[124:125], v[122:123], -v[124:125]
	v_add_f64 v[124:125], v[126:127], -v[124:125]
	v_add_f64 v[126:127], v[122:123], v[118:119]
	v_add_f64 v[128:129], v[126:127], -v[122:123]
	v_add_f64 v[130:131], v[126:127], -v[128:129]
	;; [unrolled: 1-line block ×4, first 2 shown]
	v_add_f64 v[118:119], v[118:119], v[122:123]
	v_add_f64 v[122:123], v[124:125], v[0:1]
	v_add_f64 v[128:129], v[122:123], -v[124:125]
	v_add_f64 v[130:131], v[122:123], -v[128:129]
	v_add_f64 v[118:119], v[122:123], v[118:119]
	v_add_f64 v[124:125], v[124:125], -v[130:131]
	v_add_f64 v[0:1], v[0:1], -v[128:129]
	v_add_f64 v[122:123], v[126:127], v[118:119]
	v_add_f64 v[0:1], v[0:1], v[124:125]
	v_add_f64 v[124:125], v[122:123], -v[126:127]
	v_add_f64 v[118:119], v[118:119], -v[124:125]
	v_add_f64 v[0:1], v[0:1], v[118:119]
	v_add_f64 v[0:1], v[122:123], v[0:1]
	v_cmp_class_f64_e64 vcc, v[10:11], s9
	v_cndmask_b32_e32 v0, v0, v10, vcc
	v_cndmask_b32_e32 v1, v1, v11, vcc
	v_cmp_ngt_f64_e32 vcc, 0, v[10:11]
	v_cndmask_b32_e32 v1, v92, v1, vcc
	v_cmp_nge_f64_e32 vcc, 0, v[10:11]
	v_cndmask_b32_e32 v0, 0, v0, vcc
	v_cmp_neq_f64_e32 vcc, 0, v[10:11]
	v_cndmask_b32_e32 v1, v93, v1, vcc
	v_fmac_f64_e32 v[120:121], v[6:7], v[0:1]
	v_add_f64 v[0:1], v[4:5], -v[120:121]
	v_cvt_u32_f64_e32 v4, v[8:9]
	v_cmp_le_f64_e32 vcc, v[2:3], v[0:1]
	v_cndmask_b32_e64 v119, 0, 1, vcc
	v_cndmask_b32_e32 v75, v75, v4, vcc
	v_mov_b32_e32 v118, v117
.LBB60_23:                              ;   in Loop: Header=BB60_13 Depth=2
	s_or_b64 exec, exec, s[0:1]
	v_cmp_gt_i32_e32 vcc, 2, v119
	s_or_b64 s[14:15], vcc, s[14:15]
	v_mov_b32_e32 v15, v118
	v_mov_b32_e32 v0, v87
	;; [unrolled: 1-line block ×5, first 2 shown]
	s_andn2_b64 exec, exec, s[14:15]
	s_cbranch_execnz .LBB60_13
; %bb.24:                               ;   in Loop: Header=BB60_13 Depth=2
	s_or_b64 exec, exec, s[14:15]
	v_cmp_ne_u32_e32 vcc, 0, v119
	s_or_b64 s[12:13], vcc, s[12:13]
	s_mov_b64 s[14:15], 0
	v_mov_b32_e32 v15, v118
	v_mov_b32_e32 v0, v87
	;; [unrolled: 1-line block ×5, first 2 shown]
	s_andn2_b64 exec, exec, s[12:13]
	s_cbranch_execnz .LBB60_13
; %bb.25:                               ;   in Loop: Header=BB60_5 Depth=1
	s_or_b64 exec, exec, s[12:13]
	v_readlane_b32 s49, v134, 14
                                        ; implicit-def: $vgpr4_vgpr5
                                        ; implicit-def: $vgpr72_vgpr73
                                        ; implicit-def: $vgpr15
                                        ; implicit-def: $vgpr97
                                        ; implicit-def: $vgpr98
                                        ; implicit-def: $vgpr106
                                        ; implicit-def: $vgpr96
                                        ; implicit-def: $vgpr3
                                        ; implicit-def: $vgpr99
                                        ; implicit-def: $vgpr100
                                        ; implicit-def: $vgpr101
                                        ; implicit-def: $vgpr102
                                        ; implicit-def: $vgpr104
                                        ; implicit-def: $vgpr105
                                        ; implicit-def: $vgpr107
                                        ; implicit-def: $vgpr108
                                        ; implicit-def: $vgpr109
                                        ; implicit-def: $vgpr110
                                        ; implicit-def: $vgpr111
                                        ; implicit-def: $vgpr112
                                        ; implicit-def: $vgpr113
                                        ; implicit-def: $vgpr114
                                        ; implicit-def: $vgpr103
                                        ; implicit-def: $vgpr115
.LBB60_26:                              ;   in Loop: Header=BB60_5 Depth=1
	s_andn2_saveexec_b64 s[0:1], s[6:7]
	s_cbranch_execz .LBB60_38
; %bb.27:                               ;   in Loop: Header=BB60_5 Depth=1
	v_add_co_u32_e32 v6, vcc, 1, v97
	v_cndmask_b32_e64 v7, 0, 1, vcc
	v_addc_co_u32_e32 v10, vcc, 0, v98, vcc
	v_cmp_eq_u32_e32 vcc, 0, v10
	v_cndmask_b32_e32 v7, 0, v7, vcc
	v_add_u32_e32 v8, v7, v17
	v_cmp_eq_u32_e32 vcc, 0, v8
	v_cndmask_b32_e32 v11, 0, v7, vcc
	v_mad_u64_u32 v[6:7], s[2:3], v6, s11, 0
	v_mad_u64_u32 v[8:9], s[2:3], v8, s10, 0
	v_xor_b32_e32 v7, v7, v73
	v_xor_b32_e32 v9, v9, v72
	v_xor_b32_e32 v7, v11, v7
	v_xor_b32_e32 v9, v10, v9
	v_mad_u64_u32 v[72:73], s[2:3], v7, s10, 0
	v_mad_u64_u32 v[10:11], s[2:3], v9, s11, 0
	v_xor_b32_e32 v7, v99, v73
	v_xor_b32_e32 v7, v7, v8
	v_xor_b32_e32 v8, v100, v11
	v_xor_b32_e32 v8, v8, v6
	;; [unrolled: 6-line block ×8, first 2 shown]
	v_mad_u64_u32 v[74:75], s[2:3], v7, s11, 0
	v_mad_u64_u32 v[8:9], s[2:3], v6, s10, 0
	v_xor_b32_e32 v6, v115, v75
	v_xor_b32_e32 v6, v6, v10
	v_mad_u64_u32 v[6:7], s[2:3], v6, s10, 0
	v_xor_b32_e32 v7, v7, v8
	v_xor_b32_e32 v10, v106, v7
	v_cmp_lt_i32_e32 vcc, 1, v15
                                        ; implicit-def: $vgpr8
	s_and_saveexec_b64 s[2:3], vcc
	s_xor_b64 s[2:3], exec, s[2:3]
	s_cbranch_execz .LBB60_33
; %bb.28:                               ;   in Loop: Header=BB60_5 Depth=1
	v_cmp_lt_i32_e32 vcc, 2, v15
                                        ; implicit-def: $vgpr8
	s_and_saveexec_b64 s[6:7], vcc
	s_xor_b64 s[6:7], exec, s[6:7]
; %bb.29:                               ;   in Loop: Header=BB60_5 Depth=1
	v_xor_b32_e32 v0, v103, v9
	v_xor_b32_e32 v0, v0, v72
	v_mul_hi_u32 v0, v0, s11
	v_xor_b32_e32 v0, v0, v74
	v_xor_b32_e32 v8, v96, v0
; %bb.30:                               ;   in Loop: Header=BB60_5 Depth=1
	s_andn2_saveexec_b64 s[6:7], s[6:7]
; %bb.31:                               ;   in Loop: Header=BB60_5 Depth=1
	v_mov_b32_e32 v8, v6
	v_mov_b32_e32 v6, v10
	;; [unrolled: 1-line block ×4, first 2 shown]
; %bb.32:                               ;   in Loop: Header=BB60_5 Depth=1
	s_or_b64 exec, exec, s[6:7]
                                        ; implicit-def: $vgpr15
.LBB60_33:                              ;   in Loop: Header=BB60_5 Depth=1
	s_andn2_saveexec_b64 s[2:3], s[2:3]
	s_cbranch_execz .LBB60_37
; %bb.34:                               ;   in Loop: Header=BB60_5 Depth=1
	v_cmp_eq_u32_e32 vcc, 1, v15
	v_mov_b32_e32 v8, v3
	v_mov_b32_e32 v6, v2
	;; [unrolled: 1-line block ×3, first 2 shown]
	s_and_saveexec_b64 s[6:7], vcc
; %bb.35:                               ;   in Loop: Header=BB60_5 Depth=1
	v_mov_b32_e32 v8, v10
	v_mov_b32_e32 v6, v3
	;; [unrolled: 1-line block ×4, first 2 shown]
; %bb.36:                               ;   in Loop: Header=BB60_5 Depth=1
	s_or_b64 exec, exec, s[6:7]
	v_mov_b32_e32 v3, v0
	v_mov_b32_e32 v10, v7
.LBB60_37:                              ;   in Loop: Header=BB60_5 Depth=1
	s_or_b64 exec, exec, s[2:3]
	v_mov_b32_e32 v11, v14
	v_lshlrev_b64 v[0:1], 21, v[10:11]
	v_xor_b32_e32 v2, v0, v3
	v_cvt_f64_u32_e32 v[0:1], v1
	v_ldexp_f64 v[0:1], v[0:1], 32
	v_cvt_f64_u32_e32 v[2:3], v2
	v_add_f64 v[0:1], v[0:1], v[2:3]
	v_mov_b32_e32 v2, 0
	v_mov_b32_e32 v3, 0x3ca00000
	v_fmac_f64_e32 v[2:3], 0x3ca00000, v[0:1]
	v_mov_b32_e32 v9, v14
	v_lshlrev_b64 v[0:1], 21, v[8:9]
	v_frexp_mant_f64_e32 v[8:9], v[2:3]
	v_cmp_gt_f64_e32 vcc, s[34:35], v[8:9]
	v_cndmask_b32_e64 v15, v91, 2.0, vcc
	v_frexp_exp_i32_f64_e32 v10, v[2:3]
	v_mul_f64 v[8:9], v[8:9], v[14:15]
	v_subbrev_co_u32_e32 v15, vcc, 0, v10, vcc
	v_add_f64 v[10:11], v[8:9], 1.0
	v_rcp_f64_e32 v[72:73], v[10:11]
	v_add_f64 v[76:77], v[10:11], -1.0
	v_add_f64 v[74:75], v[8:9], -1.0
	v_add_f64 v[8:9], v[8:9], -v[76:77]
	v_fma_f64 v[76:77], -v[10:11], v[72:73], 1.0
	v_fmac_f64_e32 v[72:73], v[76:77], v[72:73]
	v_fma_f64 v[76:77], -v[10:11], v[72:73], 1.0
	v_fmac_f64_e32 v[72:73], v[76:77], v[72:73]
	v_mul_f64 v[76:77], v[74:75], v[72:73]
	v_mul_f64 v[78:79], v[10:11], v[76:77]
	v_fma_f64 v[10:11], v[76:77], v[10:11], -v[78:79]
	v_fmac_f64_e32 v[10:11], v[76:77], v[8:9]
	v_add_f64 v[8:9], v[78:79], v[10:11]
	v_add_f64 v[80:81], v[74:75], -v[8:9]
	v_add_f64 v[78:79], v[8:9], -v[78:79]
	;; [unrolled: 1-line block ×5, first 2 shown]
	v_add_f64 v[8:9], v[10:11], v[8:9]
	v_add_f64 v[8:9], v[80:81], v[8:9]
	v_mul_f64 v[8:9], v[72:73], v[8:9]
	v_add_f64 v[10:11], v[76:77], v[8:9]
	v_add_f64 v[72:73], v[10:11], -v[76:77]
	v_add_f64 v[8:9], v[8:9], -v[72:73]
	v_mul_f64 v[72:73], v[10:11], v[10:11]
	v_pk_mov_b32 v[74:75], v[18:19], v[18:19] op_sel:[0,1]
	v_fmac_f64_e32 v[74:75], s[38:39], v[72:73]
	v_pk_mov_b32 v[76:77], v[20:21], v[20:21] op_sel:[0,1]
	v_fmac_f64_e32 v[76:77], v[72:73], v[74:75]
	;; [unrolled: 2-line block ×6, first 2 shown]
	v_ldexp_f64 v[74:75], v[10:11], 1
	v_mul_f64 v[10:11], v[10:11], v[72:73]
	v_mul_f64 v[10:11], v[10:11], v[76:77]
	v_add_f64 v[72:73], v[74:75], v[10:11]
	v_add_f64 v[74:75], v[72:73], -v[74:75]
	v_ldexp_f64 v[8:9], v[8:9], 1
	v_add_f64 v[10:11], v[10:11], -v[74:75]
	v_add_f64 v[8:9], v[8:9], v[10:11]
	v_add_f64 v[10:11], v[72:73], v[8:9]
	v_add_f64 v[72:73], v[10:11], -v[72:73]
	v_add_f64 v[8:9], v[8:9], -v[72:73]
	v_cvt_f64_i32_e32 v[72:73], v15
	v_mul_f64 v[74:75], v[72:73], s[50:51]
	v_fma_f64 v[76:77], v[72:73], s[50:51], -v[74:75]
	v_fmac_f64_e32 v[76:77], s[52:53], v[72:73]
	v_add_f64 v[72:73], v[74:75], v[76:77]
	v_add_f64 v[74:75], v[72:73], -v[74:75]
	v_add_f64 v[74:75], v[76:77], -v[74:75]
	v_add_f64 v[76:77], v[72:73], v[10:11]
	v_add_f64 v[78:79], v[76:77], -v[72:73]
	v_add_f64 v[80:81], v[76:77], -v[78:79]
	;; [unrolled: 1-line block ×4, first 2 shown]
	v_add_f64 v[10:11], v[10:11], v[72:73]
	v_add_f64 v[72:73], v[74:75], v[8:9]
	v_add_f64 v[78:79], v[72:73], -v[74:75]
	v_add_f64 v[80:81], v[72:73], -v[78:79]
	v_add_f64 v[10:11], v[72:73], v[10:11]
	v_add_f64 v[74:75], v[74:75], -v[80:81]
	v_add_f64 v[8:9], v[8:9], -v[78:79]
	v_add_f64 v[72:73], v[76:77], v[10:11]
	v_add_f64 v[8:9], v[8:9], v[74:75]
	v_add_f64 v[74:75], v[72:73], -v[76:77]
	v_add_f64 v[10:11], v[10:11], -v[74:75]
	s_mov_b32 s12, 0
	v_add_f64 v[8:9], v[8:9], v[10:11]
	s_mov_b32 s13, 0x7ff00000
	v_add_f64 v[8:9], v[72:73], v[8:9]
	v_cmp_eq_f64_e32 vcc, s[12:13], v[2:3]
	v_cndmask_b32_e32 v9, v9, v3, vcc
	v_cndmask_b32_e32 v8, v8, v2, vcc
	v_mul_f64 v[8:9], v[8:9], -2.0
	v_cmp_neq_f64_e32 vcc, 0, v[2:3]
	s_mov_b32 s2, 0
	v_cndmask_b32_e32 v3, v94, v9, vcc
	v_cndmask_b32_e32 v2, 0, v8, vcc
	s_brev_b32 s3, 8
	v_cmp_gt_f64_e32 vcc, s[2:3], v[2:3]
	v_cndmask_b32_e64 v8, 0, 1, vcc
	v_lshlrev_b32_e32 v8, 8, v8
	v_ldexp_f64 v[2:3], v[2:3], v8
	v_xor_b32_e32 v6, v0, v6
	v_cvt_f64_u32_e32 v[0:1], v1
	v_rsq_f64_e32 v[8:9], v[2:3]
	v_ldexp_f64 v[0:1], v[0:1], 32
	v_cvt_f64_u32_e32 v[6:7], v6
	v_add_f64 v[0:1], v[0:1], v[6:7]
	v_mov_b32_e32 v6, 0
	v_mov_b32_e32 v7, 0x3cb00000
	v_fmac_f64_e32 v[6:7], 0x3cb00000, v[0:1]
	v_mul_f64 v[0:1], v[2:3], v[8:9]
	v_mul_f64 v[8:9], v[8:9], 0.5
	v_fma_f64 v[10:11], -v[8:9], v[0:1], 0.5
	v_fmac_f64_e32 v[0:1], v[0:1], v[10:11]
	v_fma_f64 v[72:73], -v[0:1], v[0:1], v[2:3]
	v_fmac_f64_e32 v[8:9], v[8:9], v[10:11]
	v_fmac_f64_e32 v[0:1], v[72:73], v[8:9]
	v_fma_f64 v[10:11], -v[0:1], v[0:1], v[2:3]
	v_fmac_f64_e32 v[0:1], v[10:11], v[8:9]
	v_cndmask_b32_e32 v8, 0, v90, vcc
	v_ldexp_f64 v[0:1], v[0:1], v8
	v_cmp_class_f64_e32 vcc, v[2:3], v89
	v_cndmask_b32_e32 v1, v1, v3, vcc
	v_cndmask_b32_e32 v0, v0, v2, vcc
	v_mul_f64 v[2:3], v[6:7], 0.5
	v_fract_f64_e32 v[8:9], v[2:3]
	v_add_f64 v[8:9], v[8:9], v[8:9]
	v_cmp_neq_f64_e32 vcc, s[12:13], v[2:3]
	v_cndmask_b32_e32 v2, 0, v8, vcc
	v_cndmask_b32_e32 v3, 0, v9, vcc
	v_cmp_lt_f64_e32 vcc, 1.0, v[6:7]
	v_cndmask_b32_e32 v3, v7, v3, vcc
	v_cndmask_b32_e32 v2, v6, v2, vcc
	v_add_f64 v[8:9], v[2:3], v[2:3]
	v_rndne_f64_e32 v[8:9], v[8:9]
	v_fmac_f64_e32 v[2:3], -0.5, v[8:9]
	s_mov_b32 s6, 0xf99eb0bb
	v_cvt_i32_f64_e32 v15, v[8:9]
	v_mul_f64 v[8:9], v[2:3], v[2:3]
	v_pk_mov_b32 v[10:11], v[48:49], v[48:49] op_sel:[0,1]
	s_mov_b32 s7, 0x3f3e357e
	v_fmac_f64_e32 v[10:11], s[6:7], v[8:9]
	v_pk_mov_b32 v[72:73], v[50:51], v[50:51] op_sel:[0,1]
	v_fmac_f64_e32 v[72:73], v[8:9], v[10:11]
	v_pk_mov_b32 v[10:11], v[52:53], v[52:53] op_sel:[0,1]
	;; [unrolled: 2-line block ×4, first 2 shown]
	v_fmac_f64_e32 v[10:11], v[8:9], v[72:73]
	v_mul_f64 v[72:73], v[2:3], v[8:9]
	s_mov_b32 s6, 0x54442d18
	v_mul_f64 v[10:11], v[72:73], v[10:11]
	s_mov_b32 s7, 0x400921fb
	v_fmac_f64_e32 v[10:11], s[6:7], v[2:3]
	s_mov_b32 s6, 0x2e21c33
	v_pk_mov_b32 v[2:3], v[58:59], v[58:59] op_sel:[0,1]
	s_mov_b32 s7, 0xbf1b1673
	v_fmac_f64_e32 v[2:3], s[6:7], v[8:9]
	v_pk_mov_b32 v[72:73], v[60:61], v[60:61] op_sel:[0,1]
	v_fmac_f64_e32 v[72:73], v[8:9], v[2:3]
	v_pk_mov_b32 v[2:3], v[62:63], v[62:63] op_sel:[0,1]
	;; [unrolled: 2-line block ×5, first 2 shown]
	v_fmac_f64_e32 v[72:73], v[8:9], v[2:3]
	v_fma_f64 v[2:3], v[8:9], v[72:73], 1.0
	v_and_b32_e32 v9, 1, v15
	v_lshlrev_b32_e32 v8, 30, v15
	v_cmp_eq_u32_e32 vcc, 0, v9
	v_cndmask_b32_e32 v10, v2, v10, vcc
	v_cndmask_b32_e32 v2, v3, v11, vcc
	v_xor_b32_e32 v3, v8, v7
	v_and_b32_e32 v3, 0x80000000, v3
	v_cmp_gt_f64_e32 vcc, s[2:3], v[4:5]
	v_xor_b32_e32 v11, v2, v3
	v_cndmask_b32_e64 v2, 0, 1, vcc
	v_lshlrev_b32_e32 v2, 8, v2
	v_ldexp_f64 v[2:3], v[4:5], v2
	v_rsq_f64_e32 v[8:9], v[2:3]
	v_cmp_lg_f64_e64 s[2:3], s[12:13], v[6:7]
	v_cndmask_b32_e64 v6, 0, v10, s[2:3]
	v_cndmask_b32_e64 v7, v92, v11, s[2:3]
	v_mul_f64 v[0:1], v[0:1], v[6:7]
	v_mul_f64 v[6:7], v[2:3], v[8:9]
	v_mul_f64 v[8:9], v[8:9], 0.5
	v_fma_f64 v[10:11], -v[8:9], v[6:7], 0.5
	v_fmac_f64_e32 v[6:7], v[6:7], v[10:11]
	v_fma_f64 v[72:73], -v[6:7], v[6:7], v[2:3]
	v_fmac_f64_e32 v[8:9], v[8:9], v[10:11]
	v_fmac_f64_e32 v[6:7], v[72:73], v[8:9]
	v_fma_f64 v[10:11], -v[6:7], v[6:7], v[2:3]
	v_fmac_f64_e32 v[6:7], v[10:11], v[8:9]
	v_cndmask_b32_e32 v8, 0, v90, vcc
	v_ldexp_f64 v[6:7], v[6:7], v8
	v_cmp_class_f64_e32 vcc, v[2:3], v89
	v_cndmask_b32_e32 v3, v7, v3, vcc
	v_cndmask_b32_e32 v2, v6, v2, vcc
	v_fmac_f64_e32 v[4:5], v[2:3], v[0:1]
	v_trunc_f64_e32 v[0:1], v[4:5]
	v_add_f64 v[2:3], v[4:5], -v[0:1]
	v_cmp_ge_f64_e64 vcc, |v[2:3]|, 0.5
	v_cndmask_b32_e32 v2, 0, v91, vcc
	s_brev_b32 s2, -2
	v_bfi_b32 v15, s2, v2, v5
	v_add_f64 v[0:1], v[0:1], v[14:15]
	v_cvt_u32_f64_e32 v75, v[0:1]
.LBB60_38:                              ;   in Loop: Header=BB60_5 Depth=1
	s_or_b64 exec, exec, s[0:1]
                                        ; implicit-def: $vgpr4_vgpr5
                                        ; implicit-def: $vgpr72_vgpr73
                                        ; implicit-def: $vgpr15
                                        ; implicit-def: $vgpr97
                                        ; implicit-def: $vgpr98
                                        ; implicit-def: $vgpr106
                                        ; implicit-def: $vgpr96
                                        ; implicit-def: $vgpr3
                                        ; implicit-def: $vgpr99
                                        ; implicit-def: $vgpr100
                                        ; implicit-def: $vgpr101
                                        ; implicit-def: $vgpr102
                                        ; implicit-def: $vgpr104
                                        ; implicit-def: $vgpr105
                                        ; implicit-def: $vgpr107
                                        ; implicit-def: $vgpr108
                                        ; implicit-def: $vgpr109
                                        ; implicit-def: $vgpr110
                                        ; implicit-def: $vgpr111
                                        ; implicit-def: $vgpr112
                                        ; implicit-def: $vgpr113
                                        ; implicit-def: $vgpr114
                                        ; implicit-def: $vgpr103
                                        ; implicit-def: $vgpr115
.LBB60_39:                              ;   in Loop: Header=BB60_5 Depth=1
	s_andn2_saveexec_b64 s[0:1], s[54:55]
	s_cbranch_execz .LBB60_3
; %bb.40:                               ;   in Loop: Header=BB60_5 Depth=1
	v_readlane_b32 s2, v134, 12
	v_readlane_b32 s3, v134, 13
	s_mov_b32 s2, s56
	v_mul_f64 v[6:7], v[4:5], s[2:3]
	v_rndne_f64_e32 v[6:7], v[6:7]
	s_mov_b32 s58, s50
	v_fma_f64 v[10:11], v[6:7], s[58:59], -v[4:5]
	s_mov_b32 s60, s52
	v_fmac_f64_e32 v[10:11], s[60:61], v[6:7]
	v_pk_mov_b32 v[8:9], v[30:31], v[30:31] op_sel:[0,1]
	v_fmac_f64_e32 v[8:9], s[62:63], v[10:11]
	v_pk_mov_b32 v[74:75], v[32:33], v[32:33] op_sel:[0,1]
	;; [unrolled: 2-line block ×8, first 2 shown]
	s_mov_b32 s7, s3
	v_fmac_f64_e32 v[74:75], v[10:11], v[8:9]
	v_pk_mov_b32 v[76:77], v[46:47], v[46:47] op_sel:[0,1]
	s_mov_b32 s2, 0
	v_fmac_f64_e32 v[76:77], v[10:11], v[74:75]
	s_mov_b32 s3, 0xc0900000
	v_fma_f64 v[74:75], v[10:11], v[76:77], 1.0
	v_cmp_ngt_f64_e32 vcc, s[2:3], v[4:5]
	s_mov_b32 s2, 0
	v_fma_f64 v[10:11], v[10:11], v[74:75], 1.0
	v_cvt_i32_f64_e32 v6, v[6:7]
	s_mov_b32 s3, 0x4090cc00
	v_ldexp_f64 v[6:7], v[10:11], v6
	v_cmp_nlt_f64_e64 s[2:3], s[2:3], v[4:5]
	v_mov_b32_e32 v8, 0
	v_cndmask_b32_e32 v7, v94, v7, vcc
	s_and_b64 vcc, s[2:3], vcc
	v_writelane_b32 v134, s6, 12
	v_mov_b32_e32 v9, 0x3ff00000
	v_mov_b32_e32 v78, 0
	v_cndmask_b32_e64 v11, 0, v7, s[2:3]
	v_cndmask_b32_e32 v10, 0, v6, vcc
	s_mov_b32 s12, -1
	s_mov_b64 s[2:3], 0
	v_mov_b32_e32 v79, v17
	v_writelane_b32 v134, s7, 13
	s_branch .LBB60_42
.LBB60_41:                              ;   in Loop: Header=BB60_42 Depth=2
	s_or_b64 exec, exec, s[6:7]
	v_cmp_eq_u32_e32 vcc, 1, v15
	v_cndmask_b32_e32 v0, v0, v1, vcc
	v_cmp_eq_u32_e32 vcc, 2, v15
	v_cndmask_b32_e32 v0, v0, v2, vcc
	;; [unrolled: 2-line block ×6, first 2 shown]
	v_lshrrev_b32_e32 v0, 11, v0
	v_cvt_f64_u32_e32 v[0:1], v0
	v_ldexp_f64 v[0:1], v[0:1], 32
	v_cvt_f64_u32_e32 v[2:3], v2
	v_add_f64 v[0:1], v[0:1], v[2:3]
	v_mov_b32_e32 v2, 0
	v_mov_b32_e32 v3, 0x3ca00000
	v_fmac_f64_e32 v[2:3], 0x3ca00000, v[0:1]
	v_mul_f64 v[8:9], v[8:9], v[2:3]
	v_cmp_ngt_f64_e32 vcc, v[8:9], v[10:11]
	s_add_i32 s12, s12, 1
	s_or_b64 s[2:3], vcc, s[2:3]
	v_mov_b32_e32 v75, s12
	v_mov_b32_e32 v15, v81
	;; [unrolled: 1-line block ×6, first 2 shown]
	s_andn2_b64 exec, exec, s[2:3]
	s_cbranch_execz .LBB60_2
.LBB60_42:                              ;   Parent Loop BB60_5 Depth=1
                                        ; =>  This Inner Loop Header: Depth=2
	v_add_u32_e32 v80, 1, v15
	v_pk_mov_b32 v[6:7], v[2:3], v[2:3] op_sel:[0,1]
	v_cmp_eq_u32_e32 vcc, 4, v80
	v_pk_mov_b32 v[4:5], v[0:1], v[0:1] op_sel:[0,1]
	v_mov_b32_e32 v77, v0
	v_mov_b32_e32 v76, v1
	;; [unrolled: 1-line block ×4, first 2 shown]
	s_and_saveexec_b64 s[6:7], vcc
	s_cbranch_execz .LBB60_44
; %bb.43:                               ;   in Loop: Header=BB60_42 Depth=2
	v_add_co_u32_e32 v97, vcc, 1, v97
	v_cndmask_b32_e64 v4, 0, 1, vcc
	v_addc_co_u32_e32 v98, vcc, 0, v98, vcc
	v_cmp_eq_u32_e32 vcc, 0, v98
	v_cndmask_b32_e32 v4, 0, v4, vcc
	v_add_u32_e32 v79, v4, v79
	v_cmp_eq_u32_e32 vcc, 0, v79
	v_cndmask_b32_e32 v4, 0, v4, vcc
	v_add_u32_e32 v78, v4, v78
	v_mad_u64_u32 v[4:5], s[14:15], v97, s11, 0
	v_mad_u64_u32 v[6:7], s[14:15], v79, s10, 0
	v_xor_b32_e32 v5, v5, v73
	v_xor_b32_e32 v7, v7, v72
	v_xor_b32_e32 v5, v78, v5
	v_xor_b32_e32 v7, v98, v7
	v_mad_u64_u32 v[76:77], s[14:15], v5, s10, 0
	v_mad_u64_u32 v[74:75], s[14:15], v7, s11, 0
	v_xor_b32_e32 v5, v99, v77
	v_xor_b32_e32 v5, v5, v6
	v_xor_b32_e32 v6, v100, v75
	v_xor_b32_e32 v6, v6, v4
	;; [unrolled: 6-line block ×10, first 2 shown]
	v_mov_b32_e32 v80, 0
	v_mov_b32_e32 v5, v76
	;; [unrolled: 1-line block ×5, first 2 shown]
.LBB60_44:                              ;   in Loop: Header=BB60_42 Depth=2
	s_or_b64 exec, exec, s[6:7]
	v_add_u32_e32 v81, 1, v80
	v_cmp_eq_u32_e32 vcc, 4, v81
	s_and_saveexec_b64 s[6:7], vcc
	s_cbranch_execz .LBB60_41
; %bb.45:                               ;   in Loop: Header=BB60_42 Depth=2
	v_add_co_u32_e32 v97, vcc, 1, v97
	v_cndmask_b32_e64 v74, 0, 1, vcc
	v_addc_co_u32_e32 v98, vcc, 0, v98, vcc
	v_cmp_eq_u32_e32 vcc, 0, v98
	v_cndmask_b32_e32 v74, 0, v74, vcc
	v_add_u32_e32 v79, v74, v79
	v_cmp_eq_u32_e32 vcc, 0, v79
	v_cndmask_b32_e32 v74, 0, v74, vcc
	v_add_u32_e32 v78, v74, v78
	v_mad_u64_u32 v[74:75], s[14:15], v97, s11, 0
	v_mad_u64_u32 v[76:77], s[14:15], v79, s10, 0
	v_xor_b32_e32 v75, v75, v73
	v_xor_b32_e32 v77, v77, v72
	v_xor_b32_e32 v75, v78, v75
	v_xor_b32_e32 v77, v98, v77
	v_mad_u64_u32 v[84:85], s[14:15], v75, s10, 0
	v_mad_u64_u32 v[82:83], s[14:15], v77, s11, 0
	v_xor_b32_e32 v75, v99, v85
	v_xor_b32_e32 v75, v75, v76
	v_xor_b32_e32 v76, v100, v83
	v_xor_b32_e32 v76, v76, v74
	;; [unrolled: 6-line block ×9, first 2 shown]
	v_mad_u64_u32 v[74:75], s[14:15], v74, s11, 0
	v_mad_u64_u32 v[76:77], s[14:15], v76, s10, 0
	v_xor_b32_e32 v77, v77, v116
	v_xor_b32_e32 v75, v75, v86
	v_mov_b32_e32 v81, 0
	v_xor_b32_e32 v77, v106, v77
	v_xor_b32_e32 v82, v96, v75
	s_branch .LBB60_41
.LBB60_46:
	s_or_b64 exec, exec, s[4:5]
	s_and_saveexec_b64 s[0:1], s[16:17]
	s_xor_b64 s[0:1], exec, s[0:1]
	s_cbranch_execnz .LBB60_48
.LBB60_47:
	s_endpgm
.LBB60_48:
	s_trap 2
	; divergent unreachable
	s_endpgm
	.section	.rodata,"a",@progbits
	.p2align	6, 0x0
	.amdhsa_kernel _ZN2at4cuda12_GLOBAL__N_121kernelPointwiseApply2IZN12_GLOBAL__N_119poisson_cuda_kernelIdEEvRKNS_10TensorBaseES7_NS_15PhiloxCudaStateEEUlRdRKdE_ddjLi2ELi1ELi1ELi512ELi2EEEvNS0_6detail10TensorInfoIT0_T2_EENSE_IT1_SG_EESG_T_
		.amdhsa_group_segment_fixed_size 0
		.amdhsa_private_segment_fixed_size 0
		.amdhsa_kernarg_size 728
		.amdhsa_user_sgpr_count 6
		.amdhsa_user_sgpr_private_segment_buffer 1
		.amdhsa_user_sgpr_dispatch_ptr 0
		.amdhsa_user_sgpr_queue_ptr 0
		.amdhsa_user_sgpr_kernarg_segment_ptr 1
		.amdhsa_user_sgpr_dispatch_id 0
		.amdhsa_user_sgpr_flat_scratch_init 0
		.amdhsa_user_sgpr_kernarg_preload_length 0
		.amdhsa_user_sgpr_kernarg_preload_offset 0
		.amdhsa_user_sgpr_private_segment_size 0
		.amdhsa_uses_dynamic_stack 0
		.amdhsa_system_sgpr_private_segment_wavefront_offset 0
		.amdhsa_system_sgpr_workgroup_id_x 1
		.amdhsa_system_sgpr_workgroup_id_y 0
		.amdhsa_system_sgpr_workgroup_id_z 0
		.amdhsa_system_sgpr_workgroup_info 0
		.amdhsa_system_vgpr_workitem_id 0
		.amdhsa_next_free_vgpr 135
		.amdhsa_next_free_sgpr 96
		.amdhsa_accum_offset 136
		.amdhsa_reserve_vcc 1
		.amdhsa_reserve_flat_scratch 0
		.amdhsa_float_round_mode_32 0
		.amdhsa_float_round_mode_16_64 0
		.amdhsa_float_denorm_mode_32 3
		.amdhsa_float_denorm_mode_16_64 3
		.amdhsa_dx10_clamp 1
		.amdhsa_ieee_mode 1
		.amdhsa_fp16_overflow 0
		.amdhsa_tg_split 0
		.amdhsa_exception_fp_ieee_invalid_op 0
		.amdhsa_exception_fp_denorm_src 0
		.amdhsa_exception_fp_ieee_div_zero 0
		.amdhsa_exception_fp_ieee_overflow 0
		.amdhsa_exception_fp_ieee_underflow 0
		.amdhsa_exception_fp_ieee_inexact 0
		.amdhsa_exception_int_div_zero 0
	.end_amdhsa_kernel
	.section	.text._ZN2at4cuda12_GLOBAL__N_121kernelPointwiseApply2IZN12_GLOBAL__N_119poisson_cuda_kernelIdEEvRKNS_10TensorBaseES7_NS_15PhiloxCudaStateEEUlRdRKdE_ddjLi2ELi1ELi1ELi512ELi2EEEvNS0_6detail10TensorInfoIT0_T2_EENSE_IT1_SG_EESG_T_,"axG",@progbits,_ZN2at4cuda12_GLOBAL__N_121kernelPointwiseApply2IZN12_GLOBAL__N_119poisson_cuda_kernelIdEEvRKNS_10TensorBaseES7_NS_15PhiloxCudaStateEEUlRdRKdE_ddjLi2ELi1ELi1ELi512ELi2EEEvNS0_6detail10TensorInfoIT0_T2_EENSE_IT1_SG_EESG_T_,comdat
.Lfunc_end60:
	.size	_ZN2at4cuda12_GLOBAL__N_121kernelPointwiseApply2IZN12_GLOBAL__N_119poisson_cuda_kernelIdEEvRKNS_10TensorBaseES7_NS_15PhiloxCudaStateEEUlRdRKdE_ddjLi2ELi1ELi1ELi512ELi2EEEvNS0_6detail10TensorInfoIT0_T2_EENSE_IT1_SG_EESG_T_, .Lfunc_end60-_ZN2at4cuda12_GLOBAL__N_121kernelPointwiseApply2IZN12_GLOBAL__N_119poisson_cuda_kernelIdEEvRKNS_10TensorBaseES7_NS_15PhiloxCudaStateEEUlRdRKdE_ddjLi2ELi1ELi1ELi512ELi2EEEvNS0_6detail10TensorInfoIT0_T2_EENSE_IT1_SG_EESG_T_
                                        ; -- End function
	.section	.AMDGPU.csdata,"",@progbits
; Kernel info:
; codeLenInByte = 13480
; NumSgprs: 100
; NumVgprs: 135
; NumAgprs: 0
; TotalNumVgprs: 135
; ScratchSize: 0
; MemoryBound: 0
; FloatMode: 240
; IeeeMode: 1
; LDSByteSize: 0 bytes/workgroup (compile time only)
; SGPRBlocks: 12
; VGPRBlocks: 16
; NumSGPRsForWavesPerEU: 100
; NumVGPRsForWavesPerEU: 135
; AccumOffset: 136
; Occupancy: 3
; WaveLimiterHint : 1
; COMPUTE_PGM_RSRC2:SCRATCH_EN: 0
; COMPUTE_PGM_RSRC2:USER_SGPR: 6
; COMPUTE_PGM_RSRC2:TRAP_HANDLER: 0
; COMPUTE_PGM_RSRC2:TGID_X_EN: 1
; COMPUTE_PGM_RSRC2:TGID_Y_EN: 0
; COMPUTE_PGM_RSRC2:TGID_Z_EN: 0
; COMPUTE_PGM_RSRC2:TIDIG_COMP_CNT: 0
; COMPUTE_PGM_RSRC3_GFX90A:ACCUM_OFFSET: 33
; COMPUTE_PGM_RSRC3_GFX90A:TG_SPLIT: 0
	.section	.text._ZN2at4cuda12_GLOBAL__N_121kernelPointwiseApply2IZN12_GLOBAL__N_119poisson_cuda_kernelIdEEvRKNS_10TensorBaseES7_NS_15PhiloxCudaStateEEUlRdRKdE_ddjLi2ELi2ELi1ELi512ELi2EEEvNS0_6detail10TensorInfoIT0_T2_EENSE_IT1_SG_EESG_T_,"axG",@progbits,_ZN2at4cuda12_GLOBAL__N_121kernelPointwiseApply2IZN12_GLOBAL__N_119poisson_cuda_kernelIdEEvRKNS_10TensorBaseES7_NS_15PhiloxCudaStateEEUlRdRKdE_ddjLi2ELi2ELi1ELi512ELi2EEEvNS0_6detail10TensorInfoIT0_T2_EENSE_IT1_SG_EESG_T_,comdat
	.globl	_ZN2at4cuda12_GLOBAL__N_121kernelPointwiseApply2IZN12_GLOBAL__N_119poisson_cuda_kernelIdEEvRKNS_10TensorBaseES7_NS_15PhiloxCudaStateEEUlRdRKdE_ddjLi2ELi2ELi1ELi512ELi2EEEvNS0_6detail10TensorInfoIT0_T2_EENSE_IT1_SG_EESG_T_ ; -- Begin function _ZN2at4cuda12_GLOBAL__N_121kernelPointwiseApply2IZN12_GLOBAL__N_119poisson_cuda_kernelIdEEvRKNS_10TensorBaseES7_NS_15PhiloxCudaStateEEUlRdRKdE_ddjLi2ELi2ELi1ELi512ELi2EEEvNS0_6detail10TensorInfoIT0_T2_EENSE_IT1_SG_EESG_T_
	.p2align	8
	.type	_ZN2at4cuda12_GLOBAL__N_121kernelPointwiseApply2IZN12_GLOBAL__N_119poisson_cuda_kernelIdEEvRKNS_10TensorBaseES7_NS_15PhiloxCudaStateEEUlRdRKdE_ddjLi2ELi2ELi1ELi512ELi2EEEvNS0_6detail10TensorInfoIT0_T2_EENSE_IT1_SG_EESG_T_,@function
_ZN2at4cuda12_GLOBAL__N_121kernelPointwiseApply2IZN12_GLOBAL__N_119poisson_cuda_kernelIdEEvRKNS_10TensorBaseES7_NS_15PhiloxCudaStateEEUlRdRKdE_ddjLi2ELi2ELi1ELi512ELi2EEEvNS0_6detail10TensorInfoIT0_T2_EENSE_IT1_SG_EESG_T_: ; @_ZN2at4cuda12_GLOBAL__N_121kernelPointwiseApply2IZN12_GLOBAL__N_119poisson_cuda_kernelIdEEvRKNS_10TensorBaseES7_NS_15PhiloxCudaStateEEUlRdRKdE_ddjLi2ELi2ELi1ELi512ELi2EEEvNS0_6detail10TensorInfoIT0_T2_EENSE_IT1_SG_EESG_T_
; %bb.0:
	s_load_dword s2, s[4:5], 0x1e4
	s_load_dword s16, s[4:5], 0x1b0
	s_add_u32 s0, s4, 0x1d8
	s_addc_u32 s1, s5, 0
	s_waitcnt lgkmcnt(0)
	s_and_b32 s2, s2, 0xffff
	s_mul_i32 s6, s6, s2
	v_add_u32_e32 v17, s6, v0
	v_cmp_gt_u32_e32 vcc, s16, v17
	s_and_saveexec_b64 s[6:7], vcc
	s_cbranch_execz .LBB61_49
; %bb.1:
	s_load_dwordx2 s[6:7], s[4:5], 0x0
	s_load_dwordx4 s[12:15], s[4:5], 0x1b8
                                        ; implicit-def: $vgpr136 : SGPR spill to VGPR lane
	s_mov_b32 s10, 0xcd9e8d57
	s_mov_b32 s28, 0
	;; [unrolled: 1-line block ×3, first 2 shown]
	s_waitcnt lgkmcnt(0)
	v_writelane_b32 v136, s6, 0
	v_writelane_b32 v136, s7, 1
	s_load_dword s8, s[4:5], 0xc
	s_load_dwordx2 s[6:7], s[4:5], 0x6c
	s_mov_b32 s38, 0x6b47b09a
	s_mov_b32 s40, 0xbf559e2b
	;; [unrolled: 1-line block ×3, first 2 shown]
	s_waitcnt lgkmcnt(0)
	v_cvt_f32_u32_e32 v0, s8
	v_writelane_b32 v136, s6, 2
	v_writelane_b32 v136, s7, 3
	s_load_dwordx2 s[18:19], s[4:5], 0xd8
	s_load_dword s9, s[4:5], 0xe4
	s_load_dwordx2 s[6:7], s[4:5], 0x144
	v_rcp_iflag_f32_e32 v0, v0
	s_mov_b32 s44, 0x16291751
	s_mov_b32 s46, 0x9b27acf1
	s_waitcnt lgkmcnt(0)
	v_cvt_f32_u32_e32 v1, s9
	v_writelane_b32 v136, s6, 4
	v_writelane_b32 v136, s7, 5
	s_load_dwordx2 s[6:7], s[4:5], 0x1c8
	v_rcp_iflag_f32_e32 v1, v1
	v_mul_f32_e32 v0, 0x4f7ffffe, v0
	v_cvt_u32_f32_e32 v0, v0
	s_mov_b32 s48, 0x998ef7b6
	s_waitcnt lgkmcnt(0)
	v_writelane_b32 v136, s6, 6
	v_writelane_b32 v136, s7, 7
	s_load_dword s3, s[0:1], 0x0
	s_load_dword s6, s[4:5], 0x1d0
	s_getpc_b64 s[0:1]
	s_add_u32 s0, s0, .str@rel32@lo+4
	s_addc_u32 s1, s1, .str@rel32@hi+12
	s_cmp_eq_u64 s[0:1], 0
	v_mul_f32_e32 v1, 0x4f7ffffe, v1
	s_cselect_b64 s[0:1], -1, 0
	s_waitcnt lgkmcnt(0)
	s_bitcmp1_b32 s6, 0
	v_mad_u64_u32 v[12:13], s[6:7], v17, s10, 0
	v_cvt_u32_f32_e32 v1, v1
	s_mul_i32 s17, s3, s2
	s_cselect_b64 s[2:3], -1, 0
	s_sub_i32 s6, 0, s8
	v_mul_lo_u32 v2, s6, v0
	v_mul_hi_u32 v2, v0, v2
	s_sub_i32 s6, 0, s9
	v_writelane_b32 v136, s12, 8
	v_mov_b32_e32 v16, v13
	v_add_u32_e32 v13, v0, v2
	v_mul_lo_u32 v0, s6, v1
	v_writelane_b32 v136, s13, 9
	v_mul_hi_u32 v0, v1, v0
	v_writelane_b32 v136, s14, 10
	v_add_u32_e32 v88, v1, v0
	v_cndmask_b32_e64 v0, 0, 1, s[2:3]
	v_writelane_b32 v136, s15, 11
	s_xor_b64 s[66:67], s[0:1], -1
	v_cmp_ne_u32_e64 s[0:1], 1, v0
	v_writelane_b32 v136, s0, 12
	v_writelane_b32 v136, s1, 13
	s_mov_b32 s1, 0xbff71547
	s_mov_b32 s52, 0xfefa39ef
	;; [unrolled: 1-line block ×19, first 2 shown]
	s_movk_i32 s26, 0xf950
	s_mov_b32 s22, 0xc864beb5
	s_mov_b32 s24, 0
	;; [unrolled: 1-line block ×3, first 2 shown]
	v_writelane_b32 v136, s0, 14
	s_mov_b64 s[4:5], 0
	v_mov_b32_e32 v14, 0
	s_mov_b32 s11, 0xd2511f53
	s_mov_b32 s29, 0x40080000
	;; [unrolled: 1-line block ×12, first 2 shown]
	s_movk_i32 s33, 0x204
	s_mov_b32 s59, 0x3ff71547
	s_mov_b32 s61, 0xbfe62e42
	;; [unrolled: 1-line block ×4, first 2 shown]
	v_mov_b32_e32 v18, 0x6b47b09a
	v_mov_b32_e32 v20, 0xd7f4df2e
	;; [unrolled: 1-line block ×60, first 2 shown]
	s_mov_b32 s69, 0x40900000
	s_mov_b32 s71, 0xc090cc00
	;; [unrolled: 1-line block ×18, first 2 shown]
	v_writelane_b32 v136, s1, 15
                                        ; implicit-def: $sgpr20_sgpr21
                                        ; implicit-def: $sgpr34_sgpr35
	v_writelane_b32 v136, s17, 16
	s_branch .LBB61_5
.LBB61_2:                               ;   in Loop: Header=BB61_5 Depth=1
	s_or_b64 exec, exec, s[2:3]
.LBB61_3:                               ;   in Loop: Header=BB61_5 Depth=1
	s_or_b64 exec, exec, s[0:1]
	v_readlane_b32 s0, v136, 0
	v_lshlrev_b64 v[0:1], 3, v[70:71]
	v_readlane_b32 s1, v136, 1
	v_mov_b32_e32 v2, s1
	v_add_co_u32_e32 v0, vcc, s0, v0
	v_addc_co_u32_e32 v1, vcc, v2, v1, vcc
	v_add_u32_e32 v96, s17, v96
	v_cmp_le_u32_e32 vcc, s16, v96
	v_cvt_f64_u32_e32 v[2:3], v75
	s_andn2_b64 s[34:35], s[34:35], exec
	s_orn2_b64 s[0:1], vcc, exec
	global_store_dwordx2 v[0:1], v[2:3], off
.LBB61_4:                               ;   in Loop: Header=BB61_5 Depth=1
	s_or_b64 exec, exec, s[56:57]
	s_and_b64 s[0:1], exec, s[0:1]
	s_or_b64 s[4:5], s[0:1], s[4:5]
	s_andn2_b64 s[0:1], s[20:21], exec
	s_and_b64 s[2:3], s[34:35], exec
	s_or_b64 s[20:21], s[0:1], s[2:3]
	s_andn2_b64 exec, exec, s[4:5]
	s_cbranch_execz .LBB61_48
.LBB61_5:                               ; =>This Loop Header: Depth=1
                                        ;     Child Loop BB61_15 Depth 2
                                        ;     Child Loop BB61_44 Depth 2
	v_sub_u32_e32 v0, s16, v96
	v_cmp_lt_i32_e32 vcc, 0, v0
	v_pk_mov_b32 v[0:1], 0, 0
	v_pk_mov_b32 v[70:71], v[0:1], v[0:1] op_sel:[0,1]
	s_and_saveexec_b64 s[0:1], vcc
	s_cbranch_execz .LBB61_7
; %bb.6:                                ;   in Loop: Header=BB61_5 Depth=1
	v_mul_hi_u32 v2, v96, v13
	v_mul_lo_u32 v3, v2, s8
	v_sub_u32_e32 v3, v96, v3
	v_add_u32_e32 v4, 1, v2
	v_cmp_le_u32_e64 s[2:3], s8, v3
	v_cndmask_b32_e64 v2, v2, v4, s[2:3]
	v_subrev_u32_e32 v4, s8, v3
	v_cndmask_b32_e64 v3, v3, v4, s[2:3]
	v_add_u32_e32 v4, 1, v2
	v_cmp_le_u32_e64 s[2:3], s8, v3
	v_cndmask_b32_e64 v3, v2, v4, s[2:3]
	v_mul_lo_u32 v2, v3, s8
	v_readlane_b32 s2, v136, 2
	v_sub_u32_e32 v2, v96, v2
	v_readlane_b32 s3, v136, 3
	v_mul_lo_u32 v2, v2, s3
	v_mad_u64_u32 v[70:71], s[2:3], v3, s2, v[2:3]
	v_mov_b32_e32 v71, v14
.LBB61_7:                               ;   in Loop: Header=BB61_5 Depth=1
	s_or_b64 exec, exec, s[0:1]
	s_and_saveexec_b64 s[0:1], vcc
	s_cbranch_execz .LBB61_9
; %bb.8:                                ;   in Loop: Header=BB61_5 Depth=1
	v_mul_hi_u32 v0, v96, v88
	v_mul_lo_u32 v1, v0, s9
	v_sub_u32_e32 v1, v96, v1
	v_add_u32_e32 v2, 1, v0
	v_cmp_le_u32_e32 vcc, s9, v1
	v_cndmask_b32_e32 v0, v0, v2, vcc
	v_subrev_u32_e32 v2, s9, v1
	v_cndmask_b32_e32 v1, v1, v2, vcc
	v_add_u32_e32 v2, 1, v0
	v_cmp_le_u32_e32 vcc, s9, v1
	v_cndmask_b32_e32 v1, v0, v2, vcc
	v_mul_lo_u32 v0, v1, s9
	v_readlane_b32 s2, v136, 4
	v_sub_u32_e32 v0, v96, v0
	v_readlane_b32 s3, v136, 5
	v_mul_lo_u32 v0, v0, s3
	v_mad_u64_u32 v[0:1], s[2:3], v1, s2, v[0:1]
	v_mov_b32_e32 v1, v14
.LBB61_9:                               ;   in Loop: Header=BB61_5 Depth=1
	s_or_b64 exec, exec, s[0:1]
	v_lshlrev_b64 v[0:1], 3, v[0:1]
	v_add_co_u32_e32 v0, vcc, s18, v0
	v_addc_co_u32_e32 v1, vcc, v89, v1, vcc
	global_load_dwordx2 v[4:5], v[0:1], off
	s_mov_b64 s[0:1], -1
	s_or_b64 s[34:35], s[34:35], exec
	s_waitcnt vmcnt(0)
	v_cmp_le_f64_e32 vcc, 0, v[4:5]
	s_and_b64 s[2:3], s[66:67], vcc
	s_and_saveexec_b64 s[56:57], s[2:3]
	s_cbranch_execz .LBB61_4
; %bb.10:                               ;   in Loop: Header=BB61_5 Depth=1
	v_readlane_b32 s0, v136, 12
	v_readlane_b32 s1, v136, 13
	s_and_b64 vcc, exec, s[0:1]
	v_readlane_b32 s0, v136, 8
	v_readlane_b32 s1, v136, 9
	;; [unrolled: 1-line block ×4, first 2 shown]
	v_pk_mov_b32 v[0:1], s[2:3], s[2:3] op_sel:[0,1]
	v_pk_mov_b32 v[72:73], s[0:1], s[0:1] op_sel:[0,1]
	s_cbranch_vccnz .LBB61_12
; %bb.11:                               ;   in Loop: Header=BB61_5 Depth=1
	v_readlane_b32 s0, v136, 8
	v_readlane_b32 s2, v136, 10
	;; [unrolled: 1-line block ×3, first 2 shown]
	v_pk_mov_b32 v[0:1], s[2:3], s[2:3] op_sel:[0,1]
	v_readlane_b32 s1, v136, 9
	flat_load_dwordx2 v[0:1], v[0:1]
	v_pk_mov_b32 v[2:3], s[0:1], s[0:1] op_sel:[0,1]
	flat_load_dwordx2 v[72:73], v[2:3]
	v_readlane_b32 s0, v136, 6
	v_readlane_b32 s1, v136, 7
	v_mov_b32_e32 v2, s1
	s_waitcnt vmcnt(0) lgkmcnt(0)
	v_add_co_u32_e32 v0, vcc, s0, v0
	v_addc_co_u32_e32 v1, vcc, v1, v2, vcc
.LBB61_12:                              ;   in Loop: Header=BB61_5 Depth=1
	v_alignbit_b32 v98, v1, v0, 2
	v_and_b32_e32 v15, 3, v0
	v_lshrrev_b32_e32 v99, 2, v1
	v_mad_u64_u32 v[0:1], s[0:1], v98, s11, 0
	v_xor_b32_e32 v3, v16, v72
	v_mov_b32_e32 v2, v73
	v_xor_b32_e32 v1, v1, v73
	s_mov_b32 s0, 0xbb67ae85
	v_xor_b32_e32 v3, v3, v99
	v_add_co_u32_e32 v101, vcc, s0, v2
	v_mad_u64_u32 v[6:7], s[0:1], v3, s11, 0
	v_mad_u64_u32 v[8:9], s[0:1], v1, s10, 0
	v_add_co_u32_e32 v100, vcc, 0x9e3779b9, v72
	v_xor_b32_e32 v1, v12, v9
	v_xor_b32_e32 v3, v101, v7
	s_mov_b32 s0, 0x3c6ef372
	v_xor_b32_e32 v1, v1, v100
	v_xor_b32_e32 v3, v3, v0
	v_add_co_u32_e32 v102, vcc, s0, v72
	s_mov_b32 s0, 0x76cf5d0a
	v_add_co_u32_e32 v103, vcc, s0, v2
	v_mad_u64_u32 v[0:1], s[0:1], v1, s11, 0
	v_mad_u64_u32 v[10:11], s[0:1], v3, s10, 0
	v_xor_b32_e32 v3, v102, v11
	v_xor_b32_e32 v1, v103, v1
	s_mov_b32 s0, 0xdaa66d2b
	v_xor_b32_e32 v3, v3, v8
	v_xor_b32_e32 v1, v1, v6
	v_add_co_u32_e32 v105, vcc, s0, v72
	s_mov_b32 s0, 0x32370b8f
	v_add_co_u32_e32 v106, vcc, s0, v2
	v_mad_u64_u32 v[6:7], s[0:1], v3, s11, 0
	v_mad_u64_u32 v[8:9], s[0:1], v1, s10, 0
	v_xor_b32_e32 v1, v105, v9
	v_xor_b32_e32 v3, v106, v7
	s_mov_b32 s0, 0x78dde6e4
	v_xor_b32_e32 v1, v1, v10
	v_xor_b32_e32 v3, v3, v0
	v_add_co_u32_e32 v108, vcc, s0, v72
	s_mov_b32 s0, 0xed9eba14
	v_add_co_u32_e32 v109, vcc, s0, v2
	v_mad_u64_u32 v[0:1], s[0:1], v1, s11, 0
	v_mad_u64_u32 v[10:11], s[0:1], v3, s10, 0
	v_xor_b32_e32 v3, v108, v11
	v_xor_b32_e32 v1, v109, v1
	s_mov_b32 s0, 0x1715609d
	v_xor_b32_e32 v3, v3, v8
	v_xor_b32_e32 v1, v1, v6
	v_add_co_u32_e32 v110, vcc, s0, v72
	s_mov_b32 s0, 0xa9066899
	v_add_co_u32_e32 v111, vcc, s0, v2
	v_mad_u64_u32 v[6:7], s[0:1], v3, s11, 0
	v_mad_u64_u32 v[8:9], s[0:1], v1, s10, 0
	v_xor_b32_e32 v1, v110, v9
	v_xor_b32_e32 v3, v111, v7
	s_mov_b32 s0, 0xb54cda56
	v_xor_b32_e32 v1, v1, v10
	v_xor_b32_e32 v3, v3, v0
	v_add_co_u32_e32 v112, vcc, s0, v72
	s_mov_b32 s0, 0x646e171e
	v_add_co_u32_e32 v113, vcc, s0, v2
	v_mad_u64_u32 v[0:1], s[0:1], v1, s11, 0
	v_mad_u64_u32 v[10:11], s[0:1], v3, s10, 0
	v_xor_b32_e32 v3, v112, v11
	v_xor_b32_e32 v1, v113, v1
	s_mov_b32 s0, 0x5384540f
	v_xor_b32_e32 v3, v3, v8
	v_xor_b32_e32 v1, v1, v6
	v_add_co_u32_e32 v114, vcc, s0, v72
	s_mov_b32 s0, 0x1fd5c5a3
	v_add_co_u32_e32 v115, vcc, s0, v2
	v_mad_u64_u32 v[6:7], s[0:1], v3, s11, 0
	v_mad_u64_u32 v[8:9], s[0:1], v1, s10, 0
	v_xor_b32_e32 v1, v114, v9
	v_xor_b32_e32 v3, v115, v7
	s_mov_b32 s0, 0xf1bbcdc8
	v_xor_b32_e32 v1, v1, v10
	v_xor_b32_e32 v0, v3, v0
	v_add_co_u32_e32 v104, vcc, s0, v72
	s_mov_b32 s0, 0xdb3d7428
	v_add_co_u32_e32 v116, vcc, s0, v2
	v_mad_u64_u32 v[2:3], s[0:1], v1, s11, 0
	v_mad_u64_u32 v[0:1], s[0:1], v0, s10, 0
	v_xor_b32_e32 v1, v104, v1
	v_xor_b32_e32 v3, v116, v3
	;; [unrolled: 1-line block ×4, first 2 shown]
	v_mad_u64_u32 v[6:7], s[0:1], v1, s11, 0
	v_mad_u64_u32 v[8:9], s[0:1], v8, s10, 0
	s_mov_b32 s0, 0
	v_add_u32_e32 v107, 0x8ff34781, v72
	v_add_u32_e32 v97, 0x96a522ad, v73
	v_xor_b32_e32 v0, v9, v0
	v_xor_b32_e32 v2, v7, v2
	s_mov_b32 s1, 0x40500000
	v_mov_b32_e32 v3, v6
	v_mov_b32_e32 v1, v8
	v_xor_b32_e32 v0, v107, v0
	v_xor_b32_e32 v2, v97, v2
	v_cmp_ngt_f64_e32 vcc, s[0:1], v[4:5]
                                        ; implicit-def: $vgpr75
	s_and_saveexec_b64 s[0:1], vcc
	s_xor_b64 s[6:7], exec, s[0:1]
	s_cbranch_execz .LBB61_41
; %bb.13:                               ;   in Loop: Header=BB61_5 Depth=1
	s_mov_b32 s0, 0
	s_mov_b32 s1, 0x40af4000
	v_cmp_ge_f64_e32 vcc, s[0:1], v[4:5]
                                        ; implicit-def: $vgpr75
	s_and_saveexec_b64 s[0:1], vcc
	s_xor_b64 s[12:13], exec, s[0:1]
	s_cbranch_execz .LBB61_28
; %bb.14:                               ;   in Loop: Header=BB61_5 Depth=1
	s_mov_b32 s14, 0xae147ae1
	s_mov_b32 s15, 0xc00ae147
	v_div_scale_f64 v[6:7], s[0:1], v[4:5], v[4:5], s[14:15]
	v_rcp_f64_e32 v[8:9], v[6:7]
	s_mov_b32 s0, 0
	v_mul_f64 v[76:77], v[4:5], s[28:29]
	s_brev_b32 s1, 8
	v_cmp_gt_f64_e64 s[2:3], s[0:1], v[76:77]
	v_cndmask_b32_e64 v78, 0, 1, s[2:3]
	v_fma_f64 v[74:75], -v[6:7], v[8:9], 1.0
	v_lshlrev_b32_e32 v78, 8, v78
	v_fmac_f64_e32 v[8:9], v[8:9], v[74:75]
	v_ldexp_f64 v[76:77], v[76:77], v78
	v_fma_f64 v[74:75], -v[6:7], v[8:9], 1.0
	v_rsq_f64_e32 v[78:79], v[76:77]
	v_div_scale_f64 v[10:11], vcc, s[14:15], v[4:5], s[14:15]
	v_fmac_f64_e32 v[8:9], v[8:9], v[74:75]
	v_mul_f64 v[74:75], v[10:11], v[8:9]
	v_fma_f64 v[6:7], -v[6:7], v[74:75], v[10:11]
	s_nop 0
	v_div_fmas_f64 v[6:7], v[6:7], v[8:9], v[74:75]
	v_mul_f64 v[8:9], v[76:77], v[78:79]
	v_mul_f64 v[10:11], v[78:79], 0.5
	v_fma_f64 v[74:75], -v[10:11], v[8:9], 0.5
	v_fmac_f64_e32 v[8:9], v[8:9], v[74:75]
	v_fma_f64 v[78:79], -v[8:9], v[8:9], v[76:77]
	v_fmac_f64_e32 v[10:11], v[10:11], v[74:75]
	v_fmac_f64_e32 v[8:9], v[78:79], v[10:11]
	v_fma_f64 v[74:75], -v[8:9], v[8:9], v[76:77]
	v_fmac_f64_e32 v[8:9], v[74:75], v[10:11]
	v_cndmask_b32_e64 v10, 0, v91, s[2:3]
	v_ldexp_f64 v[8:9], v[8:9], v10
	v_cmp_class_f64_e32 vcc, v[76:77], v90
	s_mov_b32 s2, 0x54442d18
	v_cndmask_b32_e32 v9, v9, v77, vcc
	v_cndmask_b32_e32 v8, v8, v76, vcc
	s_mov_b32 s3, 0x400921fb
	v_div_scale_f64 v[10:11], s[0:1], v[8:9], v[8:9], s[2:3]
	v_rcp_f64_e32 v[76:77], v[10:11]
	s_mov_b32 s0, 0x95810625
	v_div_fixup_f64 v[6:7], v[6:7], v[4:5], s[14:15]
	s_mov_b32 s1, 0x3fe88b43
	v_fma_f64 v[78:79], -v[10:11], v[76:77], 1.0
	v_fmac_f64_e32 v[76:77], v[76:77], v[78:79]
	v_fma_f64 v[78:79], -v[10:11], v[76:77], 1.0
	v_fmac_f64_e32 v[76:77], v[76:77], v[78:79]
	v_div_scale_f64 v[78:79], vcc, s[2:3], v[8:9], s[2:3]
	v_mul_f64 v[80:81], v[78:79], v[76:77]
	v_fma_f64 v[10:11], -v[10:11], v[80:81], v[78:79]
	v_add_f64 v[6:7], v[6:7], s[0:1]
	s_nop 0
	v_div_fmas_f64 v[10:11], v[10:11], v[76:77], v[80:81]
	v_div_fixup_f64 v[76:77], v[10:11], v[8:9], s[2:3]
	v_frexp_mant_f64_e32 v[8:9], v[6:7]
	v_cmp_gt_f64_e32 vcc, s[36:37], v[8:9]
	v_mov_b32_e32 v74, 0
	v_cndmask_b32_e64 v75, v92, 2.0, vcc
	v_frexp_exp_i32_f64_e32 v10, v[6:7]
	v_mul_f64 v[8:9], v[8:9], v[74:75]
	v_subbrev_co_u32_e32 v75, vcc, 0, v10, vcc
	v_add_f64 v[10:11], v[8:9], 1.0
	v_rcp_f64_e32 v[80:81], v[10:11]
	v_add_f64 v[84:85], v[10:11], -1.0
	v_add_f64 v[82:83], v[8:9], -1.0
	v_add_f64 v[8:9], v[8:9], -v[84:85]
	v_fma_f64 v[84:85], -v[10:11], v[80:81], 1.0
	v_fmac_f64_e32 v[80:81], v[84:85], v[80:81]
	v_fma_f64 v[84:85], -v[10:11], v[80:81], 1.0
	v_fmac_f64_e32 v[80:81], v[84:85], v[80:81]
	v_mul_f64 v[84:85], v[82:83], v[80:81]
	v_mul_f64 v[86:87], v[10:11], v[84:85]
	v_fma_f64 v[10:11], v[84:85], v[10:11], -v[86:87]
	v_fmac_f64_e32 v[10:11], v[84:85], v[8:9]
	v_add_f64 v[8:9], v[86:87], v[10:11]
	v_add_f64 v[118:119], v[82:83], -v[8:9]
	v_add_f64 v[86:87], v[8:9], -v[86:87]
	;; [unrolled: 1-line block ×5, first 2 shown]
	v_add_f64 v[8:9], v[10:11], v[8:9]
	v_add_f64 v[8:9], v[118:119], v[8:9]
	v_mul_f64 v[8:9], v[80:81], v[8:9]
	v_add_f64 v[10:11], v[84:85], v[8:9]
	v_add_f64 v[80:81], v[10:11], -v[84:85]
	v_add_f64 v[8:9], v[8:9], -v[80:81]
	v_mul_f64 v[80:81], v[10:11], v[10:11]
	v_pk_mov_b32 v[82:83], s[38:39], s[38:39] op_sel:[0,1]
	v_fma_f64 v[84:85], s[40:41], v[80:81], v[82:83]
	v_fma_f64 v[84:85], v[80:81], v[84:85], s[42:43]
	;; [unrolled: 1-line block ×5, first 2 shown]
	s_mov_b32 s51, s37
	v_fma_f64 v[84:85], v[80:81], v[84:85], s[50:51]
	v_ldexp_f64 v[86:87], v[10:11], 1
	v_mul_f64 v[10:11], v[10:11], v[80:81]
	v_mul_f64 v[10:11], v[10:11], v[84:85]
	v_add_f64 v[80:81], v[86:87], v[10:11]
	v_add_f64 v[84:85], v[80:81], -v[86:87]
	v_ldexp_f64 v[8:9], v[8:9], 1
	v_add_f64 v[10:11], v[10:11], -v[84:85]
	v_add_f64 v[8:9], v[8:9], v[10:11]
	v_add_f64 v[10:11], v[80:81], v[8:9]
	v_add_f64 v[80:81], v[10:11], -v[80:81]
	v_add_f64 v[8:9], v[8:9], -v[80:81]
	v_cvt_f64_i32_e32 v[80:81], v75
	v_mul_f64 v[84:85], v[80:81], s[52:53]
	v_fma_f64 v[86:87], v[80:81], s[52:53], -v[84:85]
	v_fmac_f64_e32 v[86:87], s[54:55], v[80:81]
	v_add_f64 v[80:81], v[84:85], v[86:87]
	v_add_f64 v[84:85], v[80:81], -v[84:85]
	v_add_f64 v[84:85], v[86:87], -v[84:85]
	v_add_f64 v[86:87], v[80:81], v[10:11]
	v_add_f64 v[118:119], v[86:87], -v[80:81]
	v_add_f64 v[120:121], v[86:87], -v[118:119]
	;; [unrolled: 1-line block ×4, first 2 shown]
	v_add_f64 v[10:11], v[10:11], v[80:81]
	v_add_f64 v[80:81], v[84:85], v[8:9]
	v_add_f64 v[118:119], v[80:81], -v[84:85]
	v_add_f64 v[120:121], v[80:81], -v[118:119]
	v_add_f64 v[10:11], v[80:81], v[10:11]
	v_add_f64 v[84:85], v[84:85], -v[120:121]
	v_add_f64 v[8:9], v[8:9], -v[118:119]
	v_add_f64 v[80:81], v[86:87], v[10:11]
	v_add_f64 v[8:9], v[8:9], v[84:85]
	v_add_f64 v[84:85], v[80:81], -v[86:87]
	v_add_f64 v[10:11], v[10:11], -v[84:85]
	v_add_f64 v[8:9], v[8:9], v[10:11]
	v_add_f64 v[8:9], v[80:81], v[8:9]
	v_cmp_class_f64_e64 vcc, v[6:7], s33
	v_cndmask_b32_e32 v8, v8, v6, vcc
	v_cndmask_b32_e32 v9, v9, v7, vcc
	v_cmp_ngt_f64_e32 vcc, 0, v[6:7]
	v_cndmask_b32_e32 v9, v93, v9, vcc
	v_cmp_nge_f64_e32 vcc, 0, v[6:7]
	v_cndmask_b32_e32 v8, 0, v8, vcc
	v_cmp_neq_f64_e32 vcc, 0, v[6:7]
	v_cndmask_b32_e32 v9, v94, v9, vcc
	v_add_f64 v[6:7], v[8:9], -v[4:5]
	v_frexp_mant_f64_e32 v[8:9], v[76:77]
	v_cmp_gt_f64_e32 vcc, s[36:37], v[8:9]
	v_cndmask_b32_e64 v75, v92, 2.0, vcc
	v_frexp_exp_i32_f64_e32 v10, v[76:77]
	v_mul_f64 v[8:9], v[8:9], v[74:75]
	v_subbrev_co_u32_e32 v75, vcc, 0, v10, vcc
	v_add_f64 v[10:11], v[8:9], 1.0
	v_rcp_f64_e32 v[80:81], v[10:11]
	v_add_f64 v[86:87], v[10:11], -1.0
	v_add_f64 v[84:85], v[8:9], -1.0
	v_add_f64 v[8:9], v[8:9], -v[86:87]
	v_fma_f64 v[86:87], -v[10:11], v[80:81], 1.0
	v_fmac_f64_e32 v[80:81], v[86:87], v[80:81]
	v_fma_f64 v[86:87], -v[10:11], v[80:81], 1.0
	v_fmac_f64_e32 v[80:81], v[86:87], v[80:81]
	v_mul_f64 v[86:87], v[84:85], v[80:81]
	v_mul_f64 v[118:119], v[10:11], v[86:87]
	v_fma_f64 v[10:11], v[86:87], v[10:11], -v[118:119]
	v_fmac_f64_e32 v[10:11], v[86:87], v[8:9]
	v_add_f64 v[8:9], v[118:119], v[10:11]
	v_add_f64 v[120:121], v[84:85], -v[8:9]
	v_add_f64 v[118:119], v[8:9], -v[118:119]
	;; [unrolled: 1-line block ×5, first 2 shown]
	v_add_f64 v[8:9], v[10:11], v[8:9]
	v_add_f64 v[8:9], v[120:121], v[8:9]
	v_mul_f64 v[8:9], v[80:81], v[8:9]
	v_add_f64 v[10:11], v[86:87], v[8:9]
	v_add_f64 v[80:81], v[10:11], -v[86:87]
	v_add_f64 v[8:9], v[8:9], -v[80:81]
	v_mul_f64 v[80:81], v[10:11], v[10:11]
	v_fma_f64 v[84:85], s[40:41], v[80:81], v[82:83]
	v_fma_f64 v[84:85], v[80:81], v[84:85], s[42:43]
	;; [unrolled: 1-line block ×6, first 2 shown]
	v_ldexp_f64 v[86:87], v[10:11], 1
	v_mul_f64 v[10:11], v[10:11], v[80:81]
	v_mul_f64 v[10:11], v[10:11], v[84:85]
	v_add_f64 v[80:81], v[86:87], v[10:11]
	v_add_f64 v[84:85], v[80:81], -v[86:87]
	v_ldexp_f64 v[8:9], v[8:9], 1
	v_add_f64 v[10:11], v[10:11], -v[84:85]
	v_add_f64 v[8:9], v[8:9], v[10:11]
	v_add_f64 v[10:11], v[80:81], v[8:9]
	v_add_f64 v[80:81], v[10:11], -v[80:81]
	v_add_f64 v[8:9], v[8:9], -v[80:81]
	v_cvt_f64_i32_e32 v[80:81], v75
	v_mul_f64 v[84:85], v[80:81], s[52:53]
	v_fma_f64 v[86:87], v[80:81], s[52:53], -v[84:85]
	v_fmac_f64_e32 v[86:87], s[54:55], v[80:81]
	v_add_f64 v[80:81], v[84:85], v[86:87]
	v_add_f64 v[84:85], v[80:81], -v[84:85]
	v_add_f64 v[84:85], v[86:87], -v[84:85]
	v_add_f64 v[86:87], v[80:81], v[10:11]
	v_add_f64 v[118:119], v[86:87], -v[80:81]
	v_add_f64 v[120:121], v[86:87], -v[118:119]
	;; [unrolled: 1-line block ×4, first 2 shown]
	v_add_f64 v[10:11], v[10:11], v[80:81]
	v_add_f64 v[80:81], v[84:85], v[8:9]
	v_add_f64 v[118:119], v[80:81], -v[84:85]
	v_add_f64 v[120:121], v[80:81], -v[118:119]
	v_add_f64 v[10:11], v[80:81], v[10:11]
	v_add_f64 v[84:85], v[84:85], -v[120:121]
	v_add_f64 v[8:9], v[8:9], -v[118:119]
	v_add_f64 v[80:81], v[86:87], v[10:11]
	v_add_f64 v[8:9], v[8:9], v[84:85]
	v_add_f64 v[84:85], v[80:81], -v[86:87]
	v_add_f64 v[10:11], v[10:11], -v[84:85]
	s_mov_b32 s0, 0
	v_add_f64 v[8:9], v[8:9], v[10:11]
	s_mov_b32 s1, 0x7ff00000
	v_add_f64 v[8:9], v[80:81], v[8:9]
	v_cmp_eq_f64_e32 vcc, s[0:1], v[76:77]
	v_cndmask_b32_e32 v8, v8, v76, vcc
	v_cndmask_b32_e32 v9, v9, v77, vcc
	v_cmp_neq_f64_e32 vcc, 0, v[76:77]
	v_cndmask_b32_e32 v9, v94, v9, vcc
	v_cndmask_b32_e32 v8, 0, v8, vcc
	v_mul_f64 v[78:79], v[4:5], v[76:77]
	v_add_f64 v[80:81], v[6:7], -v[8:9]
	v_frexp_exp_i32_f64_e32 v6, v[4:5]
	v_frexp_mant_f64_e32 v[4:5], v[4:5]
	v_cmp_gt_f64_e32 vcc, s[36:37], v[4:5]
	v_cndmask_b32_e64 v75, v92, 2.0, vcc
	v_mul_f64 v[4:5], v[4:5], v[74:75]
	v_subbrev_co_u32_e32 v75, vcc, 0, v6, vcc
	v_add_f64 v[6:7], v[4:5], 1.0
	v_rcp_f64_e32 v[8:9], v[6:7]
	v_add_f64 v[84:85], v[6:7], -1.0
	v_add_f64 v[10:11], v[4:5], -1.0
	v_add_f64 v[4:5], v[4:5], -v[84:85]
	v_fma_f64 v[84:85], -v[6:7], v[8:9], 1.0
	v_fmac_f64_e32 v[8:9], v[84:85], v[8:9]
	v_fma_f64 v[84:85], -v[6:7], v[8:9], 1.0
	v_fmac_f64_e32 v[8:9], v[84:85], v[8:9]
	v_mul_f64 v[84:85], v[10:11], v[8:9]
	v_mul_f64 v[86:87], v[6:7], v[84:85]
	v_fma_f64 v[6:7], v[84:85], v[6:7], -v[86:87]
	v_fmac_f64_e32 v[6:7], v[84:85], v[4:5]
	v_add_f64 v[4:5], v[86:87], v[6:7]
	v_add_f64 v[118:119], v[10:11], -v[4:5]
	v_add_f64 v[86:87], v[4:5], -v[86:87]
	;; [unrolled: 1-line block ×5, first 2 shown]
	v_add_f64 v[4:5], v[6:7], v[4:5]
	v_add_f64 v[4:5], v[118:119], v[4:5]
	v_mul_f64 v[4:5], v[8:9], v[4:5]
	v_add_f64 v[6:7], v[84:85], v[4:5]
	v_add_f64 v[8:9], v[6:7], -v[84:85]
	v_add_f64 v[4:5], v[4:5], -v[8:9]
	v_mul_f64 v[8:9], v[6:7], v[6:7]
	v_fmac_f64_e32 v[82:83], s[40:41], v[8:9]
	v_fma_f64 v[10:11], v[8:9], v[82:83], s[42:43]
	v_fma_f64 v[10:11], v[8:9], v[10:11], s[44:45]
	;; [unrolled: 1-line block ×5, first 2 shown]
	v_ldexp_f64 v[82:83], v[6:7], 1
	v_mul_f64 v[6:7], v[6:7], v[8:9]
	v_mul_f64 v[6:7], v[6:7], v[10:11]
	v_add_f64 v[8:9], v[82:83], v[6:7]
	v_add_f64 v[10:11], v[8:9], -v[82:83]
	v_ldexp_f64 v[4:5], v[4:5], 1
	v_add_f64 v[6:7], v[6:7], -v[10:11]
	v_add_f64 v[4:5], v[4:5], v[6:7]
	v_add_f64 v[6:7], v[8:9], v[4:5]
	v_add_f64 v[8:9], v[6:7], -v[8:9]
	v_add_f64 v[4:5], v[4:5], -v[8:9]
	v_cvt_f64_i32_e32 v[8:9], v75
	v_mul_f64 v[10:11], v[8:9], s[52:53]
	v_fma_f64 v[82:83], v[8:9], s[52:53], -v[10:11]
	v_fmac_f64_e32 v[82:83], s[54:55], v[8:9]
	v_add_f64 v[8:9], v[10:11], v[82:83]
	v_add_f64 v[10:11], v[8:9], -v[10:11]
	v_add_f64 v[10:11], v[82:83], -v[10:11]
	v_add_f64 v[82:83], v[8:9], v[6:7]
	v_add_f64 v[84:85], v[82:83], -v[8:9]
	v_add_f64 v[86:87], v[82:83], -v[84:85]
	;; [unrolled: 1-line block ×4, first 2 shown]
	v_add_f64 v[6:7], v[6:7], v[8:9]
	v_add_f64 v[8:9], v[10:11], v[4:5]
	v_add_f64 v[84:85], v[8:9], -v[10:11]
	v_add_f64 v[86:87], v[8:9], -v[84:85]
	v_add_f64 v[6:7], v[8:9], v[6:7]
	v_add_f64 v[10:11], v[10:11], -v[86:87]
	v_add_f64 v[4:5], v[4:5], -v[84:85]
	v_add_f64 v[8:9], v[82:83], v[6:7]
	v_add_f64 v[4:5], v[4:5], v[10:11]
	v_add_f64 v[10:11], v[8:9], -v[82:83]
	v_add_f64 v[6:7], v[6:7], -v[10:11]
	v_add_f64 v[4:5], v[4:5], v[6:7]
	s_mov_b32 s19, s16
	v_add_f64 v[82:83], v[8:9], v[4:5]
	s_mov_b64 s[16:17], 0
	s_mov_b64 s[14:15], 0
	v_mov_b32_e32 v117, v17
                                        ; implicit-def: $vgpr75
.LBB61_15:                              ;   Parent Loop BB61_5 Depth=1
                                        ; =>  This Inner Loop Header: Depth=2
	v_add_u32_e32 v118, 1, v15
	v_pk_mov_b32 v[10:11], v[2:3], v[2:3] op_sel:[0,1]
	v_cmp_eq_u32_e32 vcc, 4, v118
	v_pk_mov_b32 v[8:9], v[0:1], v[0:1] op_sel:[0,1]
	v_mov_b32_e32 v87, v0
	v_mov_b32_e32 v86, v1
	;; [unrolled: 1-line block ×4, first 2 shown]
	s_and_saveexec_b64 s[0:1], vcc
	s_cbranch_execz .LBB61_17
; %bb.16:                               ;   in Loop: Header=BB61_15 Depth=2
	v_add_co_u32_e32 v98, vcc, 1, v98
	v_cndmask_b32_e64 v4, 0, 1, vcc
	v_addc_co_u32_e32 v99, vcc, 0, v99, vcc
	v_cmp_eq_u32_e32 vcc, 0, v99
	v_cndmask_b32_e32 v4, 0, v4, vcc
	v_add_u32_e32 v117, v4, v117
	v_cmp_eq_u32_e32 vcc, 0, v117
	v_cndmask_b32_e32 v4, 0, v4, vcc
	v_add_u32_e32 v74, v4, v74
	v_mad_u64_u32 v[4:5], s[2:3], v98, s11, 0
	v_mad_u64_u32 v[6:7], s[2:3], v117, s10, 0
	v_xor_b32_e32 v5, v5, v73
	v_xor_b32_e32 v7, v7, v72
	v_xor_b32_e32 v5, v74, v5
	v_xor_b32_e32 v7, v99, v7
	v_mad_u64_u32 v[10:11], s[2:3], v5, s10, 0
	v_mad_u64_u32 v[8:9], s[2:3], v7, s11, 0
	v_xor_b32_e32 v5, v100, v11
	v_xor_b32_e32 v5, v5, v6
	v_xor_b32_e32 v6, v101, v9
	v_xor_b32_e32 v6, v6, v4
	;; [unrolled: 6-line block ×10, first 2 shown]
	v_mov_b32_e32 v118, 0
	v_mov_b32_e32 v9, v86
	;; [unrolled: 1-line block ×5, first 2 shown]
.LBB61_17:                              ;   in Loop: Header=BB61_15 Depth=2
	s_or_b64 exec, exec, s[0:1]
	v_add_u32_e32 v119, 1, v118
	v_pk_mov_b32 v[4:5], v[8:9], v[8:9] op_sel:[0,1]
	v_cmp_eq_u32_e32 vcc, 4, v119
	v_pk_mov_b32 v[6:7], v[10:11], v[10:11] op_sel:[0,1]
	s_and_saveexec_b64 s[0:1], vcc
	s_cbranch_execz .LBB61_19
; %bb.18:                               ;   in Loop: Header=BB61_15 Depth=2
	v_add_co_u32_e32 v98, vcc, 1, v98
	v_cndmask_b32_e64 v4, 0, 1, vcc
	v_addc_co_u32_e32 v99, vcc, 0, v99, vcc
	v_cmp_eq_u32_e32 vcc, 0, v99
	v_cndmask_b32_e32 v4, 0, v4, vcc
	v_add_u32_e32 v117, v4, v117
	v_cmp_eq_u32_e32 vcc, 0, v117
	v_cndmask_b32_e32 v4, 0, v4, vcc
	v_add_u32_e32 v74, v4, v74
	v_mad_u64_u32 v[4:5], s[2:3], v98, s11, 0
	v_mad_u64_u32 v[6:7], s[2:3], v117, s10, 0
	v_xor_b32_e32 v5, v5, v73
	v_xor_b32_e32 v7, v7, v72
	v_xor_b32_e32 v5, v74, v5
	v_xor_b32_e32 v7, v99, v7
	v_mad_u64_u32 v[86:87], s[2:3], v5, s10, 0
	v_mad_u64_u32 v[84:85], s[2:3], v7, s11, 0
	v_xor_b32_e32 v5, v100, v87
	v_xor_b32_e32 v5, v5, v6
	v_xor_b32_e32 v6, v101, v85
	v_xor_b32_e32 v6, v6, v4
	v_mad_u64_u32 v[4:5], s[2:3], v5, s11, 0
	v_mad_u64_u32 v[6:7], s[2:3], v6, s10, 0
	v_xor_b32_e32 v5, v103, v5
	v_xor_b32_e32 v7, v102, v7
	v_xor_b32_e32 v5, v5, v84
	v_xor_b32_e32 v7, v7, v86
	v_mad_u64_u32 v[86:87], s[2:3], v5, s10, 0
	v_mad_u64_u32 v[84:85], s[2:3], v7, s11, 0
	v_xor_b32_e32 v5, v105, v87
	v_xor_b32_e32 v5, v5, v6
	v_xor_b32_e32 v6, v106, v85
	v_xor_b32_e32 v6, v6, v4
	v_mad_u64_u32 v[4:5], s[2:3], v5, s11, 0
	v_mad_u64_u32 v[6:7], s[2:3], v6, s10, 0
	v_xor_b32_e32 v5, v109, v5
	v_xor_b32_e32 v7, v108, v7
	v_xor_b32_e32 v5, v5, v84
	v_xor_b32_e32 v7, v7, v86
	v_mad_u64_u32 v[86:87], s[2:3], v5, s10, 0
	v_mad_u64_u32 v[84:85], s[2:3], v7, s11, 0
	v_xor_b32_e32 v5, v110, v87
	v_xor_b32_e32 v5, v5, v6
	v_xor_b32_e32 v6, v111, v85
	v_xor_b32_e32 v6, v6, v4
	v_mad_u64_u32 v[4:5], s[2:3], v5, s11, 0
	v_mad_u64_u32 v[6:7], s[2:3], v6, s10, 0
	v_xor_b32_e32 v5, v113, v5
	v_xor_b32_e32 v7, v112, v7
	v_xor_b32_e32 v5, v5, v84
	v_xor_b32_e32 v7, v7, v86
	v_mad_u64_u32 v[86:87], s[2:3], v5, s10, 0
	v_mad_u64_u32 v[84:85], s[2:3], v7, s11, 0
	v_xor_b32_e32 v5, v114, v87
	v_xor_b32_e32 v5, v5, v6
	v_xor_b32_e32 v6, v115, v85
	v_xor_b32_e32 v4, v6, v4
	v_mad_u64_u32 v[6:7], s[2:3], v5, s11, 0
	v_mad_u64_u32 v[4:5], s[2:3], v4, s10, 0
	v_xor_b32_e32 v5, v104, v5
	v_xor_b32_e32 v7, v116, v7
	v_xor_b32_e32 v5, v5, v86
	v_xor_b32_e32 v7, v7, v84
	v_mad_u64_u32 v[84:85], s[2:3], v5, s11, 0
	v_mad_u64_u32 v[86:87], s[2:3], v7, s10, 0
	v_xor_b32_e32 v4, v87, v4
	v_xor_b32_e32 v5, v85, v6
	v_xor_b32_e32 v4, v107, v4
	v_xor_b32_e32 v6, v97, v5
	v_mov_b32_e32 v119, 0
	v_mov_b32_e32 v5, v86
	;; [unrolled: 1-line block ×5, first 2 shown]
.LBB61_19:                              ;   in Loop: Header=BB61_15 Depth=2
	s_or_b64 exec, exec, s[0:1]
	v_cmp_eq_u32_e32 vcc, 1, v15
	v_cndmask_b32_e32 v0, v0, v1, vcc
	v_cmp_eq_u32_e32 vcc, 2, v15
	v_cndmask_b32_e32 v0, v0, v2, vcc
	v_cmp_eq_u32_e32 vcc, 3, v15
	v_cndmask_b32_e32 v2, v0, v3, vcc
	v_cmp_eq_u32_e32 vcc, 1, v118
	v_cndmask_b32_e32 v0, v8, v9, vcc
	v_cmp_eq_u32_e32 vcc, 2, v118
	v_cndmask_b32_e32 v0, v0, v10, vcc
	v_cmp_eq_u32_e32 vcc, 3, v118
	v_cndmask_b32_e32 v0, v0, v11, vcc
	v_lshrrev_b32_e32 v0, 11, v0
	v_cvt_f64_u32_e32 v[0:1], v0
	v_ldexp_f64 v[0:1], v[0:1], 32
	v_cvt_f64_u32_e32 v[2:3], v2
	v_add_f64 v[0:1], v[0:1], v[2:3]
	v_mov_b32_e32 v2, 0
	v_mov_b32_e32 v3, 0x3ca00000
	v_fmac_f64_e32 v[2:3], 0x3ca00000, v[0:1]
	v_add_f64 v[0:1], -v[2:3], 1.0
	v_div_scale_f64 v[8:9], s[0:1], v[2:3], v[2:3], v[0:1]
	v_rcp_f64_e32 v[10:11], v[8:9]
	v_fma_f64 v[120:121], -v[8:9], v[10:11], 1.0
	v_fmac_f64_e32 v[10:11], v[10:11], v[120:121]
	v_fma_f64 v[120:121], -v[8:9], v[10:11], 1.0
	v_fmac_f64_e32 v[10:11], v[10:11], v[120:121]
	v_div_scale_f64 v[120:121], vcc, v[0:1], v[2:3], v[0:1]
	v_mul_f64 v[122:123], v[120:121], v[10:11]
	v_fma_f64 v[8:9], -v[8:9], v[122:123], v[120:121]
	s_nop 1
	v_div_fmas_f64 v[8:9], v[8:9], v[10:11], v[122:123]
	v_div_fixup_f64 v[0:1], v[8:9], v[2:3], v[0:1]
	v_frexp_mant_f64_e32 v[2:3], v[0:1]
	v_cmp_gt_f64_e32 vcc, s[36:37], v[2:3]
	v_cndmask_b32_e64 v15, v92, 2.0, vcc
	v_frexp_exp_i32_f64_e32 v8, v[0:1]
	v_mul_f64 v[2:3], v[2:3], v[14:15]
	v_subbrev_co_u32_e32 v15, vcc, 0, v8, vcc
	v_add_f64 v[8:9], v[2:3], 1.0
	v_rcp_f64_e32 v[10:11], v[8:9]
	v_add_f64 v[122:123], v[8:9], -1.0
	v_add_f64 v[120:121], v[2:3], -1.0
	v_add_f64 v[2:3], v[2:3], -v[122:123]
	v_fma_f64 v[122:123], -v[8:9], v[10:11], 1.0
	v_fmac_f64_e32 v[10:11], v[122:123], v[10:11]
	v_fma_f64 v[122:123], -v[8:9], v[10:11], 1.0
	v_fmac_f64_e32 v[10:11], v[122:123], v[10:11]
	v_mul_f64 v[122:123], v[120:121], v[10:11]
	v_mul_f64 v[124:125], v[8:9], v[122:123]
	v_fma_f64 v[8:9], v[122:123], v[8:9], -v[124:125]
	v_fmac_f64_e32 v[8:9], v[122:123], v[2:3]
	v_add_f64 v[2:3], v[124:125], v[8:9]
	v_add_f64 v[126:127], v[120:121], -v[2:3]
	v_add_f64 v[124:125], v[2:3], -v[124:125]
	;; [unrolled: 1-line block ×5, first 2 shown]
	v_add_f64 v[2:3], v[8:9], v[2:3]
	v_add_f64 v[2:3], v[126:127], v[2:3]
	v_mul_f64 v[2:3], v[10:11], v[2:3]
	v_add_f64 v[8:9], v[122:123], v[2:3]
	v_add_f64 v[10:11], v[8:9], -v[122:123]
	v_add_f64 v[2:3], v[2:3], -v[10:11]
	v_mul_f64 v[10:11], v[8:9], v[8:9]
	v_pk_mov_b32 v[120:121], v[18:19], v[18:19] op_sel:[0,1]
	v_fmac_f64_e32 v[120:121], s[40:41], v[10:11]
	v_pk_mov_b32 v[122:123], v[20:21], v[20:21] op_sel:[0,1]
	v_fmac_f64_e32 v[122:123], v[10:11], v[120:121]
	;; [unrolled: 2-line block ×6, first 2 shown]
	v_ldexp_f64 v[120:121], v[8:9], 1
	v_mul_f64 v[8:9], v[8:9], v[10:11]
	v_mul_f64 v[8:9], v[8:9], v[122:123]
	v_add_f64 v[10:11], v[120:121], v[8:9]
	v_add_f64 v[120:121], v[10:11], -v[120:121]
	v_ldexp_f64 v[2:3], v[2:3], 1
	v_add_f64 v[8:9], v[8:9], -v[120:121]
	v_add_f64 v[2:3], v[2:3], v[8:9]
	v_add_f64 v[8:9], v[10:11], v[2:3]
	v_add_f64 v[10:11], v[8:9], -v[10:11]
	v_add_f64 v[2:3], v[2:3], -v[10:11]
	v_cvt_f64_i32_e32 v[10:11], v15
	v_mul_f64 v[120:121], v[10:11], s[52:53]
	v_fma_f64 v[122:123], v[10:11], s[52:53], -v[120:121]
	v_fmac_f64_e32 v[122:123], s[54:55], v[10:11]
	v_add_f64 v[10:11], v[120:121], v[122:123]
	v_add_f64 v[120:121], v[10:11], -v[120:121]
	v_add_f64 v[120:121], v[122:123], -v[120:121]
	v_add_f64 v[122:123], v[10:11], v[8:9]
	v_add_f64 v[124:125], v[122:123], -v[10:11]
	v_add_f64 v[126:127], v[122:123], -v[124:125]
	;; [unrolled: 1-line block ×4, first 2 shown]
	v_add_f64 v[8:9], v[8:9], v[10:11]
	v_add_f64 v[10:11], v[120:121], v[2:3]
	v_add_f64 v[124:125], v[10:11], -v[120:121]
	v_add_f64 v[126:127], v[10:11], -v[124:125]
	v_add_f64 v[8:9], v[10:11], v[8:9]
	v_add_f64 v[120:121], v[120:121], -v[126:127]
	v_add_f64 v[2:3], v[2:3], -v[124:125]
	v_add_f64 v[10:11], v[122:123], v[8:9]
	v_add_f64 v[2:3], v[2:3], v[120:121]
	v_add_f64 v[120:121], v[10:11], -v[122:123]
	v_add_f64 v[8:9], v[8:9], -v[120:121]
	v_add_f64 v[2:3], v[2:3], v[8:9]
	v_add_f64 v[2:3], v[10:11], v[2:3]
	v_cmp_class_f64_e64 vcc, v[0:1], s33
	v_cndmask_b32_e32 v2, v2, v0, vcc
	v_cndmask_b32_e32 v3, v3, v1, vcc
	v_cmp_ngt_f64_e32 vcc, 0, v[0:1]
	v_cndmask_b32_e32 v3, v93, v3, vcc
	v_cmp_nge_f64_e32 vcc, 0, v[0:1]
	v_cndmask_b32_e32 v2, 0, v2, vcc
	v_cmp_neq_f64_e32 vcc, 0, v[0:1]
	v_cndmask_b32_e32 v3, v94, v3, vcc
	v_add_f64 v[0:1], v[78:79], -v[2:3]
	v_div_scale_f64 v[2:3], s[0:1], v[76:77], v[76:77], v[0:1]
	v_rcp_f64_e32 v[8:9], v[2:3]
	v_fma_f64 v[10:11], -v[2:3], v[8:9], 1.0
	v_fmac_f64_e32 v[8:9], v[8:9], v[10:11]
	v_fma_f64 v[10:11], -v[2:3], v[8:9], 1.0
	v_fmac_f64_e32 v[8:9], v[8:9], v[10:11]
	v_div_scale_f64 v[10:11], vcc, v[0:1], v[76:77], v[0:1]
	v_mul_f64 v[120:121], v[10:11], v[8:9]
	v_fma_f64 v[2:3], -v[2:3], v[120:121], v[10:11]
	s_nop 1
	v_div_fmas_f64 v[2:3], v[2:3], v[8:9], v[120:121]
	v_div_fixup_f64 v[10:11], v[2:3], v[76:77], v[0:1]
	v_add_f64 v[0:1], v[10:11], 0.5
	v_floor_f64_e32 v[8:9], v[0:1]
	v_cmp_ngt_f64_e32 vcc, 0, v[8:9]
	v_mov_b32_e32 v120, 2
	s_and_saveexec_b64 s[0:1], vcc
	s_cbranch_execz .LBB61_25
; %bb.20:                               ;   in Loop: Header=BB61_15 Depth=2
	v_add_u32_e32 v15, 1, v119
	v_pk_mov_b32 v[0:1], v[4:5], v[4:5] op_sel:[0,1]
	v_cmp_eq_u32_e32 vcc, 4, v15
	v_pk_mov_b32 v[2:3], v[6:7], v[6:7] op_sel:[0,1]
	s_and_saveexec_b64 s[2:3], vcc
	s_cbranch_execz .LBB61_22
; %bb.21:                               ;   in Loop: Header=BB61_15 Depth=2
	v_add_co_u32_e32 v98, vcc, 1, v98
	v_cndmask_b32_e64 v0, 0, 1, vcc
	v_addc_co_u32_e32 v99, vcc, 0, v99, vcc
	v_cmp_eq_u32_e32 vcc, 0, v99
	v_cndmask_b32_e32 v0, 0, v0, vcc
	v_add_u32_e32 v117, v0, v117
	v_cmp_eq_u32_e32 vcc, 0, v117
	v_cndmask_b32_e32 v0, 0, v0, vcc
	v_add_u32_e32 v74, v0, v74
	v_mad_u64_u32 v[0:1], vcc, v98, s11, 0
	v_mad_u64_u32 v[2:3], vcc, v117, s10, 0
	v_xor_b32_e32 v1, v1, v73
	v_xor_b32_e32 v3, v3, v72
	v_xor_b32_e32 v1, v74, v1
	v_xor_b32_e32 v3, v99, v3
	v_mad_u64_u32 v[86:87], vcc, v1, s10, 0
	v_mad_u64_u32 v[84:85], vcc, v3, s11, 0
	v_xor_b32_e32 v1, v100, v87
	v_xor_b32_e32 v1, v1, v2
	v_xor_b32_e32 v2, v101, v85
	v_xor_b32_e32 v2, v2, v0
	v_mad_u64_u32 v[0:1], vcc, v1, s11, 0
	v_mad_u64_u32 v[2:3], vcc, v2, s10, 0
	v_xor_b32_e32 v1, v103, v1
	v_xor_b32_e32 v3, v102, v3
	v_xor_b32_e32 v1, v1, v84
	v_xor_b32_e32 v3, v3, v86
	v_mad_u64_u32 v[86:87], vcc, v1, s10, 0
	v_mad_u64_u32 v[84:85], vcc, v3, s11, 0
	v_xor_b32_e32 v1, v105, v87
	v_xor_b32_e32 v1, v1, v2
	v_xor_b32_e32 v2, v106, v85
	v_xor_b32_e32 v2, v2, v0
	v_mad_u64_u32 v[0:1], vcc, v1, s11, 0
	v_mad_u64_u32 v[2:3], vcc, v2, s10, 0
	v_xor_b32_e32 v1, v109, v1
	v_xor_b32_e32 v3, v108, v3
	v_xor_b32_e32 v1, v1, v84
	v_xor_b32_e32 v3, v3, v86
	v_mad_u64_u32 v[86:87], vcc, v1, s10, 0
	v_mad_u64_u32 v[84:85], vcc, v3, s11, 0
	v_xor_b32_e32 v1, v110, v87
	v_xor_b32_e32 v1, v1, v2
	v_xor_b32_e32 v2, v111, v85
	v_xor_b32_e32 v2, v2, v0
	v_mad_u64_u32 v[0:1], vcc, v1, s11, 0
	v_mad_u64_u32 v[2:3], vcc, v2, s10, 0
	v_xor_b32_e32 v1, v113, v1
	v_xor_b32_e32 v3, v112, v3
	v_xor_b32_e32 v1, v1, v84
	v_xor_b32_e32 v3, v3, v86
	v_mad_u64_u32 v[86:87], vcc, v1, s10, 0
	v_mad_u64_u32 v[84:85], vcc, v3, s11, 0
	v_xor_b32_e32 v1, v114, v87
	v_xor_b32_e32 v1, v1, v2
	v_xor_b32_e32 v2, v115, v85
	v_xor_b32_e32 v0, v2, v0
	v_mad_u64_u32 v[2:3], vcc, v1, s11, 0
	v_mad_u64_u32 v[0:1], vcc, v0, s10, 0
	v_xor_b32_e32 v1, v104, v1
	v_xor_b32_e32 v3, v116, v3
	v_xor_b32_e32 v1, v1, v86
	v_xor_b32_e32 v3, v3, v84
	v_mad_u64_u32 v[84:85], vcc, v1, s11, 0
	v_mad_u64_u32 v[86:87], vcc, v3, s10, 0
	v_xor_b32_e32 v0, v87, v0
	v_xor_b32_e32 v1, v85, v2
	v_xor_b32_e32 v0, v107, v0
	v_xor_b32_e32 v2, v97, v1
	v_mov_b32_e32 v15, 0
	v_mov_b32_e32 v1, v86
	;; [unrolled: 1-line block ×5, first 2 shown]
.LBB61_22:                              ;   in Loop: Header=BB61_15 Depth=2
	s_or_b64 exec, exec, s[2:3]
	v_add_u32_e32 v118, 1, v15
	v_cmp_eq_u32_e32 vcc, 4, v118
	s_and_saveexec_b64 s[2:3], vcc
	s_cbranch_execz .LBB61_24
; %bb.23:                               ;   in Loop: Header=BB61_15 Depth=2
	v_add_co_u32_e32 v98, vcc, 1, v98
	v_cndmask_b32_e64 v84, 0, 1, vcc
	v_addc_co_u32_e32 v99, vcc, 0, v99, vcc
	v_cmp_eq_u32_e32 vcc, 0, v99
	v_cndmask_b32_e32 v84, 0, v84, vcc
	v_add_u32_e32 v117, v84, v117
	v_cmp_eq_u32_e32 vcc, 0, v117
	v_cndmask_b32_e32 v84, 0, v84, vcc
	v_add_u32_e32 v74, v84, v74
	v_mad_u64_u32 v[84:85], vcc, v98, s11, 0
	v_mad_u64_u32 v[86:87], vcc, v117, s10, 0
	v_xor_b32_e32 v85, v85, v73
	v_xor_b32_e32 v87, v87, v72
	v_xor_b32_e32 v85, v74, v85
	v_xor_b32_e32 v87, v99, v87
	v_mad_u64_u32 v[122:123], vcc, v85, s10, 0
	v_mad_u64_u32 v[120:121], vcc, v87, s11, 0
	v_xor_b32_e32 v85, v100, v123
	v_xor_b32_e32 v85, v85, v86
	v_xor_b32_e32 v86, v101, v121
	v_xor_b32_e32 v86, v86, v84
	;; [unrolled: 6-line block ×9, first 2 shown]
	v_mad_u64_u32 v[84:85], vcc, v84, s11, 0
	v_mad_u64_u32 v[86:87], vcc, v86, s10, 0
	v_xor_b32_e32 v87, v87, v126
	v_xor_b32_e32 v85, v85, v124
	v_mov_b32_e32 v118, 0
	v_xor_b32_e32 v87, v107, v87
	v_xor_b32_e32 v85, v97, v85
.LBB61_24:                              ;   in Loop: Header=BB61_15 Depth=2
	s_or_b64 exec, exec, s[2:3]
	v_cmp_eq_u32_e32 vcc, 1, v119
	v_cndmask_b32_e32 v4, v4, v5, vcc
	v_cmp_eq_u32_e32 vcc, 2, v119
	v_cndmask_b32_e32 v4, v4, v6, vcc
	;; [unrolled: 2-line block ×6, first 2 shown]
	v_lshrrev_b32_e32 v0, 11, v0
	v_cvt_f64_u32_e32 v[0:1], v0
	v_ldexp_f64 v[0:1], v[0:1], 32
	v_cvt_f64_u32_e32 v[2:3], v4
	v_add_f64 v[0:1], v[0:1], v[2:3]
	v_mov_b32_e32 v2, 0
	v_mov_b32_e32 v3, 0x3ca00000
	v_fma_f64 v[4:5], -v[76:77], v[10:11], v[78:79]
	v_fmac_f64_e32 v[2:3], 0x3ca00000, v[0:1]
	v_mul_f64 v[0:1], v[4:5], s[58:59]
	v_rndne_f64_e32 v[0:1], v[0:1]
	s_mov_b32 s60, s52
	v_fma_f64 v[6:7], s[60:61], v[0:1], v[4:5]
	s_mov_b32 s62, s54
	v_fmac_f64_e32 v[6:7], s[62:63], v[0:1]
	v_pk_mov_b32 v[10:11], v[30:31], v[30:31] op_sel:[0,1]
	v_fmac_f64_e32 v[10:11], s[64:65], v[6:7]
	v_pk_mov_b32 v[120:121], v[32:33], v[32:33] op_sel:[0,1]
	;; [unrolled: 2-line block ×9, first 2 shown]
	v_fmac_f64_e32 v[10:11], v[6:7], v[120:121]
	v_fma_f64 v[10:11], v[6:7], v[10:11], 1.0
	v_fma_f64 v[6:7], v[6:7], v[10:11], 1.0
	v_cvt_i32_f64_e32 v0, v[0:1]
	v_ldexp_f64 v[0:1], v[6:7], v0
	v_add_f64 v[0:1], v[0:1], 1.0
	v_cmp_nlt_f64_e32 vcc, s[68:69], v[4:5]
	v_cmp_ngt_f64_e64 s[2:3], s[70:71], v[4:5]
	v_cndmask_b32_e32 v1, v95, v1, vcc
	s_and_b64 vcc, s[2:3], vcc
	v_cndmask_b32_e64 v1, v92, v1, s[2:3]
	v_cndmask_b32_e32 v0, 0, v0, vcc
	v_mul_f64 v[0:1], v[0:1], v[0:1]
	v_div_scale_f64 v[6:7], s[2:3], v[0:1], v[0:1], v[2:3]
	v_rcp_f64_e32 v[10:11], v[6:7]
	s_mov_b32 s51, s37
	v_fma_f64 v[120:121], -v[6:7], v[10:11], 1.0
	v_fmac_f64_e32 v[10:11], v[10:11], v[120:121]
	v_fma_f64 v[120:121], -v[6:7], v[10:11], 1.0
	v_fmac_f64_e32 v[10:11], v[10:11], v[120:121]
	v_div_scale_f64 v[120:121], vcc, v[2:3], v[0:1], v[2:3]
	v_mul_f64 v[122:123], v[120:121], v[10:11]
	v_fma_f64 v[6:7], -v[6:7], v[122:123], v[120:121]
	s_nop 1
	v_div_fmas_f64 v[6:7], v[6:7], v[10:11], v[122:123]
	v_div_fixup_f64 v[2:3], v[6:7], v[0:1], v[2:3]
	v_frexp_mant_f64_e32 v[0:1], v[2:3]
	v_cmp_gt_f64_e32 vcc, s[36:37], v[0:1]
	v_cndmask_b32_e64 v15, v92, 2.0, vcc
	v_frexp_exp_i32_f64_e32 v6, v[2:3]
	v_mul_f64 v[0:1], v[0:1], v[14:15]
	v_subbrev_co_u32_e32 v15, vcc, 0, v6, vcc
	v_add_f64 v[6:7], v[0:1], 1.0
	v_rcp_f64_e32 v[10:11], v[6:7]
	v_add_f64 v[122:123], v[6:7], -1.0
	v_add_f64 v[120:121], v[0:1], -1.0
	v_add_f64 v[0:1], v[0:1], -v[122:123]
	v_fma_f64 v[122:123], -v[6:7], v[10:11], 1.0
	v_fmac_f64_e32 v[10:11], v[122:123], v[10:11]
	v_fma_f64 v[122:123], -v[6:7], v[10:11], 1.0
	v_fmac_f64_e32 v[10:11], v[122:123], v[10:11]
	v_mul_f64 v[122:123], v[120:121], v[10:11]
	v_mul_f64 v[124:125], v[6:7], v[122:123]
	v_fma_f64 v[6:7], v[122:123], v[6:7], -v[124:125]
	v_fmac_f64_e32 v[6:7], v[122:123], v[0:1]
	v_add_f64 v[0:1], v[124:125], v[6:7]
	v_add_f64 v[126:127], v[120:121], -v[0:1]
	v_add_f64 v[124:125], v[0:1], -v[124:125]
	;; [unrolled: 1-line block ×5, first 2 shown]
	v_add_f64 v[0:1], v[6:7], v[0:1]
	v_add_f64 v[0:1], v[126:127], v[0:1]
	v_mul_f64 v[0:1], v[10:11], v[0:1]
	v_add_f64 v[6:7], v[122:123], v[0:1]
	v_add_f64 v[10:11], v[6:7], -v[122:123]
	v_add_f64 v[10:11], v[0:1], -v[10:11]
	v_mul_f64 v[120:121], v[6:7], v[6:7]
	v_pk_mov_b32 v[0:1], s[38:39], s[38:39] op_sel:[0,1]
	v_fma_f64 v[122:123], s[40:41], v[120:121], v[0:1]
	v_fma_f64 v[122:123], v[120:121], v[122:123], s[42:43]
	;; [unrolled: 1-line block ×6, first 2 shown]
	v_ldexp_f64 v[124:125], v[6:7], 1
	v_mul_f64 v[6:7], v[6:7], v[120:121]
	v_mul_f64 v[6:7], v[6:7], v[122:123]
	v_add_f64 v[120:121], v[124:125], v[6:7]
	v_add_f64 v[122:123], v[120:121], -v[124:125]
	v_ldexp_f64 v[10:11], v[10:11], 1
	v_add_f64 v[6:7], v[6:7], -v[122:123]
	v_add_f64 v[6:7], v[10:11], v[6:7]
	v_add_f64 v[10:11], v[120:121], v[6:7]
	v_add_f64 v[120:121], v[10:11], -v[120:121]
	v_add_f64 v[6:7], v[6:7], -v[120:121]
	v_cvt_f64_i32_e32 v[120:121], v15
	v_mul_f64 v[122:123], v[120:121], s[52:53]
	v_fma_f64 v[124:125], v[120:121], s[52:53], -v[122:123]
	v_fmac_f64_e32 v[124:125], s[54:55], v[120:121]
	v_add_f64 v[120:121], v[122:123], v[124:125]
	v_add_f64 v[122:123], v[120:121], -v[122:123]
	v_add_f64 v[122:123], v[124:125], -v[122:123]
	v_add_f64 v[124:125], v[120:121], v[10:11]
	v_add_f64 v[126:127], v[124:125], -v[120:121]
	v_add_f64 v[128:129], v[124:125], -v[126:127]
	;; [unrolled: 1-line block ×4, first 2 shown]
	v_add_f64 v[10:11], v[10:11], v[120:121]
	v_add_f64 v[120:121], v[122:123], v[6:7]
	v_add_f64 v[126:127], v[120:121], -v[122:123]
	v_add_f64 v[128:129], v[120:121], -v[126:127]
	v_add_f64 v[10:11], v[120:121], v[10:11]
	v_add_f64 v[122:123], v[122:123], -v[128:129]
	v_add_f64 v[6:7], v[6:7], -v[126:127]
	v_add_f64 v[120:121], v[124:125], v[10:11]
	v_add_f64 v[6:7], v[6:7], v[122:123]
	v_add_f64 v[122:123], v[120:121], -v[124:125]
	v_add_f64 v[10:11], v[10:11], -v[122:123]
	v_add_f64 v[6:7], v[6:7], v[10:11]
	v_add_f64 v[6:7], v[120:121], v[6:7]
	v_cmp_class_f64_e64 vcc, v[2:3], s33
	v_cndmask_b32_e32 v15, v6, v2, vcc
	v_cndmask_b32_e32 v6, v7, v3, vcc
	v_cmp_neq_f64_e32 vcc, 0, v[2:3]
	v_cndmask_b32_e32 v3, v94, v6, vcc
	v_add_f64 v[6:7], v[8:9], 1.0
	v_add_f64 v[6:7], v[6:7], -1.0
	v_add_f64 v[120:121], v[6:7], s[72:73]
	v_div_scale_f64 v[10:11], s[2:3], v[120:121], v[120:121], s[74:75]
	v_rcp_f64_e32 v[122:123], v[10:11]
	v_cndmask_b32_e32 v2, 0, v15, vcc
	v_add_f64 v[2:3], v[4:5], v[2:3]
	v_fma_f64 v[4:5], v[82:83], v[8:9], v[80:81]
	v_fma_f64 v[124:125], -v[10:11], v[122:123], 1.0
	v_fmac_f64_e32 v[122:123], v[122:123], v[124:125]
	v_fma_f64 v[124:125], -v[10:11], v[122:123], 1.0
	v_fmac_f64_e32 v[122:123], v[122:123], v[124:125]
	v_div_scale_f64 v[124:125], vcc, s[74:75], v[120:121], s[74:75]
	v_mul_f64 v[126:127], v[124:125], v[122:123]
	v_fma_f64 v[124:125], -v[10:11], v[126:127], v[124:125]
	v_add_f64 v[10:11], v[6:7], s[76:77]
	v_div_scale_f64 v[128:129], s[2:3], v[10:11], v[10:11], s[78:79]
	v_rcp_f64_e32 v[130:131], v[128:129]
	v_div_fmas_f64 v[122:123], v[124:125], v[122:123], v[126:127]
	v_div_fixup_f64 v[120:121], v[122:123], v[120:121], s[74:75]
	v_add_f64 v[126:127], v[6:7], s[80:81]
	v_fma_f64 v[122:123], -v[128:129], v[130:131], 1.0
	v_fmac_f64_e32 v[130:131], v[130:131], v[122:123]
	v_fma_f64 v[122:123], -v[128:129], v[130:131], 1.0
	v_fmac_f64_e32 v[130:131], v[130:131], v[122:123]
	v_div_scale_f64 v[122:123], vcc, s[78:79], v[10:11], s[78:79]
	v_mul_f64 v[124:125], v[122:123], v[130:131]
	v_fma_f64 v[122:123], -v[128:129], v[124:125], v[122:123]
	v_div_scale_f64 v[128:129], s[2:3], v[126:127], v[126:127], s[82:83]
	v_rcp_f64_e32 v[132:133], v[128:129]
	v_div_fmas_f64 v[122:123], v[122:123], v[130:131], v[124:125]
	v_add_f64 v[120:121], v[120:121], 0
	v_div_fixup_f64 v[122:123], v[122:123], v[10:11], s[78:79]
	v_add_f64 v[120:121], v[122:123], v[120:121]
	v_fma_f64 v[122:123], -v[128:129], v[132:133], 1.0
	v_fmac_f64_e32 v[132:133], v[132:133], v[122:123]
	v_fma_f64 v[122:123], -v[128:129], v[132:133], 1.0
	v_fmac_f64_e32 v[132:133], v[132:133], v[122:123]
	v_div_scale_f64 v[122:123], vcc, s[82:83], v[126:127], s[82:83]
	v_mul_f64 v[124:125], v[122:123], v[132:133]
	v_fma_f64 v[122:123], -v[128:129], v[124:125], v[122:123]
	v_add_f64 v[128:129], v[6:7], s[84:85]
	v_div_scale_f64 v[130:131], s[2:3], v[128:129], v[128:129], s[86:87]
	v_rcp_f64_e32 v[134:135], v[130:131]
	v_div_fmas_f64 v[122:123], v[122:123], v[132:133], v[124:125]
	v_div_fixup_f64 v[122:123], v[122:123], v[126:127], s[82:83]
	v_add_f64 v[120:121], v[120:121], v[122:123]
	v_fma_f64 v[122:123], -v[130:131], v[134:135], 1.0
	v_fmac_f64_e32 v[134:135], v[134:135], v[122:123]
	v_fma_f64 v[122:123], -v[130:131], v[134:135], 1.0
	v_fmac_f64_e32 v[134:135], v[134:135], v[122:123]
	v_div_scale_f64 v[122:123], vcc, s[86:87], v[128:129], s[86:87]
	v_mul_f64 v[124:125], v[122:123], v[134:135]
	v_add_f64 v[126:127], v[6:7], 4.0
	v_fma_f64 v[122:123], -v[130:131], v[124:125], v[122:123]
	v_div_scale_f64 v[130:131], s[2:3], v[126:127], v[126:127], s[88:89]
	v_rcp_f64_e32 v[132:133], v[130:131]
	v_div_fmas_f64 v[122:123], v[122:123], v[134:135], v[124:125]
	v_div_fixup_f64 v[122:123], v[122:123], v[128:129], s[86:87]
	v_add_f64 v[120:121], v[122:123], v[120:121]
	v_fma_f64 v[122:123], -v[130:131], v[132:133], 1.0
	v_fmac_f64_e32 v[132:133], v[132:133], v[122:123]
	v_fma_f64 v[122:123], -v[130:131], v[132:133], 1.0
	v_fmac_f64_e32 v[132:133], v[132:133], v[122:123]
	v_div_scale_f64 v[122:123], vcc, s[88:89], v[126:127], s[88:89]
	v_mul_f64 v[124:125], v[122:123], v[132:133]
	v_add_f64 v[128:129], v[6:7], s[28:29]
	v_fma_f64 v[122:123], -v[130:131], v[124:125], v[122:123]
	v_div_scale_f64 v[130:131], s[2:3], v[128:129], v[128:129], s[90:91]
	v_rcp_f64_e32 v[134:135], v[130:131]
	v_div_fmas_f64 v[122:123], v[122:123], v[132:133], v[124:125]
	v_div_fixup_f64 v[122:123], v[122:123], v[126:127], s[88:89]
	v_add_f64 v[120:121], v[120:121], v[122:123]
	v_fma_f64 v[122:123], -v[130:131], v[134:135], 1.0
	v_fmac_f64_e32 v[134:135], v[134:135], v[122:123]
	v_fma_f64 v[122:123], -v[130:131], v[134:135], 1.0
	v_fmac_f64_e32 v[134:135], v[134:135], v[122:123]
	v_div_scale_f64 v[122:123], vcc, s[90:91], v[128:129], s[90:91]
	v_mul_f64 v[124:125], v[122:123], v[134:135]
	v_add_f64 v[126:127], v[6:7], 2.0
	v_fma_f64 v[122:123], -v[130:131], v[124:125], v[122:123]
	v_div_scale_f64 v[130:131], s[2:3], v[126:127], v[126:127], s[92:93]
	v_rcp_f64_e32 v[132:133], v[130:131]
	v_div_fmas_f64 v[122:123], v[122:123], v[134:135], v[124:125]
	v_div_fixup_f64 v[122:123], v[122:123], v[128:129], s[90:91]
	v_add_f64 v[120:121], v[122:123], v[120:121]
	v_fma_f64 v[122:123], -v[130:131], v[132:133], 1.0
	v_fmac_f64_e32 v[132:133], v[132:133], v[122:123]
	v_fma_f64 v[122:123], -v[130:131], v[132:133], 1.0
	v_fmac_f64_e32 v[132:133], v[132:133], v[122:123]
	v_div_scale_f64 v[122:123], vcc, s[92:93], v[126:127], s[92:93]
	v_mul_f64 v[124:125], v[122:123], v[132:133]
	v_add_f64 v[128:129], v[6:7], 1.0
	v_fma_f64 v[122:123], -v[130:131], v[124:125], v[122:123]
	v_div_scale_f64 v[130:131], s[2:3], v[128:129], v[128:129], s[94:95]
	v_rcp_f64_e32 v[134:135], v[130:131]
	v_div_fmas_f64 v[122:123], v[122:123], v[132:133], v[124:125]
	v_div_fixup_f64 v[122:123], v[122:123], v[126:127], s[92:93]
	v_add_f64 v[120:121], v[120:121], v[122:123]
	v_fma_f64 v[122:123], -v[130:131], v[134:135], 1.0
	v_fmac_f64_e32 v[134:135], v[134:135], v[122:123]
	v_fma_f64 v[122:123], -v[130:131], v[134:135], 1.0
	v_fmac_f64_e32 v[134:135], v[134:135], v[122:123]
	v_div_scale_f64 v[122:123], vcc, s[94:95], v[128:129], s[94:95]
	v_mul_f64 v[124:125], v[122:123], v[134:135]
	v_fma_f64 v[122:123], -v[130:131], v[124:125], v[122:123]
	v_add_f64 v[10:11], v[10:11], 0.5
	s_nop 0
	v_div_fmas_f64 v[122:123], v[122:123], v[134:135], v[124:125]
	v_div_fixup_f64 v[122:123], v[122:123], v[128:129], s[94:95]
	v_add_f64 v[120:121], v[122:123], v[120:121]
	v_add_f64 v[120:121], v[120:121], s[26:27]
	v_frexp_mant_f64_e32 v[122:123], v[120:121]
	v_cmp_gt_f64_e32 vcc, s[36:37], v[122:123]
	v_cndmask_b32_e64 v15, v92, 2.0, vcc
	v_mul_f64 v[122:123], v[122:123], v[14:15]
	v_add_f64 v[124:125], v[122:123], 1.0
	v_rcp_f64_e32 v[126:127], v[124:125]
	v_add_f64 v[130:131], v[124:125], -1.0
	v_add_f64 v[128:129], v[122:123], -1.0
	v_add_f64 v[122:123], v[122:123], -v[130:131]
	v_fma_f64 v[130:131], -v[124:125], v[126:127], 1.0
	v_fmac_f64_e32 v[126:127], v[130:131], v[126:127]
	v_fma_f64 v[130:131], -v[124:125], v[126:127], 1.0
	v_fmac_f64_e32 v[126:127], v[130:131], v[126:127]
	v_mul_f64 v[130:131], v[128:129], v[126:127]
	v_mul_f64 v[132:133], v[124:125], v[130:131]
	v_fma_f64 v[124:125], v[130:131], v[124:125], -v[132:133]
	v_fmac_f64_e32 v[124:125], v[130:131], v[122:123]
	v_add_f64 v[122:123], v[132:133], v[124:125]
	v_add_f64 v[134:135], v[128:129], -v[122:123]
	v_add_f64 v[132:133], v[122:123], -v[132:133]
	;; [unrolled: 1-line block ×5, first 2 shown]
	v_add_f64 v[122:123], v[124:125], v[122:123]
	v_add_f64 v[122:123], v[134:135], v[122:123]
	v_mul_f64 v[122:123], v[126:127], v[122:123]
	v_add_f64 v[124:125], v[130:131], v[122:123]
	v_add_f64 v[126:127], v[124:125], -v[130:131]
	v_add_f64 v[122:123], v[122:123], -v[126:127]
	v_mul_f64 v[126:127], v[124:125], v[124:125]
	v_fma_f64 v[128:129], s[40:41], v[126:127], v[0:1]
	v_fma_f64 v[128:129], v[126:127], v[128:129], s[42:43]
	;; [unrolled: 1-line block ×6, first 2 shown]
	v_ldexp_f64 v[130:131], v[124:125], 1
	v_mul_f64 v[124:125], v[124:125], v[126:127]
	v_mul_f64 v[124:125], v[124:125], v[128:129]
	v_add_f64 v[126:127], v[130:131], v[124:125]
	v_add_f64 v[128:129], v[126:127], -v[130:131]
	v_ldexp_f64 v[122:123], v[122:123], 1
	v_add_f64 v[124:125], v[124:125], -v[128:129]
	v_add_f64 v[122:123], v[122:123], v[124:125]
	v_frexp_exp_i32_f64_e32 v119, v[120:121]
	v_add_f64 v[124:125], v[126:127], v[122:123]
	v_subbrev_co_u32_e32 v15, vcc, 0, v119, vcc
	v_add_f64 v[126:127], v[124:125], -v[126:127]
	v_add_f64 v[122:123], v[122:123], -v[126:127]
	v_cvt_f64_i32_e32 v[126:127], v15
	v_mul_f64 v[128:129], v[126:127], s[52:53]
	v_fma_f64 v[130:131], v[126:127], s[52:53], -v[128:129]
	v_fmac_f64_e32 v[130:131], s[54:55], v[126:127]
	v_add_f64 v[126:127], v[128:129], v[130:131]
	v_add_f64 v[128:129], v[126:127], -v[128:129]
	v_add_f64 v[128:129], v[130:131], -v[128:129]
	v_add_f64 v[130:131], v[126:127], v[124:125]
	v_add_f64 v[132:133], v[130:131], -v[126:127]
	v_add_f64 v[134:135], v[130:131], -v[132:133]
	;; [unrolled: 1-line block ×4, first 2 shown]
	v_add_f64 v[124:125], v[124:125], v[126:127]
	v_add_f64 v[126:127], v[128:129], v[122:123]
	v_add_f64 v[132:133], v[126:127], -v[128:129]
	v_add_f64 v[134:135], v[126:127], -v[132:133]
	v_add_f64 v[124:125], v[126:127], v[124:125]
	v_add_f64 v[128:129], v[128:129], -v[134:135]
	v_add_f64 v[122:123], v[122:123], -v[132:133]
	v_add_f64 v[126:127], v[130:131], v[124:125]
	v_add_f64 v[122:123], v[122:123], v[128:129]
	v_add_f64 v[128:129], v[126:127], -v[130:131]
	v_add_f64 v[124:125], v[124:125], -v[128:129]
	v_add_f64 v[122:123], v[122:123], v[124:125]
	v_add_f64 v[122:123], v[126:127], v[122:123]
	v_cmp_class_f64_e64 vcc, v[120:121], s33
	v_div_scale_f64 v[124:125], s[2:3], s[30:31], s[30:31], v[10:11]
	v_cndmask_b32_e32 v123, v123, v121, vcc
	v_cndmask_b32_e32 v122, v122, v120, vcc
	v_rcp_f64_e32 v[126:127], v[124:125]
	v_add_f64 v[122:123], v[122:123], s[22:23]
	v_add_f64 v[122:123], v[122:123], s[24:25]
	v_cmp_ngt_f64_e32 vcc, 0, v[120:121]
	v_cndmask_b32_e32 v15, v93, v123, vcc
	v_cmp_nge_f64_e32 vcc, 0, v[120:121]
	v_cndmask_b32_e32 v122, 0, v122, vcc
	v_cmp_neq_f64_e32 vcc, 0, v[120:121]
	v_fma_f64 v[120:121], -v[124:125], v[126:127], 1.0
	v_fmac_f64_e32 v[126:127], v[126:127], v[120:121]
	v_fma_f64 v[120:121], -v[124:125], v[126:127], 1.0
	v_cndmask_b32_e32 v123, v94, v15, vcc
	v_fmac_f64_e32 v[126:127], v[126:127], v[120:121]
	v_div_scale_f64 v[120:121], vcc, v[10:11], s[30:31], v[10:11]
	v_mul_f64 v[128:129], v[120:121], v[126:127]
	v_fma_f64 v[120:121], -v[124:125], v[128:129], v[120:121]
	v_add_f64 v[6:7], v[6:7], 0.5
	s_nop 0
	v_div_fmas_f64 v[120:121], v[120:121], v[126:127], v[128:129]
	v_div_fixup_f64 v[10:11], v[120:121], s[30:31], v[10:11]
	v_frexp_mant_f64_e32 v[120:121], v[10:11]
	v_cmp_gt_f64_e32 vcc, s[36:37], v[120:121]
	v_cndmask_b32_e64 v15, v92, 2.0, vcc
	v_mul_f64 v[120:121], v[120:121], v[14:15]
	v_add_f64 v[124:125], v[120:121], 1.0
	v_rcp_f64_e32 v[126:127], v[124:125]
	v_add_f64 v[130:131], v[124:125], -1.0
	v_add_f64 v[128:129], v[120:121], -1.0
	v_add_f64 v[120:121], v[120:121], -v[130:131]
	v_fma_f64 v[130:131], -v[124:125], v[126:127], 1.0
	v_fmac_f64_e32 v[126:127], v[130:131], v[126:127]
	v_fma_f64 v[130:131], -v[124:125], v[126:127], 1.0
	v_fmac_f64_e32 v[126:127], v[130:131], v[126:127]
	v_mul_f64 v[130:131], v[128:129], v[126:127]
	v_mul_f64 v[132:133], v[124:125], v[130:131]
	v_fma_f64 v[124:125], v[130:131], v[124:125], -v[132:133]
	v_fmac_f64_e32 v[124:125], v[130:131], v[120:121]
	v_add_f64 v[120:121], v[132:133], v[124:125]
	v_add_f64 v[134:135], v[128:129], -v[120:121]
	v_add_f64 v[132:133], v[120:121], -v[132:133]
	;; [unrolled: 1-line block ×5, first 2 shown]
	v_add_f64 v[120:121], v[124:125], v[120:121]
	v_add_f64 v[120:121], v[134:135], v[120:121]
	v_mul_f64 v[120:121], v[126:127], v[120:121]
	v_add_f64 v[124:125], v[130:131], v[120:121]
	v_add_f64 v[126:127], v[124:125], -v[130:131]
	v_add_f64 v[120:121], v[120:121], -v[126:127]
	v_mul_f64 v[126:127], v[124:125], v[124:125]
	v_fmac_f64_e32 v[0:1], s[40:41], v[126:127]
	v_fma_f64 v[0:1], v[126:127], v[0:1], s[42:43]
	v_fma_f64 v[0:1], v[126:127], v[0:1], s[44:45]
	;; [unrolled: 1-line block ×5, first 2 shown]
	v_ldexp_f64 v[128:129], v[124:125], 1
	v_mul_f64 v[124:125], v[124:125], v[126:127]
	v_mul_f64 v[0:1], v[124:125], v[0:1]
	v_add_f64 v[124:125], v[128:129], v[0:1]
	v_add_f64 v[126:127], v[124:125], -v[128:129]
	v_ldexp_f64 v[120:121], v[120:121], 1
	v_add_f64 v[0:1], v[0:1], -v[126:127]
	v_add_f64 v[0:1], v[120:121], v[0:1]
	v_frexp_exp_i32_f64_e32 v119, v[10:11]
	v_add_f64 v[120:121], v[124:125], v[0:1]
	v_subbrev_co_u32_e32 v15, vcc, 0, v119, vcc
	v_add_f64 v[124:125], v[120:121], -v[124:125]
	v_add_f64 v[0:1], v[0:1], -v[124:125]
	v_cvt_f64_i32_e32 v[124:125], v15
	v_mul_f64 v[126:127], v[124:125], s[52:53]
	v_fma_f64 v[128:129], v[124:125], s[52:53], -v[126:127]
	v_fmac_f64_e32 v[128:129], s[54:55], v[124:125]
	v_add_f64 v[124:125], v[126:127], v[128:129]
	v_add_f64 v[126:127], v[124:125], -v[126:127]
	v_add_f64 v[126:127], v[128:129], -v[126:127]
	v_add_f64 v[128:129], v[124:125], v[120:121]
	v_add_f64 v[130:131], v[128:129], -v[124:125]
	v_add_f64 v[132:133], v[128:129], -v[130:131]
	;; [unrolled: 1-line block ×4, first 2 shown]
	v_add_f64 v[120:121], v[120:121], v[124:125]
	v_add_f64 v[124:125], v[126:127], v[0:1]
	v_add_f64 v[130:131], v[124:125], -v[126:127]
	v_add_f64 v[132:133], v[124:125], -v[130:131]
	v_add_f64 v[120:121], v[124:125], v[120:121]
	v_add_f64 v[126:127], v[126:127], -v[132:133]
	v_add_f64 v[0:1], v[0:1], -v[130:131]
	v_add_f64 v[124:125], v[128:129], v[120:121]
	v_add_f64 v[0:1], v[0:1], v[126:127]
	v_add_f64 v[126:127], v[124:125], -v[128:129]
	v_add_f64 v[120:121], v[120:121], -v[126:127]
	v_add_f64 v[0:1], v[0:1], v[120:121]
	v_add_f64 v[0:1], v[124:125], v[0:1]
	v_cmp_class_f64_e64 vcc, v[10:11], s33
	v_cndmask_b32_e32 v0, v0, v10, vcc
	v_cndmask_b32_e32 v1, v1, v11, vcc
	v_cmp_ngt_f64_e32 vcc, 0, v[10:11]
	v_cndmask_b32_e32 v1, v93, v1, vcc
	v_cmp_nge_f64_e32 vcc, 0, v[10:11]
	v_cndmask_b32_e32 v0, 0, v0, vcc
	v_cmp_neq_f64_e32 vcc, 0, v[10:11]
	v_cndmask_b32_e32 v1, v94, v1, vcc
	v_fmac_f64_e32 v[122:123], v[6:7], v[0:1]
	v_add_f64 v[0:1], v[4:5], -v[122:123]
	v_cvt_u32_f64_e32 v4, v[8:9]
	v_cmp_le_f64_e32 vcc, v[2:3], v[0:1]
	v_cndmask_b32_e64 v120, 0, 1, vcc
	v_cndmask_b32_e32 v75, v75, v4, vcc
	v_mov_b32_e32 v119, v118
.LBB61_25:                              ;   in Loop: Header=BB61_15 Depth=2
	s_or_b64 exec, exec, s[0:1]
	v_cmp_gt_i32_e32 vcc, 2, v120
	s_or_b64 s[14:15], vcc, s[14:15]
	v_mov_b32_e32 v15, v119
	v_mov_b32_e32 v0, v87
	;; [unrolled: 1-line block ×5, first 2 shown]
	s_andn2_b64 exec, exec, s[14:15]
	s_cbranch_execnz .LBB61_15
; %bb.26:                               ;   in Loop: Header=BB61_15 Depth=2
	s_or_b64 exec, exec, s[14:15]
	v_cmp_ne_u32_e32 vcc, 0, v120
	s_or_b64 s[16:17], vcc, s[16:17]
	s_mov_b64 s[14:15], 0
	v_mov_b32_e32 v15, v119
	v_mov_b32_e32 v0, v87
	;; [unrolled: 1-line block ×5, first 2 shown]
	s_andn2_b64 exec, exec, s[16:17]
	s_cbranch_execnz .LBB61_15
; %bb.27:                               ;   in Loop: Header=BB61_5 Depth=1
	s_or_b64 exec, exec, s[16:17]
	s_mov_b32 s16, s19
	v_readlane_b32 s17, v136, 16
                                        ; implicit-def: $vgpr4_vgpr5
                                        ; implicit-def: $vgpr72_vgpr73
                                        ; implicit-def: $vgpr15
                                        ; implicit-def: $vgpr98
                                        ; implicit-def: $vgpr99
                                        ; implicit-def: $vgpr107
                                        ; implicit-def: $vgpr97
                                        ; implicit-def: $vgpr3
                                        ; implicit-def: $vgpr100
                                        ; implicit-def: $vgpr101
                                        ; implicit-def: $vgpr102
                                        ; implicit-def: $vgpr103
                                        ; implicit-def: $vgpr105
                                        ; implicit-def: $vgpr106
                                        ; implicit-def: $vgpr108
                                        ; implicit-def: $vgpr109
                                        ; implicit-def: $vgpr110
                                        ; implicit-def: $vgpr111
                                        ; implicit-def: $vgpr112
                                        ; implicit-def: $vgpr113
                                        ; implicit-def: $vgpr114
                                        ; implicit-def: $vgpr115
                                        ; implicit-def: $vgpr104
                                        ; implicit-def: $vgpr116
.LBB61_28:                              ;   in Loop: Header=BB61_5 Depth=1
	s_andn2_saveexec_b64 s[0:1], s[12:13]
	s_cbranch_execz .LBB61_40
; %bb.29:                               ;   in Loop: Header=BB61_5 Depth=1
	v_add_co_u32_e32 v6, vcc, 1, v98
	v_cndmask_b32_e64 v7, 0, 1, vcc
	v_addc_co_u32_e32 v10, vcc, 0, v99, vcc
	v_cmp_eq_u32_e32 vcc, 0, v10
	v_cndmask_b32_e32 v7, 0, v7, vcc
	v_add_u32_e32 v8, v7, v17
	v_cmp_eq_u32_e32 vcc, 0, v8
	v_cndmask_b32_e32 v11, 0, v7, vcc
	v_mad_u64_u32 v[6:7], s[2:3], v6, s11, 0
	v_mad_u64_u32 v[8:9], s[2:3], v8, s10, 0
	v_xor_b32_e32 v7, v7, v73
	v_xor_b32_e32 v9, v9, v72
	v_xor_b32_e32 v7, v11, v7
	v_xor_b32_e32 v9, v10, v9
	v_mad_u64_u32 v[72:73], s[2:3], v7, s10, 0
	v_mad_u64_u32 v[10:11], s[2:3], v9, s11, 0
	v_xor_b32_e32 v7, v100, v73
	v_xor_b32_e32 v7, v7, v8
	v_xor_b32_e32 v8, v101, v11
	v_xor_b32_e32 v8, v8, v6
	;; [unrolled: 6-line block ×8, first 2 shown]
	v_mad_u64_u32 v[74:75], s[2:3], v7, s11, 0
	v_mad_u64_u32 v[8:9], s[2:3], v6, s10, 0
	v_xor_b32_e32 v6, v116, v75
	v_xor_b32_e32 v6, v6, v10
	v_mad_u64_u32 v[6:7], s[2:3], v6, s10, 0
	v_xor_b32_e32 v7, v7, v8
	v_xor_b32_e32 v10, v107, v7
	v_cmp_lt_i32_e32 vcc, 1, v15
                                        ; implicit-def: $vgpr8
	s_and_saveexec_b64 s[2:3], vcc
	s_xor_b64 s[2:3], exec, s[2:3]
	s_cbranch_execz .LBB61_35
; %bb.30:                               ;   in Loop: Header=BB61_5 Depth=1
	v_cmp_lt_i32_e32 vcc, 2, v15
                                        ; implicit-def: $vgpr8
	s_and_saveexec_b64 s[12:13], vcc
	s_xor_b64 s[12:13], exec, s[12:13]
; %bb.31:                               ;   in Loop: Header=BB61_5 Depth=1
	v_xor_b32_e32 v0, v104, v9
	v_xor_b32_e32 v0, v0, v72
	v_mul_hi_u32 v0, v0, s11
	v_xor_b32_e32 v0, v0, v74
	v_xor_b32_e32 v8, v97, v0
; %bb.32:                               ;   in Loop: Header=BB61_5 Depth=1
	s_andn2_saveexec_b64 s[12:13], s[12:13]
; %bb.33:                               ;   in Loop: Header=BB61_5 Depth=1
	v_mov_b32_e32 v8, v6
	v_mov_b32_e32 v6, v10
	;; [unrolled: 1-line block ×4, first 2 shown]
; %bb.34:                               ;   in Loop: Header=BB61_5 Depth=1
	s_or_b64 exec, exec, s[12:13]
                                        ; implicit-def: $vgpr15
.LBB61_35:                              ;   in Loop: Header=BB61_5 Depth=1
	s_andn2_saveexec_b64 s[2:3], s[2:3]
	s_cbranch_execz .LBB61_39
; %bb.36:                               ;   in Loop: Header=BB61_5 Depth=1
	v_cmp_eq_u32_e32 vcc, 1, v15
	v_mov_b32_e32 v8, v3
	v_mov_b32_e32 v6, v2
	;; [unrolled: 1-line block ×3, first 2 shown]
	s_and_saveexec_b64 s[12:13], vcc
; %bb.37:                               ;   in Loop: Header=BB61_5 Depth=1
	v_mov_b32_e32 v8, v10
	v_mov_b32_e32 v6, v3
	;; [unrolled: 1-line block ×4, first 2 shown]
; %bb.38:                               ;   in Loop: Header=BB61_5 Depth=1
	s_or_b64 exec, exec, s[12:13]
	v_mov_b32_e32 v3, v0
	v_mov_b32_e32 v10, v7
.LBB61_39:                              ;   in Loop: Header=BB61_5 Depth=1
	s_or_b64 exec, exec, s[2:3]
	v_mov_b32_e32 v11, v14
	v_lshlrev_b64 v[0:1], 21, v[10:11]
	v_xor_b32_e32 v2, v0, v3
	v_cvt_f64_u32_e32 v[0:1], v1
	v_ldexp_f64 v[0:1], v[0:1], 32
	v_cvt_f64_u32_e32 v[2:3], v2
	v_add_f64 v[0:1], v[0:1], v[2:3]
	v_mov_b32_e32 v2, 0
	v_mov_b32_e32 v3, 0x3ca00000
	v_fmac_f64_e32 v[2:3], 0x3ca00000, v[0:1]
	v_mov_b32_e32 v9, v14
	v_lshlrev_b64 v[0:1], 21, v[8:9]
	v_frexp_mant_f64_e32 v[8:9], v[2:3]
	v_cmp_gt_f64_e32 vcc, s[36:37], v[8:9]
	v_cndmask_b32_e64 v15, v92, 2.0, vcc
	v_frexp_exp_i32_f64_e32 v10, v[2:3]
	v_mul_f64 v[8:9], v[8:9], v[14:15]
	v_subbrev_co_u32_e32 v15, vcc, 0, v10, vcc
	v_add_f64 v[10:11], v[8:9], 1.0
	v_rcp_f64_e32 v[72:73], v[10:11]
	v_add_f64 v[76:77], v[10:11], -1.0
	v_add_f64 v[74:75], v[8:9], -1.0
	v_add_f64 v[8:9], v[8:9], -v[76:77]
	v_fma_f64 v[76:77], -v[10:11], v[72:73], 1.0
	v_fmac_f64_e32 v[72:73], v[76:77], v[72:73]
	v_fma_f64 v[76:77], -v[10:11], v[72:73], 1.0
	v_fmac_f64_e32 v[72:73], v[76:77], v[72:73]
	v_mul_f64 v[76:77], v[74:75], v[72:73]
	v_mul_f64 v[78:79], v[10:11], v[76:77]
	v_fma_f64 v[10:11], v[76:77], v[10:11], -v[78:79]
	v_fmac_f64_e32 v[10:11], v[76:77], v[8:9]
	v_add_f64 v[8:9], v[78:79], v[10:11]
	v_add_f64 v[80:81], v[74:75], -v[8:9]
	v_add_f64 v[78:79], v[8:9], -v[78:79]
	;; [unrolled: 1-line block ×5, first 2 shown]
	v_add_f64 v[8:9], v[10:11], v[8:9]
	v_add_f64 v[8:9], v[80:81], v[8:9]
	v_mul_f64 v[8:9], v[72:73], v[8:9]
	v_add_f64 v[10:11], v[76:77], v[8:9]
	v_add_f64 v[72:73], v[10:11], -v[76:77]
	v_add_f64 v[8:9], v[8:9], -v[72:73]
	v_mul_f64 v[72:73], v[10:11], v[10:11]
	v_pk_mov_b32 v[74:75], v[18:19], v[18:19] op_sel:[0,1]
	v_fmac_f64_e32 v[74:75], s[40:41], v[72:73]
	v_pk_mov_b32 v[76:77], v[20:21], v[20:21] op_sel:[0,1]
	v_fmac_f64_e32 v[76:77], v[72:73], v[74:75]
	;; [unrolled: 2-line block ×6, first 2 shown]
	v_ldexp_f64 v[74:75], v[10:11], 1
	v_mul_f64 v[10:11], v[10:11], v[72:73]
	v_mul_f64 v[10:11], v[10:11], v[76:77]
	v_add_f64 v[72:73], v[74:75], v[10:11]
	v_add_f64 v[74:75], v[72:73], -v[74:75]
	v_ldexp_f64 v[8:9], v[8:9], 1
	v_add_f64 v[10:11], v[10:11], -v[74:75]
	v_add_f64 v[8:9], v[8:9], v[10:11]
	v_add_f64 v[10:11], v[72:73], v[8:9]
	v_add_f64 v[72:73], v[10:11], -v[72:73]
	v_add_f64 v[8:9], v[8:9], -v[72:73]
	v_cvt_f64_i32_e32 v[72:73], v15
	v_mul_f64 v[74:75], v[72:73], s[52:53]
	v_fma_f64 v[76:77], v[72:73], s[52:53], -v[74:75]
	v_fmac_f64_e32 v[76:77], s[54:55], v[72:73]
	v_add_f64 v[72:73], v[74:75], v[76:77]
	v_add_f64 v[74:75], v[72:73], -v[74:75]
	v_add_f64 v[74:75], v[76:77], -v[74:75]
	v_add_f64 v[76:77], v[72:73], v[10:11]
	v_add_f64 v[78:79], v[76:77], -v[72:73]
	v_add_f64 v[80:81], v[76:77], -v[78:79]
	v_add_f64 v[72:73], v[72:73], -v[80:81]
	v_add_f64 v[10:11], v[10:11], -v[78:79]
	v_add_f64 v[10:11], v[10:11], v[72:73]
	v_add_f64 v[72:73], v[74:75], v[8:9]
	v_add_f64 v[78:79], v[72:73], -v[74:75]
	v_add_f64 v[80:81], v[72:73], -v[78:79]
	v_add_f64 v[10:11], v[72:73], v[10:11]
	v_add_f64 v[74:75], v[74:75], -v[80:81]
	v_add_f64 v[8:9], v[8:9], -v[78:79]
	v_add_f64 v[72:73], v[76:77], v[10:11]
	v_add_f64 v[8:9], v[8:9], v[74:75]
	v_add_f64 v[74:75], v[72:73], -v[76:77]
	v_add_f64 v[10:11], v[10:11], -v[74:75]
	s_mov_b32 s14, 0
	v_add_f64 v[8:9], v[8:9], v[10:11]
	s_mov_b32 s15, 0x7ff00000
	v_add_f64 v[8:9], v[72:73], v[8:9]
	v_cmp_eq_f64_e32 vcc, s[14:15], v[2:3]
	v_cndmask_b32_e32 v9, v9, v3, vcc
	v_cndmask_b32_e32 v8, v8, v2, vcc
	v_mul_f64 v[8:9], v[8:9], -2.0
	v_cmp_neq_f64_e32 vcc, 0, v[2:3]
	s_mov_b32 s2, 0
	v_cndmask_b32_e32 v3, v95, v9, vcc
	v_cndmask_b32_e32 v2, 0, v8, vcc
	s_brev_b32 s3, 8
	v_cmp_gt_f64_e32 vcc, s[2:3], v[2:3]
	v_cndmask_b32_e64 v8, 0, 1, vcc
	v_lshlrev_b32_e32 v8, 8, v8
	v_ldexp_f64 v[2:3], v[2:3], v8
	v_xor_b32_e32 v6, v0, v6
	v_cvt_f64_u32_e32 v[0:1], v1
	v_rsq_f64_e32 v[8:9], v[2:3]
	v_ldexp_f64 v[0:1], v[0:1], 32
	v_cvt_f64_u32_e32 v[6:7], v6
	v_add_f64 v[0:1], v[0:1], v[6:7]
	v_mov_b32_e32 v6, 0
	v_mov_b32_e32 v7, 0x3cb00000
	v_fmac_f64_e32 v[6:7], 0x3cb00000, v[0:1]
	v_mul_f64 v[0:1], v[2:3], v[8:9]
	v_mul_f64 v[8:9], v[8:9], 0.5
	v_fma_f64 v[10:11], -v[8:9], v[0:1], 0.5
	v_fmac_f64_e32 v[0:1], v[0:1], v[10:11]
	v_fma_f64 v[72:73], -v[0:1], v[0:1], v[2:3]
	v_fmac_f64_e32 v[8:9], v[8:9], v[10:11]
	v_fmac_f64_e32 v[0:1], v[72:73], v[8:9]
	v_fma_f64 v[10:11], -v[0:1], v[0:1], v[2:3]
	v_fmac_f64_e32 v[0:1], v[10:11], v[8:9]
	v_cndmask_b32_e32 v8, 0, v91, vcc
	v_ldexp_f64 v[0:1], v[0:1], v8
	v_cmp_class_f64_e32 vcc, v[2:3], v90
	v_cndmask_b32_e32 v1, v1, v3, vcc
	v_cndmask_b32_e32 v0, v0, v2, vcc
	v_mul_f64 v[2:3], v[6:7], 0.5
	v_fract_f64_e32 v[8:9], v[2:3]
	v_add_f64 v[8:9], v[8:9], v[8:9]
	v_cmp_neq_f64_e32 vcc, s[14:15], v[2:3]
	v_cndmask_b32_e32 v2, 0, v8, vcc
	v_cndmask_b32_e32 v3, 0, v9, vcc
	v_cmp_lt_f64_e32 vcc, 1.0, v[6:7]
	v_cndmask_b32_e32 v3, v7, v3, vcc
	v_cndmask_b32_e32 v2, v6, v2, vcc
	v_add_f64 v[8:9], v[2:3], v[2:3]
	v_rndne_f64_e32 v[8:9], v[8:9]
	v_fmac_f64_e32 v[2:3], -0.5, v[8:9]
	s_mov_b32 s12, 0xf99eb0bb
	v_cvt_i32_f64_e32 v15, v[8:9]
	v_mul_f64 v[8:9], v[2:3], v[2:3]
	v_pk_mov_b32 v[10:11], v[48:49], v[48:49] op_sel:[0,1]
	s_mov_b32 s13, 0x3f3e357e
	v_fmac_f64_e32 v[10:11], s[12:13], v[8:9]
	v_pk_mov_b32 v[72:73], v[50:51], v[50:51] op_sel:[0,1]
	v_fmac_f64_e32 v[72:73], v[8:9], v[10:11]
	v_pk_mov_b32 v[10:11], v[52:53], v[52:53] op_sel:[0,1]
	;; [unrolled: 2-line block ×4, first 2 shown]
	v_fmac_f64_e32 v[10:11], v[8:9], v[72:73]
	v_mul_f64 v[72:73], v[2:3], v[8:9]
	s_mov_b32 s12, 0x54442d18
	v_mul_f64 v[10:11], v[72:73], v[10:11]
	s_mov_b32 s13, 0x400921fb
	v_fmac_f64_e32 v[10:11], s[12:13], v[2:3]
	s_mov_b32 s12, 0x2e21c33
	v_pk_mov_b32 v[2:3], v[58:59], v[58:59] op_sel:[0,1]
	s_mov_b32 s13, 0xbf1b1673
	v_fmac_f64_e32 v[2:3], s[12:13], v[8:9]
	v_pk_mov_b32 v[72:73], v[60:61], v[60:61] op_sel:[0,1]
	v_fmac_f64_e32 v[72:73], v[8:9], v[2:3]
	v_pk_mov_b32 v[2:3], v[62:63], v[62:63] op_sel:[0,1]
	;; [unrolled: 2-line block ×5, first 2 shown]
	v_fmac_f64_e32 v[72:73], v[8:9], v[2:3]
	v_fma_f64 v[2:3], v[8:9], v[72:73], 1.0
	v_and_b32_e32 v9, 1, v15
	v_lshlrev_b32_e32 v8, 30, v15
	v_cmp_eq_u32_e32 vcc, 0, v9
	v_cndmask_b32_e32 v10, v2, v10, vcc
	v_cndmask_b32_e32 v2, v3, v11, vcc
	v_xor_b32_e32 v3, v8, v7
	v_and_b32_e32 v3, 0x80000000, v3
	v_cmp_gt_f64_e32 vcc, s[2:3], v[4:5]
	v_xor_b32_e32 v11, v2, v3
	v_cndmask_b32_e64 v2, 0, 1, vcc
	v_lshlrev_b32_e32 v2, 8, v2
	v_ldexp_f64 v[2:3], v[4:5], v2
	v_rsq_f64_e32 v[8:9], v[2:3]
	v_cmp_lg_f64_e64 s[2:3], s[14:15], v[6:7]
	v_cndmask_b32_e64 v6, 0, v10, s[2:3]
	v_cndmask_b32_e64 v7, v93, v11, s[2:3]
	v_mul_f64 v[0:1], v[0:1], v[6:7]
	v_mul_f64 v[6:7], v[2:3], v[8:9]
	v_mul_f64 v[8:9], v[8:9], 0.5
	v_fma_f64 v[10:11], -v[8:9], v[6:7], 0.5
	v_fmac_f64_e32 v[6:7], v[6:7], v[10:11]
	v_fma_f64 v[72:73], -v[6:7], v[6:7], v[2:3]
	v_fmac_f64_e32 v[8:9], v[8:9], v[10:11]
	v_fmac_f64_e32 v[6:7], v[72:73], v[8:9]
	v_fma_f64 v[10:11], -v[6:7], v[6:7], v[2:3]
	v_fmac_f64_e32 v[6:7], v[10:11], v[8:9]
	v_cndmask_b32_e32 v8, 0, v91, vcc
	v_ldexp_f64 v[6:7], v[6:7], v8
	v_cmp_class_f64_e32 vcc, v[2:3], v90
	v_cndmask_b32_e32 v3, v7, v3, vcc
	v_cndmask_b32_e32 v2, v6, v2, vcc
	v_fmac_f64_e32 v[4:5], v[2:3], v[0:1]
	v_trunc_f64_e32 v[0:1], v[4:5]
	v_add_f64 v[2:3], v[4:5], -v[0:1]
	v_cmp_ge_f64_e64 vcc, |v[2:3]|, 0.5
	v_cndmask_b32_e32 v2, 0, v92, vcc
	s_brev_b32 s2, -2
	v_bfi_b32 v15, s2, v2, v5
	v_add_f64 v[0:1], v[0:1], v[14:15]
	v_cvt_u32_f64_e32 v75, v[0:1]
.LBB61_40:                              ;   in Loop: Header=BB61_5 Depth=1
	s_or_b64 exec, exec, s[0:1]
                                        ; implicit-def: $vgpr4_vgpr5
                                        ; implicit-def: $vgpr72_vgpr73
                                        ; implicit-def: $vgpr15
                                        ; implicit-def: $vgpr98
                                        ; implicit-def: $vgpr99
                                        ; implicit-def: $vgpr107
                                        ; implicit-def: $vgpr97
                                        ; implicit-def: $vgpr3
                                        ; implicit-def: $vgpr100
                                        ; implicit-def: $vgpr101
                                        ; implicit-def: $vgpr102
                                        ; implicit-def: $vgpr103
                                        ; implicit-def: $vgpr105
                                        ; implicit-def: $vgpr106
                                        ; implicit-def: $vgpr108
                                        ; implicit-def: $vgpr109
                                        ; implicit-def: $vgpr110
                                        ; implicit-def: $vgpr111
                                        ; implicit-def: $vgpr112
                                        ; implicit-def: $vgpr113
                                        ; implicit-def: $vgpr114
                                        ; implicit-def: $vgpr115
                                        ; implicit-def: $vgpr104
                                        ; implicit-def: $vgpr116
.LBB61_41:                              ;   in Loop: Header=BB61_5 Depth=1
	s_andn2_saveexec_b64 s[0:1], s[6:7]
	s_cbranch_execz .LBB61_3
; %bb.42:                               ;   in Loop: Header=BB61_5 Depth=1
	v_readlane_b32 s2, v136, 14
	v_readlane_b32 s3, v136, 15
	s_mov_b32 s2, s58
	v_mul_f64 v[6:7], v[4:5], s[2:3]
	v_rndne_f64_e32 v[6:7], v[6:7]
	s_mov_b32 s60, s52
	v_fma_f64 v[10:11], v[6:7], s[60:61], -v[4:5]
	s_mov_b32 s62, s54
	v_fmac_f64_e32 v[10:11], s[62:63], v[6:7]
	v_pk_mov_b32 v[8:9], v[30:31], v[30:31] op_sel:[0,1]
	v_fmac_f64_e32 v[8:9], s[64:65], v[10:11]
	v_pk_mov_b32 v[74:75], v[32:33], v[32:33] op_sel:[0,1]
	;; [unrolled: 2-line block ×8, first 2 shown]
	s_mov_b32 s7, s3
	v_fmac_f64_e32 v[74:75], v[10:11], v[8:9]
	v_pk_mov_b32 v[76:77], v[46:47], v[46:47] op_sel:[0,1]
	s_mov_b32 s2, 0
	v_fmac_f64_e32 v[76:77], v[10:11], v[74:75]
	s_mov_b32 s3, 0xc0900000
	v_fma_f64 v[74:75], v[10:11], v[76:77], 1.0
	v_cmp_ngt_f64_e32 vcc, s[2:3], v[4:5]
	s_mov_b32 s2, 0
	v_fma_f64 v[10:11], v[10:11], v[74:75], 1.0
	v_cvt_i32_f64_e32 v6, v[6:7]
	s_mov_b32 s3, 0x4090cc00
	v_ldexp_f64 v[6:7], v[10:11], v6
	v_cmp_nlt_f64_e64 s[2:3], s[2:3], v[4:5]
	v_mov_b32_e32 v8, 0
	v_cndmask_b32_e32 v7, v95, v7, vcc
	s_and_b64 vcc, s[2:3], vcc
	v_writelane_b32 v136, s6, 14
	v_mov_b32_e32 v9, 0x3ff00000
	v_mov_b32_e32 v78, 0
	v_cndmask_b32_e64 v11, 0, v7, s[2:3]
	v_cndmask_b32_e32 v10, 0, v6, vcc
	s_mov_b32 s12, -1
	s_mov_b64 s[2:3], 0
	v_mov_b32_e32 v79, v17
	v_writelane_b32 v136, s7, 15
	s_branch .LBB61_44
.LBB61_43:                              ;   in Loop: Header=BB61_44 Depth=2
	s_or_b64 exec, exec, s[6:7]
	v_cmp_eq_u32_e32 vcc, 1, v15
	v_cndmask_b32_e32 v0, v0, v1, vcc
	v_cmp_eq_u32_e32 vcc, 2, v15
	v_cndmask_b32_e32 v0, v0, v2, vcc
	;; [unrolled: 2-line block ×6, first 2 shown]
	v_lshrrev_b32_e32 v0, 11, v0
	v_cvt_f64_u32_e32 v[0:1], v0
	v_ldexp_f64 v[0:1], v[0:1], 32
	v_cvt_f64_u32_e32 v[2:3], v2
	v_add_f64 v[0:1], v[0:1], v[2:3]
	v_mov_b32_e32 v2, 0
	v_mov_b32_e32 v3, 0x3ca00000
	v_fmac_f64_e32 v[2:3], 0x3ca00000, v[0:1]
	v_mul_f64 v[8:9], v[8:9], v[2:3]
	v_cmp_ngt_f64_e32 vcc, v[8:9], v[10:11]
	s_add_i32 s12, s12, 1
	s_or_b64 s[2:3], vcc, s[2:3]
	v_mov_b32_e32 v75, s12
	v_mov_b32_e32 v15, v81
	;; [unrolled: 1-line block ×6, first 2 shown]
	s_andn2_b64 exec, exec, s[2:3]
	s_cbranch_execz .LBB61_2
.LBB61_44:                              ;   Parent Loop BB61_5 Depth=1
                                        ; =>  This Inner Loop Header: Depth=2
	v_add_u32_e32 v80, 1, v15
	v_pk_mov_b32 v[6:7], v[2:3], v[2:3] op_sel:[0,1]
	v_cmp_eq_u32_e32 vcc, 4, v80
	v_pk_mov_b32 v[4:5], v[0:1], v[0:1] op_sel:[0,1]
	v_mov_b32_e32 v77, v0
	v_mov_b32_e32 v76, v1
	;; [unrolled: 1-line block ×4, first 2 shown]
	s_and_saveexec_b64 s[6:7], vcc
	s_cbranch_execz .LBB61_46
; %bb.45:                               ;   in Loop: Header=BB61_44 Depth=2
	v_add_co_u32_e32 v98, vcc, 1, v98
	v_cndmask_b32_e64 v4, 0, 1, vcc
	v_addc_co_u32_e32 v99, vcc, 0, v99, vcc
	v_cmp_eq_u32_e32 vcc, 0, v99
	v_cndmask_b32_e32 v4, 0, v4, vcc
	v_add_u32_e32 v79, v4, v79
	v_cmp_eq_u32_e32 vcc, 0, v79
	v_cndmask_b32_e32 v4, 0, v4, vcc
	v_add_u32_e32 v78, v4, v78
	v_mad_u64_u32 v[4:5], s[14:15], v98, s11, 0
	v_mad_u64_u32 v[6:7], s[14:15], v79, s10, 0
	v_xor_b32_e32 v5, v5, v73
	v_xor_b32_e32 v7, v7, v72
	v_xor_b32_e32 v5, v78, v5
	v_xor_b32_e32 v7, v99, v7
	v_mad_u64_u32 v[76:77], s[14:15], v5, s10, 0
	v_mad_u64_u32 v[74:75], s[14:15], v7, s11, 0
	v_xor_b32_e32 v5, v100, v77
	v_xor_b32_e32 v5, v5, v6
	v_xor_b32_e32 v6, v101, v75
	v_xor_b32_e32 v6, v6, v4
	;; [unrolled: 6-line block ×10, first 2 shown]
	v_mov_b32_e32 v80, 0
	v_mov_b32_e32 v5, v76
	;; [unrolled: 1-line block ×5, first 2 shown]
.LBB61_46:                              ;   in Loop: Header=BB61_44 Depth=2
	s_or_b64 exec, exec, s[6:7]
	v_add_u32_e32 v81, 1, v80
	v_cmp_eq_u32_e32 vcc, 4, v81
	s_and_saveexec_b64 s[6:7], vcc
	s_cbranch_execz .LBB61_43
; %bb.47:                               ;   in Loop: Header=BB61_44 Depth=2
	v_add_co_u32_e32 v98, vcc, 1, v98
	v_cndmask_b32_e64 v74, 0, 1, vcc
	v_addc_co_u32_e32 v99, vcc, 0, v99, vcc
	v_cmp_eq_u32_e32 vcc, 0, v99
	v_cndmask_b32_e32 v74, 0, v74, vcc
	v_add_u32_e32 v79, v74, v79
	v_cmp_eq_u32_e32 vcc, 0, v79
	v_cndmask_b32_e32 v74, 0, v74, vcc
	v_add_u32_e32 v78, v74, v78
	v_mad_u64_u32 v[74:75], s[14:15], v98, s11, 0
	v_mad_u64_u32 v[76:77], s[14:15], v79, s10, 0
	v_xor_b32_e32 v75, v75, v73
	v_xor_b32_e32 v77, v77, v72
	v_xor_b32_e32 v75, v78, v75
	v_xor_b32_e32 v77, v99, v77
	v_mad_u64_u32 v[84:85], s[14:15], v75, s10, 0
	v_mad_u64_u32 v[82:83], s[14:15], v77, s11, 0
	v_xor_b32_e32 v75, v100, v85
	v_xor_b32_e32 v75, v75, v76
	v_xor_b32_e32 v76, v101, v83
	v_xor_b32_e32 v76, v76, v74
	;; [unrolled: 6-line block ×9, first 2 shown]
	v_mad_u64_u32 v[74:75], s[14:15], v74, s11, 0
	v_mad_u64_u32 v[76:77], s[14:15], v76, s10, 0
	v_xor_b32_e32 v77, v77, v118
	v_xor_b32_e32 v75, v75, v86
	v_mov_b32_e32 v81, 0
	v_xor_b32_e32 v77, v107, v77
	v_xor_b32_e32 v82, v97, v75
	s_branch .LBB61_43
.LBB61_48:
	s_or_b64 exec, exec, s[4:5]
	s_and_saveexec_b64 s[0:1], s[20:21]
	s_xor_b64 s[0:1], exec, s[0:1]
	s_cbranch_execnz .LBB61_50
.LBB61_49:
	s_endpgm
.LBB61_50:
	s_trap 2
	; divergent unreachable
	s_endpgm
	.section	.rodata,"a",@progbits
	.p2align	6, 0x0
	.amdhsa_kernel _ZN2at4cuda12_GLOBAL__N_121kernelPointwiseApply2IZN12_GLOBAL__N_119poisson_cuda_kernelIdEEvRKNS_10TensorBaseES7_NS_15PhiloxCudaStateEEUlRdRKdE_ddjLi2ELi2ELi1ELi512ELi2EEEvNS0_6detail10TensorInfoIT0_T2_EENSE_IT1_SG_EESG_T_
		.amdhsa_group_segment_fixed_size 0
		.amdhsa_private_segment_fixed_size 0
		.amdhsa_kernarg_size 728
		.amdhsa_user_sgpr_count 6
		.amdhsa_user_sgpr_private_segment_buffer 1
		.amdhsa_user_sgpr_dispatch_ptr 0
		.amdhsa_user_sgpr_queue_ptr 0
		.amdhsa_user_sgpr_kernarg_segment_ptr 1
		.amdhsa_user_sgpr_dispatch_id 0
		.amdhsa_user_sgpr_flat_scratch_init 0
		.amdhsa_user_sgpr_kernarg_preload_length 0
		.amdhsa_user_sgpr_kernarg_preload_offset 0
		.amdhsa_user_sgpr_private_segment_size 0
		.amdhsa_uses_dynamic_stack 0
		.amdhsa_system_sgpr_private_segment_wavefront_offset 0
		.amdhsa_system_sgpr_workgroup_id_x 1
		.amdhsa_system_sgpr_workgroup_id_y 0
		.amdhsa_system_sgpr_workgroup_id_z 0
		.amdhsa_system_sgpr_workgroup_info 0
		.amdhsa_system_vgpr_workitem_id 0
		.amdhsa_next_free_vgpr 137
		.amdhsa_next_free_sgpr 96
		.amdhsa_accum_offset 140
		.amdhsa_reserve_vcc 1
		.amdhsa_reserve_flat_scratch 0
		.amdhsa_float_round_mode_32 0
		.amdhsa_float_round_mode_16_64 0
		.amdhsa_float_denorm_mode_32 3
		.amdhsa_float_denorm_mode_16_64 3
		.amdhsa_dx10_clamp 1
		.amdhsa_ieee_mode 1
		.amdhsa_fp16_overflow 0
		.amdhsa_tg_split 0
		.amdhsa_exception_fp_ieee_invalid_op 0
		.amdhsa_exception_fp_denorm_src 0
		.amdhsa_exception_fp_ieee_div_zero 0
		.amdhsa_exception_fp_ieee_overflow 0
		.amdhsa_exception_fp_ieee_underflow 0
		.amdhsa_exception_fp_ieee_inexact 0
		.amdhsa_exception_int_div_zero 0
	.end_amdhsa_kernel
	.section	.text._ZN2at4cuda12_GLOBAL__N_121kernelPointwiseApply2IZN12_GLOBAL__N_119poisson_cuda_kernelIdEEvRKNS_10TensorBaseES7_NS_15PhiloxCudaStateEEUlRdRKdE_ddjLi2ELi2ELi1ELi512ELi2EEEvNS0_6detail10TensorInfoIT0_T2_EENSE_IT1_SG_EESG_T_,"axG",@progbits,_ZN2at4cuda12_GLOBAL__N_121kernelPointwiseApply2IZN12_GLOBAL__N_119poisson_cuda_kernelIdEEvRKNS_10TensorBaseES7_NS_15PhiloxCudaStateEEUlRdRKdE_ddjLi2ELi2ELi1ELi512ELi2EEEvNS0_6detail10TensorInfoIT0_T2_EENSE_IT1_SG_EESG_T_,comdat
.Lfunc_end61:
	.size	_ZN2at4cuda12_GLOBAL__N_121kernelPointwiseApply2IZN12_GLOBAL__N_119poisson_cuda_kernelIdEEvRKNS_10TensorBaseES7_NS_15PhiloxCudaStateEEUlRdRKdE_ddjLi2ELi2ELi1ELi512ELi2EEEvNS0_6detail10TensorInfoIT0_T2_EENSE_IT1_SG_EESG_T_, .Lfunc_end61-_ZN2at4cuda12_GLOBAL__N_121kernelPointwiseApply2IZN12_GLOBAL__N_119poisson_cuda_kernelIdEEvRKNS_10TensorBaseES7_NS_15PhiloxCudaStateEEUlRdRKdE_ddjLi2ELi2ELi1ELi512ELi2EEEvNS0_6detail10TensorInfoIT0_T2_EENSE_IT1_SG_EESG_T_
                                        ; -- End function
	.section	.AMDGPU.csdata,"",@progbits
; Kernel info:
; codeLenInByte = 13660
; NumSgprs: 100
; NumVgprs: 137
; NumAgprs: 0
; TotalNumVgprs: 137
; ScratchSize: 0
; MemoryBound: 0
; FloatMode: 240
; IeeeMode: 1
; LDSByteSize: 0 bytes/workgroup (compile time only)
; SGPRBlocks: 12
; VGPRBlocks: 17
; NumSGPRsForWavesPerEU: 100
; NumVGPRsForWavesPerEU: 137
; AccumOffset: 140
; Occupancy: 3
; WaveLimiterHint : 1
; COMPUTE_PGM_RSRC2:SCRATCH_EN: 0
; COMPUTE_PGM_RSRC2:USER_SGPR: 6
; COMPUTE_PGM_RSRC2:TRAP_HANDLER: 0
; COMPUTE_PGM_RSRC2:TGID_X_EN: 1
; COMPUTE_PGM_RSRC2:TGID_Y_EN: 0
; COMPUTE_PGM_RSRC2:TGID_Z_EN: 0
; COMPUTE_PGM_RSRC2:TIDIG_COMP_CNT: 0
; COMPUTE_PGM_RSRC3_GFX90A:ACCUM_OFFSET: 34
; COMPUTE_PGM_RSRC3_GFX90A:TG_SPLIT: 0
	.section	.text._ZN2at4cuda12_GLOBAL__N_121kernelPointwiseApply2IZN12_GLOBAL__N_119poisson_cuda_kernelIdEEvRKNS_10TensorBaseES7_NS_15PhiloxCudaStateEEUlRdRKdE_ddjLi2ELin1ELi1ELi512ELi2EEEvNS0_6detail10TensorInfoIT0_T2_EENSE_IT1_SG_EESG_T_,"axG",@progbits,_ZN2at4cuda12_GLOBAL__N_121kernelPointwiseApply2IZN12_GLOBAL__N_119poisson_cuda_kernelIdEEvRKNS_10TensorBaseES7_NS_15PhiloxCudaStateEEUlRdRKdE_ddjLi2ELin1ELi1ELi512ELi2EEEvNS0_6detail10TensorInfoIT0_T2_EENSE_IT1_SG_EESG_T_,comdat
	.globl	_ZN2at4cuda12_GLOBAL__N_121kernelPointwiseApply2IZN12_GLOBAL__N_119poisson_cuda_kernelIdEEvRKNS_10TensorBaseES7_NS_15PhiloxCudaStateEEUlRdRKdE_ddjLi2ELin1ELi1ELi512ELi2EEEvNS0_6detail10TensorInfoIT0_T2_EENSE_IT1_SG_EESG_T_ ; -- Begin function _ZN2at4cuda12_GLOBAL__N_121kernelPointwiseApply2IZN12_GLOBAL__N_119poisson_cuda_kernelIdEEvRKNS_10TensorBaseES7_NS_15PhiloxCudaStateEEUlRdRKdE_ddjLi2ELin1ELi1ELi512ELi2EEEvNS0_6detail10TensorInfoIT0_T2_EENSE_IT1_SG_EESG_T_
	.p2align	8
	.type	_ZN2at4cuda12_GLOBAL__N_121kernelPointwiseApply2IZN12_GLOBAL__N_119poisson_cuda_kernelIdEEvRKNS_10TensorBaseES7_NS_15PhiloxCudaStateEEUlRdRKdE_ddjLi2ELin1ELi1ELi512ELi2EEEvNS0_6detail10TensorInfoIT0_T2_EENSE_IT1_SG_EESG_T_,@function
_ZN2at4cuda12_GLOBAL__N_121kernelPointwiseApply2IZN12_GLOBAL__N_119poisson_cuda_kernelIdEEvRKNS_10TensorBaseES7_NS_15PhiloxCudaStateEEUlRdRKdE_ddjLi2ELin1ELi1ELi512ELi2EEEvNS0_6detail10TensorInfoIT0_T2_EENSE_IT1_SG_EESG_T_: ; @_ZN2at4cuda12_GLOBAL__N_121kernelPointwiseApply2IZN12_GLOBAL__N_119poisson_cuda_kernelIdEEvRKNS_10TensorBaseES7_NS_15PhiloxCudaStateEEUlRdRKdE_ddjLi2ELin1ELi1ELi512ELi2EEEvNS0_6detail10TensorInfoIT0_T2_EENSE_IT1_SG_EESG_T_
; %bb.0:
	s_load_dword s2, s[4:5], 0x1e4
	s_load_dword s33, s[4:5], 0x1b0
	s_add_u32 s0, s4, 0x1d8
	s_addc_u32 s1, s5, 0
	s_waitcnt lgkmcnt(0)
	s_and_b32 s2, s2, 0xffff
	s_mul_i32 s6, s6, s2
	v_add_u32_e32 v17, s6, v0
	v_cmp_gt_u32_e32 vcc, s33, v17
	s_and_saveexec_b64 s[6:7], vcc
	s_cbranch_execz .LBB62_52
; %bb.1:
	s_load_dwordx2 s[18:19], s[4:5], 0x1c8
	s_load_dwordx4 s[8:11], s[4:5], 0x1b8
                                        ; implicit-def: $vgpr134 : SGPR spill to VGPR lane
	s_load_dword s7, s[4:5], 0x1a8
	s_load_dwordx2 s[68:69], s[4:5], 0xd8
	s_add_u32 s6, s4, 0xd8
                                        ; kill: killed $sgpr4 killed $sgpr5
	s_mov_b32 s30, 0
	s_waitcnt lgkmcnt(0)
	v_writelane_b32 v134, s8, 0
	v_writelane_b32 v134, s9, 1
	;; [unrolled: 1-line block ×4, first 2 shown]
	s_load_dword s11, s[0:1], 0x0
	s_load_dword s3, s[4:5], 0x1d0
	;; [unrolled: 1-line block ×3, first 2 shown]
	s_addc_u32 s10, s5, 0
	s_load_dwordx2 s[0:1], s[4:5], 0x0
	s_cmp_gt_i32 s7, 1
	s_mov_b32 s9, 0xcd9e8d57
	s_mov_b32 s38, 0x55555555
	;; [unrolled: 1-line block ×3, first 2 shown]
	s_waitcnt lgkmcnt(0)
	v_writelane_b32 v134, s0, 4
	v_writelane_b32 v134, s1, 5
	s_load_dword s8, s[4:5], 0xc
	s_load_dwordx2 s[0:1], s[4:5], 0x6c
	s_mov_b32 s42, 0xbf559e2b
	s_mov_b32 s44, 0xd7f4df2e
	s_mov_b32 s46, 0x16291751
	s_waitcnt lgkmcnt(0)
	v_cvt_f32_u32_e32 v0, s8
	v_writelane_b32 v134, s0, 6
	v_writelane_b32 v134, s1, 7
	s_cselect_b64 s[0:1], -1, 0
	v_rcp_iflag_f32_e32 v0, v0
	v_writelane_b32 v134, s0, 8
	v_writelane_b32 v134, s1, 9
	s_getpc_b64 s[0:1]
	s_add_u32 s0, s0, .str@rel32@lo+4
	s_addc_u32 s1, s1, .str@rel32@hi+12
	s_cmp_eq_u64 s[0:1], 0
	s_cselect_b64 s[0:1], -1, 0
	s_bitcmp1_b32 s3, 0
	v_mul_f32_e32 v0, 0x4f7ffffe, v0
	s_cselect_b64 s[4:5], -1, 0
	v_cvt_u32_f32_e32 v0, v0
	v_writelane_b32 v134, s4, 10
	v_writelane_b32 v134, s5, 11
	v_mad_u64_u32 v[12:13], s[4:5], v17, s9, 0
	s_mul_i32 s4, s11, s2
	s_sub_i32 s2, 0, s8
	v_mul_lo_u32 v1, s2, v0
	s_add_i32 s2, s7, 1
	s_mov_b32 s3, 0
	v_writelane_b32 v134, s2, 12
	s_add_i32 s2, s7, -1
	s_lshl_b64 s[2:3], s[2:3], 2
	s_add_u32 s2, s2, s6
	s_addc_u32 s3, s3, s10
	s_add_u32 s2, s2, 8
	s_addc_u32 s3, s3, 0
	v_writelane_b32 v134, s2, 13
	v_writelane_b32 v134, s3, 14
	s_xor_b64 s[0:1], s[0:1], -1
	v_writelane_b32 v134, s0, 15
	v_mul_hi_u32 v1, v0, v1
	s_mov_b32 s48, 0x9b27acf1
	s_mov_b32 s50, 0x998ef7b6
	;; [unrolled: 1-line block ×6, first 2 shown]
	v_writelane_b32 v134, s1, 16
	s_mov_b32 s70, 0
	s_mov_b32 s72, 0
	;; [unrolled: 1-line block ×14, first 2 shown]
	s_movk_i32 s24, 0xf950
	s_mov_b32 s26, 0xc864beb5
	s_mov_b32 s34, 0
	;; [unrolled: 1-line block ×3, first 2 shown]
	s_mov_b64 s[16:17], 0
	v_mov_b32_e32 v14, 0
	v_mov_b32_e32 v16, v13
	v_add_u32_e32 v13, v0, v1
	s_mov_b32 s10, 0xd2511f53
	s_mov_b32 s31, 0x40080000
	;; [unrolled: 1-line block ×12, first 2 shown]
	s_movk_i32 s11, 0x204
	s_mov_b32 s61, 0x3ff71547
	s_mov_b32 s63, 0xbfe62e42
	;; [unrolled: 1-line block ×4, first 2 shown]
	v_mov_b32_e32 v18, 0x6b47b09a
	v_mov_b32_e32 v20, 0xd7f4df2e
	;; [unrolled: 1-line block ×27, first 2 shown]
	s_mov_b32 s69, s4
	v_mov_b32_e32 v89, 0x260
	v_mov_b32_e32 v90, 0xffffff80
	;; [unrolled: 1-line block ×33, first 2 shown]
	s_mov_b32 s71, 0x40900000
	s_mov_b32 s73, 0xc090cc00
	s_mov_b32 s75, 0x40200000
	s_mov_b32 s77, 0x3e843550
	s_mov_b32 s79, 0x401c0000
	s_mov_b32 s81, 0x3ee4f051
	s_mov_b32 s83, 0x40180000
	s_mov_b32 s85, 0xbfc1bcb2
	s_mov_b32 s87, 0x40140000
	s_mov_b32 s89, 0x402903c2
	s_mov_b32 s91, 0xc06613ae
	s_mov_b32 s93, 0x40881a96
	s_mov_b32 s95, 0xc093ac8e
	s_mov_b32 s29, 0x40852429
	s_mov_b32 s25, 0x3fefffff
	s_mov_b32 s27, 0x3fed67f1
	s_mov_b32 s35, 0xc01c0000
	s_mov_b32 s3, 0x4005bf0a
	s_mov_b32 s23, 0xbff71547
	v_writelane_b32 v134, s18, 17
                                        ; implicit-def: $sgpr36_sgpr37
                                        ; implicit-def: $sgpr58_sgpr59
	v_writelane_b32 v134, s19, 18
	s_branch .LBB62_5
.LBB62_2:                               ;   in Loop: Header=BB62_5 Depth=1
	s_or_b64 exec, exec, s[0:1]
	s_mov_b32 s22, s13
.LBB62_3:                               ;   in Loop: Header=BB62_5 Depth=1
	s_or_b64 exec, exec, s[4:5]
	v_readlane_b32 s0, v134, 4
	v_lshlrev_b64 v[0:1], 3, v[70:71]
	v_readlane_b32 s1, v134, 5
	v_mov_b32_e32 v2, s1
	v_add_co_u32_e32 v0, vcc, s0, v0
	v_addc_co_u32_e32 v1, vcc, v2, v1, vcc
	v_add_u32_e32 v95, s69, v95
	v_cmp_le_u32_e32 vcc, s33, v95
	v_cvt_f64_u32_e32 v[2:3], v75
	s_andn2_b64 s[58:59], s[58:59], exec
	s_orn2_b64 s[0:1], vcc, exec
	global_store_dwordx2 v[0:1], v[2:3], off
.LBB62_4:                               ;   in Loop: Header=BB62_5 Depth=1
	s_or_b64 exec, exec, s[20:21]
	s_and_b64 s[0:1], exec, s[0:1]
	s_or_b64 s[16:17], s[0:1], s[16:17]
	s_andn2_b64 s[0:1], s[36:37], exec
	s_and_b64 s[4:5], s[58:59], exec
	s_or_b64 s[36:37], s[0:1], s[4:5]
	s_andn2_b64 exec, exec, s[16:17]
	s_cbranch_execz .LBB62_51
.LBB62_5:                               ; =>This Loop Header: Depth=1
                                        ;     Child Loop BB62_10 Depth 2
                                        ;     Child Loop BB62_18 Depth 2
	;; [unrolled: 1-line block ×3, first 2 shown]
	v_sub_u32_e32 v0, s33, v95
	v_cmp_lt_i32_e32 vcc, 0, v0
	v_pk_mov_b32 v[0:1], 0, 0
	v_pk_mov_b32 v[70:71], v[0:1], v[0:1] op_sel:[0,1]
	s_and_saveexec_b64 s[4:5], vcc
	s_cbranch_execz .LBB62_7
; %bb.6:                                ;   in Loop: Header=BB62_5 Depth=1
	v_mul_hi_u32 v2, v95, v13
	v_mul_lo_u32 v3, v2, s8
	v_sub_u32_e32 v3, v95, v3
	v_add_u32_e32 v4, 1, v2
	v_cmp_le_u32_e64 s[0:1], s8, v3
	v_cndmask_b32_e64 v2, v2, v4, s[0:1]
	v_subrev_u32_e32 v4, s8, v3
	v_cndmask_b32_e64 v3, v3, v4, s[0:1]
	v_add_u32_e32 v4, 1, v2
	v_cmp_le_u32_e64 s[0:1], s8, v3
	v_cndmask_b32_e64 v3, v2, v4, s[0:1]
	v_mul_lo_u32 v2, v3, s8
	v_readlane_b32 s0, v134, 6
	v_sub_u32_e32 v2, v95, v2
	v_readlane_b32 s1, v134, 7
	v_mul_lo_u32 v2, v2, s1
	v_mad_u64_u32 v[70:71], s[0:1], v3, s0, v[2:3]
	v_mov_b32_e32 v71, v14
.LBB62_7:                               ;   in Loop: Header=BB62_5 Depth=1
	s_or_b64 exec, exec, s[4:5]
	s_and_saveexec_b64 s[0:1], vcc
	s_cbranch_execz .LBB62_12
; %bb.8:                                ;   in Loop: Header=BB62_5 Depth=1
	v_readlane_b32 s4, v134, 8
	v_readlane_b32 s5, v134, 9
	s_andn2_b64 vcc, exec, s[4:5]
	v_mov_b32_e32 v0, 0
	v_mov_b32_e32 v2, v95
	s_cbranch_vccnz .LBB62_11
; %bb.9:                                ;   in Loop: Header=BB62_5 Depth=1
	v_readlane_b32 s4, v134, 13
	v_mov_b32_e32 v0, 0
	v_readlane_b32 s5, v134, 14
	v_readlane_b32 s6, v134, 12
	v_mov_b32_e32 v2, v95
.LBB62_10:                              ;   Parent Loop BB62_5 Depth=1
                                        ; =>  This Inner Loop Header: Depth=2
	s_load_dword s7, s[4:5], 0x0
	s_load_dword s12, s[4:5], 0x64
	v_mov_b32_e32 v1, v2
	s_add_i32 s6, s6, -1
	s_waitcnt lgkmcnt(0)
	v_cvt_f32_u32_e32 v2, s7
	s_sub_i32 s13, 0, s7
	s_add_u32 s4, s4, -4
	s_addc_u32 s5, s5, -1
	v_rcp_iflag_f32_e32 v2, v2
	s_cmp_gt_u32 s6, 2
	v_mul_f32_e32 v2, 0x4f7ffffe, v2
	v_cvt_u32_f32_e32 v2, v2
	v_mul_lo_u32 v3, s13, v2
	v_mul_hi_u32 v3, v2, v3
	v_add_u32_e32 v2, v2, v3
	v_mul_hi_u32 v2, v1, v2
	v_mul_lo_u32 v3, v2, s7
	v_sub_u32_e32 v3, v1, v3
	v_add_u32_e32 v4, 1, v2
	v_subrev_u32_e32 v5, s7, v3
	v_cmp_le_u32_e32 vcc, s7, v3
	v_cndmask_b32_e32 v2, v2, v4, vcc
	v_cndmask_b32_e32 v3, v3, v5, vcc
	v_add_u32_e32 v4, 1, v2
	v_cmp_le_u32_e32 vcc, s7, v3
	v_cndmask_b32_e32 v2, v2, v4, vcc
	v_mul_lo_u32 v3, v2, s7
	v_sub_u32_e32 v1, v1, v3
	v_mad_u64_u32 v[0:1], s[12:13], s12, v1, v[0:1]
	s_cbranch_scc1 .LBB62_10
.LBB62_11:                              ;   in Loop: Header=BB62_5 Depth=1
	v_mad_u64_u32 v[0:1], s[4:5], s22, v2, v[0:1]
	v_mov_b32_e32 v1, v14
.LBB62_12:                              ;   in Loop: Header=BB62_5 Depth=1
	s_or_b64 exec, exec, s[0:1]
	v_lshlrev_b64 v[0:1], 3, v[0:1]
	v_add_co_u32_e32 v0, vcc, s68, v0
	v_addc_co_u32_e32 v1, vcc, v88, v1, vcc
	global_load_dwordx2 v[4:5], v[0:1], off
	v_readlane_b32 s4, v134, 15
	v_readlane_b32 s5, v134, 16
	s_mov_b64 s[0:1], -1
	s_or_b64 s[58:59], s[58:59], exec
	s_waitcnt vmcnt(0)
	v_cmp_le_f64_e32 vcc, 0, v[4:5]
	s_and_b64 s[4:5], s[4:5], vcc
	s_and_saveexec_b64 s[20:21], s[4:5]
	s_cbranch_execz .LBB62_4
; %bb.13:                               ;   in Loop: Header=BB62_5 Depth=1
	v_readlane_b32 s0, v134, 10
	v_readlane_b32 s4, v134, 0
	;; [unrolled: 1-line block ×6, first 2 shown]
	s_andn2_b64 vcc, exec, s[0:1]
	v_pk_mov_b32 v[0:1], s[6:7], s[6:7] op_sel:[0,1]
	v_pk_mov_b32 v[72:73], s[4:5], s[4:5] op_sel:[0,1]
	s_cbranch_vccnz .LBB62_15
; %bb.14:                               ;   in Loop: Header=BB62_5 Depth=1
	v_readlane_b32 s4, v134, 0
	v_readlane_b32 s6, v134, 2
	;; [unrolled: 1-line block ×3, first 2 shown]
	v_pk_mov_b32 v[0:1], s[6:7], s[6:7] op_sel:[0,1]
	v_readlane_b32 s5, v134, 1
	flat_load_dwordx2 v[0:1], v[0:1]
	v_pk_mov_b32 v[2:3], s[4:5], s[4:5] op_sel:[0,1]
	flat_load_dwordx2 v[72:73], v[2:3]
	v_mov_b32_e32 v2, s19
	s_waitcnt vmcnt(0) lgkmcnt(0)
	v_add_co_u32_e32 v0, vcc, s18, v0
	v_addc_co_u32_e32 v1, vcc, v1, v2, vcc
.LBB62_15:                              ;   in Loop: Header=BB62_5 Depth=1
	v_alignbit_b32 v97, v1, v0, 2
	v_and_b32_e32 v15, 3, v0
	v_lshrrev_b32_e32 v98, 2, v1
	v_mad_u64_u32 v[0:1], s[0:1], v97, s10, 0
	v_xor_b32_e32 v3, v16, v72
	v_mov_b32_e32 v2, v73
	v_xor_b32_e32 v1, v1, v73
	s_mov_b32 s0, 0xbb67ae85
	v_xor_b32_e32 v3, v3, v98
	v_add_co_u32_e32 v100, vcc, s0, v2
	v_mad_u64_u32 v[6:7], s[0:1], v3, s10, 0
	v_mad_u64_u32 v[8:9], s[0:1], v1, s9, 0
	v_add_co_u32_e32 v99, vcc, 0x9e3779b9, v72
	v_xor_b32_e32 v1, v12, v9
	v_xor_b32_e32 v3, v100, v7
	s_mov_b32 s0, 0x3c6ef372
	v_xor_b32_e32 v1, v1, v99
	v_xor_b32_e32 v3, v3, v0
	v_add_co_u32_e32 v101, vcc, s0, v72
	s_mov_b32 s0, 0x76cf5d0a
	v_add_co_u32_e32 v102, vcc, s0, v2
	v_mad_u64_u32 v[0:1], s[0:1], v1, s10, 0
	v_mad_u64_u32 v[10:11], s[0:1], v3, s9, 0
	v_xor_b32_e32 v3, v101, v11
	v_xor_b32_e32 v1, v102, v1
	s_mov_b32 s0, 0xdaa66d2b
	v_xor_b32_e32 v3, v3, v8
	v_xor_b32_e32 v1, v1, v6
	v_add_co_u32_e32 v104, vcc, s0, v72
	s_mov_b32 s0, 0x32370b8f
	v_add_co_u32_e32 v105, vcc, s0, v2
	v_mad_u64_u32 v[6:7], s[0:1], v3, s10, 0
	v_mad_u64_u32 v[8:9], s[0:1], v1, s9, 0
	;; [unrolled: 10-line block ×7, first 2 shown]
	v_xor_b32_e32 v1, v103, v1
	v_xor_b32_e32 v3, v115, v3
	;; [unrolled: 1-line block ×4, first 2 shown]
	v_mad_u64_u32 v[6:7], s[0:1], v1, s10, 0
	v_mad_u64_u32 v[8:9], s[0:1], v8, s9, 0
	s_mov_b32 s0, 0
	v_add_u32_e32 v106, 0x8ff34781, v72
	v_add_u32_e32 v96, 0x96a522ad, v73
	v_xor_b32_e32 v0, v9, v0
	v_xor_b32_e32 v2, v7, v2
	s_mov_b32 s1, 0x40500000
	v_mov_b32_e32 v3, v6
	v_mov_b32_e32 v1, v8
	v_xor_b32_e32 v0, v106, v0
	v_xor_b32_e32 v2, v96, v2
	v_cmp_ngt_f64_e32 vcc, s[0:1], v[4:5]
                                        ; implicit-def: $vgpr75
	s_and_saveexec_b64 s[0:1], vcc
	s_xor_b64 s[6:7], exec, s[0:1]
	s_cbranch_execz .LBB62_44
; %bb.16:                               ;   in Loop: Header=BB62_5 Depth=1
	s_mov_b32 s0, 0
	s_mov_b32 s1, 0x40af4000
	v_cmp_ge_f64_e32 vcc, s[0:1], v[4:5]
                                        ; implicit-def: $vgpr75
	s_and_saveexec_b64 s[0:1], vcc
	s_xor_b64 s[12:13], exec, s[0:1]
	s_cbranch_execz .LBB62_31
; %bb.17:                               ;   in Loop: Header=BB62_5 Depth=1
	s_mov_b32 s4, 0xae147ae1
	s_mov_b32 s5, 0xc00ae147
	v_div_scale_f64 v[6:7], s[0:1], v[4:5], v[4:5], s[4:5]
	v_rcp_f64_e32 v[8:9], v[6:7]
	s_mov_b32 s0, 0
	v_mul_f64 v[76:77], v[4:5], s[30:31]
	s_brev_b32 s1, 8
	v_cmp_gt_f64_e64 s[0:1], s[0:1], v[76:77]
	v_cndmask_b32_e64 v78, 0, 1, s[0:1]
	v_fma_f64 v[74:75], -v[6:7], v[8:9], 1.0
	v_lshlrev_b32_e32 v78, 8, v78
	v_fmac_f64_e32 v[8:9], v[8:9], v[74:75]
	v_ldexp_f64 v[76:77], v[76:77], v78
	v_fma_f64 v[74:75], -v[6:7], v[8:9], 1.0
	v_rsq_f64_e32 v[78:79], v[76:77]
	v_div_scale_f64 v[10:11], vcc, s[4:5], v[4:5], s[4:5]
	v_fmac_f64_e32 v[8:9], v[8:9], v[74:75]
	v_mul_f64 v[74:75], v[10:11], v[8:9]
	v_fma_f64 v[6:7], -v[6:7], v[74:75], v[10:11]
	s_nop 0
	v_div_fmas_f64 v[6:7], v[6:7], v[8:9], v[74:75]
	v_mul_f64 v[8:9], v[76:77], v[78:79]
	v_mul_f64 v[10:11], v[78:79], 0.5
	v_fma_f64 v[74:75], -v[10:11], v[8:9], 0.5
	v_fmac_f64_e32 v[8:9], v[8:9], v[74:75]
	v_fma_f64 v[78:79], -v[8:9], v[8:9], v[76:77]
	v_fmac_f64_e32 v[10:11], v[10:11], v[74:75]
	v_fmac_f64_e32 v[8:9], v[78:79], v[10:11]
	v_fma_f64 v[74:75], -v[8:9], v[8:9], v[76:77]
	v_fmac_f64_e32 v[8:9], v[74:75], v[10:11]
	v_cndmask_b32_e64 v10, 0, v90, s[0:1]
	v_ldexp_f64 v[8:9], v[8:9], v10
	v_cmp_class_f64_e32 vcc, v[76:77], v89
	s_mov_b32 s14, 0x54442d18
	v_cndmask_b32_e32 v9, v9, v77, vcc
	v_cndmask_b32_e32 v8, v8, v76, vcc
	s_mov_b32 s15, 0x400921fb
	v_div_scale_f64 v[10:11], s[0:1], v[8:9], v[8:9], s[14:15]
	v_rcp_f64_e32 v[76:77], v[10:11]
	s_mov_b32 s0, 0x95810625
	v_div_fixup_f64 v[6:7], v[6:7], v[4:5], s[4:5]
	s_mov_b32 s1, 0x3fe88b43
	v_fma_f64 v[78:79], -v[10:11], v[76:77], 1.0
	v_fmac_f64_e32 v[76:77], v[76:77], v[78:79]
	v_fma_f64 v[78:79], -v[10:11], v[76:77], 1.0
	v_fmac_f64_e32 v[76:77], v[76:77], v[78:79]
	v_div_scale_f64 v[78:79], vcc, s[14:15], v[8:9], s[14:15]
	v_mul_f64 v[80:81], v[78:79], v[76:77]
	v_fma_f64 v[10:11], -v[10:11], v[80:81], v[78:79]
	v_add_f64 v[6:7], v[6:7], s[0:1]
	s_nop 0
	v_div_fmas_f64 v[10:11], v[10:11], v[76:77], v[80:81]
	v_div_fixup_f64 v[76:77], v[10:11], v[8:9], s[14:15]
	v_frexp_mant_f64_e32 v[8:9], v[6:7]
	v_cmp_gt_f64_e32 vcc, s[38:39], v[8:9]
	v_mov_b32_e32 v74, 0
	v_cndmask_b32_e64 v75, v91, 2.0, vcc
	v_frexp_exp_i32_f64_e32 v10, v[6:7]
	v_mul_f64 v[8:9], v[8:9], v[74:75]
	v_subbrev_co_u32_e32 v75, vcc, 0, v10, vcc
	v_add_f64 v[10:11], v[8:9], 1.0
	v_rcp_f64_e32 v[80:81], v[10:11]
	v_add_f64 v[84:85], v[10:11], -1.0
	v_add_f64 v[82:83], v[8:9], -1.0
	v_add_f64 v[8:9], v[8:9], -v[84:85]
	v_fma_f64 v[84:85], -v[10:11], v[80:81], 1.0
	v_fmac_f64_e32 v[80:81], v[84:85], v[80:81]
	v_fma_f64 v[84:85], -v[10:11], v[80:81], 1.0
	v_fmac_f64_e32 v[80:81], v[84:85], v[80:81]
	v_mul_f64 v[84:85], v[82:83], v[80:81]
	v_mul_f64 v[86:87], v[10:11], v[84:85]
	v_fma_f64 v[10:11], v[84:85], v[10:11], -v[86:87]
	v_fmac_f64_e32 v[10:11], v[84:85], v[8:9]
	v_add_f64 v[8:9], v[86:87], v[10:11]
	v_add_f64 v[116:117], v[82:83], -v[8:9]
	v_add_f64 v[86:87], v[8:9], -v[86:87]
	;; [unrolled: 1-line block ×5, first 2 shown]
	v_add_f64 v[8:9], v[10:11], v[8:9]
	v_add_f64 v[8:9], v[116:117], v[8:9]
	v_mul_f64 v[8:9], v[80:81], v[8:9]
	v_add_f64 v[10:11], v[84:85], v[8:9]
	v_add_f64 v[80:81], v[10:11], -v[84:85]
	v_add_f64 v[8:9], v[8:9], -v[80:81]
	v_mul_f64 v[80:81], v[10:11], v[10:11]
	v_pk_mov_b32 v[82:83], s[40:41], s[40:41] op_sel:[0,1]
	v_fma_f64 v[84:85], s[42:43], v[80:81], v[82:83]
	v_fma_f64 v[84:85], v[80:81], v[84:85], s[44:45]
	;; [unrolled: 1-line block ×5, first 2 shown]
	s_mov_b32 s53, s39
	v_fma_f64 v[84:85], v[80:81], v[84:85], s[52:53]
	v_ldexp_f64 v[86:87], v[10:11], 1
	v_mul_f64 v[10:11], v[10:11], v[80:81]
	v_mul_f64 v[10:11], v[10:11], v[84:85]
	v_add_f64 v[80:81], v[86:87], v[10:11]
	v_add_f64 v[84:85], v[80:81], -v[86:87]
	v_ldexp_f64 v[8:9], v[8:9], 1
	v_add_f64 v[10:11], v[10:11], -v[84:85]
	v_add_f64 v[8:9], v[8:9], v[10:11]
	v_add_f64 v[10:11], v[80:81], v[8:9]
	v_add_f64 v[80:81], v[10:11], -v[80:81]
	v_add_f64 v[8:9], v[8:9], -v[80:81]
	v_cvt_f64_i32_e32 v[80:81], v75
	v_mul_f64 v[84:85], v[80:81], s[54:55]
	v_fma_f64 v[86:87], v[80:81], s[54:55], -v[84:85]
	v_fmac_f64_e32 v[86:87], s[56:57], v[80:81]
	v_add_f64 v[80:81], v[84:85], v[86:87]
	v_add_f64 v[84:85], v[80:81], -v[84:85]
	v_add_f64 v[84:85], v[86:87], -v[84:85]
	v_add_f64 v[86:87], v[80:81], v[10:11]
	v_add_f64 v[116:117], v[86:87], -v[80:81]
	v_add_f64 v[118:119], v[86:87], -v[116:117]
	;; [unrolled: 1-line block ×4, first 2 shown]
	v_add_f64 v[10:11], v[10:11], v[80:81]
	v_add_f64 v[80:81], v[84:85], v[8:9]
	v_add_f64 v[116:117], v[80:81], -v[84:85]
	v_add_f64 v[118:119], v[80:81], -v[116:117]
	v_add_f64 v[10:11], v[80:81], v[10:11]
	v_add_f64 v[84:85], v[84:85], -v[118:119]
	v_add_f64 v[8:9], v[8:9], -v[116:117]
	v_add_f64 v[80:81], v[86:87], v[10:11]
	v_add_f64 v[8:9], v[8:9], v[84:85]
	v_add_f64 v[84:85], v[80:81], -v[86:87]
	v_add_f64 v[10:11], v[10:11], -v[84:85]
	v_add_f64 v[8:9], v[8:9], v[10:11]
	v_add_f64 v[8:9], v[80:81], v[8:9]
	v_cmp_class_f64_e64 vcc, v[6:7], s11
	v_cndmask_b32_e32 v8, v8, v6, vcc
	v_cndmask_b32_e32 v9, v9, v7, vcc
	v_cmp_ngt_f64_e32 vcc, 0, v[6:7]
	v_cndmask_b32_e32 v9, v92, v9, vcc
	v_cmp_nge_f64_e32 vcc, 0, v[6:7]
	v_cndmask_b32_e32 v8, 0, v8, vcc
	v_cmp_neq_f64_e32 vcc, 0, v[6:7]
	v_cndmask_b32_e32 v9, v93, v9, vcc
	v_add_f64 v[6:7], v[8:9], -v[4:5]
	v_frexp_mant_f64_e32 v[8:9], v[76:77]
	v_cmp_gt_f64_e32 vcc, s[38:39], v[8:9]
	v_cndmask_b32_e64 v75, v91, 2.0, vcc
	v_frexp_exp_i32_f64_e32 v10, v[76:77]
	v_mul_f64 v[8:9], v[8:9], v[74:75]
	v_subbrev_co_u32_e32 v75, vcc, 0, v10, vcc
	v_add_f64 v[10:11], v[8:9], 1.0
	v_rcp_f64_e32 v[80:81], v[10:11]
	v_add_f64 v[86:87], v[10:11], -1.0
	v_add_f64 v[84:85], v[8:9], -1.0
	v_add_f64 v[8:9], v[8:9], -v[86:87]
	v_fma_f64 v[86:87], -v[10:11], v[80:81], 1.0
	v_fmac_f64_e32 v[80:81], v[86:87], v[80:81]
	v_fma_f64 v[86:87], -v[10:11], v[80:81], 1.0
	v_fmac_f64_e32 v[80:81], v[86:87], v[80:81]
	v_mul_f64 v[86:87], v[84:85], v[80:81]
	v_mul_f64 v[116:117], v[10:11], v[86:87]
	v_fma_f64 v[10:11], v[86:87], v[10:11], -v[116:117]
	v_fmac_f64_e32 v[10:11], v[86:87], v[8:9]
	v_add_f64 v[8:9], v[116:117], v[10:11]
	v_add_f64 v[118:119], v[84:85], -v[8:9]
	v_add_f64 v[116:117], v[8:9], -v[116:117]
	v_add_f64 v[84:85], v[84:85], -v[118:119]
	v_add_f64 v[8:9], v[84:85], -v[8:9]
	v_add_f64 v[10:11], v[116:117], -v[10:11]
	v_add_f64 v[8:9], v[10:11], v[8:9]
	v_add_f64 v[8:9], v[118:119], v[8:9]
	v_mul_f64 v[8:9], v[80:81], v[8:9]
	v_add_f64 v[10:11], v[86:87], v[8:9]
	v_add_f64 v[80:81], v[10:11], -v[86:87]
	v_add_f64 v[8:9], v[8:9], -v[80:81]
	v_mul_f64 v[80:81], v[10:11], v[10:11]
	v_fma_f64 v[84:85], s[42:43], v[80:81], v[82:83]
	v_fma_f64 v[84:85], v[80:81], v[84:85], s[44:45]
	;; [unrolled: 1-line block ×6, first 2 shown]
	v_ldexp_f64 v[86:87], v[10:11], 1
	v_mul_f64 v[10:11], v[10:11], v[80:81]
	v_mul_f64 v[10:11], v[10:11], v[84:85]
	v_add_f64 v[80:81], v[86:87], v[10:11]
	v_add_f64 v[84:85], v[80:81], -v[86:87]
	v_ldexp_f64 v[8:9], v[8:9], 1
	v_add_f64 v[10:11], v[10:11], -v[84:85]
	v_add_f64 v[8:9], v[8:9], v[10:11]
	v_add_f64 v[10:11], v[80:81], v[8:9]
	v_add_f64 v[80:81], v[10:11], -v[80:81]
	v_add_f64 v[8:9], v[8:9], -v[80:81]
	v_cvt_f64_i32_e32 v[80:81], v75
	v_mul_f64 v[84:85], v[80:81], s[54:55]
	v_fma_f64 v[86:87], v[80:81], s[54:55], -v[84:85]
	v_fmac_f64_e32 v[86:87], s[56:57], v[80:81]
	v_add_f64 v[80:81], v[84:85], v[86:87]
	v_add_f64 v[84:85], v[80:81], -v[84:85]
	v_add_f64 v[84:85], v[86:87], -v[84:85]
	v_add_f64 v[86:87], v[80:81], v[10:11]
	v_add_f64 v[116:117], v[86:87], -v[80:81]
	v_add_f64 v[118:119], v[86:87], -v[116:117]
	;; [unrolled: 1-line block ×4, first 2 shown]
	v_add_f64 v[10:11], v[10:11], v[80:81]
	v_add_f64 v[80:81], v[84:85], v[8:9]
	v_add_f64 v[116:117], v[80:81], -v[84:85]
	v_add_f64 v[118:119], v[80:81], -v[116:117]
	v_add_f64 v[10:11], v[80:81], v[10:11]
	v_add_f64 v[84:85], v[84:85], -v[118:119]
	v_add_f64 v[8:9], v[8:9], -v[116:117]
	v_add_f64 v[80:81], v[86:87], v[10:11]
	v_add_f64 v[8:9], v[8:9], v[84:85]
	v_add_f64 v[84:85], v[80:81], -v[86:87]
	v_add_f64 v[10:11], v[10:11], -v[84:85]
	s_mov_b32 s0, 0
	v_add_f64 v[8:9], v[8:9], v[10:11]
	s_mov_b32 s1, 0x7ff00000
	v_add_f64 v[8:9], v[80:81], v[8:9]
	v_cmp_eq_f64_e32 vcc, s[0:1], v[76:77]
	v_cndmask_b32_e32 v8, v8, v76, vcc
	v_cndmask_b32_e32 v9, v9, v77, vcc
	v_cmp_neq_f64_e32 vcc, 0, v[76:77]
	v_cndmask_b32_e32 v9, v93, v9, vcc
	v_cndmask_b32_e32 v8, 0, v8, vcc
	v_mul_f64 v[78:79], v[4:5], v[76:77]
	v_add_f64 v[80:81], v[6:7], -v[8:9]
	v_frexp_exp_i32_f64_e32 v6, v[4:5]
	v_frexp_mant_f64_e32 v[4:5], v[4:5]
	v_cmp_gt_f64_e32 vcc, s[38:39], v[4:5]
	v_cndmask_b32_e64 v75, v91, 2.0, vcc
	v_mul_f64 v[4:5], v[4:5], v[74:75]
	v_subbrev_co_u32_e32 v75, vcc, 0, v6, vcc
	v_add_f64 v[6:7], v[4:5], 1.0
	v_rcp_f64_e32 v[8:9], v[6:7]
	v_add_f64 v[84:85], v[6:7], -1.0
	v_add_f64 v[10:11], v[4:5], -1.0
	v_add_f64 v[4:5], v[4:5], -v[84:85]
	v_fma_f64 v[84:85], -v[6:7], v[8:9], 1.0
	v_fmac_f64_e32 v[8:9], v[84:85], v[8:9]
	v_fma_f64 v[84:85], -v[6:7], v[8:9], 1.0
	v_fmac_f64_e32 v[8:9], v[84:85], v[8:9]
	v_mul_f64 v[84:85], v[10:11], v[8:9]
	v_mul_f64 v[86:87], v[6:7], v[84:85]
	v_fma_f64 v[6:7], v[84:85], v[6:7], -v[86:87]
	v_fmac_f64_e32 v[6:7], v[84:85], v[4:5]
	v_add_f64 v[4:5], v[86:87], v[6:7]
	v_add_f64 v[116:117], v[10:11], -v[4:5]
	v_add_f64 v[86:87], v[4:5], -v[86:87]
	;; [unrolled: 1-line block ×5, first 2 shown]
	v_add_f64 v[4:5], v[6:7], v[4:5]
	v_add_f64 v[4:5], v[116:117], v[4:5]
	v_mul_f64 v[4:5], v[8:9], v[4:5]
	v_add_f64 v[6:7], v[84:85], v[4:5]
	v_add_f64 v[8:9], v[6:7], -v[84:85]
	v_add_f64 v[4:5], v[4:5], -v[8:9]
	v_mul_f64 v[8:9], v[6:7], v[6:7]
	v_fmac_f64_e32 v[82:83], s[42:43], v[8:9]
	v_fma_f64 v[10:11], v[8:9], v[82:83], s[44:45]
	v_fma_f64 v[10:11], v[8:9], v[10:11], s[46:47]
	;; [unrolled: 1-line block ×5, first 2 shown]
	v_ldexp_f64 v[82:83], v[6:7], 1
	v_mul_f64 v[6:7], v[6:7], v[8:9]
	v_mul_f64 v[6:7], v[6:7], v[10:11]
	v_add_f64 v[8:9], v[82:83], v[6:7]
	v_add_f64 v[10:11], v[8:9], -v[82:83]
	v_ldexp_f64 v[4:5], v[4:5], 1
	v_add_f64 v[6:7], v[6:7], -v[10:11]
	v_add_f64 v[4:5], v[4:5], v[6:7]
	v_add_f64 v[6:7], v[8:9], v[4:5]
	v_add_f64 v[8:9], v[6:7], -v[8:9]
	v_add_f64 v[4:5], v[4:5], -v[8:9]
	v_cvt_f64_i32_e32 v[8:9], v75
	v_mul_f64 v[10:11], v[8:9], s[54:55]
	v_fma_f64 v[82:83], v[8:9], s[54:55], -v[10:11]
	v_fmac_f64_e32 v[82:83], s[56:57], v[8:9]
	v_add_f64 v[8:9], v[10:11], v[82:83]
	v_add_f64 v[10:11], v[8:9], -v[10:11]
	v_add_f64 v[10:11], v[82:83], -v[10:11]
	v_add_f64 v[82:83], v[8:9], v[6:7]
	v_add_f64 v[84:85], v[82:83], -v[8:9]
	v_add_f64 v[86:87], v[82:83], -v[84:85]
	;; [unrolled: 1-line block ×4, first 2 shown]
	v_add_f64 v[6:7], v[6:7], v[8:9]
	v_add_f64 v[8:9], v[10:11], v[4:5]
	v_add_f64 v[84:85], v[8:9], -v[10:11]
	v_add_f64 v[86:87], v[8:9], -v[84:85]
	v_add_f64 v[6:7], v[8:9], v[6:7]
	v_add_f64 v[10:11], v[10:11], -v[86:87]
	v_add_f64 v[4:5], v[4:5], -v[84:85]
	v_add_f64 v[8:9], v[82:83], v[6:7]
	v_add_f64 v[4:5], v[4:5], v[10:11]
	v_add_f64 v[10:11], v[8:9], -v[82:83]
	v_add_f64 v[6:7], v[6:7], -v[10:11]
	v_add_f64 v[4:5], v[4:5], v[6:7]
	v_add_f64 v[82:83], v[8:9], v[4:5]
	s_mov_b64 s[14:15], 0
	s_mov_b64 s[4:5], 0
	v_mov_b32_e32 v116, v17
                                        ; implicit-def: $vgpr75
.LBB62_18:                              ;   Parent Loop BB62_5 Depth=1
                                        ; =>  This Inner Loop Header: Depth=2
	v_add_u32_e32 v117, 1, v15
	v_pk_mov_b32 v[10:11], v[2:3], v[2:3] op_sel:[0,1]
	v_cmp_eq_u32_e32 vcc, 4, v117
	v_pk_mov_b32 v[8:9], v[0:1], v[0:1] op_sel:[0,1]
	v_mov_b32_e32 v87, v0
	v_mov_b32_e32 v86, v1
	;; [unrolled: 1-line block ×4, first 2 shown]
	s_and_saveexec_b64 s[0:1], vcc
	s_cbranch_execz .LBB62_20
; %bb.19:                               ;   in Loop: Header=BB62_18 Depth=2
	v_add_co_u32_e32 v97, vcc, 1, v97
	v_cndmask_b32_e64 v4, 0, 1, vcc
	v_addc_co_u32_e32 v98, vcc, 0, v98, vcc
	v_cmp_eq_u32_e32 vcc, 0, v98
	v_cndmask_b32_e32 v4, 0, v4, vcc
	v_add_u32_e32 v116, v4, v116
	v_cmp_eq_u32_e32 vcc, 0, v116
	v_cndmask_b32_e32 v4, 0, v4, vcc
	v_add_u32_e32 v74, v4, v74
	v_mad_u64_u32 v[4:5], s[18:19], v97, s10, 0
	v_mad_u64_u32 v[6:7], s[18:19], v116, s9, 0
	v_xor_b32_e32 v5, v5, v73
	v_xor_b32_e32 v7, v7, v72
	v_xor_b32_e32 v5, v74, v5
	v_xor_b32_e32 v7, v98, v7
	v_mad_u64_u32 v[10:11], s[18:19], v5, s9, 0
	v_mad_u64_u32 v[8:9], s[18:19], v7, s10, 0
	v_xor_b32_e32 v5, v99, v11
	v_xor_b32_e32 v5, v5, v6
	v_xor_b32_e32 v6, v100, v9
	v_xor_b32_e32 v6, v6, v4
	;; [unrolled: 6-line block ×10, first 2 shown]
	v_mov_b32_e32 v117, 0
	v_mov_b32_e32 v9, v86
	;; [unrolled: 1-line block ×5, first 2 shown]
.LBB62_20:                              ;   in Loop: Header=BB62_18 Depth=2
	s_or_b64 exec, exec, s[0:1]
	v_add_u32_e32 v118, 1, v117
	v_pk_mov_b32 v[4:5], v[8:9], v[8:9] op_sel:[0,1]
	v_cmp_eq_u32_e32 vcc, 4, v118
	v_pk_mov_b32 v[6:7], v[10:11], v[10:11] op_sel:[0,1]
	s_and_saveexec_b64 s[0:1], vcc
	s_cbranch_execz .LBB62_22
; %bb.21:                               ;   in Loop: Header=BB62_18 Depth=2
	v_add_co_u32_e32 v97, vcc, 1, v97
	v_cndmask_b32_e64 v4, 0, 1, vcc
	v_addc_co_u32_e32 v98, vcc, 0, v98, vcc
	v_cmp_eq_u32_e32 vcc, 0, v98
	v_cndmask_b32_e32 v4, 0, v4, vcc
	v_add_u32_e32 v116, v4, v116
	v_cmp_eq_u32_e32 vcc, 0, v116
	v_cndmask_b32_e32 v4, 0, v4, vcc
	v_add_u32_e32 v74, v4, v74
	v_mad_u64_u32 v[4:5], s[18:19], v97, s10, 0
	v_mad_u64_u32 v[6:7], s[18:19], v116, s9, 0
	v_xor_b32_e32 v5, v5, v73
	v_xor_b32_e32 v7, v7, v72
	v_xor_b32_e32 v5, v74, v5
	v_xor_b32_e32 v7, v98, v7
	v_mad_u64_u32 v[86:87], s[18:19], v5, s9, 0
	v_mad_u64_u32 v[84:85], s[18:19], v7, s10, 0
	v_xor_b32_e32 v5, v99, v87
	v_xor_b32_e32 v5, v5, v6
	v_xor_b32_e32 v6, v100, v85
	v_xor_b32_e32 v6, v6, v4
	;; [unrolled: 6-line block ×10, first 2 shown]
	v_mov_b32_e32 v118, 0
	v_mov_b32_e32 v5, v86
	;; [unrolled: 1-line block ×5, first 2 shown]
.LBB62_22:                              ;   in Loop: Header=BB62_18 Depth=2
	s_or_b64 exec, exec, s[0:1]
	v_cmp_eq_u32_e32 vcc, 1, v15
	v_cndmask_b32_e32 v0, v0, v1, vcc
	v_cmp_eq_u32_e32 vcc, 2, v15
	v_cndmask_b32_e32 v0, v0, v2, vcc
	v_cmp_eq_u32_e32 vcc, 3, v15
	v_cndmask_b32_e32 v2, v0, v3, vcc
	v_cmp_eq_u32_e32 vcc, 1, v117
	v_cndmask_b32_e32 v0, v8, v9, vcc
	v_cmp_eq_u32_e32 vcc, 2, v117
	v_cndmask_b32_e32 v0, v0, v10, vcc
	v_cmp_eq_u32_e32 vcc, 3, v117
	v_cndmask_b32_e32 v0, v0, v11, vcc
	v_lshrrev_b32_e32 v0, 11, v0
	v_cvt_f64_u32_e32 v[0:1], v0
	v_ldexp_f64 v[0:1], v[0:1], 32
	v_cvt_f64_u32_e32 v[2:3], v2
	v_add_f64 v[0:1], v[0:1], v[2:3]
	v_mov_b32_e32 v2, 0
	v_mov_b32_e32 v3, 0x3ca00000
	v_fmac_f64_e32 v[2:3], 0x3ca00000, v[0:1]
	v_add_f64 v[0:1], -v[2:3], 1.0
	v_div_scale_f64 v[8:9], s[0:1], v[2:3], v[2:3], v[0:1]
	v_rcp_f64_e32 v[10:11], v[8:9]
	v_mov_b32_e32 v119, 2
	v_fma_f64 v[120:121], -v[8:9], v[10:11], 1.0
	v_fmac_f64_e32 v[10:11], v[10:11], v[120:121]
	v_fma_f64 v[120:121], -v[8:9], v[10:11], 1.0
	v_fmac_f64_e32 v[10:11], v[10:11], v[120:121]
	v_div_scale_f64 v[120:121], vcc, v[0:1], v[2:3], v[0:1]
	v_mul_f64 v[122:123], v[120:121], v[10:11]
	v_fma_f64 v[8:9], -v[8:9], v[122:123], v[120:121]
	s_nop 1
	v_div_fmas_f64 v[8:9], v[8:9], v[10:11], v[122:123]
	v_div_fixup_f64 v[0:1], v[8:9], v[2:3], v[0:1]
	v_frexp_mant_f64_e32 v[2:3], v[0:1]
	v_cmp_gt_f64_e32 vcc, s[38:39], v[2:3]
	v_cndmask_b32_e64 v15, v91, 2.0, vcc
	v_frexp_exp_i32_f64_e32 v8, v[0:1]
	v_mul_f64 v[2:3], v[2:3], v[14:15]
	v_subbrev_co_u32_e32 v15, vcc, 0, v8, vcc
	v_add_f64 v[8:9], v[2:3], 1.0
	v_rcp_f64_e32 v[10:11], v[8:9]
	v_add_f64 v[122:123], v[8:9], -1.0
	v_add_f64 v[120:121], v[2:3], -1.0
	v_add_f64 v[2:3], v[2:3], -v[122:123]
	v_fma_f64 v[122:123], -v[8:9], v[10:11], 1.0
	v_fmac_f64_e32 v[10:11], v[122:123], v[10:11]
	v_fma_f64 v[122:123], -v[8:9], v[10:11], 1.0
	v_fmac_f64_e32 v[10:11], v[122:123], v[10:11]
	v_mul_f64 v[122:123], v[120:121], v[10:11]
	v_mul_f64 v[124:125], v[8:9], v[122:123]
	v_fma_f64 v[8:9], v[122:123], v[8:9], -v[124:125]
	v_fmac_f64_e32 v[8:9], v[122:123], v[2:3]
	v_add_f64 v[2:3], v[124:125], v[8:9]
	v_add_f64 v[126:127], v[120:121], -v[2:3]
	v_add_f64 v[124:125], v[2:3], -v[124:125]
	;; [unrolled: 1-line block ×5, first 2 shown]
	v_add_f64 v[2:3], v[8:9], v[2:3]
	v_add_f64 v[2:3], v[126:127], v[2:3]
	v_mul_f64 v[2:3], v[10:11], v[2:3]
	v_add_f64 v[8:9], v[122:123], v[2:3]
	v_add_f64 v[10:11], v[8:9], -v[122:123]
	v_add_f64 v[2:3], v[2:3], -v[10:11]
	v_mul_f64 v[10:11], v[8:9], v[8:9]
	v_pk_mov_b32 v[120:121], v[18:19], v[18:19] op_sel:[0,1]
	v_fmac_f64_e32 v[120:121], s[42:43], v[10:11]
	v_pk_mov_b32 v[122:123], v[20:21], v[20:21] op_sel:[0,1]
	v_fmac_f64_e32 v[122:123], v[10:11], v[120:121]
	;; [unrolled: 2-line block ×6, first 2 shown]
	v_ldexp_f64 v[120:121], v[8:9], 1
	v_mul_f64 v[8:9], v[8:9], v[10:11]
	v_mul_f64 v[8:9], v[8:9], v[122:123]
	v_add_f64 v[10:11], v[120:121], v[8:9]
	v_add_f64 v[120:121], v[10:11], -v[120:121]
	v_ldexp_f64 v[2:3], v[2:3], 1
	v_add_f64 v[8:9], v[8:9], -v[120:121]
	v_add_f64 v[2:3], v[2:3], v[8:9]
	v_add_f64 v[8:9], v[10:11], v[2:3]
	v_add_f64 v[10:11], v[8:9], -v[10:11]
	v_add_f64 v[2:3], v[2:3], -v[10:11]
	v_cvt_f64_i32_e32 v[10:11], v15
	v_mul_f64 v[120:121], v[10:11], s[54:55]
	v_fma_f64 v[122:123], v[10:11], s[54:55], -v[120:121]
	v_fmac_f64_e32 v[122:123], s[56:57], v[10:11]
	v_add_f64 v[10:11], v[120:121], v[122:123]
	v_add_f64 v[120:121], v[10:11], -v[120:121]
	v_add_f64 v[120:121], v[122:123], -v[120:121]
	v_add_f64 v[122:123], v[10:11], v[8:9]
	v_add_f64 v[124:125], v[122:123], -v[10:11]
	v_add_f64 v[126:127], v[122:123], -v[124:125]
	;; [unrolled: 1-line block ×4, first 2 shown]
	v_add_f64 v[8:9], v[8:9], v[10:11]
	v_add_f64 v[10:11], v[120:121], v[2:3]
	v_add_f64 v[124:125], v[10:11], -v[120:121]
	v_add_f64 v[126:127], v[10:11], -v[124:125]
	v_add_f64 v[8:9], v[10:11], v[8:9]
	v_add_f64 v[120:121], v[120:121], -v[126:127]
	v_add_f64 v[2:3], v[2:3], -v[124:125]
	v_add_f64 v[10:11], v[122:123], v[8:9]
	v_add_f64 v[2:3], v[2:3], v[120:121]
	v_add_f64 v[120:121], v[10:11], -v[122:123]
	v_add_f64 v[8:9], v[8:9], -v[120:121]
	v_add_f64 v[2:3], v[2:3], v[8:9]
	v_add_f64 v[2:3], v[10:11], v[2:3]
	v_cmp_class_f64_e64 vcc, v[0:1], s11
	v_cndmask_b32_e32 v2, v2, v0, vcc
	v_cndmask_b32_e32 v3, v3, v1, vcc
	v_cmp_ngt_f64_e32 vcc, 0, v[0:1]
	v_cndmask_b32_e32 v3, v92, v3, vcc
	v_cmp_nge_f64_e32 vcc, 0, v[0:1]
	v_cndmask_b32_e32 v2, 0, v2, vcc
	v_cmp_neq_f64_e32 vcc, 0, v[0:1]
	v_cndmask_b32_e32 v3, v93, v3, vcc
	v_add_f64 v[0:1], v[78:79], -v[2:3]
	v_div_scale_f64 v[2:3], s[0:1], v[76:77], v[76:77], v[0:1]
	v_rcp_f64_e32 v[8:9], v[2:3]
	v_fma_f64 v[10:11], -v[2:3], v[8:9], 1.0
	v_fmac_f64_e32 v[8:9], v[8:9], v[10:11]
	v_fma_f64 v[10:11], -v[2:3], v[8:9], 1.0
	v_fmac_f64_e32 v[8:9], v[8:9], v[10:11]
	v_div_scale_f64 v[10:11], vcc, v[0:1], v[76:77], v[0:1]
	v_mul_f64 v[120:121], v[10:11], v[8:9]
	v_fma_f64 v[2:3], -v[2:3], v[120:121], v[10:11]
	s_nop 1
	v_div_fmas_f64 v[2:3], v[2:3], v[8:9], v[120:121]
	v_div_fixup_f64 v[10:11], v[2:3], v[76:77], v[0:1]
	v_add_f64 v[0:1], v[10:11], 0.5
	v_floor_f64_e32 v[8:9], v[0:1]
	v_cmp_ngt_f64_e32 vcc, 0, v[8:9]
	s_and_saveexec_b64 s[18:19], vcc
	s_cbranch_execz .LBB62_28
; %bb.23:                               ;   in Loop: Header=BB62_18 Depth=2
	v_add_u32_e32 v15, 1, v118
	v_pk_mov_b32 v[0:1], v[4:5], v[4:5] op_sel:[0,1]
	v_cmp_eq_u32_e32 vcc, 4, v15
	v_pk_mov_b32 v[2:3], v[6:7], v[6:7] op_sel:[0,1]
	s_and_saveexec_b64 s[0:1], vcc
	s_cbranch_execz .LBB62_25
; %bb.24:                               ;   in Loop: Header=BB62_18 Depth=2
	v_add_co_u32_e32 v97, vcc, 1, v97
	v_cndmask_b32_e64 v0, 0, 1, vcc
	v_addc_co_u32_e32 v98, vcc, 0, v98, vcc
	v_cmp_eq_u32_e32 vcc, 0, v98
	v_cndmask_b32_e32 v0, 0, v0, vcc
	v_add_u32_e32 v116, v0, v116
	v_cmp_eq_u32_e32 vcc, 0, v116
	v_cndmask_b32_e32 v0, 0, v0, vcc
	v_add_u32_e32 v74, v0, v74
	v_mad_u64_u32 v[0:1], vcc, v97, s10, 0
	v_mad_u64_u32 v[2:3], vcc, v116, s9, 0
	v_xor_b32_e32 v1, v1, v73
	v_xor_b32_e32 v3, v3, v72
	v_xor_b32_e32 v1, v74, v1
	v_xor_b32_e32 v3, v98, v3
	v_mad_u64_u32 v[86:87], vcc, v1, s9, 0
	v_mad_u64_u32 v[84:85], vcc, v3, s10, 0
	v_xor_b32_e32 v1, v99, v87
	v_xor_b32_e32 v1, v1, v2
	v_xor_b32_e32 v2, v100, v85
	v_xor_b32_e32 v2, v2, v0
	v_mad_u64_u32 v[0:1], vcc, v1, s10, 0
	v_mad_u64_u32 v[2:3], vcc, v2, s9, 0
	v_xor_b32_e32 v1, v102, v1
	v_xor_b32_e32 v3, v101, v3
	v_xor_b32_e32 v1, v1, v84
	v_xor_b32_e32 v3, v3, v86
	v_mad_u64_u32 v[86:87], vcc, v1, s9, 0
	v_mad_u64_u32 v[84:85], vcc, v3, s10, 0
	v_xor_b32_e32 v1, v104, v87
	v_xor_b32_e32 v1, v1, v2
	v_xor_b32_e32 v2, v105, v85
	v_xor_b32_e32 v2, v2, v0
	v_mad_u64_u32 v[0:1], vcc, v1, s10, 0
	v_mad_u64_u32 v[2:3], vcc, v2, s9, 0
	v_xor_b32_e32 v1, v108, v1
	v_xor_b32_e32 v3, v107, v3
	v_xor_b32_e32 v1, v1, v84
	v_xor_b32_e32 v3, v3, v86
	v_mad_u64_u32 v[86:87], vcc, v1, s9, 0
	v_mad_u64_u32 v[84:85], vcc, v3, s10, 0
	v_xor_b32_e32 v1, v109, v87
	v_xor_b32_e32 v1, v1, v2
	v_xor_b32_e32 v2, v110, v85
	v_xor_b32_e32 v2, v2, v0
	v_mad_u64_u32 v[0:1], vcc, v1, s10, 0
	v_mad_u64_u32 v[2:3], vcc, v2, s9, 0
	v_xor_b32_e32 v1, v112, v1
	v_xor_b32_e32 v3, v111, v3
	v_xor_b32_e32 v1, v1, v84
	v_xor_b32_e32 v3, v3, v86
	v_mad_u64_u32 v[86:87], vcc, v1, s9, 0
	v_mad_u64_u32 v[84:85], vcc, v3, s10, 0
	v_xor_b32_e32 v1, v113, v87
	v_xor_b32_e32 v1, v1, v2
	v_xor_b32_e32 v2, v114, v85
	v_xor_b32_e32 v0, v2, v0
	v_mad_u64_u32 v[2:3], vcc, v1, s10, 0
	v_mad_u64_u32 v[0:1], vcc, v0, s9, 0
	v_xor_b32_e32 v1, v103, v1
	v_xor_b32_e32 v3, v115, v3
	v_xor_b32_e32 v1, v1, v86
	v_xor_b32_e32 v3, v3, v84
	v_mad_u64_u32 v[84:85], vcc, v1, s10, 0
	v_mad_u64_u32 v[86:87], vcc, v3, s9, 0
	v_xor_b32_e32 v0, v87, v0
	v_xor_b32_e32 v1, v85, v2
	v_xor_b32_e32 v0, v106, v0
	v_xor_b32_e32 v2, v96, v1
	v_mov_b32_e32 v15, 0
	v_mov_b32_e32 v1, v86
	;; [unrolled: 1-line block ×5, first 2 shown]
.LBB62_25:                              ;   in Loop: Header=BB62_18 Depth=2
	s_or_b64 exec, exec, s[0:1]
	v_add_u32_e32 v117, 1, v15
	v_cmp_eq_u32_e32 vcc, 4, v117
	s_and_saveexec_b64 s[0:1], vcc
	s_cbranch_execz .LBB62_27
; %bb.26:                               ;   in Loop: Header=BB62_18 Depth=2
	v_add_co_u32_e32 v97, vcc, 1, v97
	v_cndmask_b32_e64 v84, 0, 1, vcc
	v_addc_co_u32_e32 v98, vcc, 0, v98, vcc
	v_cmp_eq_u32_e32 vcc, 0, v98
	v_cndmask_b32_e32 v84, 0, v84, vcc
	v_add_u32_e32 v116, v84, v116
	v_cmp_eq_u32_e32 vcc, 0, v116
	v_cndmask_b32_e32 v84, 0, v84, vcc
	v_add_u32_e32 v74, v84, v74
	v_mad_u64_u32 v[84:85], vcc, v97, s10, 0
	v_mad_u64_u32 v[86:87], vcc, v116, s9, 0
	v_xor_b32_e32 v85, v85, v73
	v_xor_b32_e32 v87, v87, v72
	v_xor_b32_e32 v85, v74, v85
	v_xor_b32_e32 v87, v98, v87
	v_mad_u64_u32 v[122:123], vcc, v85, s9, 0
	v_mad_u64_u32 v[120:121], vcc, v87, s10, 0
	v_xor_b32_e32 v85, v99, v123
	v_xor_b32_e32 v85, v85, v86
	v_xor_b32_e32 v86, v100, v121
	v_xor_b32_e32 v86, v86, v84
	;; [unrolled: 6-line block ×9, first 2 shown]
	v_mad_u64_u32 v[84:85], vcc, v84, s10, 0
	v_mad_u64_u32 v[86:87], vcc, v86, s9, 0
	v_xor_b32_e32 v87, v87, v126
	v_xor_b32_e32 v85, v85, v124
	v_mov_b32_e32 v117, 0
	v_xor_b32_e32 v87, v106, v87
	v_xor_b32_e32 v85, v96, v85
.LBB62_27:                              ;   in Loop: Header=BB62_18 Depth=2
	s_or_b64 exec, exec, s[0:1]
	v_cmp_eq_u32_e32 vcc, 1, v118
	v_cndmask_b32_e32 v4, v4, v5, vcc
	v_cmp_eq_u32_e32 vcc, 2, v118
	v_cndmask_b32_e32 v4, v4, v6, vcc
	;; [unrolled: 2-line block ×6, first 2 shown]
	v_lshrrev_b32_e32 v0, 11, v0
	v_cvt_f64_u32_e32 v[0:1], v0
	v_ldexp_f64 v[0:1], v[0:1], 32
	v_cvt_f64_u32_e32 v[2:3], v4
	v_add_f64 v[0:1], v[0:1], v[2:3]
	v_mov_b32_e32 v2, 0
	v_mov_b32_e32 v3, 0x3ca00000
	v_fma_f64 v[4:5], -v[76:77], v[10:11], v[78:79]
	v_fmac_f64_e32 v[2:3], 0x3ca00000, v[0:1]
	v_mul_f64 v[0:1], v[4:5], s[60:61]
	v_rndne_f64_e32 v[0:1], v[0:1]
	s_mov_b32 s62, s54
	v_fma_f64 v[6:7], s[62:63], v[0:1], v[4:5]
	s_mov_b32 s64, s56
	v_fmac_f64_e32 v[6:7], s[64:65], v[0:1]
	v_pk_mov_b32 v[10:11], v[30:31], v[30:31] op_sel:[0,1]
	v_fmac_f64_e32 v[10:11], s[66:67], v[6:7]
	v_pk_mov_b32 v[118:119], v[32:33], v[32:33] op_sel:[0,1]
	;; [unrolled: 2-line block ×9, first 2 shown]
	v_fmac_f64_e32 v[10:11], v[6:7], v[118:119]
	v_fma_f64 v[10:11], v[6:7], v[10:11], 1.0
	v_fma_f64 v[6:7], v[6:7], v[10:11], 1.0
	v_cvt_i32_f64_e32 v0, v[0:1]
	v_ldexp_f64 v[0:1], v[6:7], v0
	v_add_f64 v[0:1], v[0:1], 1.0
	v_cmp_nlt_f64_e32 vcc, s[70:71], v[4:5]
	v_cmp_ngt_f64_e64 s[0:1], s[72:73], v[4:5]
	v_cndmask_b32_e32 v1, v94, v1, vcc
	s_and_b64 vcc, s[0:1], vcc
	v_cndmask_b32_e64 v1, v91, v1, s[0:1]
	v_cndmask_b32_e32 v0, 0, v0, vcc
	v_mul_f64 v[0:1], v[0:1], v[0:1]
	v_div_scale_f64 v[6:7], s[0:1], v[0:1], v[0:1], v[2:3]
	v_rcp_f64_e32 v[10:11], v[6:7]
	s_mov_b32 s53, s39
	v_fma_f64 v[118:119], -v[6:7], v[10:11], 1.0
	v_fmac_f64_e32 v[10:11], v[10:11], v[118:119]
	v_fma_f64 v[118:119], -v[6:7], v[10:11], 1.0
	v_fmac_f64_e32 v[10:11], v[10:11], v[118:119]
	v_div_scale_f64 v[118:119], vcc, v[2:3], v[0:1], v[2:3]
	v_mul_f64 v[120:121], v[118:119], v[10:11]
	v_fma_f64 v[6:7], -v[6:7], v[120:121], v[118:119]
	s_nop 1
	v_div_fmas_f64 v[6:7], v[6:7], v[10:11], v[120:121]
	v_div_fixup_f64 v[2:3], v[6:7], v[0:1], v[2:3]
	v_frexp_mant_f64_e32 v[0:1], v[2:3]
	v_cmp_gt_f64_e32 vcc, s[38:39], v[0:1]
	v_cndmask_b32_e64 v15, v91, 2.0, vcc
	v_frexp_exp_i32_f64_e32 v6, v[2:3]
	v_mul_f64 v[0:1], v[0:1], v[14:15]
	v_subbrev_co_u32_e32 v15, vcc, 0, v6, vcc
	v_add_f64 v[6:7], v[0:1], 1.0
	v_rcp_f64_e32 v[10:11], v[6:7]
	v_add_f64 v[120:121], v[6:7], -1.0
	v_add_f64 v[118:119], v[0:1], -1.0
	v_add_f64 v[0:1], v[0:1], -v[120:121]
	v_fma_f64 v[120:121], -v[6:7], v[10:11], 1.0
	v_fmac_f64_e32 v[10:11], v[120:121], v[10:11]
	v_fma_f64 v[120:121], -v[6:7], v[10:11], 1.0
	v_fmac_f64_e32 v[10:11], v[120:121], v[10:11]
	v_mul_f64 v[120:121], v[118:119], v[10:11]
	v_mul_f64 v[122:123], v[6:7], v[120:121]
	v_fma_f64 v[6:7], v[120:121], v[6:7], -v[122:123]
	v_fmac_f64_e32 v[6:7], v[120:121], v[0:1]
	v_add_f64 v[0:1], v[122:123], v[6:7]
	v_add_f64 v[124:125], v[118:119], -v[0:1]
	v_add_f64 v[122:123], v[0:1], -v[122:123]
	;; [unrolled: 1-line block ×5, first 2 shown]
	v_add_f64 v[0:1], v[6:7], v[0:1]
	v_add_f64 v[0:1], v[124:125], v[0:1]
	v_mul_f64 v[0:1], v[10:11], v[0:1]
	v_add_f64 v[6:7], v[120:121], v[0:1]
	v_add_f64 v[10:11], v[6:7], -v[120:121]
	v_add_f64 v[10:11], v[0:1], -v[10:11]
	v_mul_f64 v[118:119], v[6:7], v[6:7]
	v_pk_mov_b32 v[0:1], s[40:41], s[40:41] op_sel:[0,1]
	v_fma_f64 v[120:121], s[42:43], v[118:119], v[0:1]
	v_fma_f64 v[120:121], v[118:119], v[120:121], s[44:45]
	;; [unrolled: 1-line block ×6, first 2 shown]
	v_ldexp_f64 v[122:123], v[6:7], 1
	v_mul_f64 v[6:7], v[6:7], v[118:119]
	v_mul_f64 v[6:7], v[6:7], v[120:121]
	v_add_f64 v[118:119], v[122:123], v[6:7]
	v_add_f64 v[120:121], v[118:119], -v[122:123]
	v_ldexp_f64 v[10:11], v[10:11], 1
	v_add_f64 v[6:7], v[6:7], -v[120:121]
	v_add_f64 v[6:7], v[10:11], v[6:7]
	v_add_f64 v[10:11], v[118:119], v[6:7]
	v_add_f64 v[118:119], v[10:11], -v[118:119]
	v_add_f64 v[6:7], v[6:7], -v[118:119]
	v_cvt_f64_i32_e32 v[118:119], v15
	v_mul_f64 v[120:121], v[118:119], s[54:55]
	v_fma_f64 v[122:123], v[118:119], s[54:55], -v[120:121]
	v_fmac_f64_e32 v[122:123], s[56:57], v[118:119]
	v_add_f64 v[118:119], v[120:121], v[122:123]
	v_add_f64 v[120:121], v[118:119], -v[120:121]
	v_add_f64 v[120:121], v[122:123], -v[120:121]
	v_add_f64 v[122:123], v[118:119], v[10:11]
	v_add_f64 v[124:125], v[122:123], -v[118:119]
	v_add_f64 v[126:127], v[122:123], -v[124:125]
	v_add_f64 v[118:119], v[118:119], -v[126:127]
	v_add_f64 v[10:11], v[10:11], -v[124:125]
	v_add_f64 v[10:11], v[10:11], v[118:119]
	v_add_f64 v[118:119], v[120:121], v[6:7]
	v_add_f64 v[124:125], v[118:119], -v[120:121]
	v_add_f64 v[126:127], v[118:119], -v[124:125]
	v_add_f64 v[10:11], v[118:119], v[10:11]
	v_add_f64 v[120:121], v[120:121], -v[126:127]
	v_add_f64 v[6:7], v[6:7], -v[124:125]
	v_add_f64 v[118:119], v[122:123], v[10:11]
	v_add_f64 v[6:7], v[6:7], v[120:121]
	v_add_f64 v[120:121], v[118:119], -v[122:123]
	v_add_f64 v[10:11], v[10:11], -v[120:121]
	v_add_f64 v[6:7], v[6:7], v[10:11]
	v_add_f64 v[6:7], v[118:119], v[6:7]
	v_cmp_class_f64_e64 vcc, v[2:3], s11
	v_cndmask_b32_e32 v15, v6, v2, vcc
	v_cndmask_b32_e32 v6, v7, v3, vcc
	v_cmp_neq_f64_e32 vcc, 0, v[2:3]
	v_cndmask_b32_e32 v3, v93, v6, vcc
	v_add_f64 v[6:7], v[8:9], 1.0
	v_add_f64 v[6:7], v[6:7], -1.0
	v_add_f64 v[118:119], v[6:7], s[74:75]
	v_div_scale_f64 v[10:11], s[0:1], v[118:119], v[118:119], s[76:77]
	v_rcp_f64_e32 v[120:121], v[10:11]
	v_cndmask_b32_e32 v2, 0, v15, vcc
	v_add_f64 v[2:3], v[4:5], v[2:3]
	v_fma_f64 v[4:5], v[82:83], v[8:9], v[80:81]
	v_fma_f64 v[122:123], -v[10:11], v[120:121], 1.0
	v_fmac_f64_e32 v[120:121], v[120:121], v[122:123]
	v_fma_f64 v[122:123], -v[10:11], v[120:121], 1.0
	v_fmac_f64_e32 v[120:121], v[120:121], v[122:123]
	v_div_scale_f64 v[122:123], vcc, s[76:77], v[118:119], s[76:77]
	v_mul_f64 v[124:125], v[122:123], v[120:121]
	v_fma_f64 v[122:123], -v[10:11], v[124:125], v[122:123]
	v_add_f64 v[10:11], v[6:7], s[78:79]
	v_div_scale_f64 v[126:127], s[0:1], v[10:11], v[10:11], s[80:81]
	v_rcp_f64_e32 v[128:129], v[126:127]
	v_div_fmas_f64 v[120:121], v[122:123], v[120:121], v[124:125]
	v_div_fixup_f64 v[118:119], v[120:121], v[118:119], s[76:77]
	v_add_f64 v[124:125], v[6:7], s[82:83]
	v_fma_f64 v[120:121], -v[126:127], v[128:129], 1.0
	v_fmac_f64_e32 v[128:129], v[128:129], v[120:121]
	v_fma_f64 v[120:121], -v[126:127], v[128:129], 1.0
	v_fmac_f64_e32 v[128:129], v[128:129], v[120:121]
	v_div_scale_f64 v[120:121], vcc, s[80:81], v[10:11], s[80:81]
	v_mul_f64 v[122:123], v[120:121], v[128:129]
	v_fma_f64 v[120:121], -v[126:127], v[122:123], v[120:121]
	v_div_scale_f64 v[126:127], s[0:1], v[124:125], v[124:125], s[84:85]
	v_rcp_f64_e32 v[130:131], v[126:127]
	v_div_fmas_f64 v[120:121], v[120:121], v[128:129], v[122:123]
	v_add_f64 v[118:119], v[118:119], 0
	v_div_fixup_f64 v[120:121], v[120:121], v[10:11], s[80:81]
	v_add_f64 v[118:119], v[120:121], v[118:119]
	v_fma_f64 v[120:121], -v[126:127], v[130:131], 1.0
	v_fmac_f64_e32 v[130:131], v[130:131], v[120:121]
	v_fma_f64 v[120:121], -v[126:127], v[130:131], 1.0
	v_fmac_f64_e32 v[130:131], v[130:131], v[120:121]
	v_div_scale_f64 v[120:121], vcc, s[84:85], v[124:125], s[84:85]
	v_mul_f64 v[122:123], v[120:121], v[130:131]
	v_fma_f64 v[120:121], -v[126:127], v[122:123], v[120:121]
	v_add_f64 v[126:127], v[6:7], s[86:87]
	v_div_scale_f64 v[128:129], s[0:1], v[126:127], v[126:127], s[88:89]
	v_rcp_f64_e32 v[132:133], v[128:129]
	v_div_fmas_f64 v[120:121], v[120:121], v[130:131], v[122:123]
	v_div_fixup_f64 v[120:121], v[120:121], v[124:125], s[84:85]
	v_add_f64 v[118:119], v[118:119], v[120:121]
	v_fma_f64 v[120:121], -v[128:129], v[132:133], 1.0
	v_fmac_f64_e32 v[132:133], v[132:133], v[120:121]
	v_fma_f64 v[120:121], -v[128:129], v[132:133], 1.0
	v_fmac_f64_e32 v[132:133], v[132:133], v[120:121]
	v_div_scale_f64 v[120:121], vcc, s[88:89], v[126:127], s[88:89]
	v_mul_f64 v[122:123], v[120:121], v[132:133]
	v_add_f64 v[124:125], v[6:7], 4.0
	v_fma_f64 v[120:121], -v[128:129], v[122:123], v[120:121]
	v_div_scale_f64 v[128:129], s[0:1], v[124:125], v[124:125], s[90:91]
	v_rcp_f64_e32 v[130:131], v[128:129]
	v_div_fmas_f64 v[120:121], v[120:121], v[132:133], v[122:123]
	v_div_fixup_f64 v[120:121], v[120:121], v[126:127], s[88:89]
	v_add_f64 v[118:119], v[120:121], v[118:119]
	v_fma_f64 v[120:121], -v[128:129], v[130:131], 1.0
	v_fmac_f64_e32 v[130:131], v[130:131], v[120:121]
	v_fma_f64 v[120:121], -v[128:129], v[130:131], 1.0
	v_fmac_f64_e32 v[130:131], v[130:131], v[120:121]
	v_div_scale_f64 v[120:121], vcc, s[90:91], v[124:125], s[90:91]
	v_mul_f64 v[122:123], v[120:121], v[130:131]
	v_add_f64 v[126:127], v[6:7], s[30:31]
	v_fma_f64 v[120:121], -v[128:129], v[122:123], v[120:121]
	v_div_scale_f64 v[128:129], s[0:1], v[126:127], v[126:127], s[92:93]
	v_rcp_f64_e32 v[132:133], v[128:129]
	v_div_fmas_f64 v[120:121], v[120:121], v[130:131], v[122:123]
	v_div_fixup_f64 v[120:121], v[120:121], v[124:125], s[90:91]
	v_add_f64 v[118:119], v[118:119], v[120:121]
	v_fma_f64 v[120:121], -v[128:129], v[132:133], 1.0
	v_fmac_f64_e32 v[132:133], v[132:133], v[120:121]
	v_fma_f64 v[120:121], -v[128:129], v[132:133], 1.0
	v_fmac_f64_e32 v[132:133], v[132:133], v[120:121]
	v_div_scale_f64 v[120:121], vcc, s[92:93], v[126:127], s[92:93]
	v_mul_f64 v[122:123], v[120:121], v[132:133]
	v_add_f64 v[124:125], v[6:7], 2.0
	v_fma_f64 v[120:121], -v[128:129], v[122:123], v[120:121]
	v_div_scale_f64 v[128:129], s[0:1], v[124:125], v[124:125], s[94:95]
	v_rcp_f64_e32 v[130:131], v[128:129]
	v_div_fmas_f64 v[120:121], v[120:121], v[132:133], v[122:123]
	v_div_fixup_f64 v[120:121], v[120:121], v[126:127], s[92:93]
	v_add_f64 v[118:119], v[120:121], v[118:119]
	v_fma_f64 v[120:121], -v[128:129], v[130:131], 1.0
	v_fmac_f64_e32 v[130:131], v[130:131], v[120:121]
	v_fma_f64 v[120:121], -v[128:129], v[130:131], 1.0
	v_fmac_f64_e32 v[130:131], v[130:131], v[120:121]
	v_div_scale_f64 v[120:121], vcc, s[94:95], v[124:125], s[94:95]
	v_mul_f64 v[122:123], v[120:121], v[130:131]
	v_add_f64 v[126:127], v[6:7], 1.0
	v_fma_f64 v[120:121], -v[128:129], v[122:123], v[120:121]
	v_div_scale_f64 v[128:129], s[0:1], v[126:127], v[126:127], s[28:29]
	v_rcp_f64_e32 v[132:133], v[128:129]
	v_div_fmas_f64 v[120:121], v[120:121], v[130:131], v[122:123]
	v_div_fixup_f64 v[120:121], v[120:121], v[124:125], s[94:95]
	v_add_f64 v[118:119], v[118:119], v[120:121]
	v_fma_f64 v[120:121], -v[128:129], v[132:133], 1.0
	v_fmac_f64_e32 v[132:133], v[132:133], v[120:121]
	v_fma_f64 v[120:121], -v[128:129], v[132:133], 1.0
	v_fmac_f64_e32 v[132:133], v[132:133], v[120:121]
	v_div_scale_f64 v[120:121], vcc, s[28:29], v[126:127], s[28:29]
	v_mul_f64 v[122:123], v[120:121], v[132:133]
	v_fma_f64 v[120:121], -v[128:129], v[122:123], v[120:121]
	v_add_f64 v[10:11], v[10:11], 0.5
	s_nop 0
	v_div_fmas_f64 v[120:121], v[120:121], v[132:133], v[122:123]
	v_div_fixup_f64 v[120:121], v[120:121], v[126:127], s[28:29]
	v_add_f64 v[118:119], v[120:121], v[118:119]
	v_add_f64 v[118:119], v[118:119], s[24:25]
	v_frexp_mant_f64_e32 v[120:121], v[118:119]
	v_cmp_gt_f64_e32 vcc, s[38:39], v[120:121]
	v_cndmask_b32_e64 v15, v91, 2.0, vcc
	v_frexp_exp_i32_f64_e32 v122, v[118:119]
	v_mul_f64 v[120:121], v[120:121], v[14:15]
	v_subbrev_co_u32_e32 v15, vcc, 0, v122, vcc
	v_add_f64 v[122:123], v[120:121], 1.0
	v_rcp_f64_e32 v[124:125], v[122:123]
	v_add_f64 v[128:129], v[122:123], -1.0
	v_add_f64 v[126:127], v[120:121], -1.0
	v_add_f64 v[120:121], v[120:121], -v[128:129]
	v_fma_f64 v[128:129], -v[122:123], v[124:125], 1.0
	v_fmac_f64_e32 v[124:125], v[128:129], v[124:125]
	v_fma_f64 v[128:129], -v[122:123], v[124:125], 1.0
	v_fmac_f64_e32 v[124:125], v[128:129], v[124:125]
	v_mul_f64 v[128:129], v[126:127], v[124:125]
	v_mul_f64 v[130:131], v[122:123], v[128:129]
	v_fma_f64 v[122:123], v[128:129], v[122:123], -v[130:131]
	v_fmac_f64_e32 v[122:123], v[128:129], v[120:121]
	v_add_f64 v[120:121], v[130:131], v[122:123]
	v_add_f64 v[132:133], v[126:127], -v[120:121]
	v_add_f64 v[130:131], v[120:121], -v[130:131]
	;; [unrolled: 1-line block ×5, first 2 shown]
	v_add_f64 v[120:121], v[122:123], v[120:121]
	v_add_f64 v[120:121], v[132:133], v[120:121]
	v_mul_f64 v[120:121], v[124:125], v[120:121]
	v_add_f64 v[122:123], v[128:129], v[120:121]
	v_add_f64 v[124:125], v[122:123], -v[128:129]
	v_add_f64 v[120:121], v[120:121], -v[124:125]
	v_mul_f64 v[124:125], v[122:123], v[122:123]
	v_fma_f64 v[126:127], s[42:43], v[124:125], v[0:1]
	v_fma_f64 v[126:127], v[124:125], v[126:127], s[44:45]
	;; [unrolled: 1-line block ×6, first 2 shown]
	v_ldexp_f64 v[128:129], v[122:123], 1
	v_mul_f64 v[122:123], v[122:123], v[124:125]
	v_mul_f64 v[122:123], v[122:123], v[126:127]
	v_add_f64 v[124:125], v[128:129], v[122:123]
	v_add_f64 v[126:127], v[124:125], -v[128:129]
	v_ldexp_f64 v[120:121], v[120:121], 1
	v_add_f64 v[122:123], v[122:123], -v[126:127]
	v_add_f64 v[120:121], v[120:121], v[122:123]
	v_add_f64 v[122:123], v[124:125], v[120:121]
	v_add_f64 v[124:125], v[122:123], -v[124:125]
	v_add_f64 v[120:121], v[120:121], -v[124:125]
	v_cvt_f64_i32_e32 v[124:125], v15
	v_mul_f64 v[126:127], v[124:125], s[54:55]
	v_fma_f64 v[128:129], v[124:125], s[54:55], -v[126:127]
	v_fmac_f64_e32 v[128:129], s[56:57], v[124:125]
	v_add_f64 v[124:125], v[126:127], v[128:129]
	v_add_f64 v[126:127], v[124:125], -v[126:127]
	v_add_f64 v[126:127], v[128:129], -v[126:127]
	v_add_f64 v[128:129], v[124:125], v[122:123]
	v_add_f64 v[130:131], v[128:129], -v[124:125]
	v_add_f64 v[132:133], v[128:129], -v[130:131]
	;; [unrolled: 1-line block ×4, first 2 shown]
	v_add_f64 v[122:123], v[122:123], v[124:125]
	v_add_f64 v[124:125], v[126:127], v[120:121]
	v_add_f64 v[130:131], v[124:125], -v[126:127]
	v_add_f64 v[132:133], v[124:125], -v[130:131]
	v_add_f64 v[122:123], v[124:125], v[122:123]
	v_add_f64 v[126:127], v[126:127], -v[132:133]
	v_add_f64 v[120:121], v[120:121], -v[130:131]
	v_add_f64 v[124:125], v[128:129], v[122:123]
	v_add_f64 v[120:121], v[120:121], v[126:127]
	v_add_f64 v[126:127], v[124:125], -v[128:129]
	v_add_f64 v[122:123], v[122:123], -v[126:127]
	v_add_f64 v[120:121], v[120:121], v[122:123]
	v_add_f64 v[120:121], v[124:125], v[120:121]
	v_cmp_class_f64_e64 vcc, v[118:119], s11
	v_div_scale_f64 v[122:123], s[0:1], s[2:3], s[2:3], v[10:11]
	v_cndmask_b32_e32 v121, v121, v119, vcc
	v_cndmask_b32_e32 v120, v120, v118, vcc
	v_rcp_f64_e32 v[124:125], v[122:123]
	v_add_f64 v[120:121], v[120:121], s[26:27]
	v_add_f64 v[120:121], v[120:121], s[34:35]
	v_cmp_ngt_f64_e32 vcc, 0, v[118:119]
	v_cndmask_b32_e32 v15, v92, v121, vcc
	v_cmp_nge_f64_e32 vcc, 0, v[118:119]
	v_cndmask_b32_e32 v120, 0, v120, vcc
	v_cmp_neq_f64_e32 vcc, 0, v[118:119]
	v_fma_f64 v[118:119], -v[122:123], v[124:125], 1.0
	v_fmac_f64_e32 v[124:125], v[124:125], v[118:119]
	v_fma_f64 v[118:119], -v[122:123], v[124:125], 1.0
	v_cndmask_b32_e32 v121, v93, v15, vcc
	v_fmac_f64_e32 v[124:125], v[124:125], v[118:119]
	v_div_scale_f64 v[118:119], vcc, v[10:11], s[2:3], v[10:11]
	v_mul_f64 v[126:127], v[118:119], v[124:125]
	v_fma_f64 v[118:119], -v[122:123], v[126:127], v[118:119]
	v_add_f64 v[6:7], v[6:7], 0.5
	s_nop 0
	v_div_fmas_f64 v[118:119], v[118:119], v[124:125], v[126:127]
	v_div_fixup_f64 v[10:11], v[118:119], s[2:3], v[10:11]
	v_frexp_mant_f64_e32 v[118:119], v[10:11]
	v_cmp_gt_f64_e32 vcc, s[38:39], v[118:119]
	v_cndmask_b32_e64 v15, v91, 2.0, vcc
	v_frexp_exp_i32_f64_e32 v122, v[10:11]
	v_mul_f64 v[118:119], v[118:119], v[14:15]
	v_subbrev_co_u32_e32 v15, vcc, 0, v122, vcc
	v_add_f64 v[122:123], v[118:119], 1.0
	v_rcp_f64_e32 v[124:125], v[122:123]
	v_add_f64 v[128:129], v[122:123], -1.0
	v_add_f64 v[126:127], v[118:119], -1.0
	v_add_f64 v[118:119], v[118:119], -v[128:129]
	v_fma_f64 v[128:129], -v[122:123], v[124:125], 1.0
	v_fmac_f64_e32 v[124:125], v[128:129], v[124:125]
	v_fma_f64 v[128:129], -v[122:123], v[124:125], 1.0
	v_fmac_f64_e32 v[124:125], v[128:129], v[124:125]
	v_mul_f64 v[128:129], v[126:127], v[124:125]
	v_mul_f64 v[130:131], v[122:123], v[128:129]
	v_fma_f64 v[122:123], v[128:129], v[122:123], -v[130:131]
	v_fmac_f64_e32 v[122:123], v[128:129], v[118:119]
	v_add_f64 v[118:119], v[130:131], v[122:123]
	v_add_f64 v[132:133], v[126:127], -v[118:119]
	v_add_f64 v[130:131], v[118:119], -v[130:131]
	;; [unrolled: 1-line block ×5, first 2 shown]
	v_add_f64 v[118:119], v[122:123], v[118:119]
	v_add_f64 v[118:119], v[132:133], v[118:119]
	v_mul_f64 v[118:119], v[124:125], v[118:119]
	v_add_f64 v[122:123], v[128:129], v[118:119]
	v_add_f64 v[124:125], v[122:123], -v[128:129]
	v_add_f64 v[118:119], v[118:119], -v[124:125]
	v_mul_f64 v[124:125], v[122:123], v[122:123]
	v_fmac_f64_e32 v[0:1], s[42:43], v[124:125]
	v_fma_f64 v[0:1], v[124:125], v[0:1], s[44:45]
	v_fma_f64 v[0:1], v[124:125], v[0:1], s[46:47]
	;; [unrolled: 1-line block ×5, first 2 shown]
	v_ldexp_f64 v[126:127], v[122:123], 1
	v_mul_f64 v[122:123], v[122:123], v[124:125]
	v_mul_f64 v[0:1], v[122:123], v[0:1]
	v_add_f64 v[122:123], v[126:127], v[0:1]
	v_add_f64 v[124:125], v[122:123], -v[126:127]
	v_ldexp_f64 v[118:119], v[118:119], 1
	v_add_f64 v[0:1], v[0:1], -v[124:125]
	v_add_f64 v[0:1], v[118:119], v[0:1]
	v_add_f64 v[118:119], v[122:123], v[0:1]
	v_add_f64 v[122:123], v[118:119], -v[122:123]
	v_add_f64 v[0:1], v[0:1], -v[122:123]
	v_cvt_f64_i32_e32 v[122:123], v15
	v_mul_f64 v[124:125], v[122:123], s[54:55]
	v_fma_f64 v[126:127], v[122:123], s[54:55], -v[124:125]
	v_fmac_f64_e32 v[126:127], s[56:57], v[122:123]
	v_add_f64 v[122:123], v[124:125], v[126:127]
	v_add_f64 v[124:125], v[122:123], -v[124:125]
	v_add_f64 v[124:125], v[126:127], -v[124:125]
	v_add_f64 v[126:127], v[122:123], v[118:119]
	v_add_f64 v[128:129], v[126:127], -v[122:123]
	v_add_f64 v[130:131], v[126:127], -v[128:129]
	;; [unrolled: 1-line block ×4, first 2 shown]
	v_add_f64 v[118:119], v[118:119], v[122:123]
	v_add_f64 v[122:123], v[124:125], v[0:1]
	v_add_f64 v[128:129], v[122:123], -v[124:125]
	v_add_f64 v[130:131], v[122:123], -v[128:129]
	v_add_f64 v[118:119], v[122:123], v[118:119]
	v_add_f64 v[124:125], v[124:125], -v[130:131]
	v_add_f64 v[0:1], v[0:1], -v[128:129]
	v_add_f64 v[122:123], v[126:127], v[118:119]
	v_add_f64 v[0:1], v[0:1], v[124:125]
	v_add_f64 v[124:125], v[122:123], -v[126:127]
	v_add_f64 v[118:119], v[118:119], -v[124:125]
	v_add_f64 v[0:1], v[0:1], v[118:119]
	v_add_f64 v[0:1], v[122:123], v[0:1]
	v_cmp_class_f64_e64 vcc, v[10:11], s11
	v_cndmask_b32_e32 v0, v0, v10, vcc
	v_cndmask_b32_e32 v1, v1, v11, vcc
	v_cmp_ngt_f64_e32 vcc, 0, v[10:11]
	v_cndmask_b32_e32 v1, v92, v1, vcc
	v_cmp_nge_f64_e32 vcc, 0, v[10:11]
	v_cndmask_b32_e32 v0, 0, v0, vcc
	v_cmp_neq_f64_e32 vcc, 0, v[10:11]
	v_cndmask_b32_e32 v1, v93, v1, vcc
	v_fmac_f64_e32 v[120:121], v[6:7], v[0:1]
	v_add_f64 v[0:1], v[4:5], -v[120:121]
	v_cvt_u32_f64_e32 v4, v[8:9]
	v_cmp_le_f64_e32 vcc, v[2:3], v[0:1]
	v_cndmask_b32_e64 v119, 0, 1, vcc
	v_cndmask_b32_e32 v75, v75, v4, vcc
	v_mov_b32_e32 v118, v117
.LBB62_28:                              ;   in Loop: Header=BB62_18 Depth=2
	s_or_b64 exec, exec, s[18:19]
	v_cmp_gt_i32_e32 vcc, 2, v119
	s_or_b64 s[4:5], vcc, s[4:5]
	v_mov_b32_e32 v15, v118
	v_mov_b32_e32 v0, v87
	v_mov_b32_e32 v1, v86
	v_mov_b32_e32 v2, v85
	v_mov_b32_e32 v3, v84
	s_andn2_b64 exec, exec, s[4:5]
	s_cbranch_execnz .LBB62_18
; %bb.29:                               ;   in Loop: Header=BB62_18 Depth=2
	s_or_b64 exec, exec, s[4:5]
	v_cmp_ne_u32_e32 vcc, 0, v119
	s_or_b64 s[14:15], vcc, s[14:15]
	s_mov_b64 s[4:5], 0
	v_mov_b32_e32 v15, v118
	v_mov_b32_e32 v0, v87
	;; [unrolled: 1-line block ×5, first 2 shown]
	s_andn2_b64 exec, exec, s[14:15]
	s_cbranch_execnz .LBB62_18
; %bb.30:                               ;   in Loop: Header=BB62_5 Depth=1
	s_or_b64 exec, exec, s[14:15]
	v_readlane_b32 s18, v134, 17
	v_readlane_b32 s19, v134, 18
                                        ; implicit-def: $vgpr4_vgpr5
                                        ; implicit-def: $vgpr72_vgpr73
                                        ; implicit-def: $vgpr15
                                        ; implicit-def: $vgpr97
                                        ; implicit-def: $vgpr98
                                        ; implicit-def: $vgpr106
                                        ; implicit-def: $vgpr96
                                        ; implicit-def: $vgpr3
                                        ; implicit-def: $vgpr99
                                        ; implicit-def: $vgpr100
                                        ; implicit-def: $vgpr101
                                        ; implicit-def: $vgpr102
                                        ; implicit-def: $vgpr104
                                        ; implicit-def: $vgpr105
                                        ; implicit-def: $vgpr107
                                        ; implicit-def: $vgpr108
                                        ; implicit-def: $vgpr109
                                        ; implicit-def: $vgpr110
                                        ; implicit-def: $vgpr111
                                        ; implicit-def: $vgpr112
                                        ; implicit-def: $vgpr113
                                        ; implicit-def: $vgpr114
                                        ; implicit-def: $vgpr103
                                        ; implicit-def: $vgpr115
.LBB62_31:                              ;   in Loop: Header=BB62_5 Depth=1
	s_andn2_saveexec_b64 s[4:5], s[12:13]
	s_cbranch_execz .LBB62_43
; %bb.32:                               ;   in Loop: Header=BB62_5 Depth=1
	v_add_co_u32_e32 v6, vcc, 1, v97
	v_cndmask_b32_e64 v7, 0, 1, vcc
	v_addc_co_u32_e32 v10, vcc, 0, v98, vcc
	v_cmp_eq_u32_e32 vcc, 0, v10
	v_cndmask_b32_e32 v7, 0, v7, vcc
	v_add_u32_e32 v8, v7, v17
	v_cmp_eq_u32_e32 vcc, 0, v8
	v_cndmask_b32_e32 v11, 0, v7, vcc
	v_mad_u64_u32 v[6:7], s[0:1], v6, s10, 0
	v_mad_u64_u32 v[8:9], s[0:1], v8, s9, 0
	v_xor_b32_e32 v7, v7, v73
	v_xor_b32_e32 v9, v9, v72
	v_xor_b32_e32 v7, v11, v7
	v_xor_b32_e32 v9, v10, v9
	v_mad_u64_u32 v[72:73], s[0:1], v7, s9, 0
	v_mad_u64_u32 v[10:11], s[0:1], v9, s10, 0
	v_xor_b32_e32 v7, v99, v73
	v_xor_b32_e32 v7, v7, v8
	v_xor_b32_e32 v8, v100, v11
	v_xor_b32_e32 v8, v8, v6
	;; [unrolled: 6-line block ×8, first 2 shown]
	v_mad_u64_u32 v[74:75], s[0:1], v7, s10, 0
	v_mad_u64_u32 v[8:9], s[0:1], v6, s9, 0
	v_xor_b32_e32 v6, v115, v75
	v_xor_b32_e32 v6, v6, v10
	v_mad_u64_u32 v[6:7], s[0:1], v6, s9, 0
	v_xor_b32_e32 v7, v7, v8
	v_xor_b32_e32 v10, v106, v7
	v_cmp_lt_i32_e32 vcc, 1, v15
                                        ; implicit-def: $vgpr8
	s_and_saveexec_b64 s[0:1], vcc
	s_xor_b64 s[0:1], exec, s[0:1]
	s_cbranch_execz .LBB62_38
; %bb.33:                               ;   in Loop: Header=BB62_5 Depth=1
	v_cmp_lt_i32_e32 vcc, 2, v15
                                        ; implicit-def: $vgpr8
	s_and_saveexec_b64 s[12:13], vcc
	s_xor_b64 s[12:13], exec, s[12:13]
; %bb.34:                               ;   in Loop: Header=BB62_5 Depth=1
	v_xor_b32_e32 v0, v103, v9
	v_xor_b32_e32 v0, v0, v72
	v_mul_hi_u32 v0, v0, s10
	v_xor_b32_e32 v0, v0, v74
	v_xor_b32_e32 v8, v96, v0
; %bb.35:                               ;   in Loop: Header=BB62_5 Depth=1
	s_andn2_saveexec_b64 s[12:13], s[12:13]
; %bb.36:                               ;   in Loop: Header=BB62_5 Depth=1
	v_mov_b32_e32 v8, v6
	v_mov_b32_e32 v6, v10
	;; [unrolled: 1-line block ×4, first 2 shown]
; %bb.37:                               ;   in Loop: Header=BB62_5 Depth=1
	s_or_b64 exec, exec, s[12:13]
                                        ; implicit-def: $vgpr15
.LBB62_38:                              ;   in Loop: Header=BB62_5 Depth=1
	s_andn2_saveexec_b64 s[0:1], s[0:1]
	s_cbranch_execz .LBB62_42
; %bb.39:                               ;   in Loop: Header=BB62_5 Depth=1
	v_cmp_eq_u32_e32 vcc, 1, v15
	v_mov_b32_e32 v8, v3
	v_mov_b32_e32 v6, v2
	;; [unrolled: 1-line block ×3, first 2 shown]
	s_and_saveexec_b64 s[12:13], vcc
; %bb.40:                               ;   in Loop: Header=BB62_5 Depth=1
	v_mov_b32_e32 v8, v10
	v_mov_b32_e32 v6, v3
	;; [unrolled: 1-line block ×4, first 2 shown]
; %bb.41:                               ;   in Loop: Header=BB62_5 Depth=1
	s_or_b64 exec, exec, s[12:13]
	v_mov_b32_e32 v3, v0
	v_mov_b32_e32 v10, v7
.LBB62_42:                              ;   in Loop: Header=BB62_5 Depth=1
	s_or_b64 exec, exec, s[0:1]
	v_mov_b32_e32 v11, v14
	v_lshlrev_b64 v[0:1], 21, v[10:11]
	v_xor_b32_e32 v2, v0, v3
	v_cvt_f64_u32_e32 v[0:1], v1
	v_ldexp_f64 v[0:1], v[0:1], 32
	v_cvt_f64_u32_e32 v[2:3], v2
	v_add_f64 v[0:1], v[0:1], v[2:3]
	v_mov_b32_e32 v2, 0
	v_mov_b32_e32 v3, 0x3ca00000
	v_fmac_f64_e32 v[2:3], 0x3ca00000, v[0:1]
	v_mov_b32_e32 v9, v14
	v_lshlrev_b64 v[0:1], 21, v[8:9]
	v_frexp_mant_f64_e32 v[8:9], v[2:3]
	v_cmp_gt_f64_e32 vcc, s[38:39], v[8:9]
	v_cndmask_b32_e64 v15, v91, 2.0, vcc
	v_frexp_exp_i32_f64_e32 v10, v[2:3]
	v_mul_f64 v[8:9], v[8:9], v[14:15]
	v_subbrev_co_u32_e32 v15, vcc, 0, v10, vcc
	v_add_f64 v[10:11], v[8:9], 1.0
	v_rcp_f64_e32 v[72:73], v[10:11]
	v_add_f64 v[76:77], v[10:11], -1.0
	v_add_f64 v[74:75], v[8:9], -1.0
	v_add_f64 v[8:9], v[8:9], -v[76:77]
	v_fma_f64 v[76:77], -v[10:11], v[72:73], 1.0
	v_fmac_f64_e32 v[72:73], v[76:77], v[72:73]
	v_fma_f64 v[76:77], -v[10:11], v[72:73], 1.0
	v_fmac_f64_e32 v[72:73], v[76:77], v[72:73]
	v_mul_f64 v[76:77], v[74:75], v[72:73]
	v_mul_f64 v[78:79], v[10:11], v[76:77]
	v_fma_f64 v[10:11], v[76:77], v[10:11], -v[78:79]
	v_fmac_f64_e32 v[10:11], v[76:77], v[8:9]
	v_add_f64 v[8:9], v[78:79], v[10:11]
	v_add_f64 v[80:81], v[74:75], -v[8:9]
	v_add_f64 v[78:79], v[8:9], -v[78:79]
	;; [unrolled: 1-line block ×5, first 2 shown]
	v_add_f64 v[8:9], v[10:11], v[8:9]
	v_add_f64 v[8:9], v[80:81], v[8:9]
	v_mul_f64 v[8:9], v[72:73], v[8:9]
	v_add_f64 v[10:11], v[76:77], v[8:9]
	v_add_f64 v[72:73], v[10:11], -v[76:77]
	v_add_f64 v[8:9], v[8:9], -v[72:73]
	v_mul_f64 v[72:73], v[10:11], v[10:11]
	v_pk_mov_b32 v[74:75], v[18:19], v[18:19] op_sel:[0,1]
	v_fmac_f64_e32 v[74:75], s[42:43], v[72:73]
	v_pk_mov_b32 v[76:77], v[20:21], v[20:21] op_sel:[0,1]
	v_fmac_f64_e32 v[76:77], v[72:73], v[74:75]
	;; [unrolled: 2-line block ×6, first 2 shown]
	v_ldexp_f64 v[74:75], v[10:11], 1
	v_mul_f64 v[10:11], v[10:11], v[72:73]
	v_mul_f64 v[10:11], v[10:11], v[76:77]
	v_add_f64 v[72:73], v[74:75], v[10:11]
	v_add_f64 v[74:75], v[72:73], -v[74:75]
	v_ldexp_f64 v[8:9], v[8:9], 1
	v_add_f64 v[10:11], v[10:11], -v[74:75]
	v_add_f64 v[8:9], v[8:9], v[10:11]
	v_add_f64 v[10:11], v[72:73], v[8:9]
	v_add_f64 v[72:73], v[10:11], -v[72:73]
	v_add_f64 v[8:9], v[8:9], -v[72:73]
	v_cvt_f64_i32_e32 v[72:73], v15
	v_mul_f64 v[74:75], v[72:73], s[54:55]
	v_fma_f64 v[76:77], v[72:73], s[54:55], -v[74:75]
	v_fmac_f64_e32 v[76:77], s[56:57], v[72:73]
	v_add_f64 v[72:73], v[74:75], v[76:77]
	v_add_f64 v[74:75], v[72:73], -v[74:75]
	v_add_f64 v[74:75], v[76:77], -v[74:75]
	v_add_f64 v[76:77], v[72:73], v[10:11]
	v_add_f64 v[78:79], v[76:77], -v[72:73]
	v_add_f64 v[80:81], v[76:77], -v[78:79]
	;; [unrolled: 1-line block ×4, first 2 shown]
	v_add_f64 v[10:11], v[10:11], v[72:73]
	v_add_f64 v[72:73], v[74:75], v[8:9]
	v_add_f64 v[78:79], v[72:73], -v[74:75]
	v_add_f64 v[80:81], v[72:73], -v[78:79]
	v_add_f64 v[10:11], v[72:73], v[10:11]
	v_add_f64 v[74:75], v[74:75], -v[80:81]
	v_add_f64 v[8:9], v[8:9], -v[78:79]
	v_add_f64 v[72:73], v[76:77], v[10:11]
	v_add_f64 v[8:9], v[8:9], v[74:75]
	v_add_f64 v[74:75], v[72:73], -v[76:77]
	v_add_f64 v[10:11], v[10:11], -v[74:75]
	s_mov_b32 s14, 0
	v_add_f64 v[8:9], v[8:9], v[10:11]
	s_mov_b32 s15, 0x7ff00000
	v_add_f64 v[8:9], v[72:73], v[8:9]
	v_cmp_eq_f64_e32 vcc, s[14:15], v[2:3]
	v_cndmask_b32_e32 v9, v9, v3, vcc
	v_cndmask_b32_e32 v8, v8, v2, vcc
	v_mul_f64 v[8:9], v[8:9], -2.0
	v_cmp_neq_f64_e32 vcc, 0, v[2:3]
	s_mov_b32 s0, 0
	v_cndmask_b32_e32 v3, v94, v9, vcc
	v_cndmask_b32_e32 v2, 0, v8, vcc
	s_brev_b32 s1, 8
	v_cmp_gt_f64_e32 vcc, s[0:1], v[2:3]
	v_cndmask_b32_e64 v8, 0, 1, vcc
	v_lshlrev_b32_e32 v8, 8, v8
	v_ldexp_f64 v[2:3], v[2:3], v8
	v_xor_b32_e32 v6, v0, v6
	v_cvt_f64_u32_e32 v[0:1], v1
	v_rsq_f64_e32 v[8:9], v[2:3]
	v_ldexp_f64 v[0:1], v[0:1], 32
	v_cvt_f64_u32_e32 v[6:7], v6
	v_add_f64 v[0:1], v[0:1], v[6:7]
	v_mov_b32_e32 v6, 0
	v_mov_b32_e32 v7, 0x3cb00000
	v_fmac_f64_e32 v[6:7], 0x3cb00000, v[0:1]
	v_mul_f64 v[0:1], v[2:3], v[8:9]
	v_mul_f64 v[8:9], v[8:9], 0.5
	v_fma_f64 v[10:11], -v[8:9], v[0:1], 0.5
	v_fmac_f64_e32 v[0:1], v[0:1], v[10:11]
	v_fma_f64 v[72:73], -v[0:1], v[0:1], v[2:3]
	v_fmac_f64_e32 v[8:9], v[8:9], v[10:11]
	v_fmac_f64_e32 v[0:1], v[72:73], v[8:9]
	v_fma_f64 v[10:11], -v[0:1], v[0:1], v[2:3]
	v_fmac_f64_e32 v[0:1], v[10:11], v[8:9]
	v_cndmask_b32_e32 v8, 0, v90, vcc
	v_ldexp_f64 v[0:1], v[0:1], v8
	v_cmp_class_f64_e32 vcc, v[2:3], v89
	v_cndmask_b32_e32 v1, v1, v3, vcc
	v_cndmask_b32_e32 v0, v0, v2, vcc
	v_mul_f64 v[2:3], v[6:7], 0.5
	v_fract_f64_e32 v[8:9], v[2:3]
	v_add_f64 v[8:9], v[8:9], v[8:9]
	v_cmp_neq_f64_e32 vcc, s[14:15], v[2:3]
	v_cndmask_b32_e32 v2, 0, v8, vcc
	v_cndmask_b32_e32 v3, 0, v9, vcc
	v_cmp_lt_f64_e32 vcc, 1.0, v[6:7]
	v_cndmask_b32_e32 v3, v7, v3, vcc
	v_cndmask_b32_e32 v2, v6, v2, vcc
	v_add_f64 v[8:9], v[2:3], v[2:3]
	v_rndne_f64_e32 v[8:9], v[8:9]
	v_fmac_f64_e32 v[2:3], -0.5, v[8:9]
	s_mov_b32 s12, 0xf99eb0bb
	v_cvt_i32_f64_e32 v15, v[8:9]
	v_mul_f64 v[8:9], v[2:3], v[2:3]
	v_pk_mov_b32 v[10:11], v[48:49], v[48:49] op_sel:[0,1]
	s_mov_b32 s13, 0x3f3e357e
	v_fmac_f64_e32 v[10:11], s[12:13], v[8:9]
	v_pk_mov_b32 v[72:73], v[50:51], v[50:51] op_sel:[0,1]
	v_fmac_f64_e32 v[72:73], v[8:9], v[10:11]
	v_pk_mov_b32 v[10:11], v[52:53], v[52:53] op_sel:[0,1]
	;; [unrolled: 2-line block ×4, first 2 shown]
	v_fmac_f64_e32 v[10:11], v[8:9], v[72:73]
	v_mul_f64 v[72:73], v[2:3], v[8:9]
	s_mov_b32 s12, 0x54442d18
	v_mul_f64 v[10:11], v[72:73], v[10:11]
	s_mov_b32 s13, 0x400921fb
	v_fmac_f64_e32 v[10:11], s[12:13], v[2:3]
	s_mov_b32 s12, 0x2e21c33
	v_pk_mov_b32 v[2:3], v[58:59], v[58:59] op_sel:[0,1]
	s_mov_b32 s13, 0xbf1b1673
	v_fmac_f64_e32 v[2:3], s[12:13], v[8:9]
	v_pk_mov_b32 v[72:73], v[60:61], v[60:61] op_sel:[0,1]
	v_fmac_f64_e32 v[72:73], v[8:9], v[2:3]
	v_pk_mov_b32 v[2:3], v[62:63], v[62:63] op_sel:[0,1]
	;; [unrolled: 2-line block ×5, first 2 shown]
	v_fmac_f64_e32 v[72:73], v[8:9], v[2:3]
	v_fma_f64 v[2:3], v[8:9], v[72:73], 1.0
	v_and_b32_e32 v9, 1, v15
	v_lshlrev_b32_e32 v8, 30, v15
	v_cmp_eq_u32_e32 vcc, 0, v9
	v_cndmask_b32_e32 v10, v2, v10, vcc
	v_cndmask_b32_e32 v2, v3, v11, vcc
	v_xor_b32_e32 v3, v8, v7
	v_and_b32_e32 v3, 0x80000000, v3
	v_cmp_gt_f64_e32 vcc, s[0:1], v[4:5]
	v_xor_b32_e32 v11, v2, v3
	v_cndmask_b32_e64 v2, 0, 1, vcc
	v_lshlrev_b32_e32 v2, 8, v2
	v_ldexp_f64 v[2:3], v[4:5], v2
	v_rsq_f64_e32 v[8:9], v[2:3]
	v_cmp_lg_f64_e64 s[0:1], s[14:15], v[6:7]
	v_cndmask_b32_e64 v6, 0, v10, s[0:1]
	v_cndmask_b32_e64 v7, v92, v11, s[0:1]
	v_mul_f64 v[0:1], v[0:1], v[6:7]
	v_mul_f64 v[6:7], v[2:3], v[8:9]
	v_mul_f64 v[8:9], v[8:9], 0.5
	v_fma_f64 v[10:11], -v[8:9], v[6:7], 0.5
	v_fmac_f64_e32 v[6:7], v[6:7], v[10:11]
	v_fma_f64 v[72:73], -v[6:7], v[6:7], v[2:3]
	v_fmac_f64_e32 v[8:9], v[8:9], v[10:11]
	v_fmac_f64_e32 v[6:7], v[72:73], v[8:9]
	v_fma_f64 v[10:11], -v[6:7], v[6:7], v[2:3]
	v_fmac_f64_e32 v[6:7], v[10:11], v[8:9]
	v_cndmask_b32_e32 v8, 0, v90, vcc
	v_ldexp_f64 v[6:7], v[6:7], v8
	v_cmp_class_f64_e32 vcc, v[2:3], v89
	v_cndmask_b32_e32 v3, v7, v3, vcc
	v_cndmask_b32_e32 v2, v6, v2, vcc
	v_fmac_f64_e32 v[4:5], v[2:3], v[0:1]
	v_trunc_f64_e32 v[0:1], v[4:5]
	v_add_f64 v[2:3], v[4:5], -v[0:1]
	v_cmp_ge_f64_e64 vcc, |v[2:3]|, 0.5
	v_cndmask_b32_e32 v2, 0, v91, vcc
	s_brev_b32 s0, -2
	v_bfi_b32 v15, s0, v2, v5
	v_add_f64 v[0:1], v[0:1], v[14:15]
	v_cvt_u32_f64_e32 v75, v[0:1]
.LBB62_43:                              ;   in Loop: Header=BB62_5 Depth=1
	s_or_b64 exec, exec, s[4:5]
                                        ; implicit-def: $vgpr4_vgpr5
                                        ; implicit-def: $vgpr72_vgpr73
                                        ; implicit-def: $vgpr15
                                        ; implicit-def: $vgpr97
                                        ; implicit-def: $vgpr98
                                        ; implicit-def: $vgpr106
                                        ; implicit-def: $vgpr96
                                        ; implicit-def: $vgpr3
                                        ; implicit-def: $vgpr99
                                        ; implicit-def: $vgpr100
                                        ; implicit-def: $vgpr101
                                        ; implicit-def: $vgpr102
                                        ; implicit-def: $vgpr104
                                        ; implicit-def: $vgpr105
                                        ; implicit-def: $vgpr107
                                        ; implicit-def: $vgpr108
                                        ; implicit-def: $vgpr109
                                        ; implicit-def: $vgpr110
                                        ; implicit-def: $vgpr111
                                        ; implicit-def: $vgpr112
                                        ; implicit-def: $vgpr113
                                        ; implicit-def: $vgpr114
                                        ; implicit-def: $vgpr103
                                        ; implicit-def: $vgpr115
.LBB62_44:                              ;   in Loop: Header=BB62_5 Depth=1
	s_andn2_saveexec_b64 s[4:5], s[6:7]
	s_cbranch_execz .LBB62_3
; %bb.45:                               ;   in Loop: Header=BB62_5 Depth=1
	s_mov_b32 s13, s22
	s_mov_b32 s22, s60
	v_mul_f64 v[6:7], v[4:5], s[22:23]
	v_rndne_f64_e32 v[6:7], v[6:7]
	s_mov_b32 s62, s54
	v_fma_f64 v[10:11], v[6:7], s[62:63], -v[4:5]
	s_mov_b32 s64, s56
	v_fmac_f64_e32 v[10:11], s[64:65], v[6:7]
	v_pk_mov_b32 v[8:9], v[30:31], v[30:31] op_sel:[0,1]
	v_fmac_f64_e32 v[8:9], s[66:67], v[10:11]
	v_pk_mov_b32 v[74:75], v[32:33], v[32:33] op_sel:[0,1]
	;; [unrolled: 2-line block ×9, first 2 shown]
	s_mov_b32 s0, 0
	v_fmac_f64_e32 v[76:77], v[10:11], v[74:75]
	s_mov_b32 s1, 0xc0900000
	v_fma_f64 v[74:75], v[10:11], v[76:77], 1.0
	v_cmp_ngt_f64_e32 vcc, s[0:1], v[4:5]
	s_mov_b32 s0, 0
	v_fma_f64 v[10:11], v[10:11], v[74:75], 1.0
	v_cvt_i32_f64_e32 v6, v[6:7]
	s_mov_b32 s1, 0x4090cc00
	v_ldexp_f64 v[6:7], v[10:11], v6
	v_cmp_nlt_f64_e64 s[0:1], s[0:1], v[4:5]
	v_mov_b32_e32 v8, 0
	v_cndmask_b32_e32 v7, v94, v7, vcc
	s_and_b64 vcc, s[0:1], vcc
	v_mov_b32_e32 v9, 0x3ff00000
	v_mov_b32_e32 v78, 0
	v_cndmask_b32_e64 v11, 0, v7, s[0:1]
	v_cndmask_b32_e32 v10, 0, v6, vcc
	s_mov_b32 s12, -1
	s_mov_b64 s[0:1], 0
	v_mov_b32_e32 v79, v17
	s_branch .LBB62_47
.LBB62_46:                              ;   in Loop: Header=BB62_47 Depth=2
	s_or_b64 exec, exec, s[6:7]
	v_cmp_eq_u32_e32 vcc, 1, v15
	v_cndmask_b32_e32 v0, v0, v1, vcc
	v_cmp_eq_u32_e32 vcc, 2, v15
	v_cndmask_b32_e32 v0, v0, v2, vcc
	;; [unrolled: 2-line block ×6, first 2 shown]
	v_lshrrev_b32_e32 v0, 11, v0
	v_cvt_f64_u32_e32 v[0:1], v0
	v_ldexp_f64 v[0:1], v[0:1], 32
	v_cvt_f64_u32_e32 v[2:3], v2
	v_add_f64 v[0:1], v[0:1], v[2:3]
	v_mov_b32_e32 v2, 0
	v_mov_b32_e32 v3, 0x3ca00000
	v_fmac_f64_e32 v[2:3], 0x3ca00000, v[0:1]
	v_mul_f64 v[8:9], v[8:9], v[2:3]
	v_cmp_ngt_f64_e32 vcc, v[8:9], v[10:11]
	s_add_i32 s12, s12, 1
	s_or_b64 s[0:1], vcc, s[0:1]
	v_mov_b32_e32 v75, s12
	v_mov_b32_e32 v15, v81
	;; [unrolled: 1-line block ×6, first 2 shown]
	s_andn2_b64 exec, exec, s[0:1]
	s_cbranch_execz .LBB62_2
.LBB62_47:                              ;   Parent Loop BB62_5 Depth=1
                                        ; =>  This Inner Loop Header: Depth=2
	v_add_u32_e32 v80, 1, v15
	v_pk_mov_b32 v[6:7], v[2:3], v[2:3] op_sel:[0,1]
	v_cmp_eq_u32_e32 vcc, 4, v80
	v_pk_mov_b32 v[4:5], v[0:1], v[0:1] op_sel:[0,1]
	v_mov_b32_e32 v77, v0
	v_mov_b32_e32 v76, v1
	v_mov_b32_e32 v82, v2
	v_mov_b32_e32 v74, v3
	s_and_saveexec_b64 s[6:7], vcc
	s_cbranch_execz .LBB62_49
; %bb.48:                               ;   in Loop: Header=BB62_47 Depth=2
	v_add_co_u32_e32 v97, vcc, 1, v97
	v_cndmask_b32_e64 v4, 0, 1, vcc
	v_addc_co_u32_e32 v98, vcc, 0, v98, vcc
	v_cmp_eq_u32_e32 vcc, 0, v98
	v_cndmask_b32_e32 v4, 0, v4, vcc
	v_add_u32_e32 v79, v4, v79
	v_cmp_eq_u32_e32 vcc, 0, v79
	v_cndmask_b32_e32 v4, 0, v4, vcc
	v_add_u32_e32 v78, v4, v78
	v_mad_u64_u32 v[4:5], s[14:15], v97, s10, 0
	v_mad_u64_u32 v[6:7], s[14:15], v79, s9, 0
	v_xor_b32_e32 v5, v5, v73
	v_xor_b32_e32 v7, v7, v72
	v_xor_b32_e32 v5, v78, v5
	v_xor_b32_e32 v7, v98, v7
	v_mad_u64_u32 v[76:77], s[14:15], v5, s9, 0
	v_mad_u64_u32 v[74:75], s[14:15], v7, s10, 0
	v_xor_b32_e32 v5, v99, v77
	v_xor_b32_e32 v5, v5, v6
	v_xor_b32_e32 v6, v100, v75
	v_xor_b32_e32 v6, v6, v4
	;; [unrolled: 6-line block ×10, first 2 shown]
	v_mov_b32_e32 v80, 0
	v_mov_b32_e32 v5, v76
	;; [unrolled: 1-line block ×5, first 2 shown]
.LBB62_49:                              ;   in Loop: Header=BB62_47 Depth=2
	s_or_b64 exec, exec, s[6:7]
	v_add_u32_e32 v81, 1, v80
	v_cmp_eq_u32_e32 vcc, 4, v81
	s_and_saveexec_b64 s[6:7], vcc
	s_cbranch_execz .LBB62_46
; %bb.50:                               ;   in Loop: Header=BB62_47 Depth=2
	v_add_co_u32_e32 v97, vcc, 1, v97
	v_cndmask_b32_e64 v74, 0, 1, vcc
	v_addc_co_u32_e32 v98, vcc, 0, v98, vcc
	v_cmp_eq_u32_e32 vcc, 0, v98
	v_cndmask_b32_e32 v74, 0, v74, vcc
	v_add_u32_e32 v79, v74, v79
	v_cmp_eq_u32_e32 vcc, 0, v79
	v_cndmask_b32_e32 v74, 0, v74, vcc
	v_add_u32_e32 v78, v74, v78
	v_mad_u64_u32 v[74:75], s[14:15], v97, s10, 0
	v_mad_u64_u32 v[76:77], s[14:15], v79, s9, 0
	v_xor_b32_e32 v75, v75, v73
	v_xor_b32_e32 v77, v77, v72
	v_xor_b32_e32 v75, v78, v75
	v_xor_b32_e32 v77, v98, v77
	v_mad_u64_u32 v[84:85], s[14:15], v75, s9, 0
	v_mad_u64_u32 v[82:83], s[14:15], v77, s10, 0
	v_xor_b32_e32 v75, v99, v85
	v_xor_b32_e32 v75, v75, v76
	v_xor_b32_e32 v76, v100, v83
	v_xor_b32_e32 v76, v76, v74
	;; [unrolled: 6-line block ×9, first 2 shown]
	v_mad_u64_u32 v[74:75], s[14:15], v74, s10, 0
	v_mad_u64_u32 v[76:77], s[14:15], v76, s9, 0
	v_xor_b32_e32 v77, v77, v116
	v_xor_b32_e32 v75, v75, v86
	v_mov_b32_e32 v81, 0
	v_xor_b32_e32 v77, v106, v77
	v_xor_b32_e32 v82, v96, v75
	s_branch .LBB62_46
.LBB62_51:
	s_or_b64 exec, exec, s[16:17]
	s_and_saveexec_b64 s[0:1], s[36:37]
	s_xor_b64 s[0:1], exec, s[0:1]
	s_cbranch_execnz .LBB62_53
.LBB62_52:
	s_endpgm
.LBB62_53:
	s_trap 2
	; divergent unreachable
	s_endpgm
	.section	.rodata,"a",@progbits
	.p2align	6, 0x0
	.amdhsa_kernel _ZN2at4cuda12_GLOBAL__N_121kernelPointwiseApply2IZN12_GLOBAL__N_119poisson_cuda_kernelIdEEvRKNS_10TensorBaseES7_NS_15PhiloxCudaStateEEUlRdRKdE_ddjLi2ELin1ELi1ELi512ELi2EEEvNS0_6detail10TensorInfoIT0_T2_EENSE_IT1_SG_EESG_T_
		.amdhsa_group_segment_fixed_size 0
		.amdhsa_private_segment_fixed_size 0
		.amdhsa_kernarg_size 728
		.amdhsa_user_sgpr_count 6
		.amdhsa_user_sgpr_private_segment_buffer 1
		.amdhsa_user_sgpr_dispatch_ptr 0
		.amdhsa_user_sgpr_queue_ptr 0
		.amdhsa_user_sgpr_kernarg_segment_ptr 1
		.amdhsa_user_sgpr_dispatch_id 0
		.amdhsa_user_sgpr_flat_scratch_init 0
		.amdhsa_user_sgpr_kernarg_preload_length 0
		.amdhsa_user_sgpr_kernarg_preload_offset 0
		.amdhsa_user_sgpr_private_segment_size 0
		.amdhsa_uses_dynamic_stack 0
		.amdhsa_system_sgpr_private_segment_wavefront_offset 0
		.amdhsa_system_sgpr_workgroup_id_x 1
		.amdhsa_system_sgpr_workgroup_id_y 0
		.amdhsa_system_sgpr_workgroup_id_z 0
		.amdhsa_system_sgpr_workgroup_info 0
		.amdhsa_system_vgpr_workitem_id 0
		.amdhsa_next_free_vgpr 135
		.amdhsa_next_free_sgpr 96
		.amdhsa_accum_offset 136
		.amdhsa_reserve_vcc 1
		.amdhsa_reserve_flat_scratch 0
		.amdhsa_float_round_mode_32 0
		.amdhsa_float_round_mode_16_64 0
		.amdhsa_float_denorm_mode_32 3
		.amdhsa_float_denorm_mode_16_64 3
		.amdhsa_dx10_clamp 1
		.amdhsa_ieee_mode 1
		.amdhsa_fp16_overflow 0
		.amdhsa_tg_split 0
		.amdhsa_exception_fp_ieee_invalid_op 0
		.amdhsa_exception_fp_denorm_src 0
		.amdhsa_exception_fp_ieee_div_zero 0
		.amdhsa_exception_fp_ieee_overflow 0
		.amdhsa_exception_fp_ieee_underflow 0
		.amdhsa_exception_fp_ieee_inexact 0
		.amdhsa_exception_int_div_zero 0
	.end_amdhsa_kernel
	.section	.text._ZN2at4cuda12_GLOBAL__N_121kernelPointwiseApply2IZN12_GLOBAL__N_119poisson_cuda_kernelIdEEvRKNS_10TensorBaseES7_NS_15PhiloxCudaStateEEUlRdRKdE_ddjLi2ELin1ELi1ELi512ELi2EEEvNS0_6detail10TensorInfoIT0_T2_EENSE_IT1_SG_EESG_T_,"axG",@progbits,_ZN2at4cuda12_GLOBAL__N_121kernelPointwiseApply2IZN12_GLOBAL__N_119poisson_cuda_kernelIdEEvRKNS_10TensorBaseES7_NS_15PhiloxCudaStateEEUlRdRKdE_ddjLi2ELin1ELi1ELi512ELi2EEEvNS0_6detail10TensorInfoIT0_T2_EENSE_IT1_SG_EESG_T_,comdat
.Lfunc_end62:
	.size	_ZN2at4cuda12_GLOBAL__N_121kernelPointwiseApply2IZN12_GLOBAL__N_119poisson_cuda_kernelIdEEvRKNS_10TensorBaseES7_NS_15PhiloxCudaStateEEUlRdRKdE_ddjLi2ELin1ELi1ELi512ELi2EEEvNS0_6detail10TensorInfoIT0_T2_EENSE_IT1_SG_EESG_T_, .Lfunc_end62-_ZN2at4cuda12_GLOBAL__N_121kernelPointwiseApply2IZN12_GLOBAL__N_119poisson_cuda_kernelIdEEvRKNS_10TensorBaseES7_NS_15PhiloxCudaStateEEUlRdRKdE_ddjLi2ELin1ELi1ELi512ELi2EEEvNS0_6detail10TensorInfoIT0_T2_EENSE_IT1_SG_EESG_T_
                                        ; -- End function
	.section	.AMDGPU.csdata,"",@progbits
; Kernel info:
; codeLenInByte = 13772
; NumSgprs: 100
; NumVgprs: 135
; NumAgprs: 0
; TotalNumVgprs: 135
; ScratchSize: 0
; MemoryBound: 0
; FloatMode: 240
; IeeeMode: 1
; LDSByteSize: 0 bytes/workgroup (compile time only)
; SGPRBlocks: 12
; VGPRBlocks: 16
; NumSGPRsForWavesPerEU: 100
; NumVGPRsForWavesPerEU: 135
; AccumOffset: 136
; Occupancy: 3
; WaveLimiterHint : 1
; COMPUTE_PGM_RSRC2:SCRATCH_EN: 0
; COMPUTE_PGM_RSRC2:USER_SGPR: 6
; COMPUTE_PGM_RSRC2:TRAP_HANDLER: 0
; COMPUTE_PGM_RSRC2:TGID_X_EN: 1
; COMPUTE_PGM_RSRC2:TGID_Y_EN: 0
; COMPUTE_PGM_RSRC2:TGID_Z_EN: 0
; COMPUTE_PGM_RSRC2:TIDIG_COMP_CNT: 0
; COMPUTE_PGM_RSRC3_GFX90A:ACCUM_OFFSET: 33
; COMPUTE_PGM_RSRC3_GFX90A:TG_SPLIT: 0
	.section	.text._ZN2at4cuda12_GLOBAL__N_121kernelPointwiseApply2IZN12_GLOBAL__N_119poisson_cuda_kernelIdEEvRKNS_10TensorBaseES7_NS_15PhiloxCudaStateEEUlRdRKdE_ddjLin1ELi1ELi1ELi512ELi2EEEvNS0_6detail10TensorInfoIT0_T2_EENSE_IT1_SG_EESG_T_,"axG",@progbits,_ZN2at4cuda12_GLOBAL__N_121kernelPointwiseApply2IZN12_GLOBAL__N_119poisson_cuda_kernelIdEEvRKNS_10TensorBaseES7_NS_15PhiloxCudaStateEEUlRdRKdE_ddjLin1ELi1ELi1ELi512ELi2EEEvNS0_6detail10TensorInfoIT0_T2_EENSE_IT1_SG_EESG_T_,comdat
	.globl	_ZN2at4cuda12_GLOBAL__N_121kernelPointwiseApply2IZN12_GLOBAL__N_119poisson_cuda_kernelIdEEvRKNS_10TensorBaseES7_NS_15PhiloxCudaStateEEUlRdRKdE_ddjLin1ELi1ELi1ELi512ELi2EEEvNS0_6detail10TensorInfoIT0_T2_EENSE_IT1_SG_EESG_T_ ; -- Begin function _ZN2at4cuda12_GLOBAL__N_121kernelPointwiseApply2IZN12_GLOBAL__N_119poisson_cuda_kernelIdEEvRKNS_10TensorBaseES7_NS_15PhiloxCudaStateEEUlRdRKdE_ddjLin1ELi1ELi1ELi512ELi2EEEvNS0_6detail10TensorInfoIT0_T2_EENSE_IT1_SG_EESG_T_
	.p2align	8
	.type	_ZN2at4cuda12_GLOBAL__N_121kernelPointwiseApply2IZN12_GLOBAL__N_119poisson_cuda_kernelIdEEvRKNS_10TensorBaseES7_NS_15PhiloxCudaStateEEUlRdRKdE_ddjLin1ELi1ELi1ELi512ELi2EEEvNS0_6detail10TensorInfoIT0_T2_EENSE_IT1_SG_EESG_T_,@function
_ZN2at4cuda12_GLOBAL__N_121kernelPointwiseApply2IZN12_GLOBAL__N_119poisson_cuda_kernelIdEEvRKNS_10TensorBaseES7_NS_15PhiloxCudaStateEEUlRdRKdE_ddjLin1ELi1ELi1ELi512ELi2EEEvNS0_6detail10TensorInfoIT0_T2_EENSE_IT1_SG_EESG_T_: ; @_ZN2at4cuda12_GLOBAL__N_121kernelPointwiseApply2IZN12_GLOBAL__N_119poisson_cuda_kernelIdEEvRKNS_10TensorBaseES7_NS_15PhiloxCudaStateEEUlRdRKdE_ddjLin1ELi1ELi1ELi512ELi2EEEvNS0_6detail10TensorInfoIT0_T2_EENSE_IT1_SG_EESG_T_
; %bb.0:
	s_load_dword s2, s[4:5], 0x1e4
	s_load_dword s33, s[4:5], 0x1b0
	s_add_u32 s0, s4, 0x1d8
	s_addc_u32 s1, s5, 0
	s_waitcnt lgkmcnt(0)
	s_and_b32 s2, s2, 0xffff
	s_mul_i32 s6, s6, s2
	v_add_u32_e32 v17, s6, v0
	v_cmp_gt_u32_e32 vcc, s33, v17
	s_and_saveexec_b64 s[6:7], vcc
	s_cbranch_execz .LBB63_50
; %bb.1:
	s_load_dword s18, s[4:5], 0x144
	s_load_dwordx4 s[8:11], s[4:5], 0x1b8
                                        ; implicit-def: $vgpr134 : SGPR spill to VGPR lane
                                        ; kill: killed $sgpr0 killed $sgpr1
	s_mov_b32 s28, 0
	s_mov_b32 s36, 0x55555555
	;; [unrolled: 1-line block ×4, first 2 shown]
	s_waitcnt lgkmcnt(0)
	v_writelane_b32 v134, s8, 0
	v_writelane_b32 v134, s9, 1
	;; [unrolled: 1-line block ×4, first 2 shown]
	s_load_dwordx2 s[68:69], s[4:5], 0xd8
	s_load_dword s3, s[4:5], 0xd0
	s_load_dword s9, s[0:1], 0x0
	s_load_dwordx2 s[6:7], s[4:5], 0x1c8
	s_mov_b32 s42, 0xd7f4df2e
	s_load_dwordx2 s[0:1], s[4:5], 0x0
	s_waitcnt lgkmcnt(0)
	s_cmp_gt_i32 s3, 1
	s_mul_i32 s19, s9, s2
	v_writelane_b32 v134, s6, 4
	v_writelane_b32 v134, s7, 5
	s_load_dword s8, s[4:5], 0x1d0
	s_load_dword s6, s[4:5], 0x6c
	s_mov_b32 s44, 0x16291751
	s_mov_b32 s46, 0x9b27acf1
	;; [unrolled: 1-line block ×4, first 2 shown]
	s_waitcnt lgkmcnt(0)
	v_writelane_b32 v134, s6, 6
	v_writelane_b32 v134, s0, 7
	;; [unrolled: 1-line block ×3, first 2 shown]
	s_cselect_b64 s[6:7], -1, 0
	s_getpc_b64 s[0:1]
	s_add_u32 s0, s0, .str@rel32@lo+4
	s_addc_u32 s1, s1, .str@rel32@hi+12
	s_cmp_eq_u64 s[0:1], 0
	s_cselect_b64 s[0:1], -1, 0
	s_bitcmp1_b32 s8, 0
	s_cselect_b64 s[10:11], -1, 0
	v_writelane_b32 v134, s10, 9
	s_mov_b32 s8, 0xcd9e8d57
	v_writelane_b32 v134, s11, 10
	v_mad_u64_u32 v[12:13], s[10:11], v17, s8, 0
	s_add_i32 s10, s3, 1
	s_add_i32 s2, s3, -1
	s_mov_b32 s3, 0
	s_lshl_b64 s[2:3], s[2:3], 2
	s_add_u32 s2, s2, s4
	s_addc_u32 s3, s3, s5
	s_add_u32 s2, s2, 8
	s_addc_u32 s3, s3, 0
	v_writelane_b32 v134, s2, 11
	v_writelane_b32 v134, s3, 12
	s_xor_b64 s[0:1], s[0:1], -1
	v_cndmask_b32_e64 v0, 0, 1, s[6:7]
	v_writelane_b32 v134, s0, 13
	s_mov_b32 s54, 0x3b39803f
	s_mov_b32 s58, 0x652b82fe
	;; [unrolled: 1-line block ×4, first 2 shown]
	v_writelane_b32 v134, s1, 14
	v_cmp_ne_u32_e64 s[0:1], 1, v0
	s_mov_b32 s70, 0
	s_mov_b32 s72, 0
	s_mov_b32 s74, 0x8f3faeef
	s_mov_b32 s76, 0
	s_mov_b32 s78, 0x4e4e324f
	s_mov_b32 s80, 0
	s_mov_b32 s82, 0x992b2855
	s_mov_b32 s84, 0
	s_mov_b32 s86, 0x7f8b9c81
	s_mov_b32 s88, 0x51a32f5d
	s_mov_b32 s90, 0x61d3b4d8
	s_mov_b32 s92, 0x8ed4171b
	s_mov_b32 s94, 0xb6c30b05
	s_movk_i32 s26, 0xf950
	s_mov_b32 s22, 0xc864beb5
	s_mov_b32 s24, 0
	;; [unrolled: 1-line block ×3, first 2 shown]
	s_mov_b64 s[16:17], 0
	v_mov_b32_e32 v14, 0
	v_mov_b32_e32 v16, v13
	s_mov_b32 s11, 0xd2511f53
	s_mov_b32 s29, 0x40080000
	;; [unrolled: 1-line block ×12, first 2 shown]
	s_movk_i32 s9, 0x204
	s_mov_b32 s59, 0x3ff71547
	s_mov_b32 s61, 0xbfe62e42
	;; [unrolled: 1-line block ×5, first 2 shown]
	v_mov_b32_e32 v18, 0x6b47b09a
	v_mov_b32_e32 v20, 0xd7f4df2e
	;; [unrolled: 1-line block ×60, first 2 shown]
	v_writelane_b32 v134, s0, 15
	s_mov_b32 s71, 0xc090cc00
	s_mov_b32 s73, 0x40200000
	;; [unrolled: 1-line block ×18, first 2 shown]
	v_writelane_b32 v134, s1, 16
                                        ; implicit-def: $sgpr20_sgpr21
                                        ; implicit-def: $sgpr34_sgpr35
	s_branch .LBB63_5
.LBB63_2:                               ;   in Loop: Header=BB63_5 Depth=1
	s_or_b64 exec, exec, s[2:3]
.LBB63_3:                               ;   in Loop: Header=BB63_5 Depth=1
	s_or_b64 exec, exec, s[0:1]
	v_readlane_b32 s0, v134, 7
	v_lshlrev_b64 v[0:1], 3, v[70:71]
	v_readlane_b32 s1, v134, 8
	v_mov_b32_e32 v2, s1
	v_add_co_u32_e32 v0, vcc, s0, v0
	v_addc_co_u32_e32 v1, vcc, v2, v1, vcc
	v_add_u32_e32 v94, s19, v94
	v_cmp_le_u32_e32 vcc, s33, v94
	v_cvt_f64_u32_e32 v[2:3], v75
	s_andn2_b64 s[34:35], s[34:35], exec
	s_orn2_b64 s[0:1], vcc, exec
	global_store_dwordx2 v[0:1], v[2:3], off
.LBB63_4:                               ;   in Loop: Header=BB63_5 Depth=1
	s_or_b64 exec, exec, s[56:57]
	s_and_b64 s[0:1], exec, s[0:1]
	s_or_b64 s[16:17], s[0:1], s[16:17]
	s_andn2_b64 s[0:1], s[20:21], exec
	s_and_b64 s[2:3], s[34:35], exec
	s_or_b64 s[20:21], s[0:1], s[2:3]
	s_andn2_b64 exec, exec, s[16:17]
	s_cbranch_execz .LBB63_49
.LBB63_5:                               ; =>This Loop Header: Depth=1
                                        ;     Child Loop BB63_8 Depth 2
                                        ;     Child Loop BB63_16 Depth 2
	;; [unrolled: 1-line block ×3, first 2 shown]
	v_sub_u32_e32 v0, s33, v94
	v_cmp_lt_i32_e64 s[2:3], 0, v0
	v_pk_mov_b32 v[70:71], 0, 0
	s_and_saveexec_b64 s[0:1], s[2:3]
	s_cbranch_execz .LBB63_10
; %bb.6:                                ;   in Loop: Header=BB63_5 Depth=1
	v_readlane_b32 s4, v134, 15
	v_readlane_b32 s5, v134, 16
	s_and_b64 vcc, exec, s[4:5]
	v_mov_b32_e32 v0, 0
	v_mov_b32_e32 v2, v94
	s_cbranch_vccnz .LBB63_9
; %bb.7:                                ;   in Loop: Header=BB63_5 Depth=1
	v_readlane_b32 s4, v134, 11
	v_mov_b32_e32 v0, 0
	v_readlane_b32 s5, v134, 12
	s_mov_b32 s6, s10
	v_mov_b32_e32 v2, v94
.LBB63_8:                               ;   Parent Loop BB63_5 Depth=1
                                        ; =>  This Inner Loop Header: Depth=2
	s_load_dword s7, s[4:5], 0x0
	s_load_dword s12, s[4:5], 0x64
	v_mov_b32_e32 v1, v2
	s_add_i32 s6, s6, -1
	s_waitcnt lgkmcnt(0)
	v_cvt_f32_u32_e32 v2, s7
	s_sub_i32 s14, 0, s7
	s_add_u32 s4, s4, -4
	s_addc_u32 s5, s5, -1
	v_rcp_iflag_f32_e32 v2, v2
	s_cmp_gt_u32 s6, 2
	v_mul_f32_e32 v2, 0x4f7ffffe, v2
	v_cvt_u32_f32_e32 v2, v2
	v_mul_lo_u32 v3, s14, v2
	v_mul_hi_u32 v3, v2, v3
	v_add_u32_e32 v2, v2, v3
	v_mul_hi_u32 v2, v1, v2
	v_mul_lo_u32 v3, v2, s7
	v_sub_u32_e32 v3, v1, v3
	v_add_u32_e32 v4, 1, v2
	v_subrev_u32_e32 v5, s7, v3
	v_cmp_le_u32_e32 vcc, s7, v3
	v_cndmask_b32_e32 v2, v2, v4, vcc
	v_cndmask_b32_e32 v3, v3, v5, vcc
	v_add_u32_e32 v4, 1, v2
	v_cmp_le_u32_e32 vcc, s7, v3
	v_cndmask_b32_e32 v2, v2, v4, vcc
	v_mul_lo_u32 v3, v2, s7
	v_sub_u32_e32 v1, v1, v3
	v_mad_u64_u32 v[0:1], s[14:15], s12, v1, v[0:1]
	s_cbranch_scc1 .LBB63_8
.LBB63_9:                               ;   in Loop: Header=BB63_5 Depth=1
	v_readlane_b32 s4, v134, 6
	v_mad_u64_u32 v[70:71], s[4:5], s4, v2, v[0:1]
	v_mov_b32_e32 v71, v14
.LBB63_10:                              ;   in Loop: Header=BB63_5 Depth=1
	s_or_b64 exec, exec, s[0:1]
	v_mul_lo_u32 v0, v94, s18
	v_cndmask_b32_e64 v0, 0, v0, s[2:3]
	v_mov_b32_e32 v1, v14
	v_lshlrev_b64 v[0:1], 3, v[0:1]
	v_add_co_u32_e32 v0, vcc, s68, v0
	v_addc_co_u32_e32 v1, vcc, v13, v1, vcc
	global_load_dwordx2 v[4:5], v[0:1], off
	v_readlane_b32 s2, v134, 13
	v_readlane_b32 s3, v134, 14
	s_mov_b64 s[0:1], -1
	s_or_b64 s[34:35], s[34:35], exec
	s_waitcnt vmcnt(0)
	v_cmp_le_f64_e32 vcc, 0, v[4:5]
	s_and_b64 s[2:3], s[2:3], vcc
	s_and_saveexec_b64 s[56:57], s[2:3]
	s_cbranch_execz .LBB63_4
; %bb.11:                               ;   in Loop: Header=BB63_5 Depth=1
	v_readlane_b32 s0, v134, 9
	v_readlane_b32 s1, v134, 10
	s_andn2_b64 vcc, exec, s[0:1]
	v_readlane_b32 s0, v134, 0
	v_readlane_b32 s1, v134, 1
	;; [unrolled: 1-line block ×4, first 2 shown]
	v_pk_mov_b32 v[0:1], s[2:3], s[2:3] op_sel:[0,1]
	v_pk_mov_b32 v[72:73], s[0:1], s[0:1] op_sel:[0,1]
	s_cbranch_vccnz .LBB63_13
; %bb.12:                               ;   in Loop: Header=BB63_5 Depth=1
	v_readlane_b32 s0, v134, 0
	v_readlane_b32 s2, v134, 2
	v_readlane_b32 s3, v134, 3
	v_pk_mov_b32 v[0:1], s[2:3], s[2:3] op_sel:[0,1]
	v_readlane_b32 s1, v134, 1
	flat_load_dwordx2 v[0:1], v[0:1]
	v_pk_mov_b32 v[2:3], s[0:1], s[0:1] op_sel:[0,1]
	flat_load_dwordx2 v[72:73], v[2:3]
	v_readlane_b32 s0, v134, 4
	v_readlane_b32 s1, v134, 5
	v_mov_b32_e32 v2, s1
	s_waitcnt vmcnt(0) lgkmcnt(0)
	v_add_co_u32_e32 v0, vcc, s0, v0
	v_addc_co_u32_e32 v1, vcc, v1, v2, vcc
.LBB63_13:                              ;   in Loop: Header=BB63_5 Depth=1
	v_alignbit_b32 v96, v1, v0, 2
	v_and_b32_e32 v15, 3, v0
	v_lshrrev_b32_e32 v97, 2, v1
	v_mad_u64_u32 v[0:1], s[0:1], v96, s11, 0
	v_xor_b32_e32 v3, v16, v72
	v_mov_b32_e32 v2, v73
	v_xor_b32_e32 v1, v1, v73
	s_mov_b32 s0, 0xbb67ae85
	v_xor_b32_e32 v3, v3, v97
	v_add_co_u32_e32 v99, vcc, s0, v2
	v_mad_u64_u32 v[6:7], s[0:1], v3, s11, 0
	v_mad_u64_u32 v[8:9], s[0:1], v1, s8, 0
	v_add_co_u32_e32 v98, vcc, 0x9e3779b9, v72
	v_xor_b32_e32 v1, v12, v9
	v_xor_b32_e32 v3, v99, v7
	s_mov_b32 s0, 0x3c6ef372
	v_xor_b32_e32 v1, v1, v98
	v_xor_b32_e32 v3, v3, v0
	v_add_co_u32_e32 v100, vcc, s0, v72
	s_mov_b32 s0, 0x76cf5d0a
	v_add_co_u32_e32 v101, vcc, s0, v2
	v_mad_u64_u32 v[0:1], s[0:1], v1, s11, 0
	v_mad_u64_u32 v[10:11], s[0:1], v3, s8, 0
	v_xor_b32_e32 v3, v100, v11
	v_xor_b32_e32 v1, v101, v1
	s_mov_b32 s0, 0xdaa66d2b
	v_xor_b32_e32 v3, v3, v8
	v_xor_b32_e32 v1, v1, v6
	v_add_co_u32_e32 v103, vcc, s0, v72
	s_mov_b32 s0, 0x32370b8f
	v_add_co_u32_e32 v104, vcc, s0, v2
	v_mad_u64_u32 v[6:7], s[0:1], v3, s11, 0
	v_mad_u64_u32 v[8:9], s[0:1], v1, s8, 0
	;; [unrolled: 10-line block ×7, first 2 shown]
	v_xor_b32_e32 v1, v102, v1
	v_xor_b32_e32 v3, v114, v3
	;; [unrolled: 1-line block ×4, first 2 shown]
	v_mad_u64_u32 v[6:7], s[0:1], v1, s11, 0
	v_mad_u64_u32 v[8:9], s[0:1], v8, s8, 0
	s_mov_b32 s0, 0
	v_add_u32_e32 v105, 0x8ff34781, v72
	v_add_u32_e32 v95, 0x96a522ad, v73
	v_xor_b32_e32 v0, v9, v0
	v_xor_b32_e32 v2, v7, v2
	s_mov_b32 s1, 0x40500000
	v_mov_b32_e32 v3, v6
	v_mov_b32_e32 v1, v8
	v_xor_b32_e32 v0, v105, v0
	v_xor_b32_e32 v2, v95, v2
	v_cmp_ngt_f64_e32 vcc, s[0:1], v[4:5]
                                        ; implicit-def: $vgpr75
	s_and_saveexec_b64 s[0:1], vcc
	s_xor_b64 s[4:5], exec, s[0:1]
	s_cbranch_execz .LBB63_42
; %bb.14:                               ;   in Loop: Header=BB63_5 Depth=1
	s_mov_b32 s0, 0
	s_mov_b32 s1, 0x40af4000
	v_cmp_ge_f64_e32 vcc, s[0:1], v[4:5]
                                        ; implicit-def: $vgpr75
	s_and_saveexec_b64 s[0:1], vcc
	s_xor_b64 s[14:15], exec, s[0:1]
	s_cbranch_execz .LBB63_29
; %bb.15:                               ;   in Loop: Header=BB63_5 Depth=1
	s_mov_b32 s6, 0xae147ae1
	s_mov_b32 s7, 0xc00ae147
	v_div_scale_f64 v[6:7], s[0:1], v[4:5], v[4:5], s[6:7]
	v_rcp_f64_e32 v[8:9], v[6:7]
	s_mov_b32 s0, 0
	v_mul_f64 v[76:77], v[4:5], s[28:29]
	s_brev_b32 s1, 8
	v_cmp_gt_f64_e64 s[2:3], s[0:1], v[76:77]
	v_cndmask_b32_e64 v78, 0, 1, s[2:3]
	v_fma_f64 v[74:75], -v[6:7], v[8:9], 1.0
	v_lshlrev_b32_e32 v78, 8, v78
	v_fmac_f64_e32 v[8:9], v[8:9], v[74:75]
	v_ldexp_f64 v[76:77], v[76:77], v78
	v_fma_f64 v[74:75], -v[6:7], v[8:9], 1.0
	v_rsq_f64_e32 v[78:79], v[76:77]
	v_div_scale_f64 v[10:11], vcc, s[6:7], v[4:5], s[6:7]
	v_fmac_f64_e32 v[8:9], v[8:9], v[74:75]
	v_mul_f64 v[74:75], v[10:11], v[8:9]
	v_fma_f64 v[6:7], -v[6:7], v[74:75], v[10:11]
	s_nop 0
	v_div_fmas_f64 v[6:7], v[6:7], v[8:9], v[74:75]
	v_mul_f64 v[8:9], v[76:77], v[78:79]
	v_mul_f64 v[10:11], v[78:79], 0.5
	v_fma_f64 v[74:75], -v[10:11], v[8:9], 0.5
	v_fmac_f64_e32 v[8:9], v[8:9], v[74:75]
	v_fma_f64 v[78:79], -v[8:9], v[8:9], v[76:77]
	v_fmac_f64_e32 v[10:11], v[10:11], v[74:75]
	v_fmac_f64_e32 v[8:9], v[78:79], v[10:11]
	v_fma_f64 v[74:75], -v[8:9], v[8:9], v[76:77]
	v_fmac_f64_e32 v[8:9], v[74:75], v[10:11]
	v_cndmask_b32_e64 v10, 0, v89, s[2:3]
	v_ldexp_f64 v[8:9], v[8:9], v10
	v_cmp_class_f64_e32 vcc, v[76:77], v88
	s_mov_b32 s2, 0x54442d18
	v_cndmask_b32_e32 v9, v9, v77, vcc
	v_cndmask_b32_e32 v8, v8, v76, vcc
	s_mov_b32 s3, 0x400921fb
	v_div_scale_f64 v[10:11], s[0:1], v[8:9], v[8:9], s[2:3]
	v_rcp_f64_e32 v[76:77], v[10:11]
	s_mov_b32 s0, 0x95810625
	v_div_fixup_f64 v[6:7], v[6:7], v[4:5], s[6:7]
	s_mov_b32 s1, 0x3fe88b43
	v_fma_f64 v[78:79], -v[10:11], v[76:77], 1.0
	v_fmac_f64_e32 v[76:77], v[76:77], v[78:79]
	v_fma_f64 v[78:79], -v[10:11], v[76:77], 1.0
	v_fmac_f64_e32 v[76:77], v[76:77], v[78:79]
	v_div_scale_f64 v[78:79], vcc, s[2:3], v[8:9], s[2:3]
	v_mul_f64 v[80:81], v[78:79], v[76:77]
	v_fma_f64 v[10:11], -v[10:11], v[80:81], v[78:79]
	v_add_f64 v[6:7], v[6:7], s[0:1]
	s_nop 0
	v_div_fmas_f64 v[10:11], v[10:11], v[76:77], v[80:81]
	v_div_fixup_f64 v[76:77], v[10:11], v[8:9], s[2:3]
	v_frexp_mant_f64_e32 v[8:9], v[6:7]
	v_cmp_gt_f64_e32 vcc, s[36:37], v[8:9]
	v_mov_b32_e32 v74, 0
	v_cndmask_b32_e64 v75, v90, 2.0, vcc
	v_frexp_exp_i32_f64_e32 v10, v[6:7]
	v_mul_f64 v[8:9], v[8:9], v[74:75]
	v_subbrev_co_u32_e32 v75, vcc, 0, v10, vcc
	v_add_f64 v[10:11], v[8:9], 1.0
	v_rcp_f64_e32 v[80:81], v[10:11]
	v_add_f64 v[84:85], v[10:11], -1.0
	v_add_f64 v[82:83], v[8:9], -1.0
	v_add_f64 v[8:9], v[8:9], -v[84:85]
	v_fma_f64 v[84:85], -v[10:11], v[80:81], 1.0
	v_fmac_f64_e32 v[80:81], v[84:85], v[80:81]
	v_fma_f64 v[84:85], -v[10:11], v[80:81], 1.0
	v_fmac_f64_e32 v[80:81], v[84:85], v[80:81]
	v_mul_f64 v[84:85], v[82:83], v[80:81]
	v_mul_f64 v[86:87], v[10:11], v[84:85]
	v_fma_f64 v[10:11], v[84:85], v[10:11], -v[86:87]
	v_fmac_f64_e32 v[10:11], v[84:85], v[8:9]
	v_add_f64 v[8:9], v[86:87], v[10:11]
	v_add_f64 v[116:117], v[82:83], -v[8:9]
	v_add_f64 v[86:87], v[8:9], -v[86:87]
	;; [unrolled: 1-line block ×5, first 2 shown]
	v_add_f64 v[8:9], v[10:11], v[8:9]
	v_add_f64 v[8:9], v[116:117], v[8:9]
	v_mul_f64 v[8:9], v[80:81], v[8:9]
	v_add_f64 v[10:11], v[84:85], v[8:9]
	v_add_f64 v[80:81], v[10:11], -v[84:85]
	v_add_f64 v[8:9], v[8:9], -v[80:81]
	v_mul_f64 v[80:81], v[10:11], v[10:11]
	v_pk_mov_b32 v[82:83], s[38:39], s[38:39] op_sel:[0,1]
	v_fma_f64 v[84:85], s[40:41], v[80:81], v[82:83]
	v_fma_f64 v[84:85], v[80:81], v[84:85], s[42:43]
	;; [unrolled: 1-line block ×5, first 2 shown]
	s_mov_b32 s51, s37
	v_fma_f64 v[84:85], v[80:81], v[84:85], s[50:51]
	v_ldexp_f64 v[86:87], v[10:11], 1
	v_mul_f64 v[10:11], v[10:11], v[80:81]
	v_mul_f64 v[10:11], v[10:11], v[84:85]
	v_add_f64 v[80:81], v[86:87], v[10:11]
	v_add_f64 v[84:85], v[80:81], -v[86:87]
	v_ldexp_f64 v[8:9], v[8:9], 1
	v_add_f64 v[10:11], v[10:11], -v[84:85]
	v_add_f64 v[8:9], v[8:9], v[10:11]
	v_add_f64 v[10:11], v[80:81], v[8:9]
	v_add_f64 v[80:81], v[10:11], -v[80:81]
	v_add_f64 v[8:9], v[8:9], -v[80:81]
	v_cvt_f64_i32_e32 v[80:81], v75
	v_mul_f64 v[84:85], v[80:81], s[52:53]
	v_fma_f64 v[86:87], v[80:81], s[52:53], -v[84:85]
	v_fmac_f64_e32 v[86:87], s[54:55], v[80:81]
	v_add_f64 v[80:81], v[84:85], v[86:87]
	v_add_f64 v[84:85], v[80:81], -v[84:85]
	v_add_f64 v[84:85], v[86:87], -v[84:85]
	v_add_f64 v[86:87], v[80:81], v[10:11]
	v_add_f64 v[116:117], v[86:87], -v[80:81]
	v_add_f64 v[118:119], v[86:87], -v[116:117]
	;; [unrolled: 1-line block ×4, first 2 shown]
	v_add_f64 v[10:11], v[10:11], v[80:81]
	v_add_f64 v[80:81], v[84:85], v[8:9]
	v_add_f64 v[116:117], v[80:81], -v[84:85]
	v_add_f64 v[118:119], v[80:81], -v[116:117]
	v_add_f64 v[10:11], v[80:81], v[10:11]
	v_add_f64 v[84:85], v[84:85], -v[118:119]
	v_add_f64 v[8:9], v[8:9], -v[116:117]
	v_add_f64 v[80:81], v[86:87], v[10:11]
	v_add_f64 v[8:9], v[8:9], v[84:85]
	v_add_f64 v[84:85], v[80:81], -v[86:87]
	v_add_f64 v[10:11], v[10:11], -v[84:85]
	v_add_f64 v[8:9], v[8:9], v[10:11]
	v_add_f64 v[8:9], v[80:81], v[8:9]
	v_cmp_class_f64_e64 vcc, v[6:7], s9
	v_cndmask_b32_e32 v8, v8, v6, vcc
	v_cndmask_b32_e32 v9, v9, v7, vcc
	v_cmp_ngt_f64_e32 vcc, 0, v[6:7]
	v_cndmask_b32_e32 v9, v91, v9, vcc
	v_cmp_nge_f64_e32 vcc, 0, v[6:7]
	v_cndmask_b32_e32 v8, 0, v8, vcc
	v_cmp_neq_f64_e32 vcc, 0, v[6:7]
	v_cndmask_b32_e32 v9, v92, v9, vcc
	v_add_f64 v[6:7], v[8:9], -v[4:5]
	v_frexp_mant_f64_e32 v[8:9], v[76:77]
	v_cmp_gt_f64_e32 vcc, s[36:37], v[8:9]
	v_cndmask_b32_e64 v75, v90, 2.0, vcc
	v_frexp_exp_i32_f64_e32 v10, v[76:77]
	v_mul_f64 v[8:9], v[8:9], v[74:75]
	v_subbrev_co_u32_e32 v75, vcc, 0, v10, vcc
	v_add_f64 v[10:11], v[8:9], 1.0
	v_rcp_f64_e32 v[80:81], v[10:11]
	v_add_f64 v[86:87], v[10:11], -1.0
	v_add_f64 v[84:85], v[8:9], -1.0
	v_add_f64 v[8:9], v[8:9], -v[86:87]
	v_fma_f64 v[86:87], -v[10:11], v[80:81], 1.0
	v_fmac_f64_e32 v[80:81], v[86:87], v[80:81]
	v_fma_f64 v[86:87], -v[10:11], v[80:81], 1.0
	v_fmac_f64_e32 v[80:81], v[86:87], v[80:81]
	v_mul_f64 v[86:87], v[84:85], v[80:81]
	v_mul_f64 v[116:117], v[10:11], v[86:87]
	v_fma_f64 v[10:11], v[86:87], v[10:11], -v[116:117]
	v_fmac_f64_e32 v[10:11], v[86:87], v[8:9]
	v_add_f64 v[8:9], v[116:117], v[10:11]
	v_add_f64 v[118:119], v[84:85], -v[8:9]
	v_add_f64 v[116:117], v[8:9], -v[116:117]
	;; [unrolled: 1-line block ×5, first 2 shown]
	v_add_f64 v[8:9], v[10:11], v[8:9]
	v_add_f64 v[8:9], v[118:119], v[8:9]
	v_mul_f64 v[8:9], v[80:81], v[8:9]
	v_add_f64 v[10:11], v[86:87], v[8:9]
	v_add_f64 v[80:81], v[10:11], -v[86:87]
	v_add_f64 v[8:9], v[8:9], -v[80:81]
	v_mul_f64 v[80:81], v[10:11], v[10:11]
	v_fma_f64 v[84:85], s[40:41], v[80:81], v[82:83]
	v_fma_f64 v[84:85], v[80:81], v[84:85], s[42:43]
	;; [unrolled: 1-line block ×6, first 2 shown]
	v_ldexp_f64 v[86:87], v[10:11], 1
	v_mul_f64 v[10:11], v[10:11], v[80:81]
	v_mul_f64 v[10:11], v[10:11], v[84:85]
	v_add_f64 v[80:81], v[86:87], v[10:11]
	v_add_f64 v[84:85], v[80:81], -v[86:87]
	v_ldexp_f64 v[8:9], v[8:9], 1
	v_add_f64 v[10:11], v[10:11], -v[84:85]
	v_add_f64 v[8:9], v[8:9], v[10:11]
	v_add_f64 v[10:11], v[80:81], v[8:9]
	v_add_f64 v[80:81], v[10:11], -v[80:81]
	v_add_f64 v[8:9], v[8:9], -v[80:81]
	v_cvt_f64_i32_e32 v[80:81], v75
	v_mul_f64 v[84:85], v[80:81], s[52:53]
	v_fma_f64 v[86:87], v[80:81], s[52:53], -v[84:85]
	v_fmac_f64_e32 v[86:87], s[54:55], v[80:81]
	v_add_f64 v[80:81], v[84:85], v[86:87]
	v_add_f64 v[84:85], v[80:81], -v[84:85]
	v_add_f64 v[84:85], v[86:87], -v[84:85]
	v_add_f64 v[86:87], v[80:81], v[10:11]
	v_add_f64 v[116:117], v[86:87], -v[80:81]
	v_add_f64 v[118:119], v[86:87], -v[116:117]
	;; [unrolled: 1-line block ×4, first 2 shown]
	v_add_f64 v[10:11], v[10:11], v[80:81]
	v_add_f64 v[80:81], v[84:85], v[8:9]
	v_add_f64 v[116:117], v[80:81], -v[84:85]
	v_add_f64 v[118:119], v[80:81], -v[116:117]
	v_add_f64 v[10:11], v[80:81], v[10:11]
	v_add_f64 v[84:85], v[84:85], -v[118:119]
	v_add_f64 v[8:9], v[8:9], -v[116:117]
	v_add_f64 v[80:81], v[86:87], v[10:11]
	v_add_f64 v[8:9], v[8:9], v[84:85]
	v_add_f64 v[84:85], v[80:81], -v[86:87]
	v_add_f64 v[10:11], v[10:11], -v[84:85]
	s_mov_b32 s0, 0
	v_add_f64 v[8:9], v[8:9], v[10:11]
	s_mov_b32 s1, 0x7ff00000
	v_add_f64 v[8:9], v[80:81], v[8:9]
	v_cmp_eq_f64_e32 vcc, s[0:1], v[76:77]
	v_cndmask_b32_e32 v8, v8, v76, vcc
	v_cndmask_b32_e32 v9, v9, v77, vcc
	v_cmp_neq_f64_e32 vcc, 0, v[76:77]
	v_cndmask_b32_e32 v9, v92, v9, vcc
	v_cndmask_b32_e32 v8, 0, v8, vcc
	v_mul_f64 v[78:79], v[4:5], v[76:77]
	v_add_f64 v[80:81], v[6:7], -v[8:9]
	v_frexp_exp_i32_f64_e32 v6, v[4:5]
	v_frexp_mant_f64_e32 v[4:5], v[4:5]
	v_cmp_gt_f64_e32 vcc, s[36:37], v[4:5]
	v_cndmask_b32_e64 v75, v90, 2.0, vcc
	v_mul_f64 v[4:5], v[4:5], v[74:75]
	v_subbrev_co_u32_e32 v75, vcc, 0, v6, vcc
	v_add_f64 v[6:7], v[4:5], 1.0
	v_rcp_f64_e32 v[8:9], v[6:7]
	v_add_f64 v[84:85], v[6:7], -1.0
	v_add_f64 v[10:11], v[4:5], -1.0
	v_add_f64 v[4:5], v[4:5], -v[84:85]
	v_fma_f64 v[84:85], -v[6:7], v[8:9], 1.0
	v_fmac_f64_e32 v[8:9], v[84:85], v[8:9]
	v_fma_f64 v[84:85], -v[6:7], v[8:9], 1.0
	v_fmac_f64_e32 v[8:9], v[84:85], v[8:9]
	v_mul_f64 v[84:85], v[10:11], v[8:9]
	v_mul_f64 v[86:87], v[6:7], v[84:85]
	v_fma_f64 v[6:7], v[84:85], v[6:7], -v[86:87]
	v_fmac_f64_e32 v[6:7], v[84:85], v[4:5]
	v_add_f64 v[4:5], v[86:87], v[6:7]
	v_add_f64 v[116:117], v[10:11], -v[4:5]
	v_add_f64 v[86:87], v[4:5], -v[86:87]
	v_add_f64 v[10:11], v[10:11], -v[116:117]
	v_add_f64 v[4:5], v[10:11], -v[4:5]
	v_add_f64 v[6:7], v[86:87], -v[6:7]
	v_add_f64 v[4:5], v[6:7], v[4:5]
	v_add_f64 v[4:5], v[116:117], v[4:5]
	v_mul_f64 v[4:5], v[8:9], v[4:5]
	v_add_f64 v[6:7], v[84:85], v[4:5]
	v_add_f64 v[8:9], v[6:7], -v[84:85]
	v_add_f64 v[4:5], v[4:5], -v[8:9]
	v_mul_f64 v[8:9], v[6:7], v[6:7]
	v_fmac_f64_e32 v[82:83], s[40:41], v[8:9]
	v_fma_f64 v[10:11], v[8:9], v[82:83], s[42:43]
	v_fma_f64 v[10:11], v[8:9], v[10:11], s[44:45]
	;; [unrolled: 1-line block ×5, first 2 shown]
	v_ldexp_f64 v[82:83], v[6:7], 1
	v_mul_f64 v[6:7], v[6:7], v[8:9]
	v_mul_f64 v[6:7], v[6:7], v[10:11]
	v_add_f64 v[8:9], v[82:83], v[6:7]
	v_add_f64 v[10:11], v[8:9], -v[82:83]
	v_ldexp_f64 v[4:5], v[4:5], 1
	v_add_f64 v[6:7], v[6:7], -v[10:11]
	v_add_f64 v[4:5], v[4:5], v[6:7]
	v_add_f64 v[6:7], v[8:9], v[4:5]
	v_add_f64 v[8:9], v[6:7], -v[8:9]
	v_add_f64 v[4:5], v[4:5], -v[8:9]
	v_cvt_f64_i32_e32 v[8:9], v75
	v_mul_f64 v[10:11], v[8:9], s[52:53]
	v_fma_f64 v[82:83], v[8:9], s[52:53], -v[10:11]
	v_fmac_f64_e32 v[82:83], s[54:55], v[8:9]
	v_add_f64 v[8:9], v[10:11], v[82:83]
	v_add_f64 v[10:11], v[8:9], -v[10:11]
	v_add_f64 v[10:11], v[82:83], -v[10:11]
	v_add_f64 v[82:83], v[8:9], v[6:7]
	v_add_f64 v[84:85], v[82:83], -v[8:9]
	v_add_f64 v[86:87], v[82:83], -v[84:85]
	;; [unrolled: 1-line block ×4, first 2 shown]
	v_add_f64 v[6:7], v[6:7], v[8:9]
	v_add_f64 v[8:9], v[10:11], v[4:5]
	v_add_f64 v[84:85], v[8:9], -v[10:11]
	v_add_f64 v[86:87], v[8:9], -v[84:85]
	v_add_f64 v[6:7], v[8:9], v[6:7]
	v_add_f64 v[10:11], v[10:11], -v[86:87]
	v_add_f64 v[4:5], v[4:5], -v[84:85]
	v_add_f64 v[8:9], v[82:83], v[6:7]
	v_add_f64 v[4:5], v[4:5], v[10:11]
	v_add_f64 v[10:11], v[8:9], -v[82:83]
	v_add_f64 v[6:7], v[6:7], -v[10:11]
	v_add_f64 v[4:5], v[4:5], v[6:7]
	s_mov_b32 s69, s19
	s_mov_b32 s12, s18
	v_add_f64 v[82:83], v[8:9], v[4:5]
	s_mov_b64 s[6:7], 0
	s_mov_b64 s[18:19], 0
	v_mov_b32_e32 v115, v17
                                        ; implicit-def: $vgpr75
.LBB63_16:                              ;   Parent Loop BB63_5 Depth=1
                                        ; =>  This Inner Loop Header: Depth=2
	v_add_u32_e32 v116, 1, v15
	v_pk_mov_b32 v[10:11], v[2:3], v[2:3] op_sel:[0,1]
	v_cmp_eq_u32_e32 vcc, 4, v116
	v_pk_mov_b32 v[8:9], v[0:1], v[0:1] op_sel:[0,1]
	v_mov_b32_e32 v87, v0
	v_mov_b32_e32 v86, v1
	v_mov_b32_e32 v85, v2
	v_mov_b32_e32 v84, v3
	s_and_saveexec_b64 s[0:1], vcc
	s_cbranch_execz .LBB63_18
; %bb.17:                               ;   in Loop: Header=BB63_16 Depth=2
	v_add_co_u32_e32 v96, vcc, 1, v96
	v_cndmask_b32_e64 v4, 0, 1, vcc
	v_addc_co_u32_e32 v97, vcc, 0, v97, vcc
	v_cmp_eq_u32_e32 vcc, 0, v97
	v_cndmask_b32_e32 v4, 0, v4, vcc
	v_add_u32_e32 v115, v4, v115
	v_cmp_eq_u32_e32 vcc, 0, v115
	v_cndmask_b32_e32 v4, 0, v4, vcc
	v_add_u32_e32 v74, v4, v74
	v_mad_u64_u32 v[4:5], s[2:3], v96, s11, 0
	v_mad_u64_u32 v[6:7], s[2:3], v115, s8, 0
	v_xor_b32_e32 v5, v5, v73
	v_xor_b32_e32 v7, v7, v72
	v_xor_b32_e32 v5, v74, v5
	v_xor_b32_e32 v7, v97, v7
	v_mad_u64_u32 v[10:11], s[2:3], v5, s8, 0
	v_mad_u64_u32 v[8:9], s[2:3], v7, s11, 0
	v_xor_b32_e32 v5, v98, v11
	v_xor_b32_e32 v5, v5, v6
	v_xor_b32_e32 v6, v99, v9
	v_xor_b32_e32 v6, v6, v4
	;; [unrolled: 6-line block ×10, first 2 shown]
	v_mov_b32_e32 v116, 0
	v_mov_b32_e32 v9, v86
	;; [unrolled: 1-line block ×5, first 2 shown]
.LBB63_18:                              ;   in Loop: Header=BB63_16 Depth=2
	s_or_b64 exec, exec, s[0:1]
	v_add_u32_e32 v117, 1, v116
	v_pk_mov_b32 v[4:5], v[8:9], v[8:9] op_sel:[0,1]
	v_cmp_eq_u32_e32 vcc, 4, v117
	v_pk_mov_b32 v[6:7], v[10:11], v[10:11] op_sel:[0,1]
	s_and_saveexec_b64 s[0:1], vcc
	s_cbranch_execz .LBB63_20
; %bb.19:                               ;   in Loop: Header=BB63_16 Depth=2
	v_add_co_u32_e32 v96, vcc, 1, v96
	v_cndmask_b32_e64 v4, 0, 1, vcc
	v_addc_co_u32_e32 v97, vcc, 0, v97, vcc
	v_cmp_eq_u32_e32 vcc, 0, v97
	v_cndmask_b32_e32 v4, 0, v4, vcc
	v_add_u32_e32 v115, v4, v115
	v_cmp_eq_u32_e32 vcc, 0, v115
	v_cndmask_b32_e32 v4, 0, v4, vcc
	v_add_u32_e32 v74, v4, v74
	v_mad_u64_u32 v[4:5], s[2:3], v96, s11, 0
	v_mad_u64_u32 v[6:7], s[2:3], v115, s8, 0
	v_xor_b32_e32 v5, v5, v73
	v_xor_b32_e32 v7, v7, v72
	v_xor_b32_e32 v5, v74, v5
	v_xor_b32_e32 v7, v97, v7
	v_mad_u64_u32 v[86:87], s[2:3], v5, s8, 0
	v_mad_u64_u32 v[84:85], s[2:3], v7, s11, 0
	v_xor_b32_e32 v5, v98, v87
	v_xor_b32_e32 v5, v5, v6
	v_xor_b32_e32 v6, v99, v85
	v_xor_b32_e32 v6, v6, v4
	;; [unrolled: 6-line block ×10, first 2 shown]
	v_mov_b32_e32 v117, 0
	v_mov_b32_e32 v5, v86
	;; [unrolled: 1-line block ×5, first 2 shown]
.LBB63_20:                              ;   in Loop: Header=BB63_16 Depth=2
	s_or_b64 exec, exec, s[0:1]
	v_cmp_eq_u32_e32 vcc, 1, v15
	v_cndmask_b32_e32 v0, v0, v1, vcc
	v_cmp_eq_u32_e32 vcc, 2, v15
	v_cndmask_b32_e32 v0, v0, v2, vcc
	;; [unrolled: 2-line block ×6, first 2 shown]
	v_lshrrev_b32_e32 v0, 11, v0
	v_cvt_f64_u32_e32 v[0:1], v0
	v_ldexp_f64 v[0:1], v[0:1], 32
	v_cvt_f64_u32_e32 v[2:3], v2
	v_add_f64 v[0:1], v[0:1], v[2:3]
	v_mov_b32_e32 v2, 0
	v_mov_b32_e32 v3, 0x3ca00000
	v_fmac_f64_e32 v[2:3], 0x3ca00000, v[0:1]
	v_add_f64 v[0:1], -v[2:3], 1.0
	v_div_scale_f64 v[8:9], s[0:1], v[2:3], v[2:3], v[0:1]
	v_rcp_f64_e32 v[10:11], v[8:9]
	v_fma_f64 v[118:119], -v[8:9], v[10:11], 1.0
	v_fmac_f64_e32 v[10:11], v[10:11], v[118:119]
	v_fma_f64 v[118:119], -v[8:9], v[10:11], 1.0
	v_fmac_f64_e32 v[10:11], v[10:11], v[118:119]
	v_div_scale_f64 v[118:119], vcc, v[0:1], v[2:3], v[0:1]
	v_mul_f64 v[120:121], v[118:119], v[10:11]
	v_fma_f64 v[8:9], -v[8:9], v[120:121], v[118:119]
	s_nop 1
	v_div_fmas_f64 v[8:9], v[8:9], v[10:11], v[120:121]
	v_div_fixup_f64 v[0:1], v[8:9], v[2:3], v[0:1]
	v_frexp_mant_f64_e32 v[2:3], v[0:1]
	v_cmp_gt_f64_e32 vcc, s[36:37], v[2:3]
	v_cndmask_b32_e64 v15, v90, 2.0, vcc
	v_frexp_exp_i32_f64_e32 v8, v[0:1]
	v_mul_f64 v[2:3], v[2:3], v[14:15]
	v_subbrev_co_u32_e32 v15, vcc, 0, v8, vcc
	v_add_f64 v[8:9], v[2:3], 1.0
	v_rcp_f64_e32 v[10:11], v[8:9]
	v_add_f64 v[120:121], v[8:9], -1.0
	v_add_f64 v[118:119], v[2:3], -1.0
	v_add_f64 v[2:3], v[2:3], -v[120:121]
	v_fma_f64 v[120:121], -v[8:9], v[10:11], 1.0
	v_fmac_f64_e32 v[10:11], v[120:121], v[10:11]
	v_fma_f64 v[120:121], -v[8:9], v[10:11], 1.0
	v_fmac_f64_e32 v[10:11], v[120:121], v[10:11]
	v_mul_f64 v[120:121], v[118:119], v[10:11]
	v_mul_f64 v[122:123], v[8:9], v[120:121]
	v_fma_f64 v[8:9], v[120:121], v[8:9], -v[122:123]
	v_fmac_f64_e32 v[8:9], v[120:121], v[2:3]
	v_add_f64 v[2:3], v[122:123], v[8:9]
	v_add_f64 v[124:125], v[118:119], -v[2:3]
	v_add_f64 v[122:123], v[2:3], -v[122:123]
	;; [unrolled: 1-line block ×5, first 2 shown]
	v_add_f64 v[2:3], v[8:9], v[2:3]
	v_add_f64 v[2:3], v[124:125], v[2:3]
	v_mul_f64 v[2:3], v[10:11], v[2:3]
	v_add_f64 v[8:9], v[120:121], v[2:3]
	v_add_f64 v[10:11], v[8:9], -v[120:121]
	v_add_f64 v[2:3], v[2:3], -v[10:11]
	v_mul_f64 v[10:11], v[8:9], v[8:9]
	v_pk_mov_b32 v[118:119], v[18:19], v[18:19] op_sel:[0,1]
	v_fmac_f64_e32 v[118:119], s[40:41], v[10:11]
	v_pk_mov_b32 v[120:121], v[20:21], v[20:21] op_sel:[0,1]
	v_fmac_f64_e32 v[120:121], v[10:11], v[118:119]
	;; [unrolled: 2-line block ×6, first 2 shown]
	v_ldexp_f64 v[118:119], v[8:9], 1
	v_mul_f64 v[8:9], v[8:9], v[10:11]
	v_mul_f64 v[8:9], v[8:9], v[120:121]
	v_add_f64 v[10:11], v[118:119], v[8:9]
	v_add_f64 v[118:119], v[10:11], -v[118:119]
	v_ldexp_f64 v[2:3], v[2:3], 1
	v_add_f64 v[8:9], v[8:9], -v[118:119]
	v_add_f64 v[2:3], v[2:3], v[8:9]
	v_add_f64 v[8:9], v[10:11], v[2:3]
	v_add_f64 v[10:11], v[8:9], -v[10:11]
	v_add_f64 v[2:3], v[2:3], -v[10:11]
	v_cvt_f64_i32_e32 v[10:11], v15
	v_mul_f64 v[118:119], v[10:11], s[52:53]
	v_fma_f64 v[120:121], v[10:11], s[52:53], -v[118:119]
	v_fmac_f64_e32 v[120:121], s[54:55], v[10:11]
	v_add_f64 v[10:11], v[118:119], v[120:121]
	v_add_f64 v[118:119], v[10:11], -v[118:119]
	v_add_f64 v[118:119], v[120:121], -v[118:119]
	v_add_f64 v[120:121], v[10:11], v[8:9]
	v_add_f64 v[122:123], v[120:121], -v[10:11]
	v_add_f64 v[124:125], v[120:121], -v[122:123]
	;; [unrolled: 1-line block ×4, first 2 shown]
	v_add_f64 v[8:9], v[8:9], v[10:11]
	v_add_f64 v[10:11], v[118:119], v[2:3]
	v_add_f64 v[122:123], v[10:11], -v[118:119]
	v_add_f64 v[124:125], v[10:11], -v[122:123]
	v_add_f64 v[8:9], v[10:11], v[8:9]
	v_add_f64 v[118:119], v[118:119], -v[124:125]
	v_add_f64 v[2:3], v[2:3], -v[122:123]
	v_add_f64 v[10:11], v[120:121], v[8:9]
	v_add_f64 v[2:3], v[2:3], v[118:119]
	v_add_f64 v[118:119], v[10:11], -v[120:121]
	v_add_f64 v[8:9], v[8:9], -v[118:119]
	v_add_f64 v[2:3], v[2:3], v[8:9]
	v_add_f64 v[2:3], v[10:11], v[2:3]
	v_cmp_class_f64_e64 vcc, v[0:1], s9
	v_cndmask_b32_e32 v2, v2, v0, vcc
	v_cndmask_b32_e32 v3, v3, v1, vcc
	v_cmp_ngt_f64_e32 vcc, 0, v[0:1]
	v_cndmask_b32_e32 v3, v91, v3, vcc
	v_cmp_nge_f64_e32 vcc, 0, v[0:1]
	v_cndmask_b32_e32 v2, 0, v2, vcc
	v_cmp_neq_f64_e32 vcc, 0, v[0:1]
	v_cndmask_b32_e32 v3, v92, v3, vcc
	v_add_f64 v[0:1], v[78:79], -v[2:3]
	v_div_scale_f64 v[2:3], s[0:1], v[76:77], v[76:77], v[0:1]
	v_rcp_f64_e32 v[8:9], v[2:3]
	v_fma_f64 v[10:11], -v[2:3], v[8:9], 1.0
	v_fmac_f64_e32 v[8:9], v[8:9], v[10:11]
	v_fma_f64 v[10:11], -v[2:3], v[8:9], 1.0
	v_fmac_f64_e32 v[8:9], v[8:9], v[10:11]
	v_div_scale_f64 v[10:11], vcc, v[0:1], v[76:77], v[0:1]
	v_mul_f64 v[118:119], v[10:11], v[8:9]
	v_fma_f64 v[2:3], -v[2:3], v[118:119], v[10:11]
	s_nop 1
	v_div_fmas_f64 v[2:3], v[2:3], v[8:9], v[118:119]
	v_div_fixup_f64 v[10:11], v[2:3], v[76:77], v[0:1]
	v_add_f64 v[0:1], v[10:11], 0.5
	v_floor_f64_e32 v[8:9], v[0:1]
	v_cmp_ngt_f64_e32 vcc, 0, v[8:9]
	v_mov_b32_e32 v118, 2
	s_and_saveexec_b64 s[0:1], vcc
	s_cbranch_execz .LBB63_26
; %bb.21:                               ;   in Loop: Header=BB63_16 Depth=2
	v_add_u32_e32 v15, 1, v117
	v_pk_mov_b32 v[0:1], v[4:5], v[4:5] op_sel:[0,1]
	v_cmp_eq_u32_e32 vcc, 4, v15
	v_pk_mov_b32 v[2:3], v[6:7], v[6:7] op_sel:[0,1]
	s_and_saveexec_b64 s[2:3], vcc
	s_cbranch_execz .LBB63_23
; %bb.22:                               ;   in Loop: Header=BB63_16 Depth=2
	v_add_co_u32_e32 v96, vcc, 1, v96
	v_cndmask_b32_e64 v0, 0, 1, vcc
	v_addc_co_u32_e32 v97, vcc, 0, v97, vcc
	v_cmp_eq_u32_e32 vcc, 0, v97
	v_cndmask_b32_e32 v0, 0, v0, vcc
	v_add_u32_e32 v115, v0, v115
	v_cmp_eq_u32_e32 vcc, 0, v115
	v_cndmask_b32_e32 v0, 0, v0, vcc
	v_add_u32_e32 v74, v0, v74
	v_mad_u64_u32 v[0:1], vcc, v96, s11, 0
	v_mad_u64_u32 v[2:3], vcc, v115, s8, 0
	v_xor_b32_e32 v1, v1, v73
	v_xor_b32_e32 v3, v3, v72
	v_xor_b32_e32 v1, v74, v1
	v_xor_b32_e32 v3, v97, v3
	v_mad_u64_u32 v[86:87], vcc, v1, s8, 0
	v_mad_u64_u32 v[84:85], vcc, v3, s11, 0
	v_xor_b32_e32 v1, v98, v87
	v_xor_b32_e32 v1, v1, v2
	v_xor_b32_e32 v2, v99, v85
	v_xor_b32_e32 v2, v2, v0
	;; [unrolled: 6-line block ×10, first 2 shown]
	v_mov_b32_e32 v15, 0
	v_mov_b32_e32 v1, v86
	;; [unrolled: 1-line block ×5, first 2 shown]
.LBB63_23:                              ;   in Loop: Header=BB63_16 Depth=2
	s_or_b64 exec, exec, s[2:3]
	v_add_u32_e32 v116, 1, v15
	v_cmp_eq_u32_e32 vcc, 4, v116
	s_and_saveexec_b64 s[2:3], vcc
	s_cbranch_execz .LBB63_25
; %bb.24:                               ;   in Loop: Header=BB63_16 Depth=2
	v_add_co_u32_e32 v96, vcc, 1, v96
	v_cndmask_b32_e64 v84, 0, 1, vcc
	v_addc_co_u32_e32 v97, vcc, 0, v97, vcc
	v_cmp_eq_u32_e32 vcc, 0, v97
	v_cndmask_b32_e32 v84, 0, v84, vcc
	v_add_u32_e32 v115, v84, v115
	v_cmp_eq_u32_e32 vcc, 0, v115
	v_cndmask_b32_e32 v84, 0, v84, vcc
	v_add_u32_e32 v74, v84, v74
	v_mad_u64_u32 v[84:85], vcc, v96, s11, 0
	v_mad_u64_u32 v[86:87], vcc, v115, s8, 0
	v_xor_b32_e32 v85, v85, v73
	v_xor_b32_e32 v87, v87, v72
	v_xor_b32_e32 v85, v74, v85
	v_xor_b32_e32 v87, v97, v87
	v_mad_u64_u32 v[120:121], vcc, v85, s8, 0
	v_mad_u64_u32 v[118:119], vcc, v87, s11, 0
	v_xor_b32_e32 v85, v98, v121
	v_xor_b32_e32 v85, v85, v86
	v_xor_b32_e32 v86, v99, v119
	v_xor_b32_e32 v86, v86, v84
	;; [unrolled: 6-line block ×9, first 2 shown]
	v_mad_u64_u32 v[84:85], vcc, v84, s11, 0
	v_mad_u64_u32 v[86:87], vcc, v86, s8, 0
	v_xor_b32_e32 v87, v87, v124
	v_xor_b32_e32 v85, v85, v122
	v_mov_b32_e32 v116, 0
	v_xor_b32_e32 v87, v105, v87
	v_xor_b32_e32 v85, v95, v85
.LBB63_25:                              ;   in Loop: Header=BB63_16 Depth=2
	s_or_b64 exec, exec, s[2:3]
	v_cmp_eq_u32_e32 vcc, 1, v117
	v_cndmask_b32_e32 v4, v4, v5, vcc
	v_cmp_eq_u32_e32 vcc, 2, v117
	v_cndmask_b32_e32 v4, v4, v6, vcc
	;; [unrolled: 2-line block ×6, first 2 shown]
	v_lshrrev_b32_e32 v0, 11, v0
	v_cvt_f64_u32_e32 v[0:1], v0
	v_ldexp_f64 v[0:1], v[0:1], 32
	v_cvt_f64_u32_e32 v[2:3], v4
	v_add_f64 v[0:1], v[0:1], v[2:3]
	v_mov_b32_e32 v2, 0
	v_mov_b32_e32 v3, 0x3ca00000
	v_fma_f64 v[4:5], -v[76:77], v[10:11], v[78:79]
	v_fmac_f64_e32 v[2:3], 0x3ca00000, v[0:1]
	v_mul_f64 v[0:1], v[4:5], s[58:59]
	v_rndne_f64_e32 v[0:1], v[0:1]
	s_mov_b32 s60, s52
	v_fma_f64 v[6:7], s[60:61], v[0:1], v[4:5]
	s_mov_b32 s62, s54
	v_fmac_f64_e32 v[6:7], s[62:63], v[0:1]
	v_pk_mov_b32 v[10:11], v[30:31], v[30:31] op_sel:[0,1]
	v_fmac_f64_e32 v[10:11], s[64:65], v[6:7]
	v_pk_mov_b32 v[118:119], v[32:33], v[32:33] op_sel:[0,1]
	;; [unrolled: 2-line block ×9, first 2 shown]
	v_fmac_f64_e32 v[10:11], v[6:7], v[118:119]
	v_fma_f64 v[10:11], v[6:7], v[10:11], 1.0
	v_fma_f64 v[6:7], v[6:7], v[10:11], 1.0
	v_cvt_i32_f64_e32 v0, v[0:1]
	v_ldexp_f64 v[0:1], v[6:7], v0
	v_add_f64 v[0:1], v[0:1], 1.0
	v_cmp_nlt_f64_e32 vcc, s[66:67], v[4:5]
	v_cmp_ngt_f64_e64 s[2:3], s[70:71], v[4:5]
	v_cndmask_b32_e32 v1, v93, v1, vcc
	s_and_b64 vcc, s[2:3], vcc
	v_cndmask_b32_e64 v1, v90, v1, s[2:3]
	v_cndmask_b32_e32 v0, 0, v0, vcc
	v_mul_f64 v[0:1], v[0:1], v[0:1]
	v_div_scale_f64 v[6:7], s[2:3], v[0:1], v[0:1], v[2:3]
	v_rcp_f64_e32 v[10:11], v[6:7]
	s_mov_b32 s51, s37
	v_fma_f64 v[118:119], -v[6:7], v[10:11], 1.0
	v_fmac_f64_e32 v[10:11], v[10:11], v[118:119]
	v_fma_f64 v[118:119], -v[6:7], v[10:11], 1.0
	v_fmac_f64_e32 v[10:11], v[10:11], v[118:119]
	v_div_scale_f64 v[118:119], vcc, v[2:3], v[0:1], v[2:3]
	v_mul_f64 v[120:121], v[118:119], v[10:11]
	v_fma_f64 v[6:7], -v[6:7], v[120:121], v[118:119]
	s_nop 1
	v_div_fmas_f64 v[6:7], v[6:7], v[10:11], v[120:121]
	v_div_fixup_f64 v[2:3], v[6:7], v[0:1], v[2:3]
	v_frexp_mant_f64_e32 v[0:1], v[2:3]
	v_cmp_gt_f64_e32 vcc, s[36:37], v[0:1]
	v_cndmask_b32_e64 v15, v90, 2.0, vcc
	v_frexp_exp_i32_f64_e32 v6, v[2:3]
	v_mul_f64 v[0:1], v[0:1], v[14:15]
	v_subbrev_co_u32_e32 v15, vcc, 0, v6, vcc
	v_add_f64 v[6:7], v[0:1], 1.0
	v_rcp_f64_e32 v[10:11], v[6:7]
	v_add_f64 v[120:121], v[6:7], -1.0
	v_add_f64 v[118:119], v[0:1], -1.0
	v_add_f64 v[0:1], v[0:1], -v[120:121]
	v_fma_f64 v[120:121], -v[6:7], v[10:11], 1.0
	v_fmac_f64_e32 v[10:11], v[120:121], v[10:11]
	v_fma_f64 v[120:121], -v[6:7], v[10:11], 1.0
	v_fmac_f64_e32 v[10:11], v[120:121], v[10:11]
	v_mul_f64 v[120:121], v[118:119], v[10:11]
	v_mul_f64 v[122:123], v[6:7], v[120:121]
	v_fma_f64 v[6:7], v[120:121], v[6:7], -v[122:123]
	v_fmac_f64_e32 v[6:7], v[120:121], v[0:1]
	v_add_f64 v[0:1], v[122:123], v[6:7]
	v_add_f64 v[124:125], v[118:119], -v[0:1]
	v_add_f64 v[122:123], v[0:1], -v[122:123]
	;; [unrolled: 1-line block ×5, first 2 shown]
	v_add_f64 v[0:1], v[6:7], v[0:1]
	v_add_f64 v[0:1], v[124:125], v[0:1]
	v_mul_f64 v[0:1], v[10:11], v[0:1]
	v_add_f64 v[6:7], v[120:121], v[0:1]
	v_add_f64 v[10:11], v[6:7], -v[120:121]
	v_add_f64 v[10:11], v[0:1], -v[10:11]
	v_mul_f64 v[118:119], v[6:7], v[6:7]
	v_pk_mov_b32 v[0:1], s[38:39], s[38:39] op_sel:[0,1]
	v_fma_f64 v[120:121], s[40:41], v[118:119], v[0:1]
	v_fma_f64 v[120:121], v[118:119], v[120:121], s[42:43]
	;; [unrolled: 1-line block ×6, first 2 shown]
	v_ldexp_f64 v[122:123], v[6:7], 1
	v_mul_f64 v[6:7], v[6:7], v[118:119]
	v_mul_f64 v[6:7], v[6:7], v[120:121]
	v_add_f64 v[118:119], v[122:123], v[6:7]
	v_add_f64 v[120:121], v[118:119], -v[122:123]
	v_ldexp_f64 v[10:11], v[10:11], 1
	v_add_f64 v[6:7], v[6:7], -v[120:121]
	v_add_f64 v[6:7], v[10:11], v[6:7]
	v_add_f64 v[10:11], v[118:119], v[6:7]
	v_add_f64 v[118:119], v[10:11], -v[118:119]
	v_add_f64 v[6:7], v[6:7], -v[118:119]
	v_cvt_f64_i32_e32 v[118:119], v15
	v_mul_f64 v[120:121], v[118:119], s[52:53]
	v_fma_f64 v[122:123], v[118:119], s[52:53], -v[120:121]
	v_fmac_f64_e32 v[122:123], s[54:55], v[118:119]
	v_add_f64 v[118:119], v[120:121], v[122:123]
	v_add_f64 v[120:121], v[118:119], -v[120:121]
	v_add_f64 v[120:121], v[122:123], -v[120:121]
	v_add_f64 v[122:123], v[118:119], v[10:11]
	v_add_f64 v[124:125], v[122:123], -v[118:119]
	v_add_f64 v[126:127], v[122:123], -v[124:125]
	;; [unrolled: 1-line block ×4, first 2 shown]
	v_add_f64 v[10:11], v[10:11], v[118:119]
	v_add_f64 v[118:119], v[120:121], v[6:7]
	v_add_f64 v[124:125], v[118:119], -v[120:121]
	v_add_f64 v[126:127], v[118:119], -v[124:125]
	v_add_f64 v[10:11], v[118:119], v[10:11]
	v_add_f64 v[120:121], v[120:121], -v[126:127]
	v_add_f64 v[6:7], v[6:7], -v[124:125]
	v_add_f64 v[118:119], v[122:123], v[10:11]
	v_add_f64 v[6:7], v[6:7], v[120:121]
	v_add_f64 v[120:121], v[118:119], -v[122:123]
	v_add_f64 v[10:11], v[10:11], -v[120:121]
	v_add_f64 v[6:7], v[6:7], v[10:11]
	v_add_f64 v[6:7], v[118:119], v[6:7]
	v_cmp_class_f64_e64 vcc, v[2:3], s9
	v_cndmask_b32_e32 v15, v6, v2, vcc
	v_cndmask_b32_e32 v6, v7, v3, vcc
	v_cmp_neq_f64_e32 vcc, 0, v[2:3]
	v_cndmask_b32_e32 v3, v92, v6, vcc
	v_add_f64 v[6:7], v[8:9], 1.0
	v_add_f64 v[6:7], v[6:7], -1.0
	v_add_f64 v[118:119], v[6:7], s[72:73]
	v_div_scale_f64 v[10:11], s[2:3], v[118:119], v[118:119], s[74:75]
	v_rcp_f64_e32 v[120:121], v[10:11]
	v_cndmask_b32_e32 v2, 0, v15, vcc
	v_add_f64 v[2:3], v[4:5], v[2:3]
	v_fma_f64 v[4:5], v[82:83], v[8:9], v[80:81]
	v_fma_f64 v[122:123], -v[10:11], v[120:121], 1.0
	v_fmac_f64_e32 v[120:121], v[120:121], v[122:123]
	v_fma_f64 v[122:123], -v[10:11], v[120:121], 1.0
	v_fmac_f64_e32 v[120:121], v[120:121], v[122:123]
	v_div_scale_f64 v[122:123], vcc, s[74:75], v[118:119], s[74:75]
	v_mul_f64 v[124:125], v[122:123], v[120:121]
	v_fma_f64 v[122:123], -v[10:11], v[124:125], v[122:123]
	v_add_f64 v[10:11], v[6:7], s[76:77]
	v_div_scale_f64 v[126:127], s[2:3], v[10:11], v[10:11], s[78:79]
	v_rcp_f64_e32 v[128:129], v[126:127]
	v_div_fmas_f64 v[120:121], v[122:123], v[120:121], v[124:125]
	v_div_fixup_f64 v[118:119], v[120:121], v[118:119], s[74:75]
	v_add_f64 v[124:125], v[6:7], s[80:81]
	v_fma_f64 v[120:121], -v[126:127], v[128:129], 1.0
	v_fmac_f64_e32 v[128:129], v[128:129], v[120:121]
	v_fma_f64 v[120:121], -v[126:127], v[128:129], 1.0
	v_fmac_f64_e32 v[128:129], v[128:129], v[120:121]
	v_div_scale_f64 v[120:121], vcc, s[78:79], v[10:11], s[78:79]
	v_mul_f64 v[122:123], v[120:121], v[128:129]
	v_fma_f64 v[120:121], -v[126:127], v[122:123], v[120:121]
	v_div_scale_f64 v[126:127], s[2:3], v[124:125], v[124:125], s[82:83]
	v_rcp_f64_e32 v[130:131], v[126:127]
	v_div_fmas_f64 v[120:121], v[120:121], v[128:129], v[122:123]
	v_add_f64 v[118:119], v[118:119], 0
	v_div_fixup_f64 v[120:121], v[120:121], v[10:11], s[78:79]
	v_add_f64 v[118:119], v[120:121], v[118:119]
	v_fma_f64 v[120:121], -v[126:127], v[130:131], 1.0
	v_fmac_f64_e32 v[130:131], v[130:131], v[120:121]
	v_fma_f64 v[120:121], -v[126:127], v[130:131], 1.0
	v_fmac_f64_e32 v[130:131], v[130:131], v[120:121]
	v_div_scale_f64 v[120:121], vcc, s[82:83], v[124:125], s[82:83]
	v_mul_f64 v[122:123], v[120:121], v[130:131]
	v_fma_f64 v[120:121], -v[126:127], v[122:123], v[120:121]
	v_add_f64 v[126:127], v[6:7], s[84:85]
	v_div_scale_f64 v[128:129], s[2:3], v[126:127], v[126:127], s[86:87]
	v_rcp_f64_e32 v[132:133], v[128:129]
	v_div_fmas_f64 v[120:121], v[120:121], v[130:131], v[122:123]
	v_div_fixup_f64 v[120:121], v[120:121], v[124:125], s[82:83]
	v_add_f64 v[118:119], v[118:119], v[120:121]
	v_fma_f64 v[120:121], -v[128:129], v[132:133], 1.0
	v_fmac_f64_e32 v[132:133], v[132:133], v[120:121]
	v_fma_f64 v[120:121], -v[128:129], v[132:133], 1.0
	v_fmac_f64_e32 v[132:133], v[132:133], v[120:121]
	v_div_scale_f64 v[120:121], vcc, s[86:87], v[126:127], s[86:87]
	v_mul_f64 v[122:123], v[120:121], v[132:133]
	v_add_f64 v[124:125], v[6:7], 4.0
	v_fma_f64 v[120:121], -v[128:129], v[122:123], v[120:121]
	v_div_scale_f64 v[128:129], s[2:3], v[124:125], v[124:125], s[88:89]
	v_rcp_f64_e32 v[130:131], v[128:129]
	v_div_fmas_f64 v[120:121], v[120:121], v[132:133], v[122:123]
	v_div_fixup_f64 v[120:121], v[120:121], v[126:127], s[86:87]
	v_add_f64 v[118:119], v[120:121], v[118:119]
	v_fma_f64 v[120:121], -v[128:129], v[130:131], 1.0
	v_fmac_f64_e32 v[130:131], v[130:131], v[120:121]
	v_fma_f64 v[120:121], -v[128:129], v[130:131], 1.0
	v_fmac_f64_e32 v[130:131], v[130:131], v[120:121]
	v_div_scale_f64 v[120:121], vcc, s[88:89], v[124:125], s[88:89]
	v_mul_f64 v[122:123], v[120:121], v[130:131]
	v_add_f64 v[126:127], v[6:7], s[28:29]
	v_fma_f64 v[120:121], -v[128:129], v[122:123], v[120:121]
	v_div_scale_f64 v[128:129], s[2:3], v[126:127], v[126:127], s[90:91]
	v_rcp_f64_e32 v[132:133], v[128:129]
	v_div_fmas_f64 v[120:121], v[120:121], v[130:131], v[122:123]
	v_div_fixup_f64 v[120:121], v[120:121], v[124:125], s[88:89]
	v_add_f64 v[118:119], v[118:119], v[120:121]
	v_fma_f64 v[120:121], -v[128:129], v[132:133], 1.0
	v_fmac_f64_e32 v[132:133], v[132:133], v[120:121]
	v_fma_f64 v[120:121], -v[128:129], v[132:133], 1.0
	v_fmac_f64_e32 v[132:133], v[132:133], v[120:121]
	v_div_scale_f64 v[120:121], vcc, s[90:91], v[126:127], s[90:91]
	v_mul_f64 v[122:123], v[120:121], v[132:133]
	v_add_f64 v[124:125], v[6:7], 2.0
	v_fma_f64 v[120:121], -v[128:129], v[122:123], v[120:121]
	v_div_scale_f64 v[128:129], s[2:3], v[124:125], v[124:125], s[92:93]
	v_rcp_f64_e32 v[130:131], v[128:129]
	v_div_fmas_f64 v[120:121], v[120:121], v[132:133], v[122:123]
	v_div_fixup_f64 v[120:121], v[120:121], v[126:127], s[90:91]
	v_add_f64 v[118:119], v[120:121], v[118:119]
	v_fma_f64 v[120:121], -v[128:129], v[130:131], 1.0
	v_fmac_f64_e32 v[130:131], v[130:131], v[120:121]
	v_fma_f64 v[120:121], -v[128:129], v[130:131], 1.0
	v_fmac_f64_e32 v[130:131], v[130:131], v[120:121]
	v_div_scale_f64 v[120:121], vcc, s[92:93], v[124:125], s[92:93]
	v_mul_f64 v[122:123], v[120:121], v[130:131]
	v_add_f64 v[126:127], v[6:7], 1.0
	v_fma_f64 v[120:121], -v[128:129], v[122:123], v[120:121]
	v_div_scale_f64 v[128:129], s[2:3], v[126:127], v[126:127], s[94:95]
	v_rcp_f64_e32 v[132:133], v[128:129]
	v_div_fmas_f64 v[120:121], v[120:121], v[130:131], v[122:123]
	v_div_fixup_f64 v[120:121], v[120:121], v[124:125], s[92:93]
	v_add_f64 v[118:119], v[118:119], v[120:121]
	v_fma_f64 v[120:121], -v[128:129], v[132:133], 1.0
	v_fmac_f64_e32 v[132:133], v[132:133], v[120:121]
	v_fma_f64 v[120:121], -v[128:129], v[132:133], 1.0
	v_fmac_f64_e32 v[132:133], v[132:133], v[120:121]
	v_div_scale_f64 v[120:121], vcc, s[94:95], v[126:127], s[94:95]
	v_mul_f64 v[122:123], v[120:121], v[132:133]
	v_fma_f64 v[120:121], -v[128:129], v[122:123], v[120:121]
	v_add_f64 v[10:11], v[10:11], 0.5
	s_nop 0
	v_div_fmas_f64 v[120:121], v[120:121], v[132:133], v[122:123]
	v_div_fixup_f64 v[120:121], v[120:121], v[126:127], s[94:95]
	v_add_f64 v[118:119], v[120:121], v[118:119]
	v_add_f64 v[118:119], v[118:119], s[26:27]
	v_frexp_mant_f64_e32 v[120:121], v[118:119]
	v_cmp_gt_f64_e32 vcc, s[36:37], v[120:121]
	v_cndmask_b32_e64 v15, v90, 2.0, vcc
	v_mul_f64 v[120:121], v[120:121], v[14:15]
	v_add_f64 v[122:123], v[120:121], 1.0
	v_rcp_f64_e32 v[124:125], v[122:123]
	v_add_f64 v[128:129], v[122:123], -1.0
	v_add_f64 v[126:127], v[120:121], -1.0
	v_add_f64 v[120:121], v[120:121], -v[128:129]
	v_fma_f64 v[128:129], -v[122:123], v[124:125], 1.0
	v_fmac_f64_e32 v[124:125], v[128:129], v[124:125]
	v_fma_f64 v[128:129], -v[122:123], v[124:125], 1.0
	v_fmac_f64_e32 v[124:125], v[128:129], v[124:125]
	v_mul_f64 v[128:129], v[126:127], v[124:125]
	v_mul_f64 v[130:131], v[122:123], v[128:129]
	v_fma_f64 v[122:123], v[128:129], v[122:123], -v[130:131]
	v_fmac_f64_e32 v[122:123], v[128:129], v[120:121]
	v_add_f64 v[120:121], v[130:131], v[122:123]
	v_add_f64 v[132:133], v[126:127], -v[120:121]
	v_add_f64 v[130:131], v[120:121], -v[130:131]
	;; [unrolled: 1-line block ×5, first 2 shown]
	v_add_f64 v[120:121], v[122:123], v[120:121]
	v_add_f64 v[120:121], v[132:133], v[120:121]
	v_mul_f64 v[120:121], v[124:125], v[120:121]
	v_add_f64 v[122:123], v[128:129], v[120:121]
	v_add_f64 v[124:125], v[122:123], -v[128:129]
	v_add_f64 v[120:121], v[120:121], -v[124:125]
	v_mul_f64 v[124:125], v[122:123], v[122:123]
	v_fma_f64 v[126:127], s[40:41], v[124:125], v[0:1]
	v_fma_f64 v[126:127], v[124:125], v[126:127], s[42:43]
	;; [unrolled: 1-line block ×6, first 2 shown]
	v_ldexp_f64 v[128:129], v[122:123], 1
	v_mul_f64 v[122:123], v[122:123], v[124:125]
	v_mul_f64 v[122:123], v[122:123], v[126:127]
	v_add_f64 v[124:125], v[128:129], v[122:123]
	v_add_f64 v[126:127], v[124:125], -v[128:129]
	v_ldexp_f64 v[120:121], v[120:121], 1
	v_add_f64 v[122:123], v[122:123], -v[126:127]
	v_add_f64 v[120:121], v[120:121], v[122:123]
	v_frexp_exp_i32_f64_e32 v117, v[118:119]
	v_add_f64 v[122:123], v[124:125], v[120:121]
	v_subbrev_co_u32_e32 v15, vcc, 0, v117, vcc
	v_add_f64 v[124:125], v[122:123], -v[124:125]
	v_add_f64 v[120:121], v[120:121], -v[124:125]
	v_cvt_f64_i32_e32 v[124:125], v15
	v_mul_f64 v[126:127], v[124:125], s[52:53]
	v_fma_f64 v[128:129], v[124:125], s[52:53], -v[126:127]
	v_fmac_f64_e32 v[128:129], s[54:55], v[124:125]
	v_add_f64 v[124:125], v[126:127], v[128:129]
	v_add_f64 v[126:127], v[124:125], -v[126:127]
	v_add_f64 v[126:127], v[128:129], -v[126:127]
	v_add_f64 v[128:129], v[124:125], v[122:123]
	v_add_f64 v[130:131], v[128:129], -v[124:125]
	v_add_f64 v[132:133], v[128:129], -v[130:131]
	;; [unrolled: 1-line block ×4, first 2 shown]
	v_add_f64 v[122:123], v[122:123], v[124:125]
	v_add_f64 v[124:125], v[126:127], v[120:121]
	v_add_f64 v[130:131], v[124:125], -v[126:127]
	v_add_f64 v[132:133], v[124:125], -v[130:131]
	v_add_f64 v[122:123], v[124:125], v[122:123]
	v_add_f64 v[126:127], v[126:127], -v[132:133]
	v_add_f64 v[120:121], v[120:121], -v[130:131]
	v_add_f64 v[124:125], v[128:129], v[122:123]
	v_add_f64 v[120:121], v[120:121], v[126:127]
	v_add_f64 v[126:127], v[124:125], -v[128:129]
	v_add_f64 v[122:123], v[122:123], -v[126:127]
	v_add_f64 v[120:121], v[120:121], v[122:123]
	v_add_f64 v[120:121], v[124:125], v[120:121]
	v_cmp_class_f64_e64 vcc, v[118:119], s9
	v_div_scale_f64 v[122:123], s[2:3], s[30:31], s[30:31], v[10:11]
	v_cndmask_b32_e32 v121, v121, v119, vcc
	v_cndmask_b32_e32 v120, v120, v118, vcc
	v_rcp_f64_e32 v[124:125], v[122:123]
	v_add_f64 v[120:121], v[120:121], s[22:23]
	v_add_f64 v[120:121], v[120:121], s[24:25]
	v_cmp_ngt_f64_e32 vcc, 0, v[118:119]
	v_cndmask_b32_e32 v15, v91, v121, vcc
	v_cmp_nge_f64_e32 vcc, 0, v[118:119]
	v_cndmask_b32_e32 v120, 0, v120, vcc
	v_cmp_neq_f64_e32 vcc, 0, v[118:119]
	v_fma_f64 v[118:119], -v[122:123], v[124:125], 1.0
	v_fmac_f64_e32 v[124:125], v[124:125], v[118:119]
	v_fma_f64 v[118:119], -v[122:123], v[124:125], 1.0
	v_cndmask_b32_e32 v121, v92, v15, vcc
	v_fmac_f64_e32 v[124:125], v[124:125], v[118:119]
	v_div_scale_f64 v[118:119], vcc, v[10:11], s[30:31], v[10:11]
	v_mul_f64 v[126:127], v[118:119], v[124:125]
	v_fma_f64 v[118:119], -v[122:123], v[126:127], v[118:119]
	v_add_f64 v[6:7], v[6:7], 0.5
	s_nop 0
	v_div_fmas_f64 v[118:119], v[118:119], v[124:125], v[126:127]
	v_div_fixup_f64 v[10:11], v[118:119], s[30:31], v[10:11]
	v_frexp_mant_f64_e32 v[118:119], v[10:11]
	v_cmp_gt_f64_e32 vcc, s[36:37], v[118:119]
	v_cndmask_b32_e64 v15, v90, 2.0, vcc
	v_mul_f64 v[118:119], v[118:119], v[14:15]
	v_add_f64 v[122:123], v[118:119], 1.0
	v_rcp_f64_e32 v[124:125], v[122:123]
	v_add_f64 v[128:129], v[122:123], -1.0
	v_add_f64 v[126:127], v[118:119], -1.0
	v_add_f64 v[118:119], v[118:119], -v[128:129]
	v_fma_f64 v[128:129], -v[122:123], v[124:125], 1.0
	v_fmac_f64_e32 v[124:125], v[128:129], v[124:125]
	v_fma_f64 v[128:129], -v[122:123], v[124:125], 1.0
	v_fmac_f64_e32 v[124:125], v[128:129], v[124:125]
	v_mul_f64 v[128:129], v[126:127], v[124:125]
	v_mul_f64 v[130:131], v[122:123], v[128:129]
	v_fma_f64 v[122:123], v[128:129], v[122:123], -v[130:131]
	v_fmac_f64_e32 v[122:123], v[128:129], v[118:119]
	v_add_f64 v[118:119], v[130:131], v[122:123]
	v_add_f64 v[132:133], v[126:127], -v[118:119]
	v_add_f64 v[130:131], v[118:119], -v[130:131]
	;; [unrolled: 1-line block ×5, first 2 shown]
	v_add_f64 v[118:119], v[122:123], v[118:119]
	v_add_f64 v[118:119], v[132:133], v[118:119]
	v_mul_f64 v[118:119], v[124:125], v[118:119]
	v_add_f64 v[122:123], v[128:129], v[118:119]
	v_add_f64 v[124:125], v[122:123], -v[128:129]
	v_add_f64 v[118:119], v[118:119], -v[124:125]
	v_mul_f64 v[124:125], v[122:123], v[122:123]
	v_fmac_f64_e32 v[0:1], s[40:41], v[124:125]
	v_fma_f64 v[0:1], v[124:125], v[0:1], s[42:43]
	v_fma_f64 v[0:1], v[124:125], v[0:1], s[44:45]
	;; [unrolled: 1-line block ×5, first 2 shown]
	v_ldexp_f64 v[126:127], v[122:123], 1
	v_mul_f64 v[122:123], v[122:123], v[124:125]
	v_mul_f64 v[0:1], v[122:123], v[0:1]
	v_add_f64 v[122:123], v[126:127], v[0:1]
	v_add_f64 v[124:125], v[122:123], -v[126:127]
	v_ldexp_f64 v[118:119], v[118:119], 1
	v_add_f64 v[0:1], v[0:1], -v[124:125]
	v_add_f64 v[0:1], v[118:119], v[0:1]
	v_frexp_exp_i32_f64_e32 v117, v[10:11]
	v_add_f64 v[118:119], v[122:123], v[0:1]
	v_subbrev_co_u32_e32 v15, vcc, 0, v117, vcc
	v_add_f64 v[122:123], v[118:119], -v[122:123]
	v_add_f64 v[0:1], v[0:1], -v[122:123]
	v_cvt_f64_i32_e32 v[122:123], v15
	v_mul_f64 v[124:125], v[122:123], s[52:53]
	v_fma_f64 v[126:127], v[122:123], s[52:53], -v[124:125]
	v_fmac_f64_e32 v[126:127], s[54:55], v[122:123]
	v_add_f64 v[122:123], v[124:125], v[126:127]
	v_add_f64 v[124:125], v[122:123], -v[124:125]
	v_add_f64 v[124:125], v[126:127], -v[124:125]
	v_add_f64 v[126:127], v[122:123], v[118:119]
	v_add_f64 v[128:129], v[126:127], -v[122:123]
	v_add_f64 v[130:131], v[126:127], -v[128:129]
	v_add_f64 v[122:123], v[122:123], -v[130:131]
	v_add_f64 v[118:119], v[118:119], -v[128:129]
	v_add_f64 v[118:119], v[118:119], v[122:123]
	v_add_f64 v[122:123], v[124:125], v[0:1]
	v_add_f64 v[128:129], v[122:123], -v[124:125]
	v_add_f64 v[130:131], v[122:123], -v[128:129]
	v_add_f64 v[118:119], v[122:123], v[118:119]
	v_add_f64 v[124:125], v[124:125], -v[130:131]
	v_add_f64 v[0:1], v[0:1], -v[128:129]
	v_add_f64 v[122:123], v[126:127], v[118:119]
	v_add_f64 v[0:1], v[0:1], v[124:125]
	v_add_f64 v[124:125], v[122:123], -v[126:127]
	v_add_f64 v[118:119], v[118:119], -v[124:125]
	v_add_f64 v[0:1], v[0:1], v[118:119]
	v_add_f64 v[0:1], v[122:123], v[0:1]
	v_cmp_class_f64_e64 vcc, v[10:11], s9
	v_cndmask_b32_e32 v0, v0, v10, vcc
	v_cndmask_b32_e32 v1, v1, v11, vcc
	v_cmp_ngt_f64_e32 vcc, 0, v[10:11]
	v_cndmask_b32_e32 v1, v91, v1, vcc
	v_cmp_nge_f64_e32 vcc, 0, v[10:11]
	v_cndmask_b32_e32 v0, 0, v0, vcc
	v_cmp_neq_f64_e32 vcc, 0, v[10:11]
	v_cndmask_b32_e32 v1, v92, v1, vcc
	v_fmac_f64_e32 v[120:121], v[6:7], v[0:1]
	v_add_f64 v[0:1], v[4:5], -v[120:121]
	v_cvt_u32_f64_e32 v4, v[8:9]
	v_cmp_le_f64_e32 vcc, v[2:3], v[0:1]
	v_cndmask_b32_e64 v118, 0, 1, vcc
	v_cndmask_b32_e32 v75, v75, v4, vcc
	v_mov_b32_e32 v117, v116
.LBB63_26:                              ;   in Loop: Header=BB63_16 Depth=2
	s_or_b64 exec, exec, s[0:1]
	v_cmp_gt_i32_e32 vcc, 2, v118
	s_or_b64 s[18:19], vcc, s[18:19]
	v_mov_b32_e32 v15, v117
	v_mov_b32_e32 v0, v87
	v_mov_b32_e32 v1, v86
	v_mov_b32_e32 v2, v85
	v_mov_b32_e32 v3, v84
	s_andn2_b64 exec, exec, s[18:19]
	s_cbranch_execnz .LBB63_16
; %bb.27:                               ;   in Loop: Header=BB63_16 Depth=2
	s_or_b64 exec, exec, s[18:19]
	v_cmp_ne_u32_e32 vcc, 0, v118
	s_or_b64 s[6:7], vcc, s[6:7]
	s_mov_b64 s[18:19], 0
	v_mov_b32_e32 v15, v117
	v_mov_b32_e32 v0, v87
	;; [unrolled: 1-line block ×5, first 2 shown]
	s_andn2_b64 exec, exec, s[6:7]
	s_cbranch_execnz .LBB63_16
; %bb.28:                               ;   in Loop: Header=BB63_5 Depth=1
	s_or_b64 exec, exec, s[6:7]
	s_mov_b32 s18, s12
	s_mov_b32 s19, s69
                                        ; implicit-def: $vgpr4_vgpr5
                                        ; implicit-def: $vgpr72_vgpr73
                                        ; implicit-def: $vgpr15
                                        ; implicit-def: $vgpr96
                                        ; implicit-def: $vgpr97
                                        ; implicit-def: $vgpr105
                                        ; implicit-def: $vgpr95
                                        ; implicit-def: $vgpr3
                                        ; implicit-def: $vgpr98
                                        ; implicit-def: $vgpr99
                                        ; implicit-def: $vgpr100
                                        ; implicit-def: $vgpr101
                                        ; implicit-def: $vgpr103
                                        ; implicit-def: $vgpr104
                                        ; implicit-def: $vgpr106
                                        ; implicit-def: $vgpr107
                                        ; implicit-def: $vgpr108
                                        ; implicit-def: $vgpr109
                                        ; implicit-def: $vgpr110
                                        ; implicit-def: $vgpr111
                                        ; implicit-def: $vgpr112
                                        ; implicit-def: $vgpr113
                                        ; implicit-def: $vgpr102
                                        ; implicit-def: $vgpr114
.LBB63_29:                              ;   in Loop: Header=BB63_5 Depth=1
	s_andn2_saveexec_b64 s[0:1], s[14:15]
	s_cbranch_execz .LBB63_41
; %bb.30:                               ;   in Loop: Header=BB63_5 Depth=1
	v_add_co_u32_e32 v6, vcc, 1, v96
	v_cndmask_b32_e64 v7, 0, 1, vcc
	v_addc_co_u32_e32 v10, vcc, 0, v97, vcc
	v_cmp_eq_u32_e32 vcc, 0, v10
	v_cndmask_b32_e32 v7, 0, v7, vcc
	v_add_u32_e32 v8, v7, v17
	v_cmp_eq_u32_e32 vcc, 0, v8
	v_cndmask_b32_e32 v11, 0, v7, vcc
	v_mad_u64_u32 v[6:7], s[2:3], v6, s11, 0
	v_mad_u64_u32 v[8:9], s[2:3], v8, s8, 0
	v_xor_b32_e32 v7, v7, v73
	v_xor_b32_e32 v9, v9, v72
	v_xor_b32_e32 v7, v11, v7
	v_xor_b32_e32 v9, v10, v9
	v_mad_u64_u32 v[72:73], s[2:3], v7, s8, 0
	v_mad_u64_u32 v[10:11], s[2:3], v9, s11, 0
	v_xor_b32_e32 v7, v98, v73
	v_xor_b32_e32 v7, v7, v8
	v_xor_b32_e32 v8, v99, v11
	v_xor_b32_e32 v8, v8, v6
	;; [unrolled: 6-line block ×8, first 2 shown]
	v_mad_u64_u32 v[74:75], s[2:3], v7, s11, 0
	v_mad_u64_u32 v[8:9], s[2:3], v6, s8, 0
	v_xor_b32_e32 v6, v114, v75
	v_xor_b32_e32 v6, v6, v10
	v_mad_u64_u32 v[6:7], s[2:3], v6, s8, 0
	v_xor_b32_e32 v7, v7, v8
	v_xor_b32_e32 v10, v105, v7
	v_cmp_lt_i32_e32 vcc, 1, v15
                                        ; implicit-def: $vgpr8
	s_and_saveexec_b64 s[2:3], vcc
	s_xor_b64 s[2:3], exec, s[2:3]
	s_cbranch_execz .LBB63_36
; %bb.31:                               ;   in Loop: Header=BB63_5 Depth=1
	v_cmp_lt_i32_e32 vcc, 2, v15
                                        ; implicit-def: $vgpr8
	s_and_saveexec_b64 s[6:7], vcc
	s_xor_b64 s[6:7], exec, s[6:7]
; %bb.32:                               ;   in Loop: Header=BB63_5 Depth=1
	v_xor_b32_e32 v0, v102, v9
	v_xor_b32_e32 v0, v0, v72
	v_mul_hi_u32 v0, v0, s11
	v_xor_b32_e32 v0, v0, v74
	v_xor_b32_e32 v8, v95, v0
; %bb.33:                               ;   in Loop: Header=BB63_5 Depth=1
	s_andn2_saveexec_b64 s[6:7], s[6:7]
; %bb.34:                               ;   in Loop: Header=BB63_5 Depth=1
	v_mov_b32_e32 v8, v6
	v_mov_b32_e32 v6, v10
	;; [unrolled: 1-line block ×4, first 2 shown]
; %bb.35:                               ;   in Loop: Header=BB63_5 Depth=1
	s_or_b64 exec, exec, s[6:7]
                                        ; implicit-def: $vgpr15
.LBB63_36:                              ;   in Loop: Header=BB63_5 Depth=1
	s_andn2_saveexec_b64 s[2:3], s[2:3]
	s_cbranch_execz .LBB63_40
; %bb.37:                               ;   in Loop: Header=BB63_5 Depth=1
	v_cmp_eq_u32_e32 vcc, 1, v15
	v_mov_b32_e32 v8, v3
	v_mov_b32_e32 v6, v2
	v_mov_b32_e32 v7, v1
	s_and_saveexec_b64 s[6:7], vcc
; %bb.38:                               ;   in Loop: Header=BB63_5 Depth=1
	v_mov_b32_e32 v8, v10
	v_mov_b32_e32 v6, v3
	;; [unrolled: 1-line block ×4, first 2 shown]
; %bb.39:                               ;   in Loop: Header=BB63_5 Depth=1
	s_or_b64 exec, exec, s[6:7]
	v_mov_b32_e32 v3, v0
	v_mov_b32_e32 v10, v7
.LBB63_40:                              ;   in Loop: Header=BB63_5 Depth=1
	s_or_b64 exec, exec, s[2:3]
	v_mov_b32_e32 v11, v14
	v_lshlrev_b64 v[0:1], 21, v[10:11]
	v_xor_b32_e32 v2, v0, v3
	v_cvt_f64_u32_e32 v[0:1], v1
	v_ldexp_f64 v[0:1], v[0:1], 32
	v_cvt_f64_u32_e32 v[2:3], v2
	v_add_f64 v[0:1], v[0:1], v[2:3]
	v_mov_b32_e32 v2, 0
	v_mov_b32_e32 v3, 0x3ca00000
	v_fmac_f64_e32 v[2:3], 0x3ca00000, v[0:1]
	v_mov_b32_e32 v9, v14
	v_lshlrev_b64 v[0:1], 21, v[8:9]
	v_frexp_mant_f64_e32 v[8:9], v[2:3]
	v_cmp_gt_f64_e32 vcc, s[36:37], v[8:9]
	v_cndmask_b32_e64 v15, v90, 2.0, vcc
	v_frexp_exp_i32_f64_e32 v10, v[2:3]
	v_mul_f64 v[8:9], v[8:9], v[14:15]
	v_subbrev_co_u32_e32 v15, vcc, 0, v10, vcc
	v_add_f64 v[10:11], v[8:9], 1.0
	v_rcp_f64_e32 v[72:73], v[10:11]
	v_add_f64 v[76:77], v[10:11], -1.0
	v_add_f64 v[74:75], v[8:9], -1.0
	v_add_f64 v[8:9], v[8:9], -v[76:77]
	v_fma_f64 v[76:77], -v[10:11], v[72:73], 1.0
	v_fmac_f64_e32 v[72:73], v[76:77], v[72:73]
	v_fma_f64 v[76:77], -v[10:11], v[72:73], 1.0
	v_fmac_f64_e32 v[72:73], v[76:77], v[72:73]
	v_mul_f64 v[76:77], v[74:75], v[72:73]
	v_mul_f64 v[78:79], v[10:11], v[76:77]
	v_fma_f64 v[10:11], v[76:77], v[10:11], -v[78:79]
	v_fmac_f64_e32 v[10:11], v[76:77], v[8:9]
	v_add_f64 v[8:9], v[78:79], v[10:11]
	v_add_f64 v[80:81], v[74:75], -v[8:9]
	v_add_f64 v[78:79], v[8:9], -v[78:79]
	;; [unrolled: 1-line block ×5, first 2 shown]
	v_add_f64 v[8:9], v[10:11], v[8:9]
	v_add_f64 v[8:9], v[80:81], v[8:9]
	v_mul_f64 v[8:9], v[72:73], v[8:9]
	v_add_f64 v[10:11], v[76:77], v[8:9]
	v_add_f64 v[72:73], v[10:11], -v[76:77]
	v_add_f64 v[8:9], v[8:9], -v[72:73]
	v_mul_f64 v[72:73], v[10:11], v[10:11]
	v_pk_mov_b32 v[74:75], v[18:19], v[18:19] op_sel:[0,1]
	v_fmac_f64_e32 v[74:75], s[40:41], v[72:73]
	v_pk_mov_b32 v[76:77], v[20:21], v[20:21] op_sel:[0,1]
	v_fmac_f64_e32 v[76:77], v[72:73], v[74:75]
	v_pk_mov_b32 v[74:75], v[22:23], v[22:23] op_sel:[0,1]
	v_fmac_f64_e32 v[74:75], v[72:73], v[76:77]
	v_pk_mov_b32 v[76:77], v[24:25], v[24:25] op_sel:[0,1]
	v_fmac_f64_e32 v[76:77], v[72:73], v[74:75]
	v_pk_mov_b32 v[74:75], v[26:27], v[26:27] op_sel:[0,1]
	v_fmac_f64_e32 v[74:75], v[72:73], v[76:77]
	v_pk_mov_b32 v[76:77], v[28:29], v[28:29] op_sel:[0,1]
	v_fmac_f64_e32 v[76:77], v[72:73], v[74:75]
	v_ldexp_f64 v[74:75], v[10:11], 1
	v_mul_f64 v[10:11], v[10:11], v[72:73]
	v_mul_f64 v[10:11], v[10:11], v[76:77]
	v_add_f64 v[72:73], v[74:75], v[10:11]
	v_add_f64 v[74:75], v[72:73], -v[74:75]
	v_ldexp_f64 v[8:9], v[8:9], 1
	v_add_f64 v[10:11], v[10:11], -v[74:75]
	v_add_f64 v[8:9], v[8:9], v[10:11]
	v_add_f64 v[10:11], v[72:73], v[8:9]
	v_add_f64 v[72:73], v[10:11], -v[72:73]
	v_add_f64 v[8:9], v[8:9], -v[72:73]
	v_cvt_f64_i32_e32 v[72:73], v15
	v_mul_f64 v[74:75], v[72:73], s[52:53]
	v_fma_f64 v[76:77], v[72:73], s[52:53], -v[74:75]
	v_fmac_f64_e32 v[76:77], s[54:55], v[72:73]
	v_add_f64 v[72:73], v[74:75], v[76:77]
	v_add_f64 v[74:75], v[72:73], -v[74:75]
	v_add_f64 v[74:75], v[76:77], -v[74:75]
	v_add_f64 v[76:77], v[72:73], v[10:11]
	v_add_f64 v[78:79], v[76:77], -v[72:73]
	v_add_f64 v[80:81], v[76:77], -v[78:79]
	;; [unrolled: 1-line block ×4, first 2 shown]
	v_add_f64 v[10:11], v[10:11], v[72:73]
	v_add_f64 v[72:73], v[74:75], v[8:9]
	v_add_f64 v[78:79], v[72:73], -v[74:75]
	v_add_f64 v[80:81], v[72:73], -v[78:79]
	v_add_f64 v[10:11], v[72:73], v[10:11]
	v_add_f64 v[74:75], v[74:75], -v[80:81]
	v_add_f64 v[8:9], v[8:9], -v[78:79]
	v_add_f64 v[72:73], v[76:77], v[10:11]
	v_add_f64 v[8:9], v[8:9], v[74:75]
	v_add_f64 v[74:75], v[72:73], -v[76:77]
	v_add_f64 v[10:11], v[10:11], -v[74:75]
	s_mov_b32 s14, 0
	v_add_f64 v[8:9], v[8:9], v[10:11]
	s_mov_b32 s15, 0x7ff00000
	v_add_f64 v[8:9], v[72:73], v[8:9]
	v_cmp_eq_f64_e32 vcc, s[14:15], v[2:3]
	v_cndmask_b32_e32 v9, v9, v3, vcc
	v_cndmask_b32_e32 v8, v8, v2, vcc
	v_mul_f64 v[8:9], v[8:9], -2.0
	v_cmp_neq_f64_e32 vcc, 0, v[2:3]
	s_mov_b32 s2, 0
	v_cndmask_b32_e32 v3, v93, v9, vcc
	v_cndmask_b32_e32 v2, 0, v8, vcc
	s_brev_b32 s3, 8
	v_cmp_gt_f64_e32 vcc, s[2:3], v[2:3]
	v_cndmask_b32_e64 v8, 0, 1, vcc
	v_lshlrev_b32_e32 v8, 8, v8
	v_ldexp_f64 v[2:3], v[2:3], v8
	v_xor_b32_e32 v6, v0, v6
	v_cvt_f64_u32_e32 v[0:1], v1
	v_rsq_f64_e32 v[8:9], v[2:3]
	v_ldexp_f64 v[0:1], v[0:1], 32
	v_cvt_f64_u32_e32 v[6:7], v6
	v_add_f64 v[0:1], v[0:1], v[6:7]
	v_mov_b32_e32 v6, 0
	v_mov_b32_e32 v7, 0x3cb00000
	v_fmac_f64_e32 v[6:7], 0x3cb00000, v[0:1]
	v_mul_f64 v[0:1], v[2:3], v[8:9]
	v_mul_f64 v[8:9], v[8:9], 0.5
	v_fma_f64 v[10:11], -v[8:9], v[0:1], 0.5
	v_fmac_f64_e32 v[0:1], v[0:1], v[10:11]
	v_fma_f64 v[72:73], -v[0:1], v[0:1], v[2:3]
	v_fmac_f64_e32 v[8:9], v[8:9], v[10:11]
	v_fmac_f64_e32 v[0:1], v[72:73], v[8:9]
	v_fma_f64 v[10:11], -v[0:1], v[0:1], v[2:3]
	v_fmac_f64_e32 v[0:1], v[10:11], v[8:9]
	v_cndmask_b32_e32 v8, 0, v89, vcc
	v_ldexp_f64 v[0:1], v[0:1], v8
	v_cmp_class_f64_e32 vcc, v[2:3], v88
	v_cndmask_b32_e32 v1, v1, v3, vcc
	v_cndmask_b32_e32 v0, v0, v2, vcc
	v_mul_f64 v[2:3], v[6:7], 0.5
	v_fract_f64_e32 v[8:9], v[2:3]
	v_add_f64 v[8:9], v[8:9], v[8:9]
	v_cmp_neq_f64_e32 vcc, s[14:15], v[2:3]
	v_cndmask_b32_e32 v2, 0, v8, vcc
	v_cndmask_b32_e32 v3, 0, v9, vcc
	v_cmp_lt_f64_e32 vcc, 1.0, v[6:7]
	v_cndmask_b32_e32 v3, v7, v3, vcc
	v_cndmask_b32_e32 v2, v6, v2, vcc
	v_add_f64 v[8:9], v[2:3], v[2:3]
	v_rndne_f64_e32 v[8:9], v[8:9]
	v_fmac_f64_e32 v[2:3], -0.5, v[8:9]
	s_mov_b32 s6, 0xf99eb0bb
	v_cvt_i32_f64_e32 v15, v[8:9]
	v_mul_f64 v[8:9], v[2:3], v[2:3]
	v_pk_mov_b32 v[10:11], v[48:49], v[48:49] op_sel:[0,1]
	s_mov_b32 s7, 0x3f3e357e
	v_fmac_f64_e32 v[10:11], s[6:7], v[8:9]
	v_pk_mov_b32 v[72:73], v[50:51], v[50:51] op_sel:[0,1]
	v_fmac_f64_e32 v[72:73], v[8:9], v[10:11]
	v_pk_mov_b32 v[10:11], v[52:53], v[52:53] op_sel:[0,1]
	;; [unrolled: 2-line block ×4, first 2 shown]
	v_fmac_f64_e32 v[10:11], v[8:9], v[72:73]
	v_mul_f64 v[72:73], v[2:3], v[8:9]
	s_mov_b32 s6, 0x54442d18
	v_mul_f64 v[10:11], v[72:73], v[10:11]
	s_mov_b32 s7, 0x400921fb
	v_fmac_f64_e32 v[10:11], s[6:7], v[2:3]
	s_mov_b32 s6, 0x2e21c33
	v_pk_mov_b32 v[2:3], v[58:59], v[58:59] op_sel:[0,1]
	s_mov_b32 s7, 0xbf1b1673
	v_fmac_f64_e32 v[2:3], s[6:7], v[8:9]
	v_pk_mov_b32 v[72:73], v[60:61], v[60:61] op_sel:[0,1]
	v_fmac_f64_e32 v[72:73], v[8:9], v[2:3]
	v_pk_mov_b32 v[2:3], v[62:63], v[62:63] op_sel:[0,1]
	;; [unrolled: 2-line block ×5, first 2 shown]
	v_fmac_f64_e32 v[72:73], v[8:9], v[2:3]
	v_fma_f64 v[2:3], v[8:9], v[72:73], 1.0
	v_and_b32_e32 v9, 1, v15
	v_lshlrev_b32_e32 v8, 30, v15
	v_cmp_eq_u32_e32 vcc, 0, v9
	v_cndmask_b32_e32 v10, v2, v10, vcc
	v_cndmask_b32_e32 v2, v3, v11, vcc
	v_xor_b32_e32 v3, v8, v7
	v_and_b32_e32 v3, 0x80000000, v3
	v_cmp_gt_f64_e32 vcc, s[2:3], v[4:5]
	v_xor_b32_e32 v11, v2, v3
	v_cndmask_b32_e64 v2, 0, 1, vcc
	v_lshlrev_b32_e32 v2, 8, v2
	v_ldexp_f64 v[2:3], v[4:5], v2
	v_rsq_f64_e32 v[8:9], v[2:3]
	v_cmp_lg_f64_e64 s[2:3], s[14:15], v[6:7]
	v_cndmask_b32_e64 v6, 0, v10, s[2:3]
	v_cndmask_b32_e64 v7, v91, v11, s[2:3]
	v_mul_f64 v[0:1], v[0:1], v[6:7]
	v_mul_f64 v[6:7], v[2:3], v[8:9]
	v_mul_f64 v[8:9], v[8:9], 0.5
	v_fma_f64 v[10:11], -v[8:9], v[6:7], 0.5
	v_fmac_f64_e32 v[6:7], v[6:7], v[10:11]
	v_fma_f64 v[72:73], -v[6:7], v[6:7], v[2:3]
	v_fmac_f64_e32 v[8:9], v[8:9], v[10:11]
	v_fmac_f64_e32 v[6:7], v[72:73], v[8:9]
	v_fma_f64 v[10:11], -v[6:7], v[6:7], v[2:3]
	v_fmac_f64_e32 v[6:7], v[10:11], v[8:9]
	v_cndmask_b32_e32 v8, 0, v89, vcc
	v_ldexp_f64 v[6:7], v[6:7], v8
	v_cmp_class_f64_e32 vcc, v[2:3], v88
	v_cndmask_b32_e32 v3, v7, v3, vcc
	v_cndmask_b32_e32 v2, v6, v2, vcc
	v_fmac_f64_e32 v[4:5], v[2:3], v[0:1]
	v_trunc_f64_e32 v[0:1], v[4:5]
	v_add_f64 v[2:3], v[4:5], -v[0:1]
	v_cmp_ge_f64_e64 vcc, |v[2:3]|, 0.5
	v_cndmask_b32_e32 v2, 0, v90, vcc
	s_brev_b32 s2, -2
	v_bfi_b32 v15, s2, v2, v5
	v_add_f64 v[0:1], v[0:1], v[14:15]
	v_cvt_u32_f64_e32 v75, v[0:1]
.LBB63_41:                              ;   in Loop: Header=BB63_5 Depth=1
	s_or_b64 exec, exec, s[0:1]
                                        ; implicit-def: $vgpr4_vgpr5
                                        ; implicit-def: $vgpr72_vgpr73
                                        ; implicit-def: $vgpr15
                                        ; implicit-def: $vgpr96
                                        ; implicit-def: $vgpr97
                                        ; implicit-def: $vgpr105
                                        ; implicit-def: $vgpr95
                                        ; implicit-def: $vgpr3
                                        ; implicit-def: $vgpr98
                                        ; implicit-def: $vgpr99
                                        ; implicit-def: $vgpr100
                                        ; implicit-def: $vgpr101
                                        ; implicit-def: $vgpr103
                                        ; implicit-def: $vgpr104
                                        ; implicit-def: $vgpr106
                                        ; implicit-def: $vgpr107
                                        ; implicit-def: $vgpr108
                                        ; implicit-def: $vgpr109
                                        ; implicit-def: $vgpr110
                                        ; implicit-def: $vgpr111
                                        ; implicit-def: $vgpr112
                                        ; implicit-def: $vgpr113
                                        ; implicit-def: $vgpr102
                                        ; implicit-def: $vgpr114
.LBB63_42:                              ;   in Loop: Header=BB63_5 Depth=1
	s_andn2_saveexec_b64 s[0:1], s[4:5]
	s_cbranch_execz .LBB63_3
; %bb.43:                               ;   in Loop: Header=BB63_5 Depth=1
	s_mov_b32 s12, s58
	v_mul_f64 v[6:7], v[4:5], s[12:13]
	v_rndne_f64_e32 v[6:7], v[6:7]
	s_mov_b32 s60, s52
	v_fma_f64 v[10:11], v[6:7], s[60:61], -v[4:5]
	s_mov_b32 s62, s54
	v_fmac_f64_e32 v[10:11], s[62:63], v[6:7]
	v_pk_mov_b32 v[8:9], v[30:31], v[30:31] op_sel:[0,1]
	v_fmac_f64_e32 v[8:9], s[64:65], v[10:11]
	v_pk_mov_b32 v[74:75], v[32:33], v[32:33] op_sel:[0,1]
	;; [unrolled: 2-line block ×9, first 2 shown]
	s_mov_b32 s2, 0
	v_fmac_f64_e32 v[76:77], v[10:11], v[74:75]
	s_mov_b32 s3, 0xc0900000
	v_fma_f64 v[74:75], v[10:11], v[76:77], 1.0
	v_cmp_ngt_f64_e32 vcc, s[2:3], v[4:5]
	s_mov_b32 s2, 0
	v_fma_f64 v[10:11], v[10:11], v[74:75], 1.0
	v_cvt_i32_f64_e32 v6, v[6:7]
	s_mov_b32 s3, 0x4090cc00
	v_ldexp_f64 v[6:7], v[10:11], v6
	v_cmp_nlt_f64_e64 s[2:3], s[2:3], v[4:5]
	v_mov_b32_e32 v8, 0
	v_cndmask_b32_e32 v7, v93, v7, vcc
	s_and_b64 vcc, s[2:3], vcc
	v_mov_b32_e32 v9, 0x3ff00000
	v_mov_b32_e32 v78, 0
	v_cndmask_b32_e64 v11, 0, v7, s[2:3]
	v_cndmask_b32_e32 v10, 0, v6, vcc
	s_mov_b32 s6, -1
	s_mov_b64 s[2:3], 0
	v_mov_b32_e32 v79, v17
	s_branch .LBB63_45
.LBB63_44:                              ;   in Loop: Header=BB63_45 Depth=2
	s_or_b64 exec, exec, s[4:5]
	v_cmp_eq_u32_e32 vcc, 1, v15
	v_cndmask_b32_e32 v0, v0, v1, vcc
	v_cmp_eq_u32_e32 vcc, 2, v15
	v_cndmask_b32_e32 v0, v0, v2, vcc
	v_cmp_eq_u32_e32 vcc, 3, v15
	v_cndmask_b32_e32 v2, v0, v3, vcc
	v_cmp_eq_u32_e32 vcc, 1, v80
	v_cndmask_b32_e32 v0, v4, v5, vcc
	v_cmp_eq_u32_e32 vcc, 2, v80
	v_cndmask_b32_e32 v0, v0, v6, vcc
	v_cmp_eq_u32_e32 vcc, 3, v80
	v_cndmask_b32_e32 v0, v0, v7, vcc
	v_lshrrev_b32_e32 v0, 11, v0
	v_cvt_f64_u32_e32 v[0:1], v0
	v_ldexp_f64 v[0:1], v[0:1], 32
	v_cvt_f64_u32_e32 v[2:3], v2
	v_add_f64 v[0:1], v[0:1], v[2:3]
	v_mov_b32_e32 v2, 0
	v_mov_b32_e32 v3, 0x3ca00000
	v_fmac_f64_e32 v[2:3], 0x3ca00000, v[0:1]
	v_mul_f64 v[8:9], v[8:9], v[2:3]
	v_cmp_ngt_f64_e32 vcc, v[8:9], v[10:11]
	s_add_i32 s6, s6, 1
	s_or_b64 s[2:3], vcc, s[2:3]
	v_mov_b32_e32 v75, s6
	v_mov_b32_e32 v15, v81
	;; [unrolled: 1-line block ×6, first 2 shown]
	s_andn2_b64 exec, exec, s[2:3]
	s_cbranch_execz .LBB63_2
.LBB63_45:                              ;   Parent Loop BB63_5 Depth=1
                                        ; =>  This Inner Loop Header: Depth=2
	v_add_u32_e32 v80, 1, v15
	v_pk_mov_b32 v[6:7], v[2:3], v[2:3] op_sel:[0,1]
	v_cmp_eq_u32_e32 vcc, 4, v80
	v_pk_mov_b32 v[4:5], v[0:1], v[0:1] op_sel:[0,1]
	v_mov_b32_e32 v77, v0
	v_mov_b32_e32 v76, v1
	;; [unrolled: 1-line block ×4, first 2 shown]
	s_and_saveexec_b64 s[4:5], vcc
	s_cbranch_execz .LBB63_47
; %bb.46:                               ;   in Loop: Header=BB63_45 Depth=2
	v_add_co_u32_e32 v96, vcc, 1, v96
	v_cndmask_b32_e64 v4, 0, 1, vcc
	v_addc_co_u32_e32 v97, vcc, 0, v97, vcc
	v_cmp_eq_u32_e32 vcc, 0, v97
	v_cndmask_b32_e32 v4, 0, v4, vcc
	v_add_u32_e32 v79, v4, v79
	v_cmp_eq_u32_e32 vcc, 0, v79
	v_cndmask_b32_e32 v4, 0, v4, vcc
	v_add_u32_e32 v78, v4, v78
	v_mad_u64_u32 v[4:5], s[14:15], v96, s11, 0
	v_mad_u64_u32 v[6:7], s[14:15], v79, s8, 0
	v_xor_b32_e32 v5, v5, v73
	v_xor_b32_e32 v7, v7, v72
	v_xor_b32_e32 v5, v78, v5
	v_xor_b32_e32 v7, v97, v7
	v_mad_u64_u32 v[76:77], s[14:15], v5, s8, 0
	v_mad_u64_u32 v[74:75], s[14:15], v7, s11, 0
	v_xor_b32_e32 v5, v98, v77
	v_xor_b32_e32 v5, v5, v6
	v_xor_b32_e32 v6, v99, v75
	v_xor_b32_e32 v6, v6, v4
	;; [unrolled: 6-line block ×10, first 2 shown]
	v_mov_b32_e32 v80, 0
	v_mov_b32_e32 v5, v76
	;; [unrolled: 1-line block ×5, first 2 shown]
.LBB63_47:                              ;   in Loop: Header=BB63_45 Depth=2
	s_or_b64 exec, exec, s[4:5]
	v_add_u32_e32 v81, 1, v80
	v_cmp_eq_u32_e32 vcc, 4, v81
	s_and_saveexec_b64 s[4:5], vcc
	s_cbranch_execz .LBB63_44
; %bb.48:                               ;   in Loop: Header=BB63_45 Depth=2
	v_add_co_u32_e32 v96, vcc, 1, v96
	v_cndmask_b32_e64 v74, 0, 1, vcc
	v_addc_co_u32_e32 v97, vcc, 0, v97, vcc
	v_cmp_eq_u32_e32 vcc, 0, v97
	v_cndmask_b32_e32 v74, 0, v74, vcc
	v_add_u32_e32 v79, v74, v79
	v_cmp_eq_u32_e32 vcc, 0, v79
	v_cndmask_b32_e32 v74, 0, v74, vcc
	v_add_u32_e32 v78, v74, v78
	v_mad_u64_u32 v[74:75], s[14:15], v96, s11, 0
	v_mad_u64_u32 v[76:77], s[14:15], v79, s8, 0
	v_xor_b32_e32 v75, v75, v73
	v_xor_b32_e32 v77, v77, v72
	v_xor_b32_e32 v75, v78, v75
	v_xor_b32_e32 v77, v97, v77
	v_mad_u64_u32 v[84:85], s[14:15], v75, s8, 0
	v_mad_u64_u32 v[82:83], s[14:15], v77, s11, 0
	v_xor_b32_e32 v75, v98, v85
	v_xor_b32_e32 v75, v75, v76
	v_xor_b32_e32 v76, v99, v83
	v_xor_b32_e32 v76, v76, v74
	;; [unrolled: 6-line block ×9, first 2 shown]
	v_mad_u64_u32 v[74:75], s[14:15], v74, s11, 0
	v_mad_u64_u32 v[76:77], s[14:15], v76, s8, 0
	v_xor_b32_e32 v77, v77, v116
	v_xor_b32_e32 v75, v75, v86
	v_mov_b32_e32 v81, 0
	v_xor_b32_e32 v77, v105, v77
	v_xor_b32_e32 v82, v95, v75
	s_branch .LBB63_44
.LBB63_49:
	s_or_b64 exec, exec, s[16:17]
	s_and_saveexec_b64 s[0:1], s[20:21]
	s_xor_b64 s[0:1], exec, s[0:1]
	s_cbranch_execnz .LBB63_51
.LBB63_50:
	s_endpgm
.LBB63_51:
	s_trap 2
	; divergent unreachable
	s_endpgm
	.section	.rodata,"a",@progbits
	.p2align	6, 0x0
	.amdhsa_kernel _ZN2at4cuda12_GLOBAL__N_121kernelPointwiseApply2IZN12_GLOBAL__N_119poisson_cuda_kernelIdEEvRKNS_10TensorBaseES7_NS_15PhiloxCudaStateEEUlRdRKdE_ddjLin1ELi1ELi1ELi512ELi2EEEvNS0_6detail10TensorInfoIT0_T2_EENSE_IT1_SG_EESG_T_
		.amdhsa_group_segment_fixed_size 0
		.amdhsa_private_segment_fixed_size 0
		.amdhsa_kernarg_size 728
		.amdhsa_user_sgpr_count 6
		.amdhsa_user_sgpr_private_segment_buffer 1
		.amdhsa_user_sgpr_dispatch_ptr 0
		.amdhsa_user_sgpr_queue_ptr 0
		.amdhsa_user_sgpr_kernarg_segment_ptr 1
		.amdhsa_user_sgpr_dispatch_id 0
		.amdhsa_user_sgpr_flat_scratch_init 0
		.amdhsa_user_sgpr_kernarg_preload_length 0
		.amdhsa_user_sgpr_kernarg_preload_offset 0
		.amdhsa_user_sgpr_private_segment_size 0
		.amdhsa_uses_dynamic_stack 0
		.amdhsa_system_sgpr_private_segment_wavefront_offset 0
		.amdhsa_system_sgpr_workgroup_id_x 1
		.amdhsa_system_sgpr_workgroup_id_y 0
		.amdhsa_system_sgpr_workgroup_id_z 0
		.amdhsa_system_sgpr_workgroup_info 0
		.amdhsa_system_vgpr_workitem_id 0
		.amdhsa_next_free_vgpr 135
		.amdhsa_next_free_sgpr 96
		.amdhsa_accum_offset 136
		.amdhsa_reserve_vcc 1
		.amdhsa_reserve_flat_scratch 0
		.amdhsa_float_round_mode_32 0
		.amdhsa_float_round_mode_16_64 0
		.amdhsa_float_denorm_mode_32 3
		.amdhsa_float_denorm_mode_16_64 3
		.amdhsa_dx10_clamp 1
		.amdhsa_ieee_mode 1
		.amdhsa_fp16_overflow 0
		.amdhsa_tg_split 0
		.amdhsa_exception_fp_ieee_invalid_op 0
		.amdhsa_exception_fp_denorm_src 0
		.amdhsa_exception_fp_ieee_div_zero 0
		.amdhsa_exception_fp_ieee_overflow 0
		.amdhsa_exception_fp_ieee_underflow 0
		.amdhsa_exception_fp_ieee_inexact 0
		.amdhsa_exception_int_div_zero 0
	.end_amdhsa_kernel
	.section	.text._ZN2at4cuda12_GLOBAL__N_121kernelPointwiseApply2IZN12_GLOBAL__N_119poisson_cuda_kernelIdEEvRKNS_10TensorBaseES7_NS_15PhiloxCudaStateEEUlRdRKdE_ddjLin1ELi1ELi1ELi512ELi2EEEvNS0_6detail10TensorInfoIT0_T2_EENSE_IT1_SG_EESG_T_,"axG",@progbits,_ZN2at4cuda12_GLOBAL__N_121kernelPointwiseApply2IZN12_GLOBAL__N_119poisson_cuda_kernelIdEEvRKNS_10TensorBaseES7_NS_15PhiloxCudaStateEEUlRdRKdE_ddjLin1ELi1ELi1ELi512ELi2EEEvNS0_6detail10TensorInfoIT0_T2_EENSE_IT1_SG_EESG_T_,comdat
.Lfunc_end63:
	.size	_ZN2at4cuda12_GLOBAL__N_121kernelPointwiseApply2IZN12_GLOBAL__N_119poisson_cuda_kernelIdEEvRKNS_10TensorBaseES7_NS_15PhiloxCudaStateEEUlRdRKdE_ddjLin1ELi1ELi1ELi512ELi2EEEvNS0_6detail10TensorInfoIT0_T2_EENSE_IT1_SG_EESG_T_, .Lfunc_end63-_ZN2at4cuda12_GLOBAL__N_121kernelPointwiseApply2IZN12_GLOBAL__N_119poisson_cuda_kernelIdEEvRKNS_10TensorBaseES7_NS_15PhiloxCudaStateEEUlRdRKdE_ddjLin1ELi1ELi1ELi512ELi2EEEvNS0_6detail10TensorInfoIT0_T2_EENSE_IT1_SG_EESG_T_
                                        ; -- End function
	.section	.AMDGPU.csdata,"",@progbits
; Kernel info:
; codeLenInByte = 13600
; NumSgprs: 100
; NumVgprs: 135
; NumAgprs: 0
; TotalNumVgprs: 135
; ScratchSize: 0
; MemoryBound: 0
; FloatMode: 240
; IeeeMode: 1
; LDSByteSize: 0 bytes/workgroup (compile time only)
; SGPRBlocks: 12
; VGPRBlocks: 16
; NumSGPRsForWavesPerEU: 100
; NumVGPRsForWavesPerEU: 135
; AccumOffset: 136
; Occupancy: 3
; WaveLimiterHint : 1
; COMPUTE_PGM_RSRC2:SCRATCH_EN: 0
; COMPUTE_PGM_RSRC2:USER_SGPR: 6
; COMPUTE_PGM_RSRC2:TRAP_HANDLER: 0
; COMPUTE_PGM_RSRC2:TGID_X_EN: 1
; COMPUTE_PGM_RSRC2:TGID_Y_EN: 0
; COMPUTE_PGM_RSRC2:TGID_Z_EN: 0
; COMPUTE_PGM_RSRC2:TIDIG_COMP_CNT: 0
; COMPUTE_PGM_RSRC3_GFX90A:ACCUM_OFFSET: 33
; COMPUTE_PGM_RSRC3_GFX90A:TG_SPLIT: 0
	.section	.text._ZN2at4cuda12_GLOBAL__N_121kernelPointwiseApply2IZN12_GLOBAL__N_119poisson_cuda_kernelIdEEvRKNS_10TensorBaseES7_NS_15PhiloxCudaStateEEUlRdRKdE_ddjLin1ELi2ELi1ELi512ELi2EEEvNS0_6detail10TensorInfoIT0_T2_EENSE_IT1_SG_EESG_T_,"axG",@progbits,_ZN2at4cuda12_GLOBAL__N_121kernelPointwiseApply2IZN12_GLOBAL__N_119poisson_cuda_kernelIdEEvRKNS_10TensorBaseES7_NS_15PhiloxCudaStateEEUlRdRKdE_ddjLin1ELi2ELi1ELi512ELi2EEEvNS0_6detail10TensorInfoIT0_T2_EENSE_IT1_SG_EESG_T_,comdat
	.globl	_ZN2at4cuda12_GLOBAL__N_121kernelPointwiseApply2IZN12_GLOBAL__N_119poisson_cuda_kernelIdEEvRKNS_10TensorBaseES7_NS_15PhiloxCudaStateEEUlRdRKdE_ddjLin1ELi2ELi1ELi512ELi2EEEvNS0_6detail10TensorInfoIT0_T2_EENSE_IT1_SG_EESG_T_ ; -- Begin function _ZN2at4cuda12_GLOBAL__N_121kernelPointwiseApply2IZN12_GLOBAL__N_119poisson_cuda_kernelIdEEvRKNS_10TensorBaseES7_NS_15PhiloxCudaStateEEUlRdRKdE_ddjLin1ELi2ELi1ELi512ELi2EEEvNS0_6detail10TensorInfoIT0_T2_EENSE_IT1_SG_EESG_T_
	.p2align	8
	.type	_ZN2at4cuda12_GLOBAL__N_121kernelPointwiseApply2IZN12_GLOBAL__N_119poisson_cuda_kernelIdEEvRKNS_10TensorBaseES7_NS_15PhiloxCudaStateEEUlRdRKdE_ddjLin1ELi2ELi1ELi512ELi2EEEvNS0_6detail10TensorInfoIT0_T2_EENSE_IT1_SG_EESG_T_,@function
_ZN2at4cuda12_GLOBAL__N_121kernelPointwiseApply2IZN12_GLOBAL__N_119poisson_cuda_kernelIdEEvRKNS_10TensorBaseES7_NS_15PhiloxCudaStateEEUlRdRKdE_ddjLin1ELi2ELi1ELi512ELi2EEEvNS0_6detail10TensorInfoIT0_T2_EENSE_IT1_SG_EESG_T_: ; @_ZN2at4cuda12_GLOBAL__N_121kernelPointwiseApply2IZN12_GLOBAL__N_119poisson_cuda_kernelIdEEvRKNS_10TensorBaseES7_NS_15PhiloxCudaStateEEUlRdRKdE_ddjLin1ELi2ELi1ELi512ELi2EEEvNS0_6detail10TensorInfoIT0_T2_EENSE_IT1_SG_EESG_T_
; %bb.0:
	s_load_dword s2, s[4:5], 0x1e4
	s_load_dword s33, s[4:5], 0x1b0
	s_add_u32 s0, s4, 0x1d8
	s_addc_u32 s1, s5, 0
	s_waitcnt lgkmcnt(0)
	s_and_b32 s2, s2, 0xffff
	s_mul_i32 s6, s6, s2
	v_add_u32_e32 v17, s6, v0
	v_cmp_gt_u32_e32 vcc, s33, v17
	s_and_saveexec_b64 s[6:7], vcc
	s_cbranch_execz .LBB64_52
; %bb.1:
	s_load_dword s8, s[4:5], 0xe4
	s_load_dwordx2 s[20:21], s[4:5], 0x144
	s_load_dwordx2 s[22:23], s[4:5], 0xd8
	s_load_dword s9, s[4:5], 0xd0
	s_load_dwordx2 s[6:7], s[4:5], 0x1c8
	s_load_dwordx4 s[12:15], s[4:5], 0x1b8
                                        ; implicit-def: $vgpr134 : SGPR spill to VGPR lane
	s_waitcnt lgkmcnt(0)
	v_cvt_f32_u32_e32 v0, s8
	s_mov_b32 s10, 0xcd9e8d57
	s_cmp_gt_i32 s9, 1
	v_writelane_b32 v134, s6, 0
	v_writelane_b32 v134, s7, 1
	;; [unrolled: 1-line block ×6, first 2 shown]
	s_load_dword s11, s[0:1], 0x0
	s_load_dword s3, s[4:5], 0x1d0
	s_load_dword s14, s[4:5], 0x6c
	v_rcp_iflag_f32_e32 v0, v0
	s_load_dwordx2 s[0:1], s[4:5], 0x0
	s_cselect_b64 s[6:7], -1, 0
	s_waitcnt lgkmcnt(0)
	s_mul_i32 s2, s11, s2
	v_mul_f32_e32 v0, 0x4f7ffffe, v0
	v_cvt_u32_f32_e32 v0, v0
	v_writelane_b32 v134, s0, 6
	v_writelane_b32 v134, s1, 7
	s_getpc_b64 s[0:1]
	s_add_u32 s0, s0, .str@rel32@lo+4
	s_addc_u32 s1, s1, .str@rel32@hi+12
	s_cmp_eq_u64 s[0:1], 0
	s_cselect_b64 s[0:1], -1, 0
	s_bitcmp1_b32 s3, 0
	s_cselect_b64 s[12:13], -1, 0
	v_writelane_b32 v134, s12, 8
	v_writelane_b32 v134, s13, 9
	;; [unrolled: 1-line block ×3, first 2 shown]
	s_sub_i32 s2, 0, s8
	v_mul_lo_u32 v1, s2, v0
	s_add_i32 s2, s9, 1
	s_mov_b32 s3, 0
	v_writelane_b32 v134, s2, 11
	s_add_i32 s2, s9, -1
	s_lshl_b64 s[2:3], s[2:3], 2
	s_add_u32 s2, s2, s4
	s_addc_u32 s3, s3, s5
	s_add_u32 s2, s2, 8
	v_mad_u64_u32 v[12:13], s[12:13], v17, s10, 0
	v_mul_hi_u32 v1, v0, v1
	s_addc_u32 s3, s3, 0
	v_mov_b32_e32 v16, v13
	v_add_u32_e32 v13, v0, v1
	v_writelane_b32 v134, s2, 12
	v_cndmask_b32_e64 v0, 0, 1, s[6:7]
	v_writelane_b32 v134, s3, 13
	v_cmp_ne_u32_e64 s[2:3], 1, v0
	v_writelane_b32 v134, s2, 14
	v_writelane_b32 v134, s3, 15
	s_xor_b64 s[66:67], s[0:1], -1
	s_mov_b32 s1, 0xbff71547
	v_writelane_b32 v134, s0, 16
	s_mov_b32 s30, 0
	s_mov_b32 s38, 0x55555555
	;; [unrolled: 1-line block ×11, first 2 shown]
	v_mov_b32_e32 v88, s23
	s_mov_b32 s23, s14
	s_mov_b32 s68, 0x6a5dcb37
	s_mov_b32 s70, 0
	s_mov_b32 s72, 0
	s_mov_b32 s74, 0
	s_mov_b32 s76, 0x8f3faeef
	s_mov_b32 s78, 0
	s_mov_b32 s80, 0x4e4e324f
	s_mov_b32 s82, 0
	s_mov_b32 s84, 0x992b2855
	s_mov_b32 s86, 0
	s_mov_b32 s88, 0x7f8b9c81
	s_mov_b32 s90, 0x51a32f5d
	s_mov_b32 s92, 0x61d3b4d8
	s_mov_b32 s94, 0x8ed4171b
	s_mov_b32 s28, 0xb6c30b05
	s_movk_i32 s24, 0xf950
	s_mov_b32 s26, 0xc864beb5
	s_mov_b32 s34, 0
	;; [unrolled: 1-line block ×3, first 2 shown]
	v_writelane_b32 v134, s1, 17
	s_mov_b64 s[18:19], 0
	v_mov_b32_e32 v14, 0
	s_mov_b32 s11, 0xd2511f53
	s_mov_b32 s31, 0x40080000
	;; [unrolled: 1-line block ×12, first 2 shown]
	s_movk_i32 s9, 0x204
	s_mov_b32 s61, 0x3ff71547
	s_mov_b32 s63, 0xbfe62e42
	;; [unrolled: 1-line block ×3, first 2 shown]
	v_mov_b32_e32 v18, 0x6b47b09a
	v_mov_b32_e32 v20, 0xd7f4df2e
	;; [unrolled: 1-line block ×59, first 2 shown]
	s_mov_b32 s69, 0x3e5ade15
	s_mov_b32 s71, 0x40900000
	;; [unrolled: 1-line block ×19, first 2 shown]
	v_writelane_b32 v134, s20, 18
                                        ; implicit-def: $sgpr36_sgpr37
                                        ; implicit-def: $sgpr58_sgpr59
	v_writelane_b32 v134, s21, 19
	s_branch .LBB64_5
.LBB64_2:                               ;   in Loop: Header=BB64_5 Depth=1
	s_or_b64 exec, exec, s[2:3]
.LBB64_3:                               ;   in Loop: Header=BB64_5 Depth=1
	s_or_b64 exec, exec, s[0:1]
	v_readlane_b32 s0, v134, 6
	v_lshlrev_b64 v[0:1], 3, v[70:71]
	v_readlane_b32 s1, v134, 7
	v_mov_b32_e32 v2, s1
	v_add_co_u32_e32 v0, vcc, s0, v0
	v_readlane_b32 s0, v134, 10
	v_addc_co_u32_e32 v1, vcc, v2, v1, vcc
	v_add_u32_e32 v95, s0, v95
	v_cmp_le_u32_e32 vcc, s33, v95
	v_cvt_f64_u32_e32 v[2:3], v75
	s_andn2_b64 s[58:59], s[58:59], exec
	s_orn2_b64 s[0:1], vcc, exec
	global_store_dwordx2 v[0:1], v[2:3], off
.LBB64_4:                               ;   in Loop: Header=BB64_5 Depth=1
	s_or_b64 exec, exec, s[4:5]
	s_and_b64 s[0:1], exec, s[0:1]
	s_or_b64 s[18:19], s[0:1], s[18:19]
	s_andn2_b64 s[0:1], s[36:37], exec
	s_and_b64 s[2:3], s[58:59], exec
	s_or_b64 s[36:37], s[0:1], s[2:3]
	s_andn2_b64 exec, exec, s[18:19]
	s_cbranch_execz .LBB64_51
.LBB64_5:                               ; =>This Loop Header: Depth=1
                                        ;     Child Loop BB64_8 Depth 2
                                        ;     Child Loop BB64_18 Depth 2
	;; [unrolled: 1-line block ×3, first 2 shown]
	v_sub_u32_e32 v0, s33, v95
	v_cmp_lt_i32_e64 s[2:3], 0, v0
	v_pk_mov_b32 v[70:71], 0, 0
	s_and_saveexec_b64 s[0:1], s[2:3]
	s_cbranch_execz .LBB64_10
; %bb.6:                                ;   in Loop: Header=BB64_5 Depth=1
	v_readlane_b32 s4, v134, 14
	v_readlane_b32 s5, v134, 15
	s_and_b64 vcc, exec, s[4:5]
	v_mov_b32_e32 v0, 0
	v_mov_b32_e32 v2, v95
	s_cbranch_vccnz .LBB64_9
; %bb.7:                                ;   in Loop: Header=BB64_5 Depth=1
	v_readlane_b32 s4, v134, 12
	v_mov_b32_e32 v0, 0
	v_readlane_b32 s5, v134, 13
	v_readlane_b32 s6, v134, 11
	v_mov_b32_e32 v2, v95
.LBB64_8:                               ;   Parent Loop BB64_5 Depth=1
                                        ; =>  This Inner Loop Header: Depth=2
	s_load_dword s7, s[4:5], 0x0
	s_load_dword s12, s[4:5], 0x64
	v_mov_b32_e32 v1, v2
	s_add_i32 s6, s6, -1
	s_waitcnt lgkmcnt(0)
	v_cvt_f32_u32_e32 v2, s7
	s_sub_i32 s13, 0, s7
	s_add_u32 s4, s4, -4
	s_addc_u32 s5, s5, -1
	v_rcp_iflag_f32_e32 v2, v2
	s_cmp_gt_u32 s6, 2
	v_mul_f32_e32 v2, 0x4f7ffffe, v2
	v_cvt_u32_f32_e32 v2, v2
	v_mul_lo_u32 v3, s13, v2
	v_mul_hi_u32 v3, v2, v3
	v_add_u32_e32 v2, v2, v3
	v_mul_hi_u32 v2, v1, v2
	v_mul_lo_u32 v3, v2, s7
	v_sub_u32_e32 v3, v1, v3
	v_add_u32_e32 v4, 1, v2
	v_subrev_u32_e32 v5, s7, v3
	v_cmp_le_u32_e32 vcc, s7, v3
	v_cndmask_b32_e32 v2, v2, v4, vcc
	v_cndmask_b32_e32 v3, v3, v5, vcc
	v_add_u32_e32 v4, 1, v2
	v_cmp_le_u32_e32 vcc, s7, v3
	v_cndmask_b32_e32 v2, v2, v4, vcc
	v_mul_lo_u32 v3, v2, s7
	v_sub_u32_e32 v1, v1, v3
	v_mad_u64_u32 v[0:1], s[12:13], s12, v1, v[0:1]
	s_cbranch_scc1 .LBB64_8
.LBB64_9:                               ;   in Loop: Header=BB64_5 Depth=1
	v_mad_u64_u32 v[70:71], s[4:5], s23, v2, v[0:1]
	v_mov_b32_e32 v71, v14
.LBB64_10:                              ;   in Loop: Header=BB64_5 Depth=1
	s_or_b64 exec, exec, s[0:1]
	v_pk_mov_b32 v[0:1], 0, 0
	s_and_saveexec_b64 s[0:1], s[2:3]
	s_cbranch_execz .LBB64_12
; %bb.11:                               ;   in Loop: Header=BB64_5 Depth=1
	v_mul_hi_u32 v0, v95, v13
	v_mul_lo_u32 v1, v0, s8
	v_sub_u32_e32 v1, v95, v1
	v_add_u32_e32 v2, 1, v0
	v_cmp_le_u32_e32 vcc, s8, v1
	v_cndmask_b32_e32 v0, v0, v2, vcc
	v_subrev_u32_e32 v2, s8, v1
	v_cndmask_b32_e32 v1, v1, v2, vcc
	v_add_u32_e32 v2, 1, v0
	v_cmp_le_u32_e32 vcc, s8, v1
	v_cndmask_b32_e32 v1, v0, v2, vcc
	v_mul_lo_u32 v0, v1, s8
	v_sub_u32_e32 v0, v95, v0
	v_mul_lo_u32 v0, v0, s21
	v_mad_u64_u32 v[0:1], s[2:3], v1, s20, v[0:1]
	v_mov_b32_e32 v1, v14
.LBB64_12:                              ;   in Loop: Header=BB64_5 Depth=1
	s_or_b64 exec, exec, s[0:1]
	v_lshlrev_b64 v[0:1], 3, v[0:1]
	v_add_co_u32_e32 v0, vcc, s22, v0
	v_addc_co_u32_e32 v1, vcc, v88, v1, vcc
	global_load_dwordx2 v[4:5], v[0:1], off
	s_mov_b64 s[0:1], -1
	s_or_b64 s[58:59], s[58:59], exec
	s_waitcnt vmcnt(0)
	v_cmp_le_f64_e32 vcc, 0, v[4:5]
	s_and_b64 s[2:3], s[66:67], vcc
	s_and_saveexec_b64 s[4:5], s[2:3]
	s_cbranch_execz .LBB64_4
; %bb.13:                               ;   in Loop: Header=BB64_5 Depth=1
	v_readlane_b32 s0, v134, 8
	v_readlane_b32 s1, v134, 9
	s_andn2_b64 vcc, exec, s[0:1]
	v_readlane_b32 s0, v134, 2
	v_readlane_b32 s1, v134, 3
	;; [unrolled: 1-line block ×4, first 2 shown]
	v_pk_mov_b32 v[0:1], s[2:3], s[2:3] op_sel:[0,1]
	v_pk_mov_b32 v[72:73], s[0:1], s[0:1] op_sel:[0,1]
	s_cbranch_vccnz .LBB64_15
; %bb.14:                               ;   in Loop: Header=BB64_5 Depth=1
	v_readlane_b32 s0, v134, 2
	v_readlane_b32 s2, v134, 4
	;; [unrolled: 1-line block ×3, first 2 shown]
	v_pk_mov_b32 v[0:1], s[2:3], s[2:3] op_sel:[0,1]
	v_readlane_b32 s1, v134, 3
	flat_load_dwordx2 v[0:1], v[0:1]
	v_pk_mov_b32 v[2:3], s[0:1], s[0:1] op_sel:[0,1]
	flat_load_dwordx2 v[72:73], v[2:3]
	v_readlane_b32 s0, v134, 0
	v_readlane_b32 s1, v134, 1
	v_mov_b32_e32 v2, s1
	s_waitcnt vmcnt(0) lgkmcnt(0)
	v_add_co_u32_e32 v0, vcc, s0, v0
	v_addc_co_u32_e32 v1, vcc, v1, v2, vcc
.LBB64_15:                              ;   in Loop: Header=BB64_5 Depth=1
	v_alignbit_b32 v97, v1, v0, 2
	v_and_b32_e32 v15, 3, v0
	v_lshrrev_b32_e32 v98, 2, v1
	v_mad_u64_u32 v[0:1], s[0:1], v97, s11, 0
	v_xor_b32_e32 v3, v16, v72
	v_mov_b32_e32 v2, v73
	v_xor_b32_e32 v1, v1, v73
	s_mov_b32 s0, 0xbb67ae85
	v_xor_b32_e32 v3, v3, v98
	v_add_co_u32_e32 v100, vcc, s0, v2
	v_mad_u64_u32 v[6:7], s[0:1], v3, s11, 0
	v_mad_u64_u32 v[8:9], s[0:1], v1, s10, 0
	v_add_co_u32_e32 v99, vcc, 0x9e3779b9, v72
	v_xor_b32_e32 v1, v12, v9
	v_xor_b32_e32 v3, v100, v7
	s_mov_b32 s0, 0x3c6ef372
	v_xor_b32_e32 v1, v1, v99
	v_xor_b32_e32 v3, v3, v0
	v_add_co_u32_e32 v101, vcc, s0, v72
	s_mov_b32 s0, 0x76cf5d0a
	v_add_co_u32_e32 v102, vcc, s0, v2
	v_mad_u64_u32 v[0:1], s[0:1], v1, s11, 0
	v_mad_u64_u32 v[10:11], s[0:1], v3, s10, 0
	v_xor_b32_e32 v3, v101, v11
	v_xor_b32_e32 v1, v102, v1
	s_mov_b32 s0, 0xdaa66d2b
	v_xor_b32_e32 v3, v3, v8
	v_xor_b32_e32 v1, v1, v6
	v_add_co_u32_e32 v104, vcc, s0, v72
	s_mov_b32 s0, 0x32370b8f
	v_add_co_u32_e32 v105, vcc, s0, v2
	v_mad_u64_u32 v[6:7], s[0:1], v3, s11, 0
	v_mad_u64_u32 v[8:9], s[0:1], v1, s10, 0
	v_xor_b32_e32 v1, v104, v9
	v_xor_b32_e32 v3, v105, v7
	s_mov_b32 s0, 0x78dde6e4
	v_xor_b32_e32 v1, v1, v10
	v_xor_b32_e32 v3, v3, v0
	v_add_co_u32_e32 v107, vcc, s0, v72
	s_mov_b32 s0, 0xed9eba14
	v_add_co_u32_e32 v108, vcc, s0, v2
	v_mad_u64_u32 v[0:1], s[0:1], v1, s11, 0
	v_mad_u64_u32 v[10:11], s[0:1], v3, s10, 0
	v_xor_b32_e32 v3, v107, v11
	v_xor_b32_e32 v1, v108, v1
	s_mov_b32 s0, 0x1715609d
	v_xor_b32_e32 v3, v3, v8
	v_xor_b32_e32 v1, v1, v6
	v_add_co_u32_e32 v109, vcc, s0, v72
	s_mov_b32 s0, 0xa9066899
	v_add_co_u32_e32 v110, vcc, s0, v2
	v_mad_u64_u32 v[6:7], s[0:1], v3, s11, 0
	v_mad_u64_u32 v[8:9], s[0:1], v1, s10, 0
	v_xor_b32_e32 v1, v109, v9
	v_xor_b32_e32 v3, v110, v7
	s_mov_b32 s0, 0xb54cda56
	v_xor_b32_e32 v1, v1, v10
	v_xor_b32_e32 v3, v3, v0
	v_add_co_u32_e32 v111, vcc, s0, v72
	s_mov_b32 s0, 0x646e171e
	v_add_co_u32_e32 v112, vcc, s0, v2
	v_mad_u64_u32 v[0:1], s[0:1], v1, s11, 0
	v_mad_u64_u32 v[10:11], s[0:1], v3, s10, 0
	v_xor_b32_e32 v3, v111, v11
	v_xor_b32_e32 v1, v112, v1
	s_mov_b32 s0, 0x5384540f
	v_xor_b32_e32 v3, v3, v8
	v_xor_b32_e32 v1, v1, v6
	v_add_co_u32_e32 v113, vcc, s0, v72
	s_mov_b32 s0, 0x1fd5c5a3
	v_add_co_u32_e32 v114, vcc, s0, v2
	v_mad_u64_u32 v[6:7], s[0:1], v3, s11, 0
	v_mad_u64_u32 v[8:9], s[0:1], v1, s10, 0
	v_xor_b32_e32 v1, v113, v9
	v_xor_b32_e32 v3, v114, v7
	s_mov_b32 s0, 0xf1bbcdc8
	v_xor_b32_e32 v1, v1, v10
	v_xor_b32_e32 v0, v3, v0
	v_add_co_u32_e32 v103, vcc, s0, v72
	s_mov_b32 s0, 0xdb3d7428
	v_add_co_u32_e32 v115, vcc, s0, v2
	v_mad_u64_u32 v[2:3], s[0:1], v1, s11, 0
	v_mad_u64_u32 v[0:1], s[0:1], v0, s10, 0
	v_xor_b32_e32 v1, v103, v1
	v_xor_b32_e32 v3, v115, v3
	;; [unrolled: 1-line block ×4, first 2 shown]
	v_mad_u64_u32 v[6:7], s[0:1], v1, s11, 0
	v_mad_u64_u32 v[8:9], s[0:1], v8, s10, 0
	s_mov_b32 s0, 0
	v_add_u32_e32 v106, 0x8ff34781, v72
	v_add_u32_e32 v96, 0x96a522ad, v73
	v_xor_b32_e32 v0, v9, v0
	v_xor_b32_e32 v2, v7, v2
	s_mov_b32 s1, 0x40500000
	v_mov_b32_e32 v3, v6
	v_mov_b32_e32 v1, v8
	v_xor_b32_e32 v0, v106, v0
	v_xor_b32_e32 v2, v96, v2
	v_cmp_ngt_f64_e32 vcc, s[0:1], v[4:5]
                                        ; implicit-def: $vgpr75
	s_and_saveexec_b64 s[0:1], vcc
	s_xor_b64 s[6:7], exec, s[0:1]
	s_cbranch_execz .LBB64_44
; %bb.16:                               ;   in Loop: Header=BB64_5 Depth=1
	s_mov_b32 s0, 0
	s_mov_b32 s1, 0x40af4000
	v_cmp_ge_f64_e32 vcc, s[0:1], v[4:5]
                                        ; implicit-def: $vgpr75
	s_and_saveexec_b64 s[0:1], vcc
	s_xor_b64 s[16:17], exec, s[0:1]
	s_cbranch_execz .LBB64_31
; %bb.17:                               ;   in Loop: Header=BB64_5 Depth=1
	s_mov_b32 s12, 0xae147ae1
	s_mov_b32 s13, 0xc00ae147
	v_div_scale_f64 v[6:7], s[0:1], v[4:5], v[4:5], s[12:13]
	v_rcp_f64_e32 v[8:9], v[6:7]
	s_mov_b32 s0, 0
	v_mul_f64 v[76:77], v[4:5], s[30:31]
	s_brev_b32 s1, 8
	v_cmp_gt_f64_e64 s[2:3], s[0:1], v[76:77]
	v_cndmask_b32_e64 v78, 0, 1, s[2:3]
	v_fma_f64 v[74:75], -v[6:7], v[8:9], 1.0
	v_lshlrev_b32_e32 v78, 8, v78
	v_fmac_f64_e32 v[8:9], v[8:9], v[74:75]
	v_ldexp_f64 v[76:77], v[76:77], v78
	v_fma_f64 v[74:75], -v[6:7], v[8:9], 1.0
	v_rsq_f64_e32 v[78:79], v[76:77]
	v_div_scale_f64 v[10:11], vcc, s[12:13], v[4:5], s[12:13]
	v_fmac_f64_e32 v[8:9], v[8:9], v[74:75]
	v_mul_f64 v[74:75], v[10:11], v[8:9]
	v_fma_f64 v[6:7], -v[6:7], v[74:75], v[10:11]
	s_nop 0
	v_div_fmas_f64 v[6:7], v[6:7], v[8:9], v[74:75]
	v_mul_f64 v[8:9], v[76:77], v[78:79]
	v_mul_f64 v[10:11], v[78:79], 0.5
	v_fma_f64 v[74:75], -v[10:11], v[8:9], 0.5
	v_fmac_f64_e32 v[8:9], v[8:9], v[74:75]
	v_fma_f64 v[78:79], -v[8:9], v[8:9], v[76:77]
	v_fmac_f64_e32 v[10:11], v[10:11], v[74:75]
	v_fmac_f64_e32 v[8:9], v[78:79], v[10:11]
	v_fma_f64 v[74:75], -v[8:9], v[8:9], v[76:77]
	v_fmac_f64_e32 v[8:9], v[74:75], v[10:11]
	v_cndmask_b32_e64 v10, 0, v90, s[2:3]
	v_ldexp_f64 v[8:9], v[8:9], v10
	v_cmp_class_f64_e32 vcc, v[76:77], v89
	s_mov_b32 s2, 0x54442d18
	v_cndmask_b32_e32 v9, v9, v77, vcc
	v_cndmask_b32_e32 v8, v8, v76, vcc
	s_mov_b32 s3, 0x400921fb
	v_div_scale_f64 v[10:11], s[0:1], v[8:9], v[8:9], s[2:3]
	v_rcp_f64_e32 v[76:77], v[10:11]
	s_mov_b32 s0, 0x95810625
	v_div_fixup_f64 v[6:7], v[6:7], v[4:5], s[12:13]
	s_mov_b32 s1, 0x3fe88b43
	v_fma_f64 v[78:79], -v[10:11], v[76:77], 1.0
	v_fmac_f64_e32 v[76:77], v[76:77], v[78:79]
	v_fma_f64 v[78:79], -v[10:11], v[76:77], 1.0
	v_fmac_f64_e32 v[76:77], v[76:77], v[78:79]
	v_div_scale_f64 v[78:79], vcc, s[2:3], v[8:9], s[2:3]
	v_mul_f64 v[80:81], v[78:79], v[76:77]
	v_fma_f64 v[10:11], -v[10:11], v[80:81], v[78:79]
	v_add_f64 v[6:7], v[6:7], s[0:1]
	s_nop 0
	v_div_fmas_f64 v[10:11], v[10:11], v[76:77], v[80:81]
	v_div_fixup_f64 v[76:77], v[10:11], v[8:9], s[2:3]
	v_frexp_mant_f64_e32 v[8:9], v[6:7]
	v_cmp_gt_f64_e32 vcc, s[38:39], v[8:9]
	v_mov_b32_e32 v74, 0
	v_cndmask_b32_e64 v75, v91, 2.0, vcc
	v_frexp_exp_i32_f64_e32 v10, v[6:7]
	v_mul_f64 v[8:9], v[8:9], v[74:75]
	v_subbrev_co_u32_e32 v75, vcc, 0, v10, vcc
	v_add_f64 v[10:11], v[8:9], 1.0
	v_rcp_f64_e32 v[80:81], v[10:11]
	v_add_f64 v[84:85], v[10:11], -1.0
	v_add_f64 v[82:83], v[8:9], -1.0
	v_add_f64 v[8:9], v[8:9], -v[84:85]
	v_fma_f64 v[84:85], -v[10:11], v[80:81], 1.0
	v_fmac_f64_e32 v[80:81], v[84:85], v[80:81]
	v_fma_f64 v[84:85], -v[10:11], v[80:81], 1.0
	v_fmac_f64_e32 v[80:81], v[84:85], v[80:81]
	v_mul_f64 v[84:85], v[82:83], v[80:81]
	v_mul_f64 v[86:87], v[10:11], v[84:85]
	v_fma_f64 v[10:11], v[84:85], v[10:11], -v[86:87]
	v_fmac_f64_e32 v[10:11], v[84:85], v[8:9]
	v_add_f64 v[8:9], v[86:87], v[10:11]
	v_add_f64 v[116:117], v[82:83], -v[8:9]
	v_add_f64 v[86:87], v[8:9], -v[86:87]
	;; [unrolled: 1-line block ×5, first 2 shown]
	v_add_f64 v[8:9], v[10:11], v[8:9]
	v_add_f64 v[8:9], v[116:117], v[8:9]
	v_mul_f64 v[8:9], v[80:81], v[8:9]
	v_add_f64 v[10:11], v[84:85], v[8:9]
	v_add_f64 v[80:81], v[10:11], -v[84:85]
	v_add_f64 v[8:9], v[8:9], -v[80:81]
	v_mul_f64 v[80:81], v[10:11], v[10:11]
	v_pk_mov_b32 v[82:83], s[40:41], s[40:41] op_sel:[0,1]
	v_fma_f64 v[84:85], s[42:43], v[80:81], v[82:83]
	v_fma_f64 v[84:85], v[80:81], v[84:85], s[44:45]
	;; [unrolled: 1-line block ×5, first 2 shown]
	s_mov_b32 s53, s39
	v_fma_f64 v[84:85], v[80:81], v[84:85], s[52:53]
	v_ldexp_f64 v[86:87], v[10:11], 1
	v_mul_f64 v[10:11], v[10:11], v[80:81]
	v_mul_f64 v[10:11], v[10:11], v[84:85]
	v_add_f64 v[80:81], v[86:87], v[10:11]
	v_add_f64 v[84:85], v[80:81], -v[86:87]
	v_ldexp_f64 v[8:9], v[8:9], 1
	v_add_f64 v[10:11], v[10:11], -v[84:85]
	v_add_f64 v[8:9], v[8:9], v[10:11]
	v_add_f64 v[10:11], v[80:81], v[8:9]
	v_add_f64 v[80:81], v[10:11], -v[80:81]
	v_add_f64 v[8:9], v[8:9], -v[80:81]
	v_cvt_f64_i32_e32 v[80:81], v75
	v_mul_f64 v[84:85], v[80:81], s[54:55]
	v_fma_f64 v[86:87], v[80:81], s[54:55], -v[84:85]
	v_fmac_f64_e32 v[86:87], s[56:57], v[80:81]
	v_add_f64 v[80:81], v[84:85], v[86:87]
	v_add_f64 v[84:85], v[80:81], -v[84:85]
	v_add_f64 v[84:85], v[86:87], -v[84:85]
	v_add_f64 v[86:87], v[80:81], v[10:11]
	v_add_f64 v[116:117], v[86:87], -v[80:81]
	v_add_f64 v[118:119], v[86:87], -v[116:117]
	v_add_f64 v[80:81], v[80:81], -v[118:119]
	v_add_f64 v[10:11], v[10:11], -v[116:117]
	v_add_f64 v[10:11], v[10:11], v[80:81]
	v_add_f64 v[80:81], v[84:85], v[8:9]
	v_add_f64 v[116:117], v[80:81], -v[84:85]
	v_add_f64 v[118:119], v[80:81], -v[116:117]
	v_add_f64 v[10:11], v[80:81], v[10:11]
	v_add_f64 v[84:85], v[84:85], -v[118:119]
	v_add_f64 v[8:9], v[8:9], -v[116:117]
	v_add_f64 v[80:81], v[86:87], v[10:11]
	v_add_f64 v[8:9], v[8:9], v[84:85]
	v_add_f64 v[84:85], v[80:81], -v[86:87]
	v_add_f64 v[10:11], v[10:11], -v[84:85]
	v_add_f64 v[8:9], v[8:9], v[10:11]
	v_add_f64 v[8:9], v[80:81], v[8:9]
	v_cmp_class_f64_e64 vcc, v[6:7], s9
	v_cndmask_b32_e32 v8, v8, v6, vcc
	v_cndmask_b32_e32 v9, v9, v7, vcc
	v_cmp_ngt_f64_e32 vcc, 0, v[6:7]
	v_cndmask_b32_e32 v9, v92, v9, vcc
	v_cmp_nge_f64_e32 vcc, 0, v[6:7]
	v_cndmask_b32_e32 v8, 0, v8, vcc
	v_cmp_neq_f64_e32 vcc, 0, v[6:7]
	v_cndmask_b32_e32 v9, v93, v9, vcc
	v_add_f64 v[6:7], v[8:9], -v[4:5]
	v_frexp_mant_f64_e32 v[8:9], v[76:77]
	v_cmp_gt_f64_e32 vcc, s[38:39], v[8:9]
	v_cndmask_b32_e64 v75, v91, 2.0, vcc
	v_frexp_exp_i32_f64_e32 v10, v[76:77]
	v_mul_f64 v[8:9], v[8:9], v[74:75]
	v_subbrev_co_u32_e32 v75, vcc, 0, v10, vcc
	v_add_f64 v[10:11], v[8:9], 1.0
	v_rcp_f64_e32 v[80:81], v[10:11]
	v_add_f64 v[86:87], v[10:11], -1.0
	v_add_f64 v[84:85], v[8:9], -1.0
	v_add_f64 v[8:9], v[8:9], -v[86:87]
	v_fma_f64 v[86:87], -v[10:11], v[80:81], 1.0
	v_fmac_f64_e32 v[80:81], v[86:87], v[80:81]
	v_fma_f64 v[86:87], -v[10:11], v[80:81], 1.0
	v_fmac_f64_e32 v[80:81], v[86:87], v[80:81]
	v_mul_f64 v[86:87], v[84:85], v[80:81]
	v_mul_f64 v[116:117], v[10:11], v[86:87]
	v_fma_f64 v[10:11], v[86:87], v[10:11], -v[116:117]
	v_fmac_f64_e32 v[10:11], v[86:87], v[8:9]
	v_add_f64 v[8:9], v[116:117], v[10:11]
	v_add_f64 v[118:119], v[84:85], -v[8:9]
	v_add_f64 v[116:117], v[8:9], -v[116:117]
	;; [unrolled: 1-line block ×5, first 2 shown]
	v_add_f64 v[8:9], v[10:11], v[8:9]
	v_add_f64 v[8:9], v[118:119], v[8:9]
	v_mul_f64 v[8:9], v[80:81], v[8:9]
	v_add_f64 v[10:11], v[86:87], v[8:9]
	v_add_f64 v[80:81], v[10:11], -v[86:87]
	v_add_f64 v[8:9], v[8:9], -v[80:81]
	v_mul_f64 v[80:81], v[10:11], v[10:11]
	v_fma_f64 v[84:85], s[42:43], v[80:81], v[82:83]
	v_fma_f64 v[84:85], v[80:81], v[84:85], s[44:45]
	;; [unrolled: 1-line block ×6, first 2 shown]
	v_ldexp_f64 v[86:87], v[10:11], 1
	v_mul_f64 v[10:11], v[10:11], v[80:81]
	v_mul_f64 v[10:11], v[10:11], v[84:85]
	v_add_f64 v[80:81], v[86:87], v[10:11]
	v_add_f64 v[84:85], v[80:81], -v[86:87]
	v_ldexp_f64 v[8:9], v[8:9], 1
	v_add_f64 v[10:11], v[10:11], -v[84:85]
	v_add_f64 v[8:9], v[8:9], v[10:11]
	v_add_f64 v[10:11], v[80:81], v[8:9]
	v_add_f64 v[80:81], v[10:11], -v[80:81]
	v_add_f64 v[8:9], v[8:9], -v[80:81]
	v_cvt_f64_i32_e32 v[80:81], v75
	v_mul_f64 v[84:85], v[80:81], s[54:55]
	v_fma_f64 v[86:87], v[80:81], s[54:55], -v[84:85]
	v_fmac_f64_e32 v[86:87], s[56:57], v[80:81]
	v_add_f64 v[80:81], v[84:85], v[86:87]
	v_add_f64 v[84:85], v[80:81], -v[84:85]
	v_add_f64 v[84:85], v[86:87], -v[84:85]
	v_add_f64 v[86:87], v[80:81], v[10:11]
	v_add_f64 v[116:117], v[86:87], -v[80:81]
	v_add_f64 v[118:119], v[86:87], -v[116:117]
	;; [unrolled: 1-line block ×4, first 2 shown]
	v_add_f64 v[10:11], v[10:11], v[80:81]
	v_add_f64 v[80:81], v[84:85], v[8:9]
	v_add_f64 v[116:117], v[80:81], -v[84:85]
	v_add_f64 v[118:119], v[80:81], -v[116:117]
	v_add_f64 v[10:11], v[80:81], v[10:11]
	v_add_f64 v[84:85], v[84:85], -v[118:119]
	v_add_f64 v[8:9], v[8:9], -v[116:117]
	v_add_f64 v[80:81], v[86:87], v[10:11]
	v_add_f64 v[8:9], v[8:9], v[84:85]
	v_add_f64 v[84:85], v[80:81], -v[86:87]
	v_add_f64 v[10:11], v[10:11], -v[84:85]
	s_mov_b32 s0, 0
	v_add_f64 v[8:9], v[8:9], v[10:11]
	s_mov_b32 s1, 0x7ff00000
	v_add_f64 v[8:9], v[80:81], v[8:9]
	v_cmp_eq_f64_e32 vcc, s[0:1], v[76:77]
	v_cndmask_b32_e32 v8, v8, v76, vcc
	v_cndmask_b32_e32 v9, v9, v77, vcc
	v_cmp_neq_f64_e32 vcc, 0, v[76:77]
	v_cndmask_b32_e32 v9, v93, v9, vcc
	v_cndmask_b32_e32 v8, 0, v8, vcc
	v_mul_f64 v[78:79], v[4:5], v[76:77]
	v_add_f64 v[80:81], v[6:7], -v[8:9]
	v_frexp_exp_i32_f64_e32 v6, v[4:5]
	v_frexp_mant_f64_e32 v[4:5], v[4:5]
	v_cmp_gt_f64_e32 vcc, s[38:39], v[4:5]
	v_cndmask_b32_e64 v75, v91, 2.0, vcc
	v_mul_f64 v[4:5], v[4:5], v[74:75]
	v_subbrev_co_u32_e32 v75, vcc, 0, v6, vcc
	v_add_f64 v[6:7], v[4:5], 1.0
	v_rcp_f64_e32 v[8:9], v[6:7]
	v_add_f64 v[84:85], v[6:7], -1.0
	v_add_f64 v[10:11], v[4:5], -1.0
	v_add_f64 v[4:5], v[4:5], -v[84:85]
	v_fma_f64 v[84:85], -v[6:7], v[8:9], 1.0
	v_fmac_f64_e32 v[8:9], v[84:85], v[8:9]
	v_fma_f64 v[84:85], -v[6:7], v[8:9], 1.0
	v_fmac_f64_e32 v[8:9], v[84:85], v[8:9]
	v_mul_f64 v[84:85], v[10:11], v[8:9]
	v_mul_f64 v[86:87], v[6:7], v[84:85]
	v_fma_f64 v[6:7], v[84:85], v[6:7], -v[86:87]
	v_fmac_f64_e32 v[6:7], v[84:85], v[4:5]
	v_add_f64 v[4:5], v[86:87], v[6:7]
	v_add_f64 v[116:117], v[10:11], -v[4:5]
	v_add_f64 v[86:87], v[4:5], -v[86:87]
	;; [unrolled: 1-line block ×5, first 2 shown]
	v_add_f64 v[4:5], v[6:7], v[4:5]
	v_add_f64 v[4:5], v[116:117], v[4:5]
	v_mul_f64 v[4:5], v[8:9], v[4:5]
	v_add_f64 v[6:7], v[84:85], v[4:5]
	v_add_f64 v[8:9], v[6:7], -v[84:85]
	v_add_f64 v[4:5], v[4:5], -v[8:9]
	v_mul_f64 v[8:9], v[6:7], v[6:7]
	v_fmac_f64_e32 v[82:83], s[42:43], v[8:9]
	v_fma_f64 v[10:11], v[8:9], v[82:83], s[44:45]
	v_fma_f64 v[10:11], v[8:9], v[10:11], s[46:47]
	;; [unrolled: 1-line block ×5, first 2 shown]
	v_ldexp_f64 v[82:83], v[6:7], 1
	v_mul_f64 v[6:7], v[6:7], v[8:9]
	v_mul_f64 v[6:7], v[6:7], v[10:11]
	v_add_f64 v[8:9], v[82:83], v[6:7]
	v_add_f64 v[10:11], v[8:9], -v[82:83]
	v_ldexp_f64 v[4:5], v[4:5], 1
	v_add_f64 v[6:7], v[6:7], -v[10:11]
	v_add_f64 v[4:5], v[4:5], v[6:7]
	v_add_f64 v[6:7], v[8:9], v[4:5]
	v_add_f64 v[8:9], v[6:7], -v[8:9]
	v_add_f64 v[4:5], v[4:5], -v[8:9]
	v_cvt_f64_i32_e32 v[8:9], v75
	v_mul_f64 v[10:11], v[8:9], s[54:55]
	v_fma_f64 v[82:83], v[8:9], s[54:55], -v[10:11]
	v_fmac_f64_e32 v[82:83], s[56:57], v[8:9]
	v_add_f64 v[8:9], v[10:11], v[82:83]
	v_add_f64 v[10:11], v[8:9], -v[10:11]
	v_add_f64 v[10:11], v[82:83], -v[10:11]
	v_add_f64 v[82:83], v[8:9], v[6:7]
	v_add_f64 v[84:85], v[82:83], -v[8:9]
	v_add_f64 v[86:87], v[82:83], -v[84:85]
	;; [unrolled: 1-line block ×4, first 2 shown]
	v_add_f64 v[6:7], v[6:7], v[8:9]
	v_add_f64 v[8:9], v[10:11], v[4:5]
	v_add_f64 v[84:85], v[8:9], -v[10:11]
	v_add_f64 v[86:87], v[8:9], -v[84:85]
	v_add_f64 v[6:7], v[8:9], v[6:7]
	v_add_f64 v[10:11], v[10:11], -v[86:87]
	v_add_f64 v[4:5], v[4:5], -v[84:85]
	v_add_f64 v[8:9], v[82:83], v[6:7]
	v_add_f64 v[4:5], v[4:5], v[10:11]
	v_add_f64 v[10:11], v[8:9], -v[82:83]
	v_add_f64 v[6:7], v[6:7], -v[10:11]
	v_add_f64 v[4:5], v[4:5], v[6:7]
	v_add_f64 v[82:83], v[8:9], v[4:5]
	s_mov_b64 s[12:13], 0
	s_mov_b64 s[20:21], 0
	v_mov_b32_e32 v116, v17
                                        ; implicit-def: $vgpr75
.LBB64_18:                              ;   Parent Loop BB64_5 Depth=1
                                        ; =>  This Inner Loop Header: Depth=2
	v_add_u32_e32 v117, 1, v15
	v_pk_mov_b32 v[10:11], v[2:3], v[2:3] op_sel:[0,1]
	v_cmp_eq_u32_e32 vcc, 4, v117
	v_pk_mov_b32 v[8:9], v[0:1], v[0:1] op_sel:[0,1]
	v_mov_b32_e32 v87, v0
	v_mov_b32_e32 v86, v1
	;; [unrolled: 1-line block ×4, first 2 shown]
	s_and_saveexec_b64 s[0:1], vcc
	s_cbranch_execz .LBB64_20
; %bb.19:                               ;   in Loop: Header=BB64_18 Depth=2
	v_add_co_u32_e32 v97, vcc, 1, v97
	v_cndmask_b32_e64 v4, 0, 1, vcc
	v_addc_co_u32_e32 v98, vcc, 0, v98, vcc
	v_cmp_eq_u32_e32 vcc, 0, v98
	v_cndmask_b32_e32 v4, 0, v4, vcc
	v_add_u32_e32 v116, v4, v116
	v_cmp_eq_u32_e32 vcc, 0, v116
	v_cndmask_b32_e32 v4, 0, v4, vcc
	v_add_u32_e32 v74, v4, v74
	v_mad_u64_u32 v[4:5], s[2:3], v97, s11, 0
	v_mad_u64_u32 v[6:7], s[2:3], v116, s10, 0
	v_xor_b32_e32 v5, v5, v73
	v_xor_b32_e32 v7, v7, v72
	v_xor_b32_e32 v5, v74, v5
	v_xor_b32_e32 v7, v98, v7
	v_mad_u64_u32 v[10:11], s[2:3], v5, s10, 0
	v_mad_u64_u32 v[8:9], s[2:3], v7, s11, 0
	v_xor_b32_e32 v5, v99, v11
	v_xor_b32_e32 v5, v5, v6
	v_xor_b32_e32 v6, v100, v9
	v_xor_b32_e32 v6, v6, v4
	;; [unrolled: 6-line block ×10, first 2 shown]
	v_mov_b32_e32 v117, 0
	v_mov_b32_e32 v9, v86
	;; [unrolled: 1-line block ×5, first 2 shown]
.LBB64_20:                              ;   in Loop: Header=BB64_18 Depth=2
	s_or_b64 exec, exec, s[0:1]
	v_add_u32_e32 v118, 1, v117
	v_pk_mov_b32 v[4:5], v[8:9], v[8:9] op_sel:[0,1]
	v_cmp_eq_u32_e32 vcc, 4, v118
	v_pk_mov_b32 v[6:7], v[10:11], v[10:11] op_sel:[0,1]
	s_and_saveexec_b64 s[0:1], vcc
	s_cbranch_execz .LBB64_22
; %bb.21:                               ;   in Loop: Header=BB64_18 Depth=2
	v_add_co_u32_e32 v97, vcc, 1, v97
	v_cndmask_b32_e64 v4, 0, 1, vcc
	v_addc_co_u32_e32 v98, vcc, 0, v98, vcc
	v_cmp_eq_u32_e32 vcc, 0, v98
	v_cndmask_b32_e32 v4, 0, v4, vcc
	v_add_u32_e32 v116, v4, v116
	v_cmp_eq_u32_e32 vcc, 0, v116
	v_cndmask_b32_e32 v4, 0, v4, vcc
	v_add_u32_e32 v74, v4, v74
	v_mad_u64_u32 v[4:5], s[2:3], v97, s11, 0
	v_mad_u64_u32 v[6:7], s[2:3], v116, s10, 0
	v_xor_b32_e32 v5, v5, v73
	v_xor_b32_e32 v7, v7, v72
	v_xor_b32_e32 v5, v74, v5
	v_xor_b32_e32 v7, v98, v7
	v_mad_u64_u32 v[86:87], s[2:3], v5, s10, 0
	v_mad_u64_u32 v[84:85], s[2:3], v7, s11, 0
	v_xor_b32_e32 v5, v99, v87
	v_xor_b32_e32 v5, v5, v6
	v_xor_b32_e32 v6, v100, v85
	v_xor_b32_e32 v6, v6, v4
	v_mad_u64_u32 v[4:5], s[2:3], v5, s11, 0
	v_mad_u64_u32 v[6:7], s[2:3], v6, s10, 0
	v_xor_b32_e32 v5, v102, v5
	v_xor_b32_e32 v7, v101, v7
	v_xor_b32_e32 v5, v5, v84
	v_xor_b32_e32 v7, v7, v86
	v_mad_u64_u32 v[86:87], s[2:3], v5, s10, 0
	v_mad_u64_u32 v[84:85], s[2:3], v7, s11, 0
	v_xor_b32_e32 v5, v104, v87
	v_xor_b32_e32 v5, v5, v6
	v_xor_b32_e32 v6, v105, v85
	v_xor_b32_e32 v6, v6, v4
	v_mad_u64_u32 v[4:5], s[2:3], v5, s11, 0
	v_mad_u64_u32 v[6:7], s[2:3], v6, s10, 0
	v_xor_b32_e32 v5, v108, v5
	v_xor_b32_e32 v7, v107, v7
	v_xor_b32_e32 v5, v5, v84
	v_xor_b32_e32 v7, v7, v86
	v_mad_u64_u32 v[86:87], s[2:3], v5, s10, 0
	v_mad_u64_u32 v[84:85], s[2:3], v7, s11, 0
	v_xor_b32_e32 v5, v109, v87
	v_xor_b32_e32 v5, v5, v6
	v_xor_b32_e32 v6, v110, v85
	v_xor_b32_e32 v6, v6, v4
	v_mad_u64_u32 v[4:5], s[2:3], v5, s11, 0
	v_mad_u64_u32 v[6:7], s[2:3], v6, s10, 0
	v_xor_b32_e32 v5, v112, v5
	v_xor_b32_e32 v7, v111, v7
	v_xor_b32_e32 v5, v5, v84
	v_xor_b32_e32 v7, v7, v86
	v_mad_u64_u32 v[86:87], s[2:3], v5, s10, 0
	v_mad_u64_u32 v[84:85], s[2:3], v7, s11, 0
	v_xor_b32_e32 v5, v113, v87
	v_xor_b32_e32 v5, v5, v6
	v_xor_b32_e32 v6, v114, v85
	v_xor_b32_e32 v4, v6, v4
	v_mad_u64_u32 v[6:7], s[2:3], v5, s11, 0
	v_mad_u64_u32 v[4:5], s[2:3], v4, s10, 0
	v_xor_b32_e32 v5, v103, v5
	v_xor_b32_e32 v7, v115, v7
	v_xor_b32_e32 v5, v5, v86
	v_xor_b32_e32 v7, v7, v84
	v_mad_u64_u32 v[84:85], s[2:3], v5, s11, 0
	v_mad_u64_u32 v[86:87], s[2:3], v7, s10, 0
	v_xor_b32_e32 v4, v87, v4
	v_xor_b32_e32 v5, v85, v6
	v_xor_b32_e32 v4, v106, v4
	v_xor_b32_e32 v6, v96, v5
	v_mov_b32_e32 v118, 0
	v_mov_b32_e32 v5, v86
	;; [unrolled: 1-line block ×5, first 2 shown]
.LBB64_22:                              ;   in Loop: Header=BB64_18 Depth=2
	s_or_b64 exec, exec, s[0:1]
	v_cmp_eq_u32_e32 vcc, 1, v15
	v_cndmask_b32_e32 v0, v0, v1, vcc
	v_cmp_eq_u32_e32 vcc, 2, v15
	v_cndmask_b32_e32 v0, v0, v2, vcc
	;; [unrolled: 2-line block ×6, first 2 shown]
	v_lshrrev_b32_e32 v0, 11, v0
	v_cvt_f64_u32_e32 v[0:1], v0
	v_ldexp_f64 v[0:1], v[0:1], 32
	v_cvt_f64_u32_e32 v[2:3], v2
	v_add_f64 v[0:1], v[0:1], v[2:3]
	v_mov_b32_e32 v2, 0
	v_mov_b32_e32 v3, 0x3ca00000
	v_fmac_f64_e32 v[2:3], 0x3ca00000, v[0:1]
	v_add_f64 v[0:1], -v[2:3], 1.0
	v_div_scale_f64 v[8:9], s[0:1], v[2:3], v[2:3], v[0:1]
	v_rcp_f64_e32 v[10:11], v[8:9]
	v_mov_b32_e32 v119, 2
	v_fma_f64 v[120:121], -v[8:9], v[10:11], 1.0
	v_fmac_f64_e32 v[10:11], v[10:11], v[120:121]
	v_fma_f64 v[120:121], -v[8:9], v[10:11], 1.0
	v_fmac_f64_e32 v[10:11], v[10:11], v[120:121]
	v_div_scale_f64 v[120:121], vcc, v[0:1], v[2:3], v[0:1]
	v_mul_f64 v[122:123], v[120:121], v[10:11]
	v_fma_f64 v[8:9], -v[8:9], v[122:123], v[120:121]
	s_nop 1
	v_div_fmas_f64 v[8:9], v[8:9], v[10:11], v[122:123]
	v_div_fixup_f64 v[0:1], v[8:9], v[2:3], v[0:1]
	v_frexp_mant_f64_e32 v[2:3], v[0:1]
	v_cmp_gt_f64_e32 vcc, s[38:39], v[2:3]
	v_cndmask_b32_e64 v15, v91, 2.0, vcc
	v_frexp_exp_i32_f64_e32 v8, v[0:1]
	v_mul_f64 v[2:3], v[2:3], v[14:15]
	v_subbrev_co_u32_e32 v15, vcc, 0, v8, vcc
	v_add_f64 v[8:9], v[2:3], 1.0
	v_rcp_f64_e32 v[10:11], v[8:9]
	v_add_f64 v[122:123], v[8:9], -1.0
	v_add_f64 v[120:121], v[2:3], -1.0
	v_add_f64 v[2:3], v[2:3], -v[122:123]
	v_fma_f64 v[122:123], -v[8:9], v[10:11], 1.0
	v_fmac_f64_e32 v[10:11], v[122:123], v[10:11]
	v_fma_f64 v[122:123], -v[8:9], v[10:11], 1.0
	v_fmac_f64_e32 v[10:11], v[122:123], v[10:11]
	v_mul_f64 v[122:123], v[120:121], v[10:11]
	v_mul_f64 v[124:125], v[8:9], v[122:123]
	v_fma_f64 v[8:9], v[122:123], v[8:9], -v[124:125]
	v_fmac_f64_e32 v[8:9], v[122:123], v[2:3]
	v_add_f64 v[2:3], v[124:125], v[8:9]
	v_add_f64 v[126:127], v[120:121], -v[2:3]
	v_add_f64 v[124:125], v[2:3], -v[124:125]
	;; [unrolled: 1-line block ×5, first 2 shown]
	v_add_f64 v[2:3], v[8:9], v[2:3]
	v_add_f64 v[2:3], v[126:127], v[2:3]
	v_mul_f64 v[2:3], v[10:11], v[2:3]
	v_add_f64 v[8:9], v[122:123], v[2:3]
	v_add_f64 v[10:11], v[8:9], -v[122:123]
	v_add_f64 v[2:3], v[2:3], -v[10:11]
	v_mul_f64 v[10:11], v[8:9], v[8:9]
	v_pk_mov_b32 v[120:121], v[18:19], v[18:19] op_sel:[0,1]
	v_fmac_f64_e32 v[120:121], s[42:43], v[10:11]
	v_pk_mov_b32 v[122:123], v[20:21], v[20:21] op_sel:[0,1]
	v_fmac_f64_e32 v[122:123], v[10:11], v[120:121]
	v_pk_mov_b32 v[120:121], v[22:23], v[22:23] op_sel:[0,1]
	v_fmac_f64_e32 v[120:121], v[10:11], v[122:123]
	v_pk_mov_b32 v[122:123], v[24:25], v[24:25] op_sel:[0,1]
	v_fmac_f64_e32 v[122:123], v[10:11], v[120:121]
	v_pk_mov_b32 v[120:121], v[26:27], v[26:27] op_sel:[0,1]
	v_fmac_f64_e32 v[120:121], v[10:11], v[122:123]
	v_pk_mov_b32 v[122:123], v[28:29], v[28:29] op_sel:[0,1]
	v_fmac_f64_e32 v[122:123], v[10:11], v[120:121]
	v_ldexp_f64 v[120:121], v[8:9], 1
	v_mul_f64 v[8:9], v[8:9], v[10:11]
	v_mul_f64 v[8:9], v[8:9], v[122:123]
	v_add_f64 v[10:11], v[120:121], v[8:9]
	v_add_f64 v[120:121], v[10:11], -v[120:121]
	v_ldexp_f64 v[2:3], v[2:3], 1
	v_add_f64 v[8:9], v[8:9], -v[120:121]
	v_add_f64 v[2:3], v[2:3], v[8:9]
	v_add_f64 v[8:9], v[10:11], v[2:3]
	v_add_f64 v[10:11], v[8:9], -v[10:11]
	v_add_f64 v[2:3], v[2:3], -v[10:11]
	v_cvt_f64_i32_e32 v[10:11], v15
	v_mul_f64 v[120:121], v[10:11], s[54:55]
	v_fma_f64 v[122:123], v[10:11], s[54:55], -v[120:121]
	v_fmac_f64_e32 v[122:123], s[56:57], v[10:11]
	v_add_f64 v[10:11], v[120:121], v[122:123]
	v_add_f64 v[120:121], v[10:11], -v[120:121]
	v_add_f64 v[120:121], v[122:123], -v[120:121]
	v_add_f64 v[122:123], v[10:11], v[8:9]
	v_add_f64 v[124:125], v[122:123], -v[10:11]
	v_add_f64 v[126:127], v[122:123], -v[124:125]
	;; [unrolled: 1-line block ×4, first 2 shown]
	v_add_f64 v[8:9], v[8:9], v[10:11]
	v_add_f64 v[10:11], v[120:121], v[2:3]
	v_add_f64 v[124:125], v[10:11], -v[120:121]
	v_add_f64 v[126:127], v[10:11], -v[124:125]
	v_add_f64 v[8:9], v[10:11], v[8:9]
	v_add_f64 v[120:121], v[120:121], -v[126:127]
	v_add_f64 v[2:3], v[2:3], -v[124:125]
	v_add_f64 v[10:11], v[122:123], v[8:9]
	v_add_f64 v[2:3], v[2:3], v[120:121]
	v_add_f64 v[120:121], v[10:11], -v[122:123]
	v_add_f64 v[8:9], v[8:9], -v[120:121]
	v_add_f64 v[2:3], v[2:3], v[8:9]
	v_add_f64 v[2:3], v[10:11], v[2:3]
	v_cmp_class_f64_e64 vcc, v[0:1], s9
	v_cndmask_b32_e32 v2, v2, v0, vcc
	v_cndmask_b32_e32 v3, v3, v1, vcc
	v_cmp_ngt_f64_e32 vcc, 0, v[0:1]
	v_cndmask_b32_e32 v3, v92, v3, vcc
	v_cmp_nge_f64_e32 vcc, 0, v[0:1]
	v_cndmask_b32_e32 v2, 0, v2, vcc
	v_cmp_neq_f64_e32 vcc, 0, v[0:1]
	v_cndmask_b32_e32 v3, v93, v3, vcc
	v_add_f64 v[0:1], v[78:79], -v[2:3]
	v_div_scale_f64 v[2:3], s[0:1], v[76:77], v[76:77], v[0:1]
	v_rcp_f64_e32 v[8:9], v[2:3]
	v_fma_f64 v[10:11], -v[2:3], v[8:9], 1.0
	v_fmac_f64_e32 v[8:9], v[8:9], v[10:11]
	v_fma_f64 v[10:11], -v[2:3], v[8:9], 1.0
	v_fmac_f64_e32 v[8:9], v[8:9], v[10:11]
	v_div_scale_f64 v[10:11], vcc, v[0:1], v[76:77], v[0:1]
	v_mul_f64 v[120:121], v[10:11], v[8:9]
	v_fma_f64 v[2:3], -v[2:3], v[120:121], v[10:11]
	s_nop 1
	v_div_fmas_f64 v[2:3], v[2:3], v[8:9], v[120:121]
	v_div_fixup_f64 v[10:11], v[2:3], v[76:77], v[0:1]
	v_add_f64 v[0:1], v[10:11], 0.5
	v_floor_f64_e32 v[8:9], v[0:1]
	v_cmp_ngt_f64_e32 vcc, 0, v[8:9]
	s_and_saveexec_b64 s[0:1], vcc
	s_cbranch_execz .LBB64_28
; %bb.23:                               ;   in Loop: Header=BB64_18 Depth=2
	v_add_u32_e32 v15, 1, v118
	v_pk_mov_b32 v[0:1], v[4:5], v[4:5] op_sel:[0,1]
	v_cmp_eq_u32_e32 vcc, 4, v15
	v_pk_mov_b32 v[2:3], v[6:7], v[6:7] op_sel:[0,1]
	s_and_saveexec_b64 s[2:3], vcc
	s_cbranch_execz .LBB64_25
; %bb.24:                               ;   in Loop: Header=BB64_18 Depth=2
	v_add_co_u32_e32 v97, vcc, 1, v97
	v_cndmask_b32_e64 v0, 0, 1, vcc
	v_addc_co_u32_e32 v98, vcc, 0, v98, vcc
	v_cmp_eq_u32_e32 vcc, 0, v98
	v_cndmask_b32_e32 v0, 0, v0, vcc
	v_add_u32_e32 v116, v0, v116
	v_cmp_eq_u32_e32 vcc, 0, v116
	v_cndmask_b32_e32 v0, 0, v0, vcc
	v_add_u32_e32 v74, v0, v74
	v_mad_u64_u32 v[0:1], vcc, v97, s11, 0
	v_mad_u64_u32 v[2:3], vcc, v116, s10, 0
	v_xor_b32_e32 v1, v1, v73
	v_xor_b32_e32 v3, v3, v72
	v_xor_b32_e32 v1, v74, v1
	v_xor_b32_e32 v3, v98, v3
	v_mad_u64_u32 v[86:87], vcc, v1, s10, 0
	v_mad_u64_u32 v[84:85], vcc, v3, s11, 0
	v_xor_b32_e32 v1, v99, v87
	v_xor_b32_e32 v1, v1, v2
	v_xor_b32_e32 v2, v100, v85
	v_xor_b32_e32 v2, v2, v0
	;; [unrolled: 6-line block ×10, first 2 shown]
	v_mov_b32_e32 v15, 0
	v_mov_b32_e32 v1, v86
	;; [unrolled: 1-line block ×5, first 2 shown]
.LBB64_25:                              ;   in Loop: Header=BB64_18 Depth=2
	s_or_b64 exec, exec, s[2:3]
	v_add_u32_e32 v117, 1, v15
	v_cmp_eq_u32_e32 vcc, 4, v117
	s_and_saveexec_b64 s[2:3], vcc
	s_cbranch_execz .LBB64_27
; %bb.26:                               ;   in Loop: Header=BB64_18 Depth=2
	v_add_co_u32_e32 v97, vcc, 1, v97
	v_cndmask_b32_e64 v84, 0, 1, vcc
	v_addc_co_u32_e32 v98, vcc, 0, v98, vcc
	v_cmp_eq_u32_e32 vcc, 0, v98
	v_cndmask_b32_e32 v84, 0, v84, vcc
	v_add_u32_e32 v116, v84, v116
	v_cmp_eq_u32_e32 vcc, 0, v116
	v_cndmask_b32_e32 v84, 0, v84, vcc
	v_add_u32_e32 v74, v84, v74
	v_mad_u64_u32 v[84:85], vcc, v97, s11, 0
	v_mad_u64_u32 v[86:87], vcc, v116, s10, 0
	v_xor_b32_e32 v85, v85, v73
	v_xor_b32_e32 v87, v87, v72
	v_xor_b32_e32 v85, v74, v85
	v_xor_b32_e32 v87, v98, v87
	v_mad_u64_u32 v[122:123], vcc, v85, s10, 0
	v_mad_u64_u32 v[120:121], vcc, v87, s11, 0
	v_xor_b32_e32 v85, v99, v123
	v_xor_b32_e32 v85, v85, v86
	v_xor_b32_e32 v86, v100, v121
	v_xor_b32_e32 v86, v86, v84
	;; [unrolled: 6-line block ×9, first 2 shown]
	v_mad_u64_u32 v[84:85], vcc, v84, s11, 0
	v_mad_u64_u32 v[86:87], vcc, v86, s10, 0
	v_xor_b32_e32 v87, v87, v126
	v_xor_b32_e32 v85, v85, v124
	v_mov_b32_e32 v117, 0
	v_xor_b32_e32 v87, v106, v87
	v_xor_b32_e32 v85, v96, v85
.LBB64_27:                              ;   in Loop: Header=BB64_18 Depth=2
	s_or_b64 exec, exec, s[2:3]
	v_cmp_eq_u32_e32 vcc, 1, v118
	v_cndmask_b32_e32 v4, v4, v5, vcc
	v_cmp_eq_u32_e32 vcc, 2, v118
	v_cndmask_b32_e32 v4, v4, v6, vcc
	;; [unrolled: 2-line block ×6, first 2 shown]
	v_lshrrev_b32_e32 v0, 11, v0
	v_cvt_f64_u32_e32 v[0:1], v0
	v_ldexp_f64 v[0:1], v[0:1], 32
	v_cvt_f64_u32_e32 v[2:3], v4
	v_add_f64 v[0:1], v[0:1], v[2:3]
	v_mov_b32_e32 v2, 0
	v_mov_b32_e32 v3, 0x3ca00000
	v_fma_f64 v[4:5], -v[76:77], v[10:11], v[78:79]
	v_fmac_f64_e32 v[2:3], 0x3ca00000, v[0:1]
	v_mul_f64 v[0:1], v[4:5], s[60:61]
	v_rndne_f64_e32 v[0:1], v[0:1]
	s_mov_b32 s62, s54
	v_fma_f64 v[6:7], s[62:63], v[0:1], v[4:5]
	s_mov_b32 s64, s56
	v_fmac_f64_e32 v[6:7], s[64:65], v[0:1]
	v_pk_mov_b32 v[10:11], v[30:31], v[30:31] op_sel:[0,1]
	v_fmac_f64_e32 v[10:11], s[68:69], v[6:7]
	v_pk_mov_b32 v[118:119], v[32:33], v[32:33] op_sel:[0,1]
	;; [unrolled: 2-line block ×9, first 2 shown]
	v_fmac_f64_e32 v[10:11], v[6:7], v[118:119]
	v_fma_f64 v[10:11], v[6:7], v[10:11], 1.0
	v_fma_f64 v[6:7], v[6:7], v[10:11], 1.0
	v_cvt_i32_f64_e32 v0, v[0:1]
	v_ldexp_f64 v[0:1], v[6:7], v0
	v_add_f64 v[0:1], v[0:1], 1.0
	v_cmp_nlt_f64_e32 vcc, s[70:71], v[4:5]
	v_cmp_ngt_f64_e64 s[2:3], s[72:73], v[4:5]
	v_cndmask_b32_e32 v1, v94, v1, vcc
	s_and_b64 vcc, s[2:3], vcc
	v_cndmask_b32_e64 v1, v91, v1, s[2:3]
	v_cndmask_b32_e32 v0, 0, v0, vcc
	v_mul_f64 v[0:1], v[0:1], v[0:1]
	v_div_scale_f64 v[6:7], s[2:3], v[0:1], v[0:1], v[2:3]
	v_rcp_f64_e32 v[10:11], v[6:7]
	s_mov_b32 s53, s39
	v_fma_f64 v[118:119], -v[6:7], v[10:11], 1.0
	v_fmac_f64_e32 v[10:11], v[10:11], v[118:119]
	v_fma_f64 v[118:119], -v[6:7], v[10:11], 1.0
	v_fmac_f64_e32 v[10:11], v[10:11], v[118:119]
	v_div_scale_f64 v[118:119], vcc, v[2:3], v[0:1], v[2:3]
	v_mul_f64 v[120:121], v[118:119], v[10:11]
	v_fma_f64 v[6:7], -v[6:7], v[120:121], v[118:119]
	s_nop 1
	v_div_fmas_f64 v[6:7], v[6:7], v[10:11], v[120:121]
	v_div_fixup_f64 v[2:3], v[6:7], v[0:1], v[2:3]
	v_frexp_mant_f64_e32 v[0:1], v[2:3]
	v_cmp_gt_f64_e32 vcc, s[38:39], v[0:1]
	v_cndmask_b32_e64 v15, v91, 2.0, vcc
	v_frexp_exp_i32_f64_e32 v6, v[2:3]
	v_mul_f64 v[0:1], v[0:1], v[14:15]
	v_subbrev_co_u32_e32 v15, vcc, 0, v6, vcc
	v_add_f64 v[6:7], v[0:1], 1.0
	v_rcp_f64_e32 v[10:11], v[6:7]
	v_add_f64 v[120:121], v[6:7], -1.0
	v_add_f64 v[118:119], v[0:1], -1.0
	v_add_f64 v[0:1], v[0:1], -v[120:121]
	v_fma_f64 v[120:121], -v[6:7], v[10:11], 1.0
	v_fmac_f64_e32 v[10:11], v[120:121], v[10:11]
	v_fma_f64 v[120:121], -v[6:7], v[10:11], 1.0
	v_fmac_f64_e32 v[10:11], v[120:121], v[10:11]
	v_mul_f64 v[120:121], v[118:119], v[10:11]
	v_mul_f64 v[122:123], v[6:7], v[120:121]
	v_fma_f64 v[6:7], v[120:121], v[6:7], -v[122:123]
	v_fmac_f64_e32 v[6:7], v[120:121], v[0:1]
	v_add_f64 v[0:1], v[122:123], v[6:7]
	v_add_f64 v[124:125], v[118:119], -v[0:1]
	v_add_f64 v[122:123], v[0:1], -v[122:123]
	;; [unrolled: 1-line block ×5, first 2 shown]
	v_add_f64 v[0:1], v[6:7], v[0:1]
	v_add_f64 v[0:1], v[124:125], v[0:1]
	v_mul_f64 v[0:1], v[10:11], v[0:1]
	v_add_f64 v[6:7], v[120:121], v[0:1]
	v_add_f64 v[10:11], v[6:7], -v[120:121]
	v_add_f64 v[10:11], v[0:1], -v[10:11]
	v_mul_f64 v[118:119], v[6:7], v[6:7]
	v_pk_mov_b32 v[0:1], s[40:41], s[40:41] op_sel:[0,1]
	v_fma_f64 v[120:121], s[42:43], v[118:119], v[0:1]
	v_fma_f64 v[120:121], v[118:119], v[120:121], s[44:45]
	;; [unrolled: 1-line block ×6, first 2 shown]
	v_ldexp_f64 v[122:123], v[6:7], 1
	v_mul_f64 v[6:7], v[6:7], v[118:119]
	v_mul_f64 v[6:7], v[6:7], v[120:121]
	v_add_f64 v[118:119], v[122:123], v[6:7]
	v_add_f64 v[120:121], v[118:119], -v[122:123]
	v_ldexp_f64 v[10:11], v[10:11], 1
	v_add_f64 v[6:7], v[6:7], -v[120:121]
	v_add_f64 v[6:7], v[10:11], v[6:7]
	v_add_f64 v[10:11], v[118:119], v[6:7]
	v_add_f64 v[118:119], v[10:11], -v[118:119]
	v_add_f64 v[6:7], v[6:7], -v[118:119]
	v_cvt_f64_i32_e32 v[118:119], v15
	v_mul_f64 v[120:121], v[118:119], s[54:55]
	v_fma_f64 v[122:123], v[118:119], s[54:55], -v[120:121]
	v_fmac_f64_e32 v[122:123], s[56:57], v[118:119]
	v_add_f64 v[118:119], v[120:121], v[122:123]
	v_add_f64 v[120:121], v[118:119], -v[120:121]
	v_add_f64 v[120:121], v[122:123], -v[120:121]
	v_add_f64 v[122:123], v[118:119], v[10:11]
	v_add_f64 v[124:125], v[122:123], -v[118:119]
	v_add_f64 v[126:127], v[122:123], -v[124:125]
	;; [unrolled: 1-line block ×4, first 2 shown]
	v_add_f64 v[10:11], v[10:11], v[118:119]
	v_add_f64 v[118:119], v[120:121], v[6:7]
	v_add_f64 v[124:125], v[118:119], -v[120:121]
	v_add_f64 v[126:127], v[118:119], -v[124:125]
	v_add_f64 v[10:11], v[118:119], v[10:11]
	v_add_f64 v[120:121], v[120:121], -v[126:127]
	v_add_f64 v[6:7], v[6:7], -v[124:125]
	v_add_f64 v[118:119], v[122:123], v[10:11]
	v_add_f64 v[6:7], v[6:7], v[120:121]
	v_add_f64 v[120:121], v[118:119], -v[122:123]
	v_add_f64 v[10:11], v[10:11], -v[120:121]
	v_add_f64 v[6:7], v[6:7], v[10:11]
	v_add_f64 v[6:7], v[118:119], v[6:7]
	v_cmp_class_f64_e64 vcc, v[2:3], s9
	v_cndmask_b32_e32 v15, v6, v2, vcc
	v_cndmask_b32_e32 v6, v7, v3, vcc
	v_cmp_neq_f64_e32 vcc, 0, v[2:3]
	v_cndmask_b32_e32 v3, v93, v6, vcc
	v_add_f64 v[6:7], v[8:9], 1.0
	v_add_f64 v[6:7], v[6:7], -1.0
	v_add_f64 v[118:119], v[6:7], s[74:75]
	v_div_scale_f64 v[10:11], s[2:3], v[118:119], v[118:119], s[76:77]
	v_rcp_f64_e32 v[120:121], v[10:11]
	v_cndmask_b32_e32 v2, 0, v15, vcc
	v_add_f64 v[2:3], v[4:5], v[2:3]
	v_fma_f64 v[4:5], v[82:83], v[8:9], v[80:81]
	v_fma_f64 v[122:123], -v[10:11], v[120:121], 1.0
	v_fmac_f64_e32 v[120:121], v[120:121], v[122:123]
	v_fma_f64 v[122:123], -v[10:11], v[120:121], 1.0
	v_fmac_f64_e32 v[120:121], v[120:121], v[122:123]
	v_div_scale_f64 v[122:123], vcc, s[76:77], v[118:119], s[76:77]
	v_mul_f64 v[124:125], v[122:123], v[120:121]
	v_fma_f64 v[122:123], -v[10:11], v[124:125], v[122:123]
	v_add_f64 v[10:11], v[6:7], s[78:79]
	v_div_scale_f64 v[126:127], s[2:3], v[10:11], v[10:11], s[80:81]
	v_rcp_f64_e32 v[128:129], v[126:127]
	v_div_fmas_f64 v[120:121], v[122:123], v[120:121], v[124:125]
	v_div_fixup_f64 v[118:119], v[120:121], v[118:119], s[76:77]
	v_add_f64 v[124:125], v[6:7], s[82:83]
	v_fma_f64 v[120:121], -v[126:127], v[128:129], 1.0
	v_fmac_f64_e32 v[128:129], v[128:129], v[120:121]
	v_fma_f64 v[120:121], -v[126:127], v[128:129], 1.0
	v_fmac_f64_e32 v[128:129], v[128:129], v[120:121]
	v_div_scale_f64 v[120:121], vcc, s[80:81], v[10:11], s[80:81]
	v_mul_f64 v[122:123], v[120:121], v[128:129]
	v_fma_f64 v[120:121], -v[126:127], v[122:123], v[120:121]
	v_div_scale_f64 v[126:127], s[2:3], v[124:125], v[124:125], s[84:85]
	v_rcp_f64_e32 v[130:131], v[126:127]
	v_div_fmas_f64 v[120:121], v[120:121], v[128:129], v[122:123]
	v_add_f64 v[118:119], v[118:119], 0
	v_div_fixup_f64 v[120:121], v[120:121], v[10:11], s[80:81]
	v_add_f64 v[118:119], v[120:121], v[118:119]
	v_fma_f64 v[120:121], -v[126:127], v[130:131], 1.0
	v_fmac_f64_e32 v[130:131], v[130:131], v[120:121]
	v_fma_f64 v[120:121], -v[126:127], v[130:131], 1.0
	v_fmac_f64_e32 v[130:131], v[130:131], v[120:121]
	v_div_scale_f64 v[120:121], vcc, s[84:85], v[124:125], s[84:85]
	v_mul_f64 v[122:123], v[120:121], v[130:131]
	v_fma_f64 v[120:121], -v[126:127], v[122:123], v[120:121]
	v_add_f64 v[126:127], v[6:7], s[86:87]
	v_div_scale_f64 v[128:129], s[2:3], v[126:127], v[126:127], s[88:89]
	v_rcp_f64_e32 v[132:133], v[128:129]
	v_div_fmas_f64 v[120:121], v[120:121], v[130:131], v[122:123]
	v_div_fixup_f64 v[120:121], v[120:121], v[124:125], s[84:85]
	v_add_f64 v[118:119], v[118:119], v[120:121]
	v_fma_f64 v[120:121], -v[128:129], v[132:133], 1.0
	v_fmac_f64_e32 v[132:133], v[132:133], v[120:121]
	v_fma_f64 v[120:121], -v[128:129], v[132:133], 1.0
	v_fmac_f64_e32 v[132:133], v[132:133], v[120:121]
	v_div_scale_f64 v[120:121], vcc, s[88:89], v[126:127], s[88:89]
	v_mul_f64 v[122:123], v[120:121], v[132:133]
	v_add_f64 v[124:125], v[6:7], 4.0
	v_fma_f64 v[120:121], -v[128:129], v[122:123], v[120:121]
	v_div_scale_f64 v[128:129], s[2:3], v[124:125], v[124:125], s[90:91]
	v_rcp_f64_e32 v[130:131], v[128:129]
	v_div_fmas_f64 v[120:121], v[120:121], v[132:133], v[122:123]
	v_div_fixup_f64 v[120:121], v[120:121], v[126:127], s[88:89]
	v_add_f64 v[118:119], v[120:121], v[118:119]
	v_fma_f64 v[120:121], -v[128:129], v[130:131], 1.0
	v_fmac_f64_e32 v[130:131], v[130:131], v[120:121]
	v_fma_f64 v[120:121], -v[128:129], v[130:131], 1.0
	v_fmac_f64_e32 v[130:131], v[130:131], v[120:121]
	v_div_scale_f64 v[120:121], vcc, s[90:91], v[124:125], s[90:91]
	v_mul_f64 v[122:123], v[120:121], v[130:131]
	v_add_f64 v[126:127], v[6:7], s[30:31]
	v_fma_f64 v[120:121], -v[128:129], v[122:123], v[120:121]
	v_div_scale_f64 v[128:129], s[2:3], v[126:127], v[126:127], s[92:93]
	v_rcp_f64_e32 v[132:133], v[128:129]
	v_div_fmas_f64 v[120:121], v[120:121], v[130:131], v[122:123]
	v_div_fixup_f64 v[120:121], v[120:121], v[124:125], s[90:91]
	v_add_f64 v[118:119], v[118:119], v[120:121]
	v_fma_f64 v[120:121], -v[128:129], v[132:133], 1.0
	v_fmac_f64_e32 v[132:133], v[132:133], v[120:121]
	v_fma_f64 v[120:121], -v[128:129], v[132:133], 1.0
	v_fmac_f64_e32 v[132:133], v[132:133], v[120:121]
	v_div_scale_f64 v[120:121], vcc, s[92:93], v[126:127], s[92:93]
	v_mul_f64 v[122:123], v[120:121], v[132:133]
	v_add_f64 v[124:125], v[6:7], 2.0
	v_fma_f64 v[120:121], -v[128:129], v[122:123], v[120:121]
	v_div_scale_f64 v[128:129], s[2:3], v[124:125], v[124:125], s[94:95]
	v_rcp_f64_e32 v[130:131], v[128:129]
	v_div_fmas_f64 v[120:121], v[120:121], v[132:133], v[122:123]
	v_div_fixup_f64 v[120:121], v[120:121], v[126:127], s[92:93]
	v_add_f64 v[118:119], v[120:121], v[118:119]
	v_fma_f64 v[120:121], -v[128:129], v[130:131], 1.0
	v_fmac_f64_e32 v[130:131], v[130:131], v[120:121]
	v_fma_f64 v[120:121], -v[128:129], v[130:131], 1.0
	v_fmac_f64_e32 v[130:131], v[130:131], v[120:121]
	v_div_scale_f64 v[120:121], vcc, s[94:95], v[124:125], s[94:95]
	v_mul_f64 v[122:123], v[120:121], v[130:131]
	v_add_f64 v[126:127], v[6:7], 1.0
	v_fma_f64 v[120:121], -v[128:129], v[122:123], v[120:121]
	v_div_scale_f64 v[128:129], s[2:3], v[126:127], v[126:127], s[28:29]
	v_rcp_f64_e32 v[132:133], v[128:129]
	v_div_fmas_f64 v[120:121], v[120:121], v[130:131], v[122:123]
	v_div_fixup_f64 v[120:121], v[120:121], v[124:125], s[94:95]
	v_add_f64 v[118:119], v[118:119], v[120:121]
	v_fma_f64 v[120:121], -v[128:129], v[132:133], 1.0
	v_fmac_f64_e32 v[132:133], v[132:133], v[120:121]
	v_fma_f64 v[120:121], -v[128:129], v[132:133], 1.0
	v_fmac_f64_e32 v[132:133], v[132:133], v[120:121]
	v_div_scale_f64 v[120:121], vcc, s[28:29], v[126:127], s[28:29]
	v_mul_f64 v[122:123], v[120:121], v[132:133]
	v_fma_f64 v[120:121], -v[128:129], v[122:123], v[120:121]
	v_add_f64 v[10:11], v[10:11], 0.5
	s_nop 0
	v_div_fmas_f64 v[120:121], v[120:121], v[132:133], v[122:123]
	v_div_fixup_f64 v[120:121], v[120:121], v[126:127], s[28:29]
	v_add_f64 v[118:119], v[120:121], v[118:119]
	v_add_f64 v[118:119], v[118:119], s[24:25]
	v_frexp_mant_f64_e32 v[120:121], v[118:119]
	v_cmp_gt_f64_e32 vcc, s[38:39], v[120:121]
	v_cndmask_b32_e64 v15, v91, 2.0, vcc
	v_frexp_exp_i32_f64_e32 v122, v[118:119]
	v_mul_f64 v[120:121], v[120:121], v[14:15]
	v_subbrev_co_u32_e32 v15, vcc, 0, v122, vcc
	v_add_f64 v[122:123], v[120:121], 1.0
	v_rcp_f64_e32 v[124:125], v[122:123]
	v_add_f64 v[128:129], v[122:123], -1.0
	v_add_f64 v[126:127], v[120:121], -1.0
	v_add_f64 v[120:121], v[120:121], -v[128:129]
	v_fma_f64 v[128:129], -v[122:123], v[124:125], 1.0
	v_fmac_f64_e32 v[124:125], v[128:129], v[124:125]
	v_fma_f64 v[128:129], -v[122:123], v[124:125], 1.0
	v_fmac_f64_e32 v[124:125], v[128:129], v[124:125]
	v_mul_f64 v[128:129], v[126:127], v[124:125]
	v_mul_f64 v[130:131], v[122:123], v[128:129]
	v_fma_f64 v[122:123], v[128:129], v[122:123], -v[130:131]
	v_fmac_f64_e32 v[122:123], v[128:129], v[120:121]
	v_add_f64 v[120:121], v[130:131], v[122:123]
	v_add_f64 v[132:133], v[126:127], -v[120:121]
	v_add_f64 v[130:131], v[120:121], -v[130:131]
	;; [unrolled: 1-line block ×5, first 2 shown]
	v_add_f64 v[120:121], v[122:123], v[120:121]
	v_add_f64 v[120:121], v[132:133], v[120:121]
	v_mul_f64 v[120:121], v[124:125], v[120:121]
	v_add_f64 v[122:123], v[128:129], v[120:121]
	v_add_f64 v[124:125], v[122:123], -v[128:129]
	v_add_f64 v[120:121], v[120:121], -v[124:125]
	v_mul_f64 v[124:125], v[122:123], v[122:123]
	v_fma_f64 v[126:127], s[42:43], v[124:125], v[0:1]
	v_fma_f64 v[126:127], v[124:125], v[126:127], s[44:45]
	v_fma_f64 v[126:127], v[124:125], v[126:127], s[46:47]
	v_fma_f64 v[126:127], v[124:125], v[126:127], s[48:49]
	v_fma_f64 v[126:127], v[124:125], v[126:127], s[50:51]
	v_fma_f64 v[126:127], v[124:125], v[126:127], s[52:53]
	v_ldexp_f64 v[128:129], v[122:123], 1
	v_mul_f64 v[122:123], v[122:123], v[124:125]
	v_mul_f64 v[122:123], v[122:123], v[126:127]
	v_add_f64 v[124:125], v[128:129], v[122:123]
	v_add_f64 v[126:127], v[124:125], -v[128:129]
	v_ldexp_f64 v[120:121], v[120:121], 1
	v_add_f64 v[122:123], v[122:123], -v[126:127]
	v_add_f64 v[120:121], v[120:121], v[122:123]
	v_add_f64 v[122:123], v[124:125], v[120:121]
	v_add_f64 v[124:125], v[122:123], -v[124:125]
	v_add_f64 v[120:121], v[120:121], -v[124:125]
	v_cvt_f64_i32_e32 v[124:125], v15
	v_mul_f64 v[126:127], v[124:125], s[54:55]
	v_fma_f64 v[128:129], v[124:125], s[54:55], -v[126:127]
	v_fmac_f64_e32 v[128:129], s[56:57], v[124:125]
	v_add_f64 v[124:125], v[126:127], v[128:129]
	v_add_f64 v[126:127], v[124:125], -v[126:127]
	v_add_f64 v[126:127], v[128:129], -v[126:127]
	v_add_f64 v[128:129], v[124:125], v[122:123]
	v_add_f64 v[130:131], v[128:129], -v[124:125]
	v_add_f64 v[132:133], v[128:129], -v[130:131]
	;; [unrolled: 1-line block ×4, first 2 shown]
	v_add_f64 v[122:123], v[122:123], v[124:125]
	v_add_f64 v[124:125], v[126:127], v[120:121]
	v_add_f64 v[130:131], v[124:125], -v[126:127]
	v_add_f64 v[132:133], v[124:125], -v[130:131]
	v_add_f64 v[122:123], v[124:125], v[122:123]
	v_add_f64 v[126:127], v[126:127], -v[132:133]
	v_add_f64 v[120:121], v[120:121], -v[130:131]
	v_add_f64 v[124:125], v[128:129], v[122:123]
	v_add_f64 v[120:121], v[120:121], v[126:127]
	v_add_f64 v[126:127], v[124:125], -v[128:129]
	v_add_f64 v[122:123], v[122:123], -v[126:127]
	v_add_f64 v[120:121], v[120:121], v[122:123]
	v_add_f64 v[120:121], v[124:125], v[120:121]
	v_cmp_class_f64_e64 vcc, v[118:119], s9
	v_div_scale_f64 v[122:123], s[2:3], s[14:15], s[14:15], v[10:11]
	v_cndmask_b32_e32 v121, v121, v119, vcc
	v_cndmask_b32_e32 v120, v120, v118, vcc
	v_rcp_f64_e32 v[124:125], v[122:123]
	v_add_f64 v[120:121], v[120:121], s[26:27]
	v_add_f64 v[120:121], v[120:121], s[34:35]
	v_cmp_ngt_f64_e32 vcc, 0, v[118:119]
	v_cndmask_b32_e32 v15, v92, v121, vcc
	v_cmp_nge_f64_e32 vcc, 0, v[118:119]
	v_cndmask_b32_e32 v120, 0, v120, vcc
	v_cmp_neq_f64_e32 vcc, 0, v[118:119]
	v_fma_f64 v[118:119], -v[122:123], v[124:125], 1.0
	v_fmac_f64_e32 v[124:125], v[124:125], v[118:119]
	v_fma_f64 v[118:119], -v[122:123], v[124:125], 1.0
	v_cndmask_b32_e32 v121, v93, v15, vcc
	v_fmac_f64_e32 v[124:125], v[124:125], v[118:119]
	v_div_scale_f64 v[118:119], vcc, v[10:11], s[14:15], v[10:11]
	v_mul_f64 v[126:127], v[118:119], v[124:125]
	v_fma_f64 v[118:119], -v[122:123], v[126:127], v[118:119]
	v_add_f64 v[6:7], v[6:7], 0.5
	s_nop 0
	v_div_fmas_f64 v[118:119], v[118:119], v[124:125], v[126:127]
	v_div_fixup_f64 v[10:11], v[118:119], s[14:15], v[10:11]
	v_frexp_mant_f64_e32 v[118:119], v[10:11]
	v_cmp_gt_f64_e32 vcc, s[38:39], v[118:119]
	v_cndmask_b32_e64 v15, v91, 2.0, vcc
	v_frexp_exp_i32_f64_e32 v122, v[10:11]
	v_mul_f64 v[118:119], v[118:119], v[14:15]
	v_subbrev_co_u32_e32 v15, vcc, 0, v122, vcc
	v_add_f64 v[122:123], v[118:119], 1.0
	v_rcp_f64_e32 v[124:125], v[122:123]
	v_add_f64 v[128:129], v[122:123], -1.0
	v_add_f64 v[126:127], v[118:119], -1.0
	v_add_f64 v[118:119], v[118:119], -v[128:129]
	v_fma_f64 v[128:129], -v[122:123], v[124:125], 1.0
	v_fmac_f64_e32 v[124:125], v[128:129], v[124:125]
	v_fma_f64 v[128:129], -v[122:123], v[124:125], 1.0
	v_fmac_f64_e32 v[124:125], v[128:129], v[124:125]
	v_mul_f64 v[128:129], v[126:127], v[124:125]
	v_mul_f64 v[130:131], v[122:123], v[128:129]
	v_fma_f64 v[122:123], v[128:129], v[122:123], -v[130:131]
	v_fmac_f64_e32 v[122:123], v[128:129], v[118:119]
	v_add_f64 v[118:119], v[130:131], v[122:123]
	v_add_f64 v[132:133], v[126:127], -v[118:119]
	v_add_f64 v[130:131], v[118:119], -v[130:131]
	;; [unrolled: 1-line block ×5, first 2 shown]
	v_add_f64 v[118:119], v[122:123], v[118:119]
	v_add_f64 v[118:119], v[132:133], v[118:119]
	v_mul_f64 v[118:119], v[124:125], v[118:119]
	v_add_f64 v[122:123], v[128:129], v[118:119]
	v_add_f64 v[124:125], v[122:123], -v[128:129]
	v_add_f64 v[118:119], v[118:119], -v[124:125]
	v_mul_f64 v[124:125], v[122:123], v[122:123]
	v_fmac_f64_e32 v[0:1], s[42:43], v[124:125]
	v_fma_f64 v[0:1], v[124:125], v[0:1], s[44:45]
	v_fma_f64 v[0:1], v[124:125], v[0:1], s[46:47]
	;; [unrolled: 1-line block ×5, first 2 shown]
	v_ldexp_f64 v[126:127], v[122:123], 1
	v_mul_f64 v[122:123], v[122:123], v[124:125]
	v_mul_f64 v[0:1], v[122:123], v[0:1]
	v_add_f64 v[122:123], v[126:127], v[0:1]
	v_add_f64 v[124:125], v[122:123], -v[126:127]
	v_ldexp_f64 v[118:119], v[118:119], 1
	v_add_f64 v[0:1], v[0:1], -v[124:125]
	v_add_f64 v[0:1], v[118:119], v[0:1]
	v_add_f64 v[118:119], v[122:123], v[0:1]
	v_add_f64 v[122:123], v[118:119], -v[122:123]
	v_add_f64 v[0:1], v[0:1], -v[122:123]
	v_cvt_f64_i32_e32 v[122:123], v15
	v_mul_f64 v[124:125], v[122:123], s[54:55]
	v_fma_f64 v[126:127], v[122:123], s[54:55], -v[124:125]
	v_fmac_f64_e32 v[126:127], s[56:57], v[122:123]
	v_add_f64 v[122:123], v[124:125], v[126:127]
	v_add_f64 v[124:125], v[122:123], -v[124:125]
	v_add_f64 v[124:125], v[126:127], -v[124:125]
	v_add_f64 v[126:127], v[122:123], v[118:119]
	v_add_f64 v[128:129], v[126:127], -v[122:123]
	v_add_f64 v[130:131], v[126:127], -v[128:129]
	;; [unrolled: 1-line block ×4, first 2 shown]
	v_add_f64 v[118:119], v[118:119], v[122:123]
	v_add_f64 v[122:123], v[124:125], v[0:1]
	v_add_f64 v[128:129], v[122:123], -v[124:125]
	v_add_f64 v[130:131], v[122:123], -v[128:129]
	v_add_f64 v[118:119], v[122:123], v[118:119]
	v_add_f64 v[124:125], v[124:125], -v[130:131]
	v_add_f64 v[0:1], v[0:1], -v[128:129]
	v_add_f64 v[122:123], v[126:127], v[118:119]
	v_add_f64 v[0:1], v[0:1], v[124:125]
	v_add_f64 v[124:125], v[122:123], -v[126:127]
	v_add_f64 v[118:119], v[118:119], -v[124:125]
	v_add_f64 v[0:1], v[0:1], v[118:119]
	v_add_f64 v[0:1], v[122:123], v[0:1]
	v_cmp_class_f64_e64 vcc, v[10:11], s9
	v_cndmask_b32_e32 v0, v0, v10, vcc
	v_cndmask_b32_e32 v1, v1, v11, vcc
	v_cmp_ngt_f64_e32 vcc, 0, v[10:11]
	v_cndmask_b32_e32 v1, v92, v1, vcc
	v_cmp_nge_f64_e32 vcc, 0, v[10:11]
	v_cndmask_b32_e32 v0, 0, v0, vcc
	v_cmp_neq_f64_e32 vcc, 0, v[10:11]
	v_cndmask_b32_e32 v1, v93, v1, vcc
	v_fmac_f64_e32 v[120:121], v[6:7], v[0:1]
	v_add_f64 v[0:1], v[4:5], -v[120:121]
	v_cvt_u32_f64_e32 v4, v[8:9]
	v_cmp_le_f64_e32 vcc, v[2:3], v[0:1]
	v_cndmask_b32_e64 v119, 0, 1, vcc
	v_cndmask_b32_e32 v75, v75, v4, vcc
	v_mov_b32_e32 v118, v117
.LBB64_28:                              ;   in Loop: Header=BB64_18 Depth=2
	s_or_b64 exec, exec, s[0:1]
	v_cmp_gt_i32_e32 vcc, 2, v119
	s_or_b64 s[20:21], vcc, s[20:21]
	v_mov_b32_e32 v15, v118
	v_mov_b32_e32 v0, v87
	;; [unrolled: 1-line block ×5, first 2 shown]
	s_andn2_b64 exec, exec, s[20:21]
	s_cbranch_execnz .LBB64_18
; %bb.29:                               ;   in Loop: Header=BB64_18 Depth=2
	s_or_b64 exec, exec, s[20:21]
	v_cmp_ne_u32_e32 vcc, 0, v119
	s_or_b64 s[12:13], vcc, s[12:13]
	s_mov_b64 s[20:21], 0
	v_mov_b32_e32 v15, v118
	v_mov_b32_e32 v0, v87
	;; [unrolled: 1-line block ×5, first 2 shown]
	s_andn2_b64 exec, exec, s[12:13]
	s_cbranch_execnz .LBB64_18
; %bb.30:                               ;   in Loop: Header=BB64_5 Depth=1
	s_or_b64 exec, exec, s[12:13]
	v_readlane_b32 s20, v134, 18
	v_readlane_b32 s21, v134, 19
                                        ; implicit-def: $vgpr4_vgpr5
                                        ; implicit-def: $vgpr72_vgpr73
                                        ; implicit-def: $vgpr15
                                        ; implicit-def: $vgpr97
                                        ; implicit-def: $vgpr98
                                        ; implicit-def: $vgpr106
                                        ; implicit-def: $vgpr96
                                        ; implicit-def: $vgpr3
                                        ; implicit-def: $vgpr99
                                        ; implicit-def: $vgpr100
                                        ; implicit-def: $vgpr101
                                        ; implicit-def: $vgpr102
                                        ; implicit-def: $vgpr104
                                        ; implicit-def: $vgpr105
                                        ; implicit-def: $vgpr107
                                        ; implicit-def: $vgpr108
                                        ; implicit-def: $vgpr109
                                        ; implicit-def: $vgpr110
                                        ; implicit-def: $vgpr111
                                        ; implicit-def: $vgpr112
                                        ; implicit-def: $vgpr113
                                        ; implicit-def: $vgpr114
                                        ; implicit-def: $vgpr103
                                        ; implicit-def: $vgpr115
.LBB64_31:                              ;   in Loop: Header=BB64_5 Depth=1
	s_andn2_saveexec_b64 s[0:1], s[16:17]
	s_cbranch_execz .LBB64_43
; %bb.32:                               ;   in Loop: Header=BB64_5 Depth=1
	v_add_co_u32_e32 v6, vcc, 1, v97
	v_cndmask_b32_e64 v7, 0, 1, vcc
	v_addc_co_u32_e32 v10, vcc, 0, v98, vcc
	v_cmp_eq_u32_e32 vcc, 0, v10
	v_cndmask_b32_e32 v7, 0, v7, vcc
	v_add_u32_e32 v8, v7, v17
	v_cmp_eq_u32_e32 vcc, 0, v8
	v_cndmask_b32_e32 v11, 0, v7, vcc
	v_mad_u64_u32 v[6:7], s[2:3], v6, s11, 0
	v_mad_u64_u32 v[8:9], s[2:3], v8, s10, 0
	v_xor_b32_e32 v7, v7, v73
	v_xor_b32_e32 v9, v9, v72
	v_xor_b32_e32 v7, v11, v7
	v_xor_b32_e32 v9, v10, v9
	v_mad_u64_u32 v[72:73], s[2:3], v7, s10, 0
	v_mad_u64_u32 v[10:11], s[2:3], v9, s11, 0
	v_xor_b32_e32 v7, v99, v73
	v_xor_b32_e32 v7, v7, v8
	v_xor_b32_e32 v8, v100, v11
	v_xor_b32_e32 v8, v8, v6
	;; [unrolled: 6-line block ×8, first 2 shown]
	v_mad_u64_u32 v[74:75], s[2:3], v7, s11, 0
	v_mad_u64_u32 v[8:9], s[2:3], v6, s10, 0
	v_xor_b32_e32 v6, v115, v75
	v_xor_b32_e32 v6, v6, v10
	v_mad_u64_u32 v[6:7], s[2:3], v6, s10, 0
	v_xor_b32_e32 v7, v7, v8
	v_xor_b32_e32 v10, v106, v7
	v_cmp_lt_i32_e32 vcc, 1, v15
                                        ; implicit-def: $vgpr8
	s_and_saveexec_b64 s[2:3], vcc
	s_xor_b64 s[2:3], exec, s[2:3]
	s_cbranch_execz .LBB64_38
; %bb.33:                               ;   in Loop: Header=BB64_5 Depth=1
	v_cmp_lt_i32_e32 vcc, 2, v15
                                        ; implicit-def: $vgpr8
	s_and_saveexec_b64 s[12:13], vcc
	s_xor_b64 s[12:13], exec, s[12:13]
; %bb.34:                               ;   in Loop: Header=BB64_5 Depth=1
	v_xor_b32_e32 v0, v103, v9
	v_xor_b32_e32 v0, v0, v72
	v_mul_hi_u32 v0, v0, s11
	v_xor_b32_e32 v0, v0, v74
	v_xor_b32_e32 v8, v96, v0
; %bb.35:                               ;   in Loop: Header=BB64_5 Depth=1
	s_andn2_saveexec_b64 s[12:13], s[12:13]
; %bb.36:                               ;   in Loop: Header=BB64_5 Depth=1
	v_mov_b32_e32 v8, v6
	v_mov_b32_e32 v6, v10
	;; [unrolled: 1-line block ×4, first 2 shown]
; %bb.37:                               ;   in Loop: Header=BB64_5 Depth=1
	s_or_b64 exec, exec, s[12:13]
                                        ; implicit-def: $vgpr15
.LBB64_38:                              ;   in Loop: Header=BB64_5 Depth=1
	s_andn2_saveexec_b64 s[2:3], s[2:3]
	s_cbranch_execz .LBB64_42
; %bb.39:                               ;   in Loop: Header=BB64_5 Depth=1
	v_cmp_eq_u32_e32 vcc, 1, v15
	v_mov_b32_e32 v8, v3
	v_mov_b32_e32 v6, v2
	;; [unrolled: 1-line block ×3, first 2 shown]
	s_and_saveexec_b64 s[12:13], vcc
; %bb.40:                               ;   in Loop: Header=BB64_5 Depth=1
	v_mov_b32_e32 v8, v10
	v_mov_b32_e32 v6, v3
	;; [unrolled: 1-line block ×4, first 2 shown]
; %bb.41:                               ;   in Loop: Header=BB64_5 Depth=1
	s_or_b64 exec, exec, s[12:13]
	v_mov_b32_e32 v3, v0
	v_mov_b32_e32 v10, v7
.LBB64_42:                              ;   in Loop: Header=BB64_5 Depth=1
	s_or_b64 exec, exec, s[2:3]
	v_mov_b32_e32 v11, v14
	v_lshlrev_b64 v[0:1], 21, v[10:11]
	v_xor_b32_e32 v2, v0, v3
	v_cvt_f64_u32_e32 v[0:1], v1
	v_ldexp_f64 v[0:1], v[0:1], 32
	v_cvt_f64_u32_e32 v[2:3], v2
	v_add_f64 v[0:1], v[0:1], v[2:3]
	v_mov_b32_e32 v2, 0
	v_mov_b32_e32 v3, 0x3ca00000
	v_fmac_f64_e32 v[2:3], 0x3ca00000, v[0:1]
	v_mov_b32_e32 v9, v14
	v_lshlrev_b64 v[0:1], 21, v[8:9]
	v_frexp_mant_f64_e32 v[8:9], v[2:3]
	v_cmp_gt_f64_e32 vcc, s[38:39], v[8:9]
	v_cndmask_b32_e64 v15, v91, 2.0, vcc
	v_frexp_exp_i32_f64_e32 v10, v[2:3]
	v_mul_f64 v[8:9], v[8:9], v[14:15]
	v_subbrev_co_u32_e32 v15, vcc, 0, v10, vcc
	v_add_f64 v[10:11], v[8:9], 1.0
	v_rcp_f64_e32 v[72:73], v[10:11]
	v_add_f64 v[76:77], v[10:11], -1.0
	v_add_f64 v[74:75], v[8:9], -1.0
	v_add_f64 v[8:9], v[8:9], -v[76:77]
	v_fma_f64 v[76:77], -v[10:11], v[72:73], 1.0
	v_fmac_f64_e32 v[72:73], v[76:77], v[72:73]
	v_fma_f64 v[76:77], -v[10:11], v[72:73], 1.0
	v_fmac_f64_e32 v[72:73], v[76:77], v[72:73]
	v_mul_f64 v[76:77], v[74:75], v[72:73]
	v_mul_f64 v[78:79], v[10:11], v[76:77]
	v_fma_f64 v[10:11], v[76:77], v[10:11], -v[78:79]
	v_fmac_f64_e32 v[10:11], v[76:77], v[8:9]
	v_add_f64 v[8:9], v[78:79], v[10:11]
	v_add_f64 v[80:81], v[74:75], -v[8:9]
	v_add_f64 v[78:79], v[8:9], -v[78:79]
	;; [unrolled: 1-line block ×5, first 2 shown]
	v_add_f64 v[8:9], v[10:11], v[8:9]
	v_add_f64 v[8:9], v[80:81], v[8:9]
	v_mul_f64 v[8:9], v[72:73], v[8:9]
	v_add_f64 v[10:11], v[76:77], v[8:9]
	v_add_f64 v[72:73], v[10:11], -v[76:77]
	v_add_f64 v[8:9], v[8:9], -v[72:73]
	v_mul_f64 v[72:73], v[10:11], v[10:11]
	v_pk_mov_b32 v[74:75], v[18:19], v[18:19] op_sel:[0,1]
	v_fmac_f64_e32 v[74:75], s[42:43], v[72:73]
	v_pk_mov_b32 v[76:77], v[20:21], v[20:21] op_sel:[0,1]
	v_fmac_f64_e32 v[76:77], v[72:73], v[74:75]
	;; [unrolled: 2-line block ×6, first 2 shown]
	v_ldexp_f64 v[74:75], v[10:11], 1
	v_mul_f64 v[10:11], v[10:11], v[72:73]
	v_mul_f64 v[10:11], v[10:11], v[76:77]
	v_add_f64 v[72:73], v[74:75], v[10:11]
	v_add_f64 v[74:75], v[72:73], -v[74:75]
	v_ldexp_f64 v[8:9], v[8:9], 1
	v_add_f64 v[10:11], v[10:11], -v[74:75]
	v_add_f64 v[8:9], v[8:9], v[10:11]
	v_add_f64 v[10:11], v[72:73], v[8:9]
	v_add_f64 v[72:73], v[10:11], -v[72:73]
	v_add_f64 v[8:9], v[8:9], -v[72:73]
	v_cvt_f64_i32_e32 v[72:73], v15
	v_mul_f64 v[74:75], v[72:73], s[54:55]
	v_fma_f64 v[76:77], v[72:73], s[54:55], -v[74:75]
	v_fmac_f64_e32 v[76:77], s[56:57], v[72:73]
	v_add_f64 v[72:73], v[74:75], v[76:77]
	v_add_f64 v[74:75], v[72:73], -v[74:75]
	v_add_f64 v[74:75], v[76:77], -v[74:75]
	v_add_f64 v[76:77], v[72:73], v[10:11]
	v_add_f64 v[78:79], v[76:77], -v[72:73]
	v_add_f64 v[80:81], v[76:77], -v[78:79]
	;; [unrolled: 1-line block ×4, first 2 shown]
	v_add_f64 v[10:11], v[10:11], v[72:73]
	v_add_f64 v[72:73], v[74:75], v[8:9]
	v_add_f64 v[78:79], v[72:73], -v[74:75]
	v_add_f64 v[80:81], v[72:73], -v[78:79]
	v_add_f64 v[10:11], v[72:73], v[10:11]
	v_add_f64 v[74:75], v[74:75], -v[80:81]
	v_add_f64 v[8:9], v[8:9], -v[78:79]
	v_add_f64 v[72:73], v[76:77], v[10:11]
	v_add_f64 v[8:9], v[8:9], v[74:75]
	v_add_f64 v[74:75], v[72:73], -v[76:77]
	v_add_f64 v[10:11], v[10:11], -v[74:75]
	s_mov_b32 s16, 0
	v_add_f64 v[8:9], v[8:9], v[10:11]
	s_mov_b32 s17, 0x7ff00000
	v_add_f64 v[8:9], v[72:73], v[8:9]
	v_cmp_eq_f64_e32 vcc, s[16:17], v[2:3]
	v_cndmask_b32_e32 v9, v9, v3, vcc
	v_cndmask_b32_e32 v8, v8, v2, vcc
	v_mul_f64 v[8:9], v[8:9], -2.0
	v_cmp_neq_f64_e32 vcc, 0, v[2:3]
	s_mov_b32 s2, 0
	v_cndmask_b32_e32 v3, v94, v9, vcc
	v_cndmask_b32_e32 v2, 0, v8, vcc
	s_brev_b32 s3, 8
	v_cmp_gt_f64_e32 vcc, s[2:3], v[2:3]
	v_cndmask_b32_e64 v8, 0, 1, vcc
	v_lshlrev_b32_e32 v8, 8, v8
	v_ldexp_f64 v[2:3], v[2:3], v8
	v_xor_b32_e32 v6, v0, v6
	v_cvt_f64_u32_e32 v[0:1], v1
	v_rsq_f64_e32 v[8:9], v[2:3]
	v_ldexp_f64 v[0:1], v[0:1], 32
	v_cvt_f64_u32_e32 v[6:7], v6
	v_add_f64 v[0:1], v[0:1], v[6:7]
	v_mov_b32_e32 v6, 0
	v_mov_b32_e32 v7, 0x3cb00000
	v_fmac_f64_e32 v[6:7], 0x3cb00000, v[0:1]
	v_mul_f64 v[0:1], v[2:3], v[8:9]
	v_mul_f64 v[8:9], v[8:9], 0.5
	v_fma_f64 v[10:11], -v[8:9], v[0:1], 0.5
	v_fmac_f64_e32 v[0:1], v[0:1], v[10:11]
	v_fma_f64 v[72:73], -v[0:1], v[0:1], v[2:3]
	v_fmac_f64_e32 v[8:9], v[8:9], v[10:11]
	v_fmac_f64_e32 v[0:1], v[72:73], v[8:9]
	v_fma_f64 v[10:11], -v[0:1], v[0:1], v[2:3]
	v_fmac_f64_e32 v[0:1], v[10:11], v[8:9]
	v_cndmask_b32_e32 v8, 0, v90, vcc
	v_ldexp_f64 v[0:1], v[0:1], v8
	v_cmp_class_f64_e32 vcc, v[2:3], v89
	v_cndmask_b32_e32 v1, v1, v3, vcc
	v_cndmask_b32_e32 v0, v0, v2, vcc
	v_mul_f64 v[2:3], v[6:7], 0.5
	v_fract_f64_e32 v[8:9], v[2:3]
	v_add_f64 v[8:9], v[8:9], v[8:9]
	v_cmp_neq_f64_e32 vcc, s[16:17], v[2:3]
	v_cndmask_b32_e32 v2, 0, v8, vcc
	v_cndmask_b32_e32 v3, 0, v9, vcc
	v_cmp_lt_f64_e32 vcc, 1.0, v[6:7]
	v_cndmask_b32_e32 v3, v7, v3, vcc
	v_cndmask_b32_e32 v2, v6, v2, vcc
	v_add_f64 v[8:9], v[2:3], v[2:3]
	v_rndne_f64_e32 v[8:9], v[8:9]
	v_fmac_f64_e32 v[2:3], -0.5, v[8:9]
	s_mov_b32 s12, 0xf99eb0bb
	v_cvt_i32_f64_e32 v15, v[8:9]
	v_mul_f64 v[8:9], v[2:3], v[2:3]
	v_pk_mov_b32 v[10:11], v[48:49], v[48:49] op_sel:[0,1]
	s_mov_b32 s13, 0x3f3e357e
	v_fmac_f64_e32 v[10:11], s[12:13], v[8:9]
	v_pk_mov_b32 v[72:73], v[50:51], v[50:51] op_sel:[0,1]
	v_fmac_f64_e32 v[72:73], v[8:9], v[10:11]
	v_pk_mov_b32 v[10:11], v[52:53], v[52:53] op_sel:[0,1]
	;; [unrolled: 2-line block ×4, first 2 shown]
	v_fmac_f64_e32 v[10:11], v[8:9], v[72:73]
	v_mul_f64 v[72:73], v[2:3], v[8:9]
	s_mov_b32 s12, 0x54442d18
	v_mul_f64 v[10:11], v[72:73], v[10:11]
	s_mov_b32 s13, 0x400921fb
	v_fmac_f64_e32 v[10:11], s[12:13], v[2:3]
	s_mov_b32 s12, 0x2e21c33
	v_pk_mov_b32 v[2:3], v[58:59], v[58:59] op_sel:[0,1]
	s_mov_b32 s13, 0xbf1b1673
	v_fmac_f64_e32 v[2:3], s[12:13], v[8:9]
	v_pk_mov_b32 v[72:73], v[60:61], v[60:61] op_sel:[0,1]
	v_fmac_f64_e32 v[72:73], v[8:9], v[2:3]
	v_pk_mov_b32 v[2:3], v[62:63], v[62:63] op_sel:[0,1]
	;; [unrolled: 2-line block ×5, first 2 shown]
	v_fmac_f64_e32 v[72:73], v[8:9], v[2:3]
	v_fma_f64 v[2:3], v[8:9], v[72:73], 1.0
	v_and_b32_e32 v9, 1, v15
	v_lshlrev_b32_e32 v8, 30, v15
	v_cmp_eq_u32_e32 vcc, 0, v9
	v_cndmask_b32_e32 v10, v2, v10, vcc
	v_cndmask_b32_e32 v2, v3, v11, vcc
	v_xor_b32_e32 v3, v8, v7
	v_and_b32_e32 v3, 0x80000000, v3
	v_cmp_gt_f64_e32 vcc, s[2:3], v[4:5]
	v_xor_b32_e32 v11, v2, v3
	v_cndmask_b32_e64 v2, 0, 1, vcc
	v_lshlrev_b32_e32 v2, 8, v2
	v_ldexp_f64 v[2:3], v[4:5], v2
	v_rsq_f64_e32 v[8:9], v[2:3]
	v_cmp_lg_f64_e64 s[2:3], s[16:17], v[6:7]
	v_cndmask_b32_e64 v6, 0, v10, s[2:3]
	v_cndmask_b32_e64 v7, v92, v11, s[2:3]
	v_mul_f64 v[0:1], v[0:1], v[6:7]
	v_mul_f64 v[6:7], v[2:3], v[8:9]
	v_mul_f64 v[8:9], v[8:9], 0.5
	v_fma_f64 v[10:11], -v[8:9], v[6:7], 0.5
	v_fmac_f64_e32 v[6:7], v[6:7], v[10:11]
	v_fma_f64 v[72:73], -v[6:7], v[6:7], v[2:3]
	v_fmac_f64_e32 v[8:9], v[8:9], v[10:11]
	v_fmac_f64_e32 v[6:7], v[72:73], v[8:9]
	v_fma_f64 v[10:11], -v[6:7], v[6:7], v[2:3]
	v_fmac_f64_e32 v[6:7], v[10:11], v[8:9]
	v_cndmask_b32_e32 v8, 0, v90, vcc
	v_ldexp_f64 v[6:7], v[6:7], v8
	v_cmp_class_f64_e32 vcc, v[2:3], v89
	v_cndmask_b32_e32 v3, v7, v3, vcc
	v_cndmask_b32_e32 v2, v6, v2, vcc
	v_fmac_f64_e32 v[4:5], v[2:3], v[0:1]
	v_trunc_f64_e32 v[0:1], v[4:5]
	v_add_f64 v[2:3], v[4:5], -v[0:1]
	v_cmp_ge_f64_e64 vcc, |v[2:3]|, 0.5
	v_cndmask_b32_e32 v2, 0, v91, vcc
	s_brev_b32 s2, -2
	v_bfi_b32 v15, s2, v2, v5
	v_add_f64 v[0:1], v[0:1], v[14:15]
	v_cvt_u32_f64_e32 v75, v[0:1]
.LBB64_43:                              ;   in Loop: Header=BB64_5 Depth=1
	s_or_b64 exec, exec, s[0:1]
                                        ; implicit-def: $vgpr4_vgpr5
                                        ; implicit-def: $vgpr72_vgpr73
                                        ; implicit-def: $vgpr15
                                        ; implicit-def: $vgpr97
                                        ; implicit-def: $vgpr98
                                        ; implicit-def: $vgpr106
                                        ; implicit-def: $vgpr96
                                        ; implicit-def: $vgpr3
                                        ; implicit-def: $vgpr99
                                        ; implicit-def: $vgpr100
                                        ; implicit-def: $vgpr101
                                        ; implicit-def: $vgpr102
                                        ; implicit-def: $vgpr104
                                        ; implicit-def: $vgpr105
                                        ; implicit-def: $vgpr107
                                        ; implicit-def: $vgpr108
                                        ; implicit-def: $vgpr109
                                        ; implicit-def: $vgpr110
                                        ; implicit-def: $vgpr111
                                        ; implicit-def: $vgpr112
                                        ; implicit-def: $vgpr113
                                        ; implicit-def: $vgpr114
                                        ; implicit-def: $vgpr103
                                        ; implicit-def: $vgpr115
.LBB64_44:                              ;   in Loop: Header=BB64_5 Depth=1
	s_andn2_saveexec_b64 s[0:1], s[6:7]
	s_cbranch_execz .LBB64_3
; %bb.45:                               ;   in Loop: Header=BB64_5 Depth=1
	v_readlane_b32 s2, v134, 16
	v_readlane_b32 s3, v134, 17
	s_mov_b32 s2, s60
	v_mul_f64 v[6:7], v[4:5], s[2:3]
	v_rndne_f64_e32 v[6:7], v[6:7]
	s_mov_b32 s62, s54
	v_fma_f64 v[10:11], v[6:7], s[62:63], -v[4:5]
	s_mov_b32 s64, s56
	v_fmac_f64_e32 v[10:11], s[64:65], v[6:7]
	v_pk_mov_b32 v[8:9], v[30:31], v[30:31] op_sel:[0,1]
	v_fmac_f64_e32 v[8:9], s[68:69], v[10:11]
	v_pk_mov_b32 v[74:75], v[32:33], v[32:33] op_sel:[0,1]
	;; [unrolled: 2-line block ×8, first 2 shown]
	s_mov_b32 s7, s3
	v_fmac_f64_e32 v[74:75], v[10:11], v[8:9]
	v_pk_mov_b32 v[76:77], v[46:47], v[46:47] op_sel:[0,1]
	s_mov_b32 s2, 0
	v_fmac_f64_e32 v[76:77], v[10:11], v[74:75]
	s_mov_b32 s3, 0xc0900000
	v_fma_f64 v[74:75], v[10:11], v[76:77], 1.0
	v_cmp_ngt_f64_e32 vcc, s[2:3], v[4:5]
	s_mov_b32 s2, 0
	v_fma_f64 v[10:11], v[10:11], v[74:75], 1.0
	v_cvt_i32_f64_e32 v6, v[6:7]
	s_mov_b32 s3, 0x4090cc00
	v_ldexp_f64 v[6:7], v[10:11], v6
	v_cmp_nlt_f64_e64 s[2:3], s[2:3], v[4:5]
	v_mov_b32_e32 v8, 0
	v_cndmask_b32_e32 v7, v94, v7, vcc
	s_and_b64 vcc, s[2:3], vcc
	v_writelane_b32 v134, s6, 16
	v_mov_b32_e32 v9, 0x3ff00000
	v_mov_b32_e32 v78, 0
	v_cndmask_b32_e64 v11, 0, v7, s[2:3]
	v_cndmask_b32_e32 v10, 0, v6, vcc
	s_mov_b32 s12, -1
	s_mov_b64 s[2:3], 0
	v_mov_b32_e32 v79, v17
	v_writelane_b32 v134, s7, 17
	s_branch .LBB64_47
.LBB64_46:                              ;   in Loop: Header=BB64_47 Depth=2
	s_or_b64 exec, exec, s[6:7]
	v_cmp_eq_u32_e32 vcc, 1, v15
	v_cndmask_b32_e32 v0, v0, v1, vcc
	v_cmp_eq_u32_e32 vcc, 2, v15
	v_cndmask_b32_e32 v0, v0, v2, vcc
	;; [unrolled: 2-line block ×6, first 2 shown]
	v_lshrrev_b32_e32 v0, 11, v0
	v_cvt_f64_u32_e32 v[0:1], v0
	v_ldexp_f64 v[0:1], v[0:1], 32
	v_cvt_f64_u32_e32 v[2:3], v2
	v_add_f64 v[0:1], v[0:1], v[2:3]
	v_mov_b32_e32 v2, 0
	v_mov_b32_e32 v3, 0x3ca00000
	v_fmac_f64_e32 v[2:3], 0x3ca00000, v[0:1]
	v_mul_f64 v[8:9], v[8:9], v[2:3]
	v_cmp_ngt_f64_e32 vcc, v[8:9], v[10:11]
	s_add_i32 s12, s12, 1
	s_or_b64 s[2:3], vcc, s[2:3]
	v_mov_b32_e32 v75, s12
	v_mov_b32_e32 v15, v81
	;; [unrolled: 1-line block ×6, first 2 shown]
	s_andn2_b64 exec, exec, s[2:3]
	s_cbranch_execz .LBB64_2
.LBB64_47:                              ;   Parent Loop BB64_5 Depth=1
                                        ; =>  This Inner Loop Header: Depth=2
	v_add_u32_e32 v80, 1, v15
	v_pk_mov_b32 v[6:7], v[2:3], v[2:3] op_sel:[0,1]
	v_cmp_eq_u32_e32 vcc, 4, v80
	v_pk_mov_b32 v[4:5], v[0:1], v[0:1] op_sel:[0,1]
	v_mov_b32_e32 v77, v0
	v_mov_b32_e32 v76, v1
	;; [unrolled: 1-line block ×4, first 2 shown]
	s_and_saveexec_b64 s[6:7], vcc
	s_cbranch_execz .LBB64_49
; %bb.48:                               ;   in Loop: Header=BB64_47 Depth=2
	v_add_co_u32_e32 v97, vcc, 1, v97
	v_cndmask_b32_e64 v4, 0, 1, vcc
	v_addc_co_u32_e32 v98, vcc, 0, v98, vcc
	v_cmp_eq_u32_e32 vcc, 0, v98
	v_cndmask_b32_e32 v4, 0, v4, vcc
	v_add_u32_e32 v79, v4, v79
	v_cmp_eq_u32_e32 vcc, 0, v79
	v_cndmask_b32_e32 v4, 0, v4, vcc
	v_add_u32_e32 v78, v4, v78
	v_mad_u64_u32 v[4:5], s[16:17], v97, s11, 0
	v_mad_u64_u32 v[6:7], s[16:17], v79, s10, 0
	v_xor_b32_e32 v5, v5, v73
	v_xor_b32_e32 v7, v7, v72
	v_xor_b32_e32 v5, v78, v5
	v_xor_b32_e32 v7, v98, v7
	v_mad_u64_u32 v[76:77], s[16:17], v5, s10, 0
	v_mad_u64_u32 v[74:75], s[16:17], v7, s11, 0
	v_xor_b32_e32 v5, v99, v77
	v_xor_b32_e32 v5, v5, v6
	v_xor_b32_e32 v6, v100, v75
	v_xor_b32_e32 v6, v6, v4
	;; [unrolled: 6-line block ×10, first 2 shown]
	v_mov_b32_e32 v80, 0
	v_mov_b32_e32 v5, v76
	;; [unrolled: 1-line block ×5, first 2 shown]
.LBB64_49:                              ;   in Loop: Header=BB64_47 Depth=2
	s_or_b64 exec, exec, s[6:7]
	v_add_u32_e32 v81, 1, v80
	v_cmp_eq_u32_e32 vcc, 4, v81
	s_and_saveexec_b64 s[6:7], vcc
	s_cbranch_execz .LBB64_46
; %bb.50:                               ;   in Loop: Header=BB64_47 Depth=2
	v_add_co_u32_e32 v97, vcc, 1, v97
	v_cndmask_b32_e64 v74, 0, 1, vcc
	v_addc_co_u32_e32 v98, vcc, 0, v98, vcc
	v_cmp_eq_u32_e32 vcc, 0, v98
	v_cndmask_b32_e32 v74, 0, v74, vcc
	v_add_u32_e32 v79, v74, v79
	v_cmp_eq_u32_e32 vcc, 0, v79
	v_cndmask_b32_e32 v74, 0, v74, vcc
	v_add_u32_e32 v78, v74, v78
	v_mad_u64_u32 v[74:75], s[16:17], v97, s11, 0
	v_mad_u64_u32 v[76:77], s[16:17], v79, s10, 0
	v_xor_b32_e32 v75, v75, v73
	v_xor_b32_e32 v77, v77, v72
	v_xor_b32_e32 v75, v78, v75
	v_xor_b32_e32 v77, v98, v77
	v_mad_u64_u32 v[84:85], s[16:17], v75, s10, 0
	v_mad_u64_u32 v[82:83], s[16:17], v77, s11, 0
	v_xor_b32_e32 v75, v99, v85
	v_xor_b32_e32 v75, v75, v76
	v_xor_b32_e32 v76, v100, v83
	v_xor_b32_e32 v76, v76, v74
	v_mad_u64_u32 v[74:75], s[16:17], v75, s11, 0
	v_mad_u64_u32 v[76:77], s[16:17], v76, s10, 0
	v_xor_b32_e32 v75, v102, v75
	v_xor_b32_e32 v77, v101, v77
	v_xor_b32_e32 v75, v75, v82
	v_xor_b32_e32 v77, v77, v84
	v_mad_u64_u32 v[84:85], s[16:17], v75, s10, 0
	v_mad_u64_u32 v[82:83], s[16:17], v77, s11, 0
	v_xor_b32_e32 v75, v104, v85
	v_xor_b32_e32 v75, v75, v76
	v_xor_b32_e32 v76, v105, v83
	v_xor_b32_e32 v76, v76, v74
	v_mad_u64_u32 v[74:75], s[16:17], v75, s11, 0
	v_mad_u64_u32 v[76:77], s[16:17], v76, s10, 0
	v_xor_b32_e32 v75, v108, v75
	v_xor_b32_e32 v77, v107, v77
	v_xor_b32_e32 v75, v75, v82
	v_xor_b32_e32 v77, v77, v84
	v_mad_u64_u32 v[84:85], s[16:17], v75, s10, 0
	v_mad_u64_u32 v[82:83], s[16:17], v77, s11, 0
	v_xor_b32_e32 v75, v109, v85
	v_xor_b32_e32 v75, v75, v76
	v_xor_b32_e32 v76, v110, v83
	v_xor_b32_e32 v76, v76, v74
	v_mad_u64_u32 v[74:75], s[16:17], v75, s11, 0
	v_mad_u64_u32 v[76:77], s[16:17], v76, s10, 0
	v_xor_b32_e32 v75, v112, v75
	v_xor_b32_e32 v77, v111, v77
	v_xor_b32_e32 v75, v75, v82
	v_xor_b32_e32 v77, v77, v84
	v_mad_u64_u32 v[84:85], s[16:17], v75, s10, 0
	v_mad_u64_u32 v[82:83], s[16:17], v77, s11, 0
	v_xor_b32_e32 v75, v113, v85
	v_xor_b32_e32 v75, v75, v76
	v_xor_b32_e32 v76, v114, v83
	v_xor_b32_e32 v74, v76, v74
	v_mad_u64_u32 v[86:87], s[16:17], v75, s11, 0
	v_mad_u64_u32 v[116:117], s[16:17], v74, s10, 0
	v_xor_b32_e32 v74, v103, v117
	v_xor_b32_e32 v75, v115, v87
	v_xor_b32_e32 v74, v74, v84
	v_xor_b32_e32 v76, v75, v82
	v_mad_u64_u32 v[74:75], s[16:17], v74, s11, 0
	v_mad_u64_u32 v[76:77], s[16:17], v76, s10, 0
	v_xor_b32_e32 v77, v77, v116
	v_xor_b32_e32 v75, v75, v86
	v_mov_b32_e32 v81, 0
	v_xor_b32_e32 v77, v106, v77
	v_xor_b32_e32 v82, v96, v75
	s_branch .LBB64_46
.LBB64_51:
	s_or_b64 exec, exec, s[18:19]
	s_and_saveexec_b64 s[0:1], s[36:37]
	s_xor_b64 s[0:1], exec, s[0:1]
	s_cbranch_execnz .LBB64_53
.LBB64_52:
	s_endpgm
.LBB64_53:
	s_trap 2
	; divergent unreachable
	s_endpgm
	.section	.rodata,"a",@progbits
	.p2align	6, 0x0
	.amdhsa_kernel _ZN2at4cuda12_GLOBAL__N_121kernelPointwiseApply2IZN12_GLOBAL__N_119poisson_cuda_kernelIdEEvRKNS_10TensorBaseES7_NS_15PhiloxCudaStateEEUlRdRKdE_ddjLin1ELi2ELi1ELi512ELi2EEEvNS0_6detail10TensorInfoIT0_T2_EENSE_IT1_SG_EESG_T_
		.amdhsa_group_segment_fixed_size 0
		.amdhsa_private_segment_fixed_size 0
		.amdhsa_kernarg_size 728
		.amdhsa_user_sgpr_count 6
		.amdhsa_user_sgpr_private_segment_buffer 1
		.amdhsa_user_sgpr_dispatch_ptr 0
		.amdhsa_user_sgpr_queue_ptr 0
		.amdhsa_user_sgpr_kernarg_segment_ptr 1
		.amdhsa_user_sgpr_dispatch_id 0
		.amdhsa_user_sgpr_flat_scratch_init 0
		.amdhsa_user_sgpr_kernarg_preload_length 0
		.amdhsa_user_sgpr_kernarg_preload_offset 0
		.amdhsa_user_sgpr_private_segment_size 0
		.amdhsa_uses_dynamic_stack 0
		.amdhsa_system_sgpr_private_segment_wavefront_offset 0
		.amdhsa_system_sgpr_workgroup_id_x 1
		.amdhsa_system_sgpr_workgroup_id_y 0
		.amdhsa_system_sgpr_workgroup_id_z 0
		.amdhsa_system_sgpr_workgroup_info 0
		.amdhsa_system_vgpr_workitem_id 0
		.amdhsa_next_free_vgpr 135
		.amdhsa_next_free_sgpr 96
		.amdhsa_accum_offset 136
		.amdhsa_reserve_vcc 1
		.amdhsa_reserve_flat_scratch 0
		.amdhsa_float_round_mode_32 0
		.amdhsa_float_round_mode_16_64 0
		.amdhsa_float_denorm_mode_32 3
		.amdhsa_float_denorm_mode_16_64 3
		.amdhsa_dx10_clamp 1
		.amdhsa_ieee_mode 1
		.amdhsa_fp16_overflow 0
		.amdhsa_tg_split 0
		.amdhsa_exception_fp_ieee_invalid_op 0
		.amdhsa_exception_fp_denorm_src 0
		.amdhsa_exception_fp_ieee_div_zero 0
		.amdhsa_exception_fp_ieee_overflow 0
		.amdhsa_exception_fp_ieee_underflow 0
		.amdhsa_exception_fp_ieee_inexact 0
		.amdhsa_exception_int_div_zero 0
	.end_amdhsa_kernel
	.section	.text._ZN2at4cuda12_GLOBAL__N_121kernelPointwiseApply2IZN12_GLOBAL__N_119poisson_cuda_kernelIdEEvRKNS_10TensorBaseES7_NS_15PhiloxCudaStateEEUlRdRKdE_ddjLin1ELi2ELi1ELi512ELi2EEEvNS0_6detail10TensorInfoIT0_T2_EENSE_IT1_SG_EESG_T_,"axG",@progbits,_ZN2at4cuda12_GLOBAL__N_121kernelPointwiseApply2IZN12_GLOBAL__N_119poisson_cuda_kernelIdEEvRKNS_10TensorBaseES7_NS_15PhiloxCudaStateEEUlRdRKdE_ddjLin1ELi2ELi1ELi512ELi2EEEvNS0_6detail10TensorInfoIT0_T2_EENSE_IT1_SG_EESG_T_,comdat
.Lfunc_end64:
	.size	_ZN2at4cuda12_GLOBAL__N_121kernelPointwiseApply2IZN12_GLOBAL__N_119poisson_cuda_kernelIdEEvRKNS_10TensorBaseES7_NS_15PhiloxCudaStateEEUlRdRKdE_ddjLin1ELi2ELi1ELi512ELi2EEEvNS0_6detail10TensorInfoIT0_T2_EENSE_IT1_SG_EESG_T_, .Lfunc_end64-_ZN2at4cuda12_GLOBAL__N_121kernelPointwiseApply2IZN12_GLOBAL__N_119poisson_cuda_kernelIdEEvRKNS_10TensorBaseES7_NS_15PhiloxCudaStateEEUlRdRKdE_ddjLin1ELi2ELi1ELi512ELi2EEEvNS0_6detail10TensorInfoIT0_T2_EENSE_IT1_SG_EESG_T_
                                        ; -- End function
	.section	.AMDGPU.csdata,"",@progbits
; Kernel info:
; codeLenInByte = 13784
; NumSgprs: 100
; NumVgprs: 135
; NumAgprs: 0
; TotalNumVgprs: 135
; ScratchSize: 0
; MemoryBound: 0
; FloatMode: 240
; IeeeMode: 1
; LDSByteSize: 0 bytes/workgroup (compile time only)
; SGPRBlocks: 12
; VGPRBlocks: 16
; NumSGPRsForWavesPerEU: 100
; NumVGPRsForWavesPerEU: 135
; AccumOffset: 136
; Occupancy: 3
; WaveLimiterHint : 1
; COMPUTE_PGM_RSRC2:SCRATCH_EN: 0
; COMPUTE_PGM_RSRC2:USER_SGPR: 6
; COMPUTE_PGM_RSRC2:TRAP_HANDLER: 0
; COMPUTE_PGM_RSRC2:TGID_X_EN: 1
; COMPUTE_PGM_RSRC2:TGID_Y_EN: 0
; COMPUTE_PGM_RSRC2:TGID_Z_EN: 0
; COMPUTE_PGM_RSRC2:TIDIG_COMP_CNT: 0
; COMPUTE_PGM_RSRC3_GFX90A:ACCUM_OFFSET: 33
; COMPUTE_PGM_RSRC3_GFX90A:TG_SPLIT: 0
	.section	.text._ZN2at4cuda12_GLOBAL__N_121kernelPointwiseApply2IZN12_GLOBAL__N_119poisson_cuda_kernelIdEEvRKNS_10TensorBaseES7_NS_15PhiloxCudaStateEEUlRdRKdE_ddjLin1ELin1ELi1ELi512ELi2EEEvNS0_6detail10TensorInfoIT0_T2_EENSE_IT1_SG_EESG_T_,"axG",@progbits,_ZN2at4cuda12_GLOBAL__N_121kernelPointwiseApply2IZN12_GLOBAL__N_119poisson_cuda_kernelIdEEvRKNS_10TensorBaseES7_NS_15PhiloxCudaStateEEUlRdRKdE_ddjLin1ELin1ELi1ELi512ELi2EEEvNS0_6detail10TensorInfoIT0_T2_EENSE_IT1_SG_EESG_T_,comdat
	.globl	_ZN2at4cuda12_GLOBAL__N_121kernelPointwiseApply2IZN12_GLOBAL__N_119poisson_cuda_kernelIdEEvRKNS_10TensorBaseES7_NS_15PhiloxCudaStateEEUlRdRKdE_ddjLin1ELin1ELi1ELi512ELi2EEEvNS0_6detail10TensorInfoIT0_T2_EENSE_IT1_SG_EESG_T_ ; -- Begin function _ZN2at4cuda12_GLOBAL__N_121kernelPointwiseApply2IZN12_GLOBAL__N_119poisson_cuda_kernelIdEEvRKNS_10TensorBaseES7_NS_15PhiloxCudaStateEEUlRdRKdE_ddjLin1ELin1ELi1ELi512ELi2EEEvNS0_6detail10TensorInfoIT0_T2_EENSE_IT1_SG_EESG_T_
	.p2align	8
	.type	_ZN2at4cuda12_GLOBAL__N_121kernelPointwiseApply2IZN12_GLOBAL__N_119poisson_cuda_kernelIdEEvRKNS_10TensorBaseES7_NS_15PhiloxCudaStateEEUlRdRKdE_ddjLin1ELin1ELi1ELi512ELi2EEEvNS0_6detail10TensorInfoIT0_T2_EENSE_IT1_SG_EESG_T_,@function
_ZN2at4cuda12_GLOBAL__N_121kernelPointwiseApply2IZN12_GLOBAL__N_119poisson_cuda_kernelIdEEvRKNS_10TensorBaseES7_NS_15PhiloxCudaStateEEUlRdRKdE_ddjLin1ELin1ELi1ELi512ELi2EEEvNS0_6detail10TensorInfoIT0_T2_EENSE_IT1_SG_EESG_T_: ; @_ZN2at4cuda12_GLOBAL__N_121kernelPointwiseApply2IZN12_GLOBAL__N_119poisson_cuda_kernelIdEEvRKNS_10TensorBaseES7_NS_15PhiloxCudaStateEEUlRdRKdE_ddjLin1ELin1ELi1ELi512ELi2EEEvNS0_6detail10TensorInfoIT0_T2_EENSE_IT1_SG_EESG_T_
; %bb.0:
	s_load_dword s2, s[4:5], 0x1e4
	s_load_dword s33, s[4:5], 0x1b0
	s_add_u32 s0, s4, 0x1d8
	s_addc_u32 s1, s5, 0
	s_waitcnt lgkmcnt(0)
	s_and_b32 s2, s2, 0xffff
	s_mul_i32 s6, s6, s2
	v_add_u32_e32 v17, s6, v0
	v_cmp_gt_u32_e32 vcc, s33, v17
	s_and_saveexec_b64 s[6:7], vcc
	s_cbranch_execz .LBB65_55
; %bb.1:
	s_load_dword s3, s[0:1], 0x0
	s_load_dword s6, s[4:5], 0x1d0
	s_load_dword s11, s[4:5], 0xd0
	s_load_dwordx2 s[20:21], s[4:5], 0x1c8
	s_load_dwordx4 s[12:15], s[4:5], 0x1b8
                                        ; implicit-def: $vgpr134 : SGPR spill to VGPR lane
	s_add_u32 s9, s4, 0xd8
	s_addc_u32 s10, s5, 0
	s_waitcnt lgkmcnt(0)
	s_cmp_gt_i32 s11, 1
                                        ; kill: killed $sgpr0 killed $sgpr1
	s_cselect_b64 s[0:1], -1, 0
	v_writelane_b32 v134, s12, 0
	v_writelane_b32 v134, s13, 1
	;; [unrolled: 1-line block ×6, first 2 shown]
	s_load_dword s0, s[4:5], 0x144
	s_load_dword s12, s[4:5], 0x1a8
	s_load_dwordx2 s[38:39], s[4:5], 0xd8
	s_load_dword s13, s[4:5], 0x6c
	s_mul_i32 s2, s3, s2
	s_mov_b32 s8, 0xcd9e8d57
	s_waitcnt lgkmcnt(0)
	s_cmp_gt_i32 s12, 1
	v_writelane_b32 v134, s0, 6
	s_cselect_b64 s[0:1], -1, 0
	v_writelane_b32 v134, s0, 7
	v_writelane_b32 v134, s1, 8
	s_load_dwordx2 s[0:1], s[4:5], 0x0
	s_mov_b32 s3, 0
	s_mov_b32 s34, 0
	;; [unrolled: 1-line block ×4, first 2 shown]
	s_waitcnt lgkmcnt(0)
	v_writelane_b32 v134, s0, 9
	v_writelane_b32 v134, s1, 10
	s_getpc_b64 s[0:1]
	s_add_u32 s0, s0, .str@rel32@lo+4
	s_addc_u32 s1, s1, .str@rel32@hi+12
	s_cmp_eq_u64 s[0:1], 0
	s_cselect_b64 s[0:1], -1, 0
	s_bitcmp1_b32 s6, 0
	s_cselect_b64 s[6:7], -1, 0
	v_writelane_b32 v134, s6, 11
	v_writelane_b32 v134, s7, 12
	;; [unrolled: 1-line block ×3, first 2 shown]
	s_add_i32 s2, s11, 1
	v_mad_u64_u32 v[12:13], s[6:7], v17, s8, 0
	v_writelane_b32 v134, s2, 14
	s_add_i32 s2, s11, -1
	s_lshl_b64 s[6:7], s[2:3], 2
	s_add_u32 s2, s6, s4
	s_addc_u32 s4, s7, s5
	s_add_u32 s6, s2, 8
	s_addc_u32 s7, s4, 0
	s_add_i32 s2, s12, -1
	s_add_i32 s11, s12, 1
	s_lshl_b64 s[2:3], s[2:3], 2
	s_add_u32 s2, s2, s9
	s_addc_u32 s3, s3, s10
	v_writelane_b32 v134, s6, 15
	s_add_u32 s2, s2, 8
	v_writelane_b32 v134, s7, 16
	s_addc_u32 s3, s3, 0
	v_writelane_b32 v134, s2, 17
	v_writelane_b32 v134, s3, 18
	s_xor_b64 s[68:69], s[0:1], -1
	s_mov_b32 s1, 0xbff71547
	v_writelane_b32 v134, s0, 19
	s_mov_b32 s44, 0xbf559e2b
	s_mov_b32 s46, 0xd7f4df2e
	;; [unrolled: 1-line block ×23, first 2 shown]
	s_movk_i32 s28, 0xf950
	s_mov_b32 s36, 0xc864beb5
	s_mov_b32 s2, 0
	;; [unrolled: 1-line block ×3, first 2 shown]
	v_writelane_b32 v134, s1, 20
	s_mov_b64 s[18:19], 0
	v_mov_b32_e32 v14, 0
	v_mov_b32_e32 v16, v13
	s_mov_b32 s9, 0xd2511f53
	s_mov_b32 s35, 0x40080000
	;; [unrolled: 1-line block ×12, first 2 shown]
	s_movk_i32 s10, 0x204
	s_mov_b32 s63, 0x3ff71547
	s_mov_b32 s65, 0xbfe62e42
	;; [unrolled: 1-line block ×3, first 2 shown]
	v_mov_b32_e32 v18, 0x6b47b09a
	v_mov_b32_e32 v20, 0xd7f4df2e
	;; [unrolled: 1-line block ×27, first 2 shown]
	s_mov_b32 s39, s13
	v_mov_b32_e32 v88, 0x260
	v_mov_b32_e32 v89, 0xffffff80
	;; [unrolled: 1-line block ×33, first 2 shown]
	s_mov_b32 s71, 0x3e5ade15
	s_mov_b32 s73, 0x40900000
	;; [unrolled: 1-line block ×19, first 2 shown]
	v_writelane_b32 v134, s20, 21
                                        ; implicit-def: $sgpr60_sgpr61
                                        ; implicit-def: $sgpr4_sgpr5
	v_writelane_b32 v134, s21, 22
	s_branch .LBB65_5
.LBB65_2:                               ;   in Loop: Header=BB65_5 Depth=1
	s_or_b64 exec, exec, s[0:1]
.LBB65_3:                               ;   in Loop: Header=BB65_5 Depth=1
	s_or_b64 exec, exec, s[6:7]
	v_readlane_b32 s0, v134, 9
	v_lshlrev_b64 v[0:1], 3, v[70:71]
	v_readlane_b32 s1, v134, 10
	v_mov_b32_e32 v2, s1
	v_add_co_u32_e32 v0, vcc, s0, v0
	v_readlane_b32 s0, v134, 13
	v_addc_co_u32_e32 v1, vcc, v2, v1, vcc
	v_add_u32_e32 v94, s0, v94
	v_cmp_le_u32_e32 vcc, s33, v94
	v_cvt_f64_u32_e32 v[2:3], v75
	s_andn2_b64 s[4:5], s[4:5], exec
	s_orn2_b64 s[0:1], vcc, exec
	global_store_dwordx2 v[0:1], v[2:3], off
.LBB65_4:                               ;   in Loop: Header=BB65_5 Depth=1
	s_or_b64 exec, exec, s[22:23]
	s_and_b64 s[0:1], exec, s[0:1]
	s_or_b64 s[18:19], s[0:1], s[18:19]
	s_andn2_b64 s[0:1], s[60:61], exec
	s_and_b64 s[6:7], s[4:5], exec
	s_or_b64 s[60:61], s[0:1], s[6:7]
	s_andn2_b64 exec, exec, s[18:19]
	s_cbranch_execz .LBB65_54
.LBB65_5:                               ; =>This Loop Header: Depth=1
                                        ;     Child Loop BB65_8 Depth 2
                                        ;     Child Loop BB65_13 Depth 2
	;; [unrolled: 1-line block ×4, first 2 shown]
	v_sub_u32_e32 v0, s33, v94
	v_cmp_lt_i32_e64 s[0:1], 0, v0
	v_pk_mov_b32 v[70:71], 0, 0
	s_and_saveexec_b64 s[6:7], s[0:1]
	s_cbranch_execz .LBB65_10
; %bb.6:                                ;   in Loop: Header=BB65_5 Depth=1
	v_readlane_b32 s12, v134, 4
	v_readlane_b32 s13, v134, 5
	s_andn2_b64 vcc, exec, s[12:13]
	v_mov_b32_e32 v0, 0
	v_mov_b32_e32 v2, v94
	s_cbranch_vccnz .LBB65_9
; %bb.7:                                ;   in Loop: Header=BB65_5 Depth=1
	v_readlane_b32 s12, v134, 15
	v_mov_b32_e32 v0, 0
	v_readlane_b32 s13, v134, 16
	v_readlane_b32 s14, v134, 14
	v_mov_b32_e32 v2, v94
.LBB65_8:                               ;   Parent Loop BB65_5 Depth=1
                                        ; =>  This Inner Loop Header: Depth=2
	s_load_dword s15, s[12:13], 0x0
	s_load_dword s16, s[12:13], 0x64
	v_mov_b32_e32 v1, v2
	s_add_i32 s14, s14, -1
	s_waitcnt lgkmcnt(0)
	v_cvt_f32_u32_e32 v2, s15
	s_sub_i32 s17, 0, s15
	s_add_u32 s12, s12, -4
	s_addc_u32 s13, s13, -1
	v_rcp_iflag_f32_e32 v2, v2
	s_cmp_gt_u32 s14, 2
	v_mul_f32_e32 v2, 0x4f7ffffe, v2
	v_cvt_u32_f32_e32 v2, v2
	v_mul_lo_u32 v3, s17, v2
	v_mul_hi_u32 v3, v2, v3
	v_add_u32_e32 v2, v2, v3
	v_mul_hi_u32 v2, v1, v2
	v_mul_lo_u32 v3, v2, s15
	v_sub_u32_e32 v3, v1, v3
	v_add_u32_e32 v4, 1, v2
	v_subrev_u32_e32 v5, s15, v3
	v_cmp_le_u32_e32 vcc, s15, v3
	v_cndmask_b32_e32 v2, v2, v4, vcc
	v_cndmask_b32_e32 v3, v3, v5, vcc
	v_add_u32_e32 v4, 1, v2
	v_cmp_le_u32_e32 vcc, s15, v3
	v_cndmask_b32_e32 v2, v2, v4, vcc
	v_mul_lo_u32 v3, v2, s15
	v_sub_u32_e32 v1, v1, v3
	v_mad_u64_u32 v[0:1], s[16:17], s16, v1, v[0:1]
	s_cbranch_scc1 .LBB65_8
.LBB65_9:                               ;   in Loop: Header=BB65_5 Depth=1
	v_mad_u64_u32 v[70:71], s[12:13], s39, v2, v[0:1]
	v_mov_b32_e32 v71, v14
.LBB65_10:                              ;   in Loop: Header=BB65_5 Depth=1
	s_or_b64 exec, exec, s[6:7]
	v_pk_mov_b32 v[0:1], 0, 0
	s_and_saveexec_b64 s[6:7], s[0:1]
	s_cbranch_execz .LBB65_15
; %bb.11:                               ;   in Loop: Header=BB65_5 Depth=1
	v_readlane_b32 s0, v134, 7
	v_readlane_b32 s1, v134, 8
	s_andn2_b64 vcc, exec, s[0:1]
	v_mov_b32_e32 v0, 0
	v_mov_b32_e32 v2, v94
	s_cbranch_vccnz .LBB65_14
; %bb.12:                               ;   in Loop: Header=BB65_5 Depth=1
	v_readlane_b32 s0, v134, 17
	v_mov_b32_e32 v0, 0
	v_readlane_b32 s1, v134, 18
	s_mov_b32 s12, s11
	v_mov_b32_e32 v2, v94
.LBB65_13:                              ;   Parent Loop BB65_5 Depth=1
                                        ; =>  This Inner Loop Header: Depth=2
	s_load_dword s13, s[0:1], 0x0
	s_load_dword s14, s[0:1], 0x64
	v_mov_b32_e32 v1, v2
	s_add_i32 s12, s12, -1
	s_waitcnt lgkmcnt(0)
	v_cvt_f32_u32_e32 v2, s13
	s_sub_i32 s15, 0, s13
	s_add_u32 s0, s0, -4
	s_addc_u32 s1, s1, -1
	v_rcp_iflag_f32_e32 v2, v2
	s_cmp_gt_u32 s12, 2
	v_mul_f32_e32 v2, 0x4f7ffffe, v2
	v_cvt_u32_f32_e32 v2, v2
	v_mul_lo_u32 v3, s15, v2
	v_mul_hi_u32 v3, v2, v3
	v_add_u32_e32 v2, v2, v3
	v_mul_hi_u32 v2, v1, v2
	v_mul_lo_u32 v3, v2, s13
	v_sub_u32_e32 v3, v1, v3
	v_add_u32_e32 v4, 1, v2
	v_subrev_u32_e32 v5, s13, v3
	v_cmp_le_u32_e32 vcc, s13, v3
	v_cndmask_b32_e32 v2, v2, v4, vcc
	v_cndmask_b32_e32 v3, v3, v5, vcc
	v_add_u32_e32 v4, 1, v2
	v_cmp_le_u32_e32 vcc, s13, v3
	v_cndmask_b32_e32 v2, v2, v4, vcc
	v_mul_lo_u32 v3, v2, s13
	v_sub_u32_e32 v1, v1, v3
	v_mad_u64_u32 v[0:1], s[14:15], s14, v1, v[0:1]
	s_cbranch_scc1 .LBB65_13
.LBB65_14:                              ;   in Loop: Header=BB65_5 Depth=1
	v_readlane_b32 s0, v134, 6
	v_mad_u64_u32 v[0:1], s[0:1], s0, v2, v[0:1]
	v_mov_b32_e32 v1, v14
.LBB65_15:                              ;   in Loop: Header=BB65_5 Depth=1
	s_or_b64 exec, exec, s[6:7]
	v_lshlrev_b64 v[0:1], 3, v[0:1]
	v_add_co_u32_e32 v0, vcc, s38, v0
	v_addc_co_u32_e32 v1, vcc, v13, v1, vcc
	global_load_dwordx2 v[4:5], v[0:1], off
	s_mov_b64 s[0:1], -1
	s_or_b64 s[4:5], s[4:5], exec
	s_waitcnt vmcnt(0)
	v_cmp_le_f64_e32 vcc, 0, v[4:5]
	s_and_b64 s[6:7], s[68:69], vcc
	s_and_saveexec_b64 s[22:23], s[6:7]
	s_cbranch_execz .LBB65_4
; %bb.16:                               ;   in Loop: Header=BB65_5 Depth=1
	v_readlane_b32 s0, v134, 11
	v_readlane_b32 s12, v134, 0
	;; [unrolled: 1-line block ×6, first 2 shown]
	s_andn2_b64 vcc, exec, s[0:1]
	v_pk_mov_b32 v[0:1], s[14:15], s[14:15] op_sel:[0,1]
	v_pk_mov_b32 v[72:73], s[12:13], s[12:13] op_sel:[0,1]
	s_cbranch_vccnz .LBB65_18
; %bb.17:                               ;   in Loop: Header=BB65_5 Depth=1
	v_readlane_b32 s12, v134, 0
	v_readlane_b32 s14, v134, 2
	;; [unrolled: 1-line block ×3, first 2 shown]
	v_pk_mov_b32 v[0:1], s[14:15], s[14:15] op_sel:[0,1]
	v_readlane_b32 s13, v134, 1
	flat_load_dwordx2 v[0:1], v[0:1]
	v_pk_mov_b32 v[2:3], s[12:13], s[12:13] op_sel:[0,1]
	flat_load_dwordx2 v[72:73], v[2:3]
	v_mov_b32_e32 v2, s21
	s_waitcnt vmcnt(0) lgkmcnt(0)
	v_add_co_u32_e32 v0, vcc, s20, v0
	v_addc_co_u32_e32 v1, vcc, v1, v2, vcc
.LBB65_18:                              ;   in Loop: Header=BB65_5 Depth=1
	v_alignbit_b32 v96, v1, v0, 2
	v_and_b32_e32 v15, 3, v0
	v_lshrrev_b32_e32 v97, 2, v1
	v_mad_u64_u32 v[0:1], s[0:1], v96, s9, 0
	v_xor_b32_e32 v3, v16, v72
	v_mov_b32_e32 v2, v73
	v_xor_b32_e32 v1, v1, v73
	s_mov_b32 s0, 0xbb67ae85
	v_xor_b32_e32 v3, v3, v97
	v_add_co_u32_e32 v99, vcc, s0, v2
	v_mad_u64_u32 v[6:7], s[0:1], v3, s9, 0
	v_mad_u64_u32 v[8:9], s[0:1], v1, s8, 0
	v_add_co_u32_e32 v98, vcc, 0x9e3779b9, v72
	v_xor_b32_e32 v1, v12, v9
	v_xor_b32_e32 v3, v99, v7
	s_mov_b32 s0, 0x3c6ef372
	v_xor_b32_e32 v1, v1, v98
	v_xor_b32_e32 v3, v3, v0
	v_add_co_u32_e32 v100, vcc, s0, v72
	s_mov_b32 s0, 0x76cf5d0a
	v_add_co_u32_e32 v101, vcc, s0, v2
	v_mad_u64_u32 v[0:1], s[0:1], v1, s9, 0
	v_mad_u64_u32 v[10:11], s[0:1], v3, s8, 0
	v_xor_b32_e32 v3, v100, v11
	v_xor_b32_e32 v1, v101, v1
	s_mov_b32 s0, 0xdaa66d2b
	v_xor_b32_e32 v3, v3, v8
	v_xor_b32_e32 v1, v1, v6
	v_add_co_u32_e32 v103, vcc, s0, v72
	s_mov_b32 s0, 0x32370b8f
	v_add_co_u32_e32 v104, vcc, s0, v2
	v_mad_u64_u32 v[6:7], s[0:1], v3, s9, 0
	v_mad_u64_u32 v[8:9], s[0:1], v1, s8, 0
	;; [unrolled: 10-line block ×7, first 2 shown]
	v_xor_b32_e32 v1, v102, v1
	v_xor_b32_e32 v3, v114, v3
	;; [unrolled: 1-line block ×4, first 2 shown]
	v_mad_u64_u32 v[6:7], s[0:1], v1, s9, 0
	v_mad_u64_u32 v[8:9], s[0:1], v8, s8, 0
	s_mov_b32 s0, 0
	v_add_u32_e32 v105, 0x8ff34781, v72
	v_add_u32_e32 v95, 0x96a522ad, v73
	v_xor_b32_e32 v0, v9, v0
	v_xor_b32_e32 v2, v7, v2
	s_mov_b32 s1, 0x40500000
	v_mov_b32_e32 v3, v6
	v_mov_b32_e32 v1, v8
	v_xor_b32_e32 v0, v105, v0
	v_xor_b32_e32 v2, v95, v2
	v_cmp_ngt_f64_e32 vcc, s[0:1], v[4:5]
                                        ; implicit-def: $vgpr75
	s_and_saveexec_b64 s[0:1], vcc
	s_xor_b64 s[16:17], exec, s[0:1]
	s_cbranch_execz .LBB65_47
; %bb.19:                               ;   in Loop: Header=BB65_5 Depth=1
	s_mov_b32 s0, 0
	s_mov_b32 s1, 0x40af4000
	v_cmp_ge_f64_e32 vcc, s[0:1], v[4:5]
                                        ; implicit-def: $vgpr75
	s_and_saveexec_b64 s[0:1], vcc
	s_xor_b64 s[6:7], exec, s[0:1]
	s_cbranch_execz .LBB65_34
; %bb.20:                               ;   in Loop: Header=BB65_5 Depth=1
	s_mov_b32 s12, 0xae147ae1
	s_mov_b32 s13, 0xc00ae147
	v_div_scale_f64 v[6:7], s[0:1], v[4:5], v[4:5], s[12:13]
	v_rcp_f64_e32 v[8:9], v[6:7]
	s_mov_b32 s0, 0
	v_mul_f64 v[76:77], v[4:5], s[34:35]
	s_brev_b32 s1, 8
	v_cmp_gt_f64_e64 s[0:1], s[0:1], v[76:77]
	v_cndmask_b32_e64 v78, 0, 1, s[0:1]
	v_fma_f64 v[74:75], -v[6:7], v[8:9], 1.0
	v_lshlrev_b32_e32 v78, 8, v78
	v_fmac_f64_e32 v[8:9], v[8:9], v[74:75]
	v_ldexp_f64 v[76:77], v[76:77], v78
	v_fma_f64 v[74:75], -v[6:7], v[8:9], 1.0
	v_rsq_f64_e32 v[78:79], v[76:77]
	v_div_scale_f64 v[10:11], vcc, s[12:13], v[4:5], s[12:13]
	v_fmac_f64_e32 v[8:9], v[8:9], v[74:75]
	v_mul_f64 v[74:75], v[10:11], v[8:9]
	v_fma_f64 v[6:7], -v[6:7], v[74:75], v[10:11]
	s_nop 0
	v_div_fmas_f64 v[6:7], v[6:7], v[8:9], v[74:75]
	v_mul_f64 v[8:9], v[76:77], v[78:79]
	v_mul_f64 v[10:11], v[78:79], 0.5
	v_fma_f64 v[74:75], -v[10:11], v[8:9], 0.5
	v_fmac_f64_e32 v[8:9], v[8:9], v[74:75]
	v_fma_f64 v[78:79], -v[8:9], v[8:9], v[76:77]
	v_fmac_f64_e32 v[10:11], v[10:11], v[74:75]
	v_fmac_f64_e32 v[8:9], v[78:79], v[10:11]
	v_fma_f64 v[74:75], -v[8:9], v[8:9], v[76:77]
	v_fmac_f64_e32 v[8:9], v[74:75], v[10:11]
	v_cndmask_b32_e64 v10, 0, v89, s[0:1]
	v_ldexp_f64 v[8:9], v[8:9], v10
	v_cmp_class_f64_e32 vcc, v[76:77], v88
	s_mov_b32 s14, 0x54442d18
	v_cndmask_b32_e32 v9, v9, v77, vcc
	v_cndmask_b32_e32 v8, v8, v76, vcc
	s_mov_b32 s15, 0x400921fb
	v_div_scale_f64 v[10:11], s[0:1], v[8:9], v[8:9], s[14:15]
	v_rcp_f64_e32 v[76:77], v[10:11]
	s_mov_b32 s0, 0x95810625
	v_div_fixup_f64 v[6:7], v[6:7], v[4:5], s[12:13]
	s_mov_b32 s1, 0x3fe88b43
	v_fma_f64 v[78:79], -v[10:11], v[76:77], 1.0
	v_fmac_f64_e32 v[76:77], v[76:77], v[78:79]
	v_fma_f64 v[78:79], -v[10:11], v[76:77], 1.0
	v_fmac_f64_e32 v[76:77], v[76:77], v[78:79]
	v_div_scale_f64 v[78:79], vcc, s[14:15], v[8:9], s[14:15]
	v_mul_f64 v[80:81], v[78:79], v[76:77]
	v_fma_f64 v[10:11], -v[10:11], v[80:81], v[78:79]
	v_add_f64 v[6:7], v[6:7], s[0:1]
	s_nop 0
	v_div_fmas_f64 v[10:11], v[10:11], v[76:77], v[80:81]
	v_div_fixup_f64 v[76:77], v[10:11], v[8:9], s[14:15]
	v_frexp_mant_f64_e32 v[8:9], v[6:7]
	v_cmp_gt_f64_e32 vcc, s[40:41], v[8:9]
	v_mov_b32_e32 v74, 0
	v_cndmask_b32_e64 v75, v90, 2.0, vcc
	v_frexp_exp_i32_f64_e32 v10, v[6:7]
	v_mul_f64 v[8:9], v[8:9], v[74:75]
	v_subbrev_co_u32_e32 v75, vcc, 0, v10, vcc
	v_add_f64 v[10:11], v[8:9], 1.0
	v_rcp_f64_e32 v[80:81], v[10:11]
	v_add_f64 v[84:85], v[10:11], -1.0
	v_add_f64 v[82:83], v[8:9], -1.0
	v_add_f64 v[8:9], v[8:9], -v[84:85]
	v_fma_f64 v[84:85], -v[10:11], v[80:81], 1.0
	v_fmac_f64_e32 v[80:81], v[84:85], v[80:81]
	v_fma_f64 v[84:85], -v[10:11], v[80:81], 1.0
	v_fmac_f64_e32 v[80:81], v[84:85], v[80:81]
	v_mul_f64 v[84:85], v[82:83], v[80:81]
	v_mul_f64 v[86:87], v[10:11], v[84:85]
	v_fma_f64 v[10:11], v[84:85], v[10:11], -v[86:87]
	v_fmac_f64_e32 v[10:11], v[84:85], v[8:9]
	v_add_f64 v[8:9], v[86:87], v[10:11]
	v_add_f64 v[116:117], v[82:83], -v[8:9]
	v_add_f64 v[86:87], v[8:9], -v[86:87]
	;; [unrolled: 1-line block ×5, first 2 shown]
	v_add_f64 v[8:9], v[10:11], v[8:9]
	v_add_f64 v[8:9], v[116:117], v[8:9]
	v_mul_f64 v[8:9], v[80:81], v[8:9]
	v_add_f64 v[10:11], v[84:85], v[8:9]
	v_add_f64 v[80:81], v[10:11], -v[84:85]
	v_add_f64 v[8:9], v[8:9], -v[80:81]
	v_mul_f64 v[80:81], v[10:11], v[10:11]
	v_pk_mov_b32 v[82:83], s[42:43], s[42:43] op_sel:[0,1]
	v_fma_f64 v[84:85], s[44:45], v[80:81], v[82:83]
	v_fma_f64 v[84:85], v[80:81], v[84:85], s[46:47]
	;; [unrolled: 1-line block ×5, first 2 shown]
	s_mov_b32 s55, s41
	v_fma_f64 v[84:85], v[80:81], v[84:85], s[54:55]
	v_ldexp_f64 v[86:87], v[10:11], 1
	v_mul_f64 v[10:11], v[10:11], v[80:81]
	v_mul_f64 v[10:11], v[10:11], v[84:85]
	v_add_f64 v[80:81], v[86:87], v[10:11]
	v_add_f64 v[84:85], v[80:81], -v[86:87]
	v_ldexp_f64 v[8:9], v[8:9], 1
	v_add_f64 v[10:11], v[10:11], -v[84:85]
	v_add_f64 v[8:9], v[8:9], v[10:11]
	v_add_f64 v[10:11], v[80:81], v[8:9]
	v_add_f64 v[80:81], v[10:11], -v[80:81]
	v_add_f64 v[8:9], v[8:9], -v[80:81]
	v_cvt_f64_i32_e32 v[80:81], v75
	v_mul_f64 v[84:85], v[80:81], s[56:57]
	v_fma_f64 v[86:87], v[80:81], s[56:57], -v[84:85]
	v_fmac_f64_e32 v[86:87], s[58:59], v[80:81]
	v_add_f64 v[80:81], v[84:85], v[86:87]
	v_add_f64 v[84:85], v[80:81], -v[84:85]
	v_add_f64 v[84:85], v[86:87], -v[84:85]
	v_add_f64 v[86:87], v[80:81], v[10:11]
	v_add_f64 v[116:117], v[86:87], -v[80:81]
	v_add_f64 v[118:119], v[86:87], -v[116:117]
	;; [unrolled: 1-line block ×4, first 2 shown]
	v_add_f64 v[10:11], v[10:11], v[80:81]
	v_add_f64 v[80:81], v[84:85], v[8:9]
	v_add_f64 v[116:117], v[80:81], -v[84:85]
	v_add_f64 v[118:119], v[80:81], -v[116:117]
	v_add_f64 v[10:11], v[80:81], v[10:11]
	v_add_f64 v[84:85], v[84:85], -v[118:119]
	v_add_f64 v[8:9], v[8:9], -v[116:117]
	v_add_f64 v[80:81], v[86:87], v[10:11]
	v_add_f64 v[8:9], v[8:9], v[84:85]
	v_add_f64 v[84:85], v[80:81], -v[86:87]
	v_add_f64 v[10:11], v[10:11], -v[84:85]
	v_add_f64 v[8:9], v[8:9], v[10:11]
	v_add_f64 v[8:9], v[80:81], v[8:9]
	v_cmp_class_f64_e64 vcc, v[6:7], s10
	v_cndmask_b32_e32 v8, v8, v6, vcc
	v_cndmask_b32_e32 v9, v9, v7, vcc
	v_cmp_ngt_f64_e32 vcc, 0, v[6:7]
	v_cndmask_b32_e32 v9, v91, v9, vcc
	v_cmp_nge_f64_e32 vcc, 0, v[6:7]
	v_cndmask_b32_e32 v8, 0, v8, vcc
	v_cmp_neq_f64_e32 vcc, 0, v[6:7]
	v_cndmask_b32_e32 v9, v92, v9, vcc
	v_add_f64 v[6:7], v[8:9], -v[4:5]
	v_frexp_mant_f64_e32 v[8:9], v[76:77]
	v_cmp_gt_f64_e32 vcc, s[40:41], v[8:9]
	v_cndmask_b32_e64 v75, v90, 2.0, vcc
	v_frexp_exp_i32_f64_e32 v10, v[76:77]
	v_mul_f64 v[8:9], v[8:9], v[74:75]
	v_subbrev_co_u32_e32 v75, vcc, 0, v10, vcc
	v_add_f64 v[10:11], v[8:9], 1.0
	v_rcp_f64_e32 v[80:81], v[10:11]
	v_add_f64 v[86:87], v[10:11], -1.0
	v_add_f64 v[84:85], v[8:9], -1.0
	v_add_f64 v[8:9], v[8:9], -v[86:87]
	v_fma_f64 v[86:87], -v[10:11], v[80:81], 1.0
	v_fmac_f64_e32 v[80:81], v[86:87], v[80:81]
	v_fma_f64 v[86:87], -v[10:11], v[80:81], 1.0
	v_fmac_f64_e32 v[80:81], v[86:87], v[80:81]
	v_mul_f64 v[86:87], v[84:85], v[80:81]
	v_mul_f64 v[116:117], v[10:11], v[86:87]
	v_fma_f64 v[10:11], v[86:87], v[10:11], -v[116:117]
	v_fmac_f64_e32 v[10:11], v[86:87], v[8:9]
	v_add_f64 v[8:9], v[116:117], v[10:11]
	v_add_f64 v[118:119], v[84:85], -v[8:9]
	v_add_f64 v[116:117], v[8:9], -v[116:117]
	;; [unrolled: 1-line block ×5, first 2 shown]
	v_add_f64 v[8:9], v[10:11], v[8:9]
	v_add_f64 v[8:9], v[118:119], v[8:9]
	v_mul_f64 v[8:9], v[80:81], v[8:9]
	v_add_f64 v[10:11], v[86:87], v[8:9]
	v_add_f64 v[80:81], v[10:11], -v[86:87]
	v_add_f64 v[8:9], v[8:9], -v[80:81]
	v_mul_f64 v[80:81], v[10:11], v[10:11]
	v_fma_f64 v[84:85], s[44:45], v[80:81], v[82:83]
	v_fma_f64 v[84:85], v[80:81], v[84:85], s[46:47]
	;; [unrolled: 1-line block ×6, first 2 shown]
	v_ldexp_f64 v[86:87], v[10:11], 1
	v_mul_f64 v[10:11], v[10:11], v[80:81]
	v_mul_f64 v[10:11], v[10:11], v[84:85]
	v_add_f64 v[80:81], v[86:87], v[10:11]
	v_add_f64 v[84:85], v[80:81], -v[86:87]
	v_ldexp_f64 v[8:9], v[8:9], 1
	v_add_f64 v[10:11], v[10:11], -v[84:85]
	v_add_f64 v[8:9], v[8:9], v[10:11]
	v_add_f64 v[10:11], v[80:81], v[8:9]
	v_add_f64 v[80:81], v[10:11], -v[80:81]
	v_add_f64 v[8:9], v[8:9], -v[80:81]
	v_cvt_f64_i32_e32 v[80:81], v75
	v_mul_f64 v[84:85], v[80:81], s[56:57]
	v_fma_f64 v[86:87], v[80:81], s[56:57], -v[84:85]
	v_fmac_f64_e32 v[86:87], s[58:59], v[80:81]
	v_add_f64 v[80:81], v[84:85], v[86:87]
	v_add_f64 v[84:85], v[80:81], -v[84:85]
	v_add_f64 v[84:85], v[86:87], -v[84:85]
	v_add_f64 v[86:87], v[80:81], v[10:11]
	v_add_f64 v[116:117], v[86:87], -v[80:81]
	v_add_f64 v[118:119], v[86:87], -v[116:117]
	;; [unrolled: 1-line block ×4, first 2 shown]
	v_add_f64 v[10:11], v[10:11], v[80:81]
	v_add_f64 v[80:81], v[84:85], v[8:9]
	v_add_f64 v[116:117], v[80:81], -v[84:85]
	v_add_f64 v[118:119], v[80:81], -v[116:117]
	v_add_f64 v[10:11], v[80:81], v[10:11]
	v_add_f64 v[84:85], v[84:85], -v[118:119]
	v_add_f64 v[8:9], v[8:9], -v[116:117]
	v_add_f64 v[80:81], v[86:87], v[10:11]
	v_add_f64 v[8:9], v[8:9], v[84:85]
	v_add_f64 v[84:85], v[80:81], -v[86:87]
	v_add_f64 v[10:11], v[10:11], -v[84:85]
	s_mov_b32 s0, 0
	v_add_f64 v[8:9], v[8:9], v[10:11]
	s_mov_b32 s1, 0x7ff00000
	v_add_f64 v[8:9], v[80:81], v[8:9]
	v_cmp_eq_f64_e32 vcc, s[0:1], v[76:77]
	v_cndmask_b32_e32 v8, v8, v76, vcc
	v_cndmask_b32_e32 v9, v9, v77, vcc
	v_cmp_neq_f64_e32 vcc, 0, v[76:77]
	v_cndmask_b32_e32 v9, v92, v9, vcc
	v_cndmask_b32_e32 v8, 0, v8, vcc
	v_mul_f64 v[78:79], v[4:5], v[76:77]
	v_add_f64 v[80:81], v[6:7], -v[8:9]
	v_frexp_exp_i32_f64_e32 v6, v[4:5]
	v_frexp_mant_f64_e32 v[4:5], v[4:5]
	v_cmp_gt_f64_e32 vcc, s[40:41], v[4:5]
	v_cndmask_b32_e64 v75, v90, 2.0, vcc
	v_mul_f64 v[4:5], v[4:5], v[74:75]
	v_subbrev_co_u32_e32 v75, vcc, 0, v6, vcc
	v_add_f64 v[6:7], v[4:5], 1.0
	v_rcp_f64_e32 v[8:9], v[6:7]
	v_add_f64 v[84:85], v[6:7], -1.0
	v_add_f64 v[10:11], v[4:5], -1.0
	v_add_f64 v[4:5], v[4:5], -v[84:85]
	v_fma_f64 v[84:85], -v[6:7], v[8:9], 1.0
	v_fmac_f64_e32 v[8:9], v[84:85], v[8:9]
	v_fma_f64 v[84:85], -v[6:7], v[8:9], 1.0
	v_fmac_f64_e32 v[8:9], v[84:85], v[8:9]
	v_mul_f64 v[84:85], v[10:11], v[8:9]
	v_mul_f64 v[86:87], v[6:7], v[84:85]
	v_fma_f64 v[6:7], v[84:85], v[6:7], -v[86:87]
	v_fmac_f64_e32 v[6:7], v[84:85], v[4:5]
	v_add_f64 v[4:5], v[86:87], v[6:7]
	v_add_f64 v[116:117], v[10:11], -v[4:5]
	v_add_f64 v[86:87], v[4:5], -v[86:87]
	v_add_f64 v[10:11], v[10:11], -v[116:117]
	v_add_f64 v[4:5], v[10:11], -v[4:5]
	v_add_f64 v[6:7], v[86:87], -v[6:7]
	v_add_f64 v[4:5], v[6:7], v[4:5]
	v_add_f64 v[4:5], v[116:117], v[4:5]
	v_mul_f64 v[4:5], v[8:9], v[4:5]
	v_add_f64 v[6:7], v[84:85], v[4:5]
	v_add_f64 v[8:9], v[6:7], -v[84:85]
	v_add_f64 v[4:5], v[4:5], -v[8:9]
	v_mul_f64 v[8:9], v[6:7], v[6:7]
	v_fmac_f64_e32 v[82:83], s[44:45], v[8:9]
	v_fma_f64 v[10:11], v[8:9], v[82:83], s[46:47]
	v_fma_f64 v[10:11], v[8:9], v[10:11], s[48:49]
	;; [unrolled: 1-line block ×5, first 2 shown]
	v_ldexp_f64 v[82:83], v[6:7], 1
	v_mul_f64 v[6:7], v[6:7], v[8:9]
	v_mul_f64 v[6:7], v[6:7], v[10:11]
	v_add_f64 v[8:9], v[82:83], v[6:7]
	v_add_f64 v[10:11], v[8:9], -v[82:83]
	v_ldexp_f64 v[4:5], v[4:5], 1
	v_add_f64 v[6:7], v[6:7], -v[10:11]
	v_add_f64 v[4:5], v[4:5], v[6:7]
	v_add_f64 v[6:7], v[8:9], v[4:5]
	v_add_f64 v[8:9], v[6:7], -v[8:9]
	v_add_f64 v[4:5], v[4:5], -v[8:9]
	v_cvt_f64_i32_e32 v[8:9], v75
	v_mul_f64 v[10:11], v[8:9], s[56:57]
	v_fma_f64 v[82:83], v[8:9], s[56:57], -v[10:11]
	v_fmac_f64_e32 v[82:83], s[58:59], v[8:9]
	v_add_f64 v[8:9], v[10:11], v[82:83]
	v_add_f64 v[10:11], v[8:9], -v[10:11]
	v_add_f64 v[10:11], v[82:83], -v[10:11]
	v_add_f64 v[82:83], v[8:9], v[6:7]
	v_add_f64 v[84:85], v[82:83], -v[8:9]
	v_add_f64 v[86:87], v[82:83], -v[84:85]
	;; [unrolled: 1-line block ×4, first 2 shown]
	v_add_f64 v[6:7], v[6:7], v[8:9]
	v_add_f64 v[8:9], v[10:11], v[4:5]
	v_add_f64 v[84:85], v[8:9], -v[10:11]
	v_add_f64 v[86:87], v[8:9], -v[84:85]
	v_add_f64 v[6:7], v[8:9], v[6:7]
	v_add_f64 v[10:11], v[10:11], -v[86:87]
	v_add_f64 v[4:5], v[4:5], -v[84:85]
	v_add_f64 v[8:9], v[82:83], v[6:7]
	v_add_f64 v[4:5], v[4:5], v[10:11]
	v_add_f64 v[10:11], v[8:9], -v[82:83]
	v_add_f64 v[6:7], v[6:7], -v[10:11]
	v_add_f64 v[4:5], v[4:5], v[6:7]
	v_add_f64 v[82:83], v[8:9], v[4:5]
	s_mov_b64 s[12:13], 0
	s_mov_b64 s[14:15], 0
	v_mov_b32_e32 v115, v17
                                        ; implicit-def: $vgpr75
.LBB65_21:                              ;   Parent Loop BB65_5 Depth=1
                                        ; =>  This Inner Loop Header: Depth=2
	v_add_u32_e32 v116, 1, v15
	v_pk_mov_b32 v[10:11], v[2:3], v[2:3] op_sel:[0,1]
	v_cmp_eq_u32_e32 vcc, 4, v116
	v_pk_mov_b32 v[8:9], v[0:1], v[0:1] op_sel:[0,1]
	v_mov_b32_e32 v87, v0
	v_mov_b32_e32 v86, v1
	;; [unrolled: 1-line block ×4, first 2 shown]
	s_and_saveexec_b64 s[0:1], vcc
	s_cbranch_execz .LBB65_23
; %bb.22:                               ;   in Loop: Header=BB65_21 Depth=2
	v_add_co_u32_e32 v96, vcc, 1, v96
	v_cndmask_b32_e64 v4, 0, 1, vcc
	v_addc_co_u32_e32 v97, vcc, 0, v97, vcc
	v_cmp_eq_u32_e32 vcc, 0, v97
	v_cndmask_b32_e32 v4, 0, v4, vcc
	v_add_u32_e32 v115, v4, v115
	v_cmp_eq_u32_e32 vcc, 0, v115
	v_cndmask_b32_e32 v4, 0, v4, vcc
	v_add_u32_e32 v74, v4, v74
	v_mad_u64_u32 v[4:5], s[20:21], v96, s9, 0
	v_mad_u64_u32 v[6:7], s[20:21], v115, s8, 0
	v_xor_b32_e32 v5, v5, v73
	v_xor_b32_e32 v7, v7, v72
	v_xor_b32_e32 v5, v74, v5
	v_xor_b32_e32 v7, v97, v7
	v_mad_u64_u32 v[10:11], s[20:21], v5, s8, 0
	v_mad_u64_u32 v[8:9], s[20:21], v7, s9, 0
	v_xor_b32_e32 v5, v98, v11
	v_xor_b32_e32 v5, v5, v6
	v_xor_b32_e32 v6, v99, v9
	v_xor_b32_e32 v6, v6, v4
	;; [unrolled: 6-line block ×10, first 2 shown]
	v_mov_b32_e32 v116, 0
	v_mov_b32_e32 v9, v86
	v_mov_b32_e32 v11, v84
	v_mov_b32_e32 v87, v8
	v_mov_b32_e32 v85, v10
.LBB65_23:                              ;   in Loop: Header=BB65_21 Depth=2
	s_or_b64 exec, exec, s[0:1]
	v_add_u32_e32 v117, 1, v116
	v_pk_mov_b32 v[4:5], v[8:9], v[8:9] op_sel:[0,1]
	v_cmp_eq_u32_e32 vcc, 4, v117
	v_pk_mov_b32 v[6:7], v[10:11], v[10:11] op_sel:[0,1]
	s_and_saveexec_b64 s[0:1], vcc
	s_cbranch_execz .LBB65_25
; %bb.24:                               ;   in Loop: Header=BB65_21 Depth=2
	v_add_co_u32_e32 v96, vcc, 1, v96
	v_cndmask_b32_e64 v4, 0, 1, vcc
	v_addc_co_u32_e32 v97, vcc, 0, v97, vcc
	v_cmp_eq_u32_e32 vcc, 0, v97
	v_cndmask_b32_e32 v4, 0, v4, vcc
	v_add_u32_e32 v115, v4, v115
	v_cmp_eq_u32_e32 vcc, 0, v115
	v_cndmask_b32_e32 v4, 0, v4, vcc
	v_add_u32_e32 v74, v4, v74
	v_mad_u64_u32 v[4:5], s[20:21], v96, s9, 0
	v_mad_u64_u32 v[6:7], s[20:21], v115, s8, 0
	v_xor_b32_e32 v5, v5, v73
	v_xor_b32_e32 v7, v7, v72
	v_xor_b32_e32 v5, v74, v5
	v_xor_b32_e32 v7, v97, v7
	v_mad_u64_u32 v[86:87], s[20:21], v5, s8, 0
	v_mad_u64_u32 v[84:85], s[20:21], v7, s9, 0
	v_xor_b32_e32 v5, v98, v87
	v_xor_b32_e32 v5, v5, v6
	v_xor_b32_e32 v6, v99, v85
	v_xor_b32_e32 v6, v6, v4
	;; [unrolled: 6-line block ×10, first 2 shown]
	v_mov_b32_e32 v117, 0
	v_mov_b32_e32 v5, v86
	;; [unrolled: 1-line block ×5, first 2 shown]
.LBB65_25:                              ;   in Loop: Header=BB65_21 Depth=2
	s_or_b64 exec, exec, s[0:1]
	v_cmp_eq_u32_e32 vcc, 1, v15
	v_cndmask_b32_e32 v0, v0, v1, vcc
	v_cmp_eq_u32_e32 vcc, 2, v15
	v_cndmask_b32_e32 v0, v0, v2, vcc
	;; [unrolled: 2-line block ×6, first 2 shown]
	v_lshrrev_b32_e32 v0, 11, v0
	v_cvt_f64_u32_e32 v[0:1], v0
	v_ldexp_f64 v[0:1], v[0:1], 32
	v_cvt_f64_u32_e32 v[2:3], v2
	v_add_f64 v[0:1], v[0:1], v[2:3]
	v_mov_b32_e32 v2, 0
	v_mov_b32_e32 v3, 0x3ca00000
	v_fmac_f64_e32 v[2:3], 0x3ca00000, v[0:1]
	v_add_f64 v[0:1], -v[2:3], 1.0
	v_div_scale_f64 v[8:9], s[0:1], v[2:3], v[2:3], v[0:1]
	v_rcp_f64_e32 v[10:11], v[8:9]
	v_fma_f64 v[118:119], -v[8:9], v[10:11], 1.0
	v_fmac_f64_e32 v[10:11], v[10:11], v[118:119]
	v_fma_f64 v[118:119], -v[8:9], v[10:11], 1.0
	v_fmac_f64_e32 v[10:11], v[10:11], v[118:119]
	v_div_scale_f64 v[118:119], vcc, v[0:1], v[2:3], v[0:1]
	v_mul_f64 v[120:121], v[118:119], v[10:11]
	v_fma_f64 v[8:9], -v[8:9], v[120:121], v[118:119]
	s_nop 1
	v_div_fmas_f64 v[8:9], v[8:9], v[10:11], v[120:121]
	v_div_fixup_f64 v[0:1], v[8:9], v[2:3], v[0:1]
	v_frexp_mant_f64_e32 v[2:3], v[0:1]
	v_cmp_gt_f64_e32 vcc, s[40:41], v[2:3]
	v_cndmask_b32_e64 v15, v90, 2.0, vcc
	v_frexp_exp_i32_f64_e32 v8, v[0:1]
	v_mul_f64 v[2:3], v[2:3], v[14:15]
	v_subbrev_co_u32_e32 v15, vcc, 0, v8, vcc
	v_add_f64 v[8:9], v[2:3], 1.0
	v_rcp_f64_e32 v[10:11], v[8:9]
	v_add_f64 v[120:121], v[8:9], -1.0
	v_add_f64 v[118:119], v[2:3], -1.0
	v_add_f64 v[2:3], v[2:3], -v[120:121]
	v_fma_f64 v[120:121], -v[8:9], v[10:11], 1.0
	v_fmac_f64_e32 v[10:11], v[120:121], v[10:11]
	v_fma_f64 v[120:121], -v[8:9], v[10:11], 1.0
	v_fmac_f64_e32 v[10:11], v[120:121], v[10:11]
	v_mul_f64 v[120:121], v[118:119], v[10:11]
	v_mul_f64 v[122:123], v[8:9], v[120:121]
	v_fma_f64 v[8:9], v[120:121], v[8:9], -v[122:123]
	v_fmac_f64_e32 v[8:9], v[120:121], v[2:3]
	v_add_f64 v[2:3], v[122:123], v[8:9]
	v_add_f64 v[124:125], v[118:119], -v[2:3]
	v_add_f64 v[122:123], v[2:3], -v[122:123]
	v_add_f64 v[118:119], v[118:119], -v[124:125]
	v_add_f64 v[2:3], v[118:119], -v[2:3]
	v_add_f64 v[8:9], v[122:123], -v[8:9]
	v_add_f64 v[2:3], v[8:9], v[2:3]
	v_add_f64 v[2:3], v[124:125], v[2:3]
	v_mul_f64 v[2:3], v[10:11], v[2:3]
	v_add_f64 v[8:9], v[120:121], v[2:3]
	v_add_f64 v[10:11], v[8:9], -v[120:121]
	v_add_f64 v[2:3], v[2:3], -v[10:11]
	v_mul_f64 v[10:11], v[8:9], v[8:9]
	v_pk_mov_b32 v[118:119], v[18:19], v[18:19] op_sel:[0,1]
	v_fmac_f64_e32 v[118:119], s[44:45], v[10:11]
	v_pk_mov_b32 v[120:121], v[20:21], v[20:21] op_sel:[0,1]
	v_fmac_f64_e32 v[120:121], v[10:11], v[118:119]
	;; [unrolled: 2-line block ×6, first 2 shown]
	v_ldexp_f64 v[118:119], v[8:9], 1
	v_mul_f64 v[8:9], v[8:9], v[10:11]
	v_mul_f64 v[8:9], v[8:9], v[120:121]
	v_add_f64 v[10:11], v[118:119], v[8:9]
	v_add_f64 v[118:119], v[10:11], -v[118:119]
	v_ldexp_f64 v[2:3], v[2:3], 1
	v_add_f64 v[8:9], v[8:9], -v[118:119]
	v_add_f64 v[2:3], v[2:3], v[8:9]
	v_add_f64 v[8:9], v[10:11], v[2:3]
	v_add_f64 v[10:11], v[8:9], -v[10:11]
	v_add_f64 v[2:3], v[2:3], -v[10:11]
	v_cvt_f64_i32_e32 v[10:11], v15
	v_mul_f64 v[118:119], v[10:11], s[56:57]
	v_fma_f64 v[120:121], v[10:11], s[56:57], -v[118:119]
	v_fmac_f64_e32 v[120:121], s[58:59], v[10:11]
	v_add_f64 v[10:11], v[118:119], v[120:121]
	v_add_f64 v[118:119], v[10:11], -v[118:119]
	v_add_f64 v[118:119], v[120:121], -v[118:119]
	v_add_f64 v[120:121], v[10:11], v[8:9]
	v_add_f64 v[122:123], v[120:121], -v[10:11]
	v_add_f64 v[124:125], v[120:121], -v[122:123]
	;; [unrolled: 1-line block ×4, first 2 shown]
	v_add_f64 v[8:9], v[8:9], v[10:11]
	v_add_f64 v[10:11], v[118:119], v[2:3]
	v_add_f64 v[122:123], v[10:11], -v[118:119]
	v_add_f64 v[124:125], v[10:11], -v[122:123]
	v_add_f64 v[8:9], v[10:11], v[8:9]
	v_add_f64 v[118:119], v[118:119], -v[124:125]
	v_add_f64 v[2:3], v[2:3], -v[122:123]
	v_add_f64 v[10:11], v[120:121], v[8:9]
	v_add_f64 v[2:3], v[2:3], v[118:119]
	v_add_f64 v[118:119], v[10:11], -v[120:121]
	v_add_f64 v[8:9], v[8:9], -v[118:119]
	v_add_f64 v[2:3], v[2:3], v[8:9]
	v_add_f64 v[2:3], v[10:11], v[2:3]
	v_cmp_class_f64_e64 vcc, v[0:1], s10
	v_cndmask_b32_e32 v2, v2, v0, vcc
	v_cndmask_b32_e32 v3, v3, v1, vcc
	v_cmp_ngt_f64_e32 vcc, 0, v[0:1]
	v_cndmask_b32_e32 v3, v91, v3, vcc
	v_cmp_nge_f64_e32 vcc, 0, v[0:1]
	v_cndmask_b32_e32 v2, 0, v2, vcc
	v_cmp_neq_f64_e32 vcc, 0, v[0:1]
	v_cndmask_b32_e32 v3, v92, v3, vcc
	v_add_f64 v[0:1], v[78:79], -v[2:3]
	v_div_scale_f64 v[2:3], s[0:1], v[76:77], v[76:77], v[0:1]
	v_rcp_f64_e32 v[8:9], v[2:3]
	v_fma_f64 v[10:11], -v[2:3], v[8:9], 1.0
	v_fmac_f64_e32 v[8:9], v[8:9], v[10:11]
	v_fma_f64 v[10:11], -v[2:3], v[8:9], 1.0
	v_fmac_f64_e32 v[8:9], v[8:9], v[10:11]
	v_div_scale_f64 v[10:11], vcc, v[0:1], v[76:77], v[0:1]
	v_mul_f64 v[118:119], v[10:11], v[8:9]
	v_fma_f64 v[2:3], -v[2:3], v[118:119], v[10:11]
	s_nop 1
	v_div_fmas_f64 v[2:3], v[2:3], v[8:9], v[118:119]
	v_div_fixup_f64 v[10:11], v[2:3], v[76:77], v[0:1]
	v_add_f64 v[0:1], v[10:11], 0.5
	v_floor_f64_e32 v[8:9], v[0:1]
	v_cmp_ngt_f64_e32 vcc, 0, v[8:9]
	v_mov_b32_e32 v118, 2
	s_and_saveexec_b64 s[20:21], vcc
	s_cbranch_execz .LBB65_31
; %bb.26:                               ;   in Loop: Header=BB65_21 Depth=2
	v_add_u32_e32 v15, 1, v117
	v_pk_mov_b32 v[0:1], v[4:5], v[4:5] op_sel:[0,1]
	v_cmp_eq_u32_e32 vcc, 4, v15
	v_pk_mov_b32 v[2:3], v[6:7], v[6:7] op_sel:[0,1]
	s_and_saveexec_b64 s[0:1], vcc
	s_cbranch_execz .LBB65_28
; %bb.27:                               ;   in Loop: Header=BB65_21 Depth=2
	v_add_co_u32_e32 v96, vcc, 1, v96
	v_cndmask_b32_e64 v0, 0, 1, vcc
	v_addc_co_u32_e32 v97, vcc, 0, v97, vcc
	v_cmp_eq_u32_e32 vcc, 0, v97
	v_cndmask_b32_e32 v0, 0, v0, vcc
	v_add_u32_e32 v115, v0, v115
	v_cmp_eq_u32_e32 vcc, 0, v115
	v_cndmask_b32_e32 v0, 0, v0, vcc
	v_add_u32_e32 v74, v0, v74
	v_mad_u64_u32 v[0:1], vcc, v96, s9, 0
	v_mad_u64_u32 v[2:3], vcc, v115, s8, 0
	v_xor_b32_e32 v1, v1, v73
	v_xor_b32_e32 v3, v3, v72
	v_xor_b32_e32 v1, v74, v1
	v_xor_b32_e32 v3, v97, v3
	v_mad_u64_u32 v[86:87], vcc, v1, s8, 0
	v_mad_u64_u32 v[84:85], vcc, v3, s9, 0
	v_xor_b32_e32 v1, v98, v87
	v_xor_b32_e32 v1, v1, v2
	v_xor_b32_e32 v2, v99, v85
	v_xor_b32_e32 v2, v2, v0
	;; [unrolled: 6-line block ×10, first 2 shown]
	v_mov_b32_e32 v15, 0
	v_mov_b32_e32 v1, v86
	;; [unrolled: 1-line block ×5, first 2 shown]
.LBB65_28:                              ;   in Loop: Header=BB65_21 Depth=2
	s_or_b64 exec, exec, s[0:1]
	v_add_u32_e32 v116, 1, v15
	v_cmp_eq_u32_e32 vcc, 4, v116
	s_and_saveexec_b64 s[0:1], vcc
	s_cbranch_execz .LBB65_30
; %bb.29:                               ;   in Loop: Header=BB65_21 Depth=2
	v_add_co_u32_e32 v96, vcc, 1, v96
	v_cndmask_b32_e64 v84, 0, 1, vcc
	v_addc_co_u32_e32 v97, vcc, 0, v97, vcc
	v_cmp_eq_u32_e32 vcc, 0, v97
	v_cndmask_b32_e32 v84, 0, v84, vcc
	v_add_u32_e32 v115, v84, v115
	v_cmp_eq_u32_e32 vcc, 0, v115
	v_cndmask_b32_e32 v84, 0, v84, vcc
	v_add_u32_e32 v74, v84, v74
	v_mad_u64_u32 v[84:85], vcc, v96, s9, 0
	v_mad_u64_u32 v[86:87], vcc, v115, s8, 0
	v_xor_b32_e32 v85, v85, v73
	v_xor_b32_e32 v87, v87, v72
	v_xor_b32_e32 v85, v74, v85
	v_xor_b32_e32 v87, v97, v87
	v_mad_u64_u32 v[120:121], vcc, v85, s8, 0
	v_mad_u64_u32 v[118:119], vcc, v87, s9, 0
	v_xor_b32_e32 v85, v98, v121
	v_xor_b32_e32 v85, v85, v86
	v_xor_b32_e32 v86, v99, v119
	v_xor_b32_e32 v86, v86, v84
	;; [unrolled: 6-line block ×9, first 2 shown]
	v_mad_u64_u32 v[84:85], vcc, v84, s9, 0
	v_mad_u64_u32 v[86:87], vcc, v86, s8, 0
	v_xor_b32_e32 v87, v87, v124
	v_xor_b32_e32 v85, v85, v122
	v_mov_b32_e32 v116, 0
	v_xor_b32_e32 v87, v105, v87
	v_xor_b32_e32 v85, v95, v85
.LBB65_30:                              ;   in Loop: Header=BB65_21 Depth=2
	s_or_b64 exec, exec, s[0:1]
	v_cmp_eq_u32_e32 vcc, 1, v117
	v_cndmask_b32_e32 v4, v4, v5, vcc
	v_cmp_eq_u32_e32 vcc, 2, v117
	v_cndmask_b32_e32 v4, v4, v6, vcc
	;; [unrolled: 2-line block ×6, first 2 shown]
	v_lshrrev_b32_e32 v0, 11, v0
	v_cvt_f64_u32_e32 v[0:1], v0
	v_ldexp_f64 v[0:1], v[0:1], 32
	v_cvt_f64_u32_e32 v[2:3], v4
	v_add_f64 v[0:1], v[0:1], v[2:3]
	v_mov_b32_e32 v2, 0
	v_mov_b32_e32 v3, 0x3ca00000
	v_fma_f64 v[4:5], -v[76:77], v[10:11], v[78:79]
	v_fmac_f64_e32 v[2:3], 0x3ca00000, v[0:1]
	v_mul_f64 v[0:1], v[4:5], s[62:63]
	v_rndne_f64_e32 v[0:1], v[0:1]
	s_mov_b32 s64, s56
	v_fma_f64 v[6:7], s[64:65], v[0:1], v[4:5]
	s_mov_b32 s66, s58
	v_fmac_f64_e32 v[6:7], s[66:67], v[0:1]
	v_pk_mov_b32 v[10:11], v[30:31], v[30:31] op_sel:[0,1]
	v_fmac_f64_e32 v[10:11], s[70:71], v[6:7]
	v_pk_mov_b32 v[118:119], v[32:33], v[32:33] op_sel:[0,1]
	;; [unrolled: 2-line block ×9, first 2 shown]
	v_fmac_f64_e32 v[10:11], v[6:7], v[118:119]
	v_fma_f64 v[10:11], v[6:7], v[10:11], 1.0
	v_fma_f64 v[6:7], v[6:7], v[10:11], 1.0
	v_cvt_i32_f64_e32 v0, v[0:1]
	v_ldexp_f64 v[0:1], v[6:7], v0
	v_add_f64 v[0:1], v[0:1], 1.0
	v_cmp_nlt_f64_e32 vcc, s[72:73], v[4:5]
	v_cmp_ngt_f64_e64 s[0:1], s[74:75], v[4:5]
	v_cndmask_b32_e32 v1, v93, v1, vcc
	s_and_b64 vcc, s[0:1], vcc
	v_cndmask_b32_e64 v1, v90, v1, s[0:1]
	v_cndmask_b32_e32 v0, 0, v0, vcc
	v_mul_f64 v[0:1], v[0:1], v[0:1]
	v_div_scale_f64 v[6:7], s[0:1], v[0:1], v[0:1], v[2:3]
	v_rcp_f64_e32 v[10:11], v[6:7]
	s_mov_b32 s55, s41
	v_fma_f64 v[118:119], -v[6:7], v[10:11], 1.0
	v_fmac_f64_e32 v[10:11], v[10:11], v[118:119]
	v_fma_f64 v[118:119], -v[6:7], v[10:11], 1.0
	v_fmac_f64_e32 v[10:11], v[10:11], v[118:119]
	v_div_scale_f64 v[118:119], vcc, v[2:3], v[0:1], v[2:3]
	v_mul_f64 v[120:121], v[118:119], v[10:11]
	v_fma_f64 v[6:7], -v[6:7], v[120:121], v[118:119]
	s_nop 1
	v_div_fmas_f64 v[6:7], v[6:7], v[10:11], v[120:121]
	v_div_fixup_f64 v[2:3], v[6:7], v[0:1], v[2:3]
	v_frexp_mant_f64_e32 v[0:1], v[2:3]
	v_cmp_gt_f64_e32 vcc, s[40:41], v[0:1]
	v_cndmask_b32_e64 v15, v90, 2.0, vcc
	v_frexp_exp_i32_f64_e32 v6, v[2:3]
	v_mul_f64 v[0:1], v[0:1], v[14:15]
	v_subbrev_co_u32_e32 v15, vcc, 0, v6, vcc
	v_add_f64 v[6:7], v[0:1], 1.0
	v_rcp_f64_e32 v[10:11], v[6:7]
	v_add_f64 v[120:121], v[6:7], -1.0
	v_add_f64 v[118:119], v[0:1], -1.0
	v_add_f64 v[0:1], v[0:1], -v[120:121]
	v_fma_f64 v[120:121], -v[6:7], v[10:11], 1.0
	v_fmac_f64_e32 v[10:11], v[120:121], v[10:11]
	v_fma_f64 v[120:121], -v[6:7], v[10:11], 1.0
	v_fmac_f64_e32 v[10:11], v[120:121], v[10:11]
	v_mul_f64 v[120:121], v[118:119], v[10:11]
	v_mul_f64 v[122:123], v[6:7], v[120:121]
	v_fma_f64 v[6:7], v[120:121], v[6:7], -v[122:123]
	v_fmac_f64_e32 v[6:7], v[120:121], v[0:1]
	v_add_f64 v[0:1], v[122:123], v[6:7]
	v_add_f64 v[124:125], v[118:119], -v[0:1]
	v_add_f64 v[122:123], v[0:1], -v[122:123]
	;; [unrolled: 1-line block ×5, first 2 shown]
	v_add_f64 v[0:1], v[6:7], v[0:1]
	v_add_f64 v[0:1], v[124:125], v[0:1]
	v_mul_f64 v[0:1], v[10:11], v[0:1]
	v_add_f64 v[6:7], v[120:121], v[0:1]
	v_add_f64 v[10:11], v[6:7], -v[120:121]
	v_add_f64 v[10:11], v[0:1], -v[10:11]
	v_mul_f64 v[118:119], v[6:7], v[6:7]
	v_pk_mov_b32 v[0:1], s[42:43], s[42:43] op_sel:[0,1]
	v_fma_f64 v[120:121], s[44:45], v[118:119], v[0:1]
	v_fma_f64 v[120:121], v[118:119], v[120:121], s[46:47]
	;; [unrolled: 1-line block ×6, first 2 shown]
	v_ldexp_f64 v[122:123], v[6:7], 1
	v_mul_f64 v[6:7], v[6:7], v[118:119]
	v_mul_f64 v[6:7], v[6:7], v[120:121]
	v_add_f64 v[118:119], v[122:123], v[6:7]
	v_add_f64 v[120:121], v[118:119], -v[122:123]
	v_ldexp_f64 v[10:11], v[10:11], 1
	v_add_f64 v[6:7], v[6:7], -v[120:121]
	v_add_f64 v[6:7], v[10:11], v[6:7]
	v_add_f64 v[10:11], v[118:119], v[6:7]
	v_add_f64 v[118:119], v[10:11], -v[118:119]
	v_add_f64 v[6:7], v[6:7], -v[118:119]
	v_cvt_f64_i32_e32 v[118:119], v15
	v_mul_f64 v[120:121], v[118:119], s[56:57]
	v_fma_f64 v[122:123], v[118:119], s[56:57], -v[120:121]
	v_fmac_f64_e32 v[122:123], s[58:59], v[118:119]
	v_add_f64 v[118:119], v[120:121], v[122:123]
	v_add_f64 v[120:121], v[118:119], -v[120:121]
	v_add_f64 v[120:121], v[122:123], -v[120:121]
	v_add_f64 v[122:123], v[118:119], v[10:11]
	v_add_f64 v[124:125], v[122:123], -v[118:119]
	v_add_f64 v[126:127], v[122:123], -v[124:125]
	;; [unrolled: 1-line block ×4, first 2 shown]
	v_add_f64 v[10:11], v[10:11], v[118:119]
	v_add_f64 v[118:119], v[120:121], v[6:7]
	v_add_f64 v[124:125], v[118:119], -v[120:121]
	v_add_f64 v[126:127], v[118:119], -v[124:125]
	v_add_f64 v[10:11], v[118:119], v[10:11]
	v_add_f64 v[120:121], v[120:121], -v[126:127]
	v_add_f64 v[6:7], v[6:7], -v[124:125]
	v_add_f64 v[118:119], v[122:123], v[10:11]
	v_add_f64 v[6:7], v[6:7], v[120:121]
	v_add_f64 v[120:121], v[118:119], -v[122:123]
	v_add_f64 v[10:11], v[10:11], -v[120:121]
	v_add_f64 v[6:7], v[6:7], v[10:11]
	v_add_f64 v[6:7], v[118:119], v[6:7]
	v_cmp_class_f64_e64 vcc, v[2:3], s10
	v_cndmask_b32_e32 v15, v6, v2, vcc
	v_cndmask_b32_e32 v6, v7, v3, vcc
	v_cmp_neq_f64_e32 vcc, 0, v[2:3]
	v_cndmask_b32_e32 v3, v92, v6, vcc
	v_add_f64 v[6:7], v[8:9], 1.0
	v_add_f64 v[6:7], v[6:7], -1.0
	v_add_f64 v[118:119], v[6:7], s[76:77]
	v_div_scale_f64 v[10:11], s[0:1], v[118:119], v[118:119], s[78:79]
	v_rcp_f64_e32 v[120:121], v[10:11]
	v_cndmask_b32_e32 v2, 0, v15, vcc
	v_add_f64 v[2:3], v[4:5], v[2:3]
	v_fma_f64 v[4:5], v[82:83], v[8:9], v[80:81]
	v_fma_f64 v[122:123], -v[10:11], v[120:121], 1.0
	v_fmac_f64_e32 v[120:121], v[120:121], v[122:123]
	v_fma_f64 v[122:123], -v[10:11], v[120:121], 1.0
	v_fmac_f64_e32 v[120:121], v[120:121], v[122:123]
	v_div_scale_f64 v[122:123], vcc, s[78:79], v[118:119], s[78:79]
	v_mul_f64 v[124:125], v[122:123], v[120:121]
	v_fma_f64 v[122:123], -v[10:11], v[124:125], v[122:123]
	v_add_f64 v[10:11], v[6:7], s[80:81]
	v_div_scale_f64 v[126:127], s[0:1], v[10:11], v[10:11], s[82:83]
	v_rcp_f64_e32 v[128:129], v[126:127]
	v_div_fmas_f64 v[120:121], v[122:123], v[120:121], v[124:125]
	v_div_fixup_f64 v[118:119], v[120:121], v[118:119], s[78:79]
	v_add_f64 v[124:125], v[6:7], s[84:85]
	v_fma_f64 v[120:121], -v[126:127], v[128:129], 1.0
	v_fmac_f64_e32 v[128:129], v[128:129], v[120:121]
	v_fma_f64 v[120:121], -v[126:127], v[128:129], 1.0
	v_fmac_f64_e32 v[128:129], v[128:129], v[120:121]
	v_div_scale_f64 v[120:121], vcc, s[82:83], v[10:11], s[82:83]
	v_mul_f64 v[122:123], v[120:121], v[128:129]
	v_fma_f64 v[120:121], -v[126:127], v[122:123], v[120:121]
	v_div_scale_f64 v[126:127], s[0:1], v[124:125], v[124:125], s[86:87]
	v_rcp_f64_e32 v[130:131], v[126:127]
	v_div_fmas_f64 v[120:121], v[120:121], v[128:129], v[122:123]
	v_add_f64 v[118:119], v[118:119], 0
	v_div_fixup_f64 v[120:121], v[120:121], v[10:11], s[82:83]
	v_add_f64 v[118:119], v[120:121], v[118:119]
	v_fma_f64 v[120:121], -v[126:127], v[130:131], 1.0
	v_fmac_f64_e32 v[130:131], v[130:131], v[120:121]
	v_fma_f64 v[120:121], -v[126:127], v[130:131], 1.0
	v_fmac_f64_e32 v[130:131], v[130:131], v[120:121]
	v_div_scale_f64 v[120:121], vcc, s[86:87], v[124:125], s[86:87]
	v_mul_f64 v[122:123], v[120:121], v[130:131]
	v_fma_f64 v[120:121], -v[126:127], v[122:123], v[120:121]
	v_add_f64 v[126:127], v[6:7], s[88:89]
	v_div_scale_f64 v[128:129], s[0:1], v[126:127], v[126:127], s[90:91]
	v_rcp_f64_e32 v[132:133], v[128:129]
	v_div_fmas_f64 v[120:121], v[120:121], v[130:131], v[122:123]
	v_div_fixup_f64 v[120:121], v[120:121], v[124:125], s[86:87]
	v_add_f64 v[118:119], v[118:119], v[120:121]
	v_fma_f64 v[120:121], -v[128:129], v[132:133], 1.0
	v_fmac_f64_e32 v[132:133], v[132:133], v[120:121]
	v_fma_f64 v[120:121], -v[128:129], v[132:133], 1.0
	v_fmac_f64_e32 v[132:133], v[132:133], v[120:121]
	v_div_scale_f64 v[120:121], vcc, s[90:91], v[126:127], s[90:91]
	v_mul_f64 v[122:123], v[120:121], v[132:133]
	v_add_f64 v[124:125], v[6:7], 4.0
	v_fma_f64 v[120:121], -v[128:129], v[122:123], v[120:121]
	v_div_scale_f64 v[128:129], s[0:1], v[124:125], v[124:125], s[92:93]
	v_rcp_f64_e32 v[130:131], v[128:129]
	v_div_fmas_f64 v[120:121], v[120:121], v[132:133], v[122:123]
	v_div_fixup_f64 v[120:121], v[120:121], v[126:127], s[90:91]
	v_add_f64 v[118:119], v[120:121], v[118:119]
	v_fma_f64 v[120:121], -v[128:129], v[130:131], 1.0
	v_fmac_f64_e32 v[130:131], v[130:131], v[120:121]
	v_fma_f64 v[120:121], -v[128:129], v[130:131], 1.0
	v_fmac_f64_e32 v[130:131], v[130:131], v[120:121]
	v_div_scale_f64 v[120:121], vcc, s[92:93], v[124:125], s[92:93]
	v_mul_f64 v[122:123], v[120:121], v[130:131]
	v_add_f64 v[126:127], v[6:7], s[34:35]
	v_fma_f64 v[120:121], -v[128:129], v[122:123], v[120:121]
	v_div_scale_f64 v[128:129], s[0:1], v[126:127], v[126:127], s[94:95]
	v_rcp_f64_e32 v[132:133], v[128:129]
	v_div_fmas_f64 v[120:121], v[120:121], v[130:131], v[122:123]
	v_div_fixup_f64 v[120:121], v[120:121], v[124:125], s[92:93]
	v_add_f64 v[118:119], v[118:119], v[120:121]
	v_fma_f64 v[120:121], -v[128:129], v[132:133], 1.0
	v_fmac_f64_e32 v[132:133], v[132:133], v[120:121]
	v_fma_f64 v[120:121], -v[128:129], v[132:133], 1.0
	v_fmac_f64_e32 v[132:133], v[132:133], v[120:121]
	v_div_scale_f64 v[120:121], vcc, s[94:95], v[126:127], s[94:95]
	v_mul_f64 v[122:123], v[120:121], v[132:133]
	v_add_f64 v[124:125], v[6:7], 2.0
	v_fma_f64 v[120:121], -v[128:129], v[122:123], v[120:121]
	v_div_scale_f64 v[128:129], s[0:1], v[124:125], v[124:125], s[30:31]
	v_rcp_f64_e32 v[130:131], v[128:129]
	v_div_fmas_f64 v[120:121], v[120:121], v[132:133], v[122:123]
	v_div_fixup_f64 v[120:121], v[120:121], v[126:127], s[94:95]
	v_add_f64 v[118:119], v[120:121], v[118:119]
	v_fma_f64 v[120:121], -v[128:129], v[130:131], 1.0
	v_fmac_f64_e32 v[130:131], v[130:131], v[120:121]
	v_fma_f64 v[120:121], -v[128:129], v[130:131], 1.0
	v_fmac_f64_e32 v[130:131], v[130:131], v[120:121]
	v_div_scale_f64 v[120:121], vcc, s[30:31], v[124:125], s[30:31]
	v_mul_f64 v[122:123], v[120:121], v[130:131]
	v_add_f64 v[126:127], v[6:7], 1.0
	v_fma_f64 v[120:121], -v[128:129], v[122:123], v[120:121]
	v_div_scale_f64 v[128:129], s[0:1], v[126:127], v[126:127], s[26:27]
	v_rcp_f64_e32 v[132:133], v[128:129]
	v_div_fmas_f64 v[120:121], v[120:121], v[130:131], v[122:123]
	v_div_fixup_f64 v[120:121], v[120:121], v[124:125], s[30:31]
	v_add_f64 v[118:119], v[118:119], v[120:121]
	v_fma_f64 v[120:121], -v[128:129], v[132:133], 1.0
	v_fmac_f64_e32 v[132:133], v[132:133], v[120:121]
	v_fma_f64 v[120:121], -v[128:129], v[132:133], 1.0
	v_fmac_f64_e32 v[132:133], v[132:133], v[120:121]
	v_div_scale_f64 v[120:121], vcc, s[26:27], v[126:127], s[26:27]
	v_mul_f64 v[122:123], v[120:121], v[132:133]
	v_fma_f64 v[120:121], -v[128:129], v[122:123], v[120:121]
	v_add_f64 v[10:11], v[10:11], 0.5
	s_nop 0
	v_div_fmas_f64 v[120:121], v[120:121], v[132:133], v[122:123]
	v_div_fixup_f64 v[120:121], v[120:121], v[126:127], s[26:27]
	v_add_f64 v[118:119], v[120:121], v[118:119]
	v_add_f64 v[118:119], v[118:119], s[28:29]
	v_frexp_mant_f64_e32 v[120:121], v[118:119]
	v_cmp_gt_f64_e32 vcc, s[40:41], v[120:121]
	v_cndmask_b32_e64 v15, v90, 2.0, vcc
	v_mul_f64 v[120:121], v[120:121], v[14:15]
	v_add_f64 v[122:123], v[120:121], 1.0
	v_rcp_f64_e32 v[124:125], v[122:123]
	v_add_f64 v[128:129], v[122:123], -1.0
	v_add_f64 v[126:127], v[120:121], -1.0
	v_add_f64 v[120:121], v[120:121], -v[128:129]
	v_fma_f64 v[128:129], -v[122:123], v[124:125], 1.0
	v_fmac_f64_e32 v[124:125], v[128:129], v[124:125]
	v_fma_f64 v[128:129], -v[122:123], v[124:125], 1.0
	v_fmac_f64_e32 v[124:125], v[128:129], v[124:125]
	v_mul_f64 v[128:129], v[126:127], v[124:125]
	v_mul_f64 v[130:131], v[122:123], v[128:129]
	v_fma_f64 v[122:123], v[128:129], v[122:123], -v[130:131]
	v_fmac_f64_e32 v[122:123], v[128:129], v[120:121]
	v_add_f64 v[120:121], v[130:131], v[122:123]
	v_add_f64 v[132:133], v[126:127], -v[120:121]
	v_add_f64 v[130:131], v[120:121], -v[130:131]
	;; [unrolled: 1-line block ×5, first 2 shown]
	v_add_f64 v[120:121], v[122:123], v[120:121]
	v_add_f64 v[120:121], v[132:133], v[120:121]
	v_mul_f64 v[120:121], v[124:125], v[120:121]
	v_add_f64 v[122:123], v[128:129], v[120:121]
	v_add_f64 v[124:125], v[122:123], -v[128:129]
	v_add_f64 v[120:121], v[120:121], -v[124:125]
	v_mul_f64 v[124:125], v[122:123], v[122:123]
	v_fma_f64 v[126:127], s[44:45], v[124:125], v[0:1]
	v_fma_f64 v[126:127], v[124:125], v[126:127], s[46:47]
	;; [unrolled: 1-line block ×6, first 2 shown]
	v_ldexp_f64 v[128:129], v[122:123], 1
	v_mul_f64 v[122:123], v[122:123], v[124:125]
	v_mul_f64 v[122:123], v[122:123], v[126:127]
	v_add_f64 v[124:125], v[128:129], v[122:123]
	v_add_f64 v[126:127], v[124:125], -v[128:129]
	v_ldexp_f64 v[120:121], v[120:121], 1
	v_add_f64 v[122:123], v[122:123], -v[126:127]
	v_add_f64 v[120:121], v[120:121], v[122:123]
	v_frexp_exp_i32_f64_e32 v117, v[118:119]
	v_add_f64 v[122:123], v[124:125], v[120:121]
	v_subbrev_co_u32_e32 v15, vcc, 0, v117, vcc
	v_add_f64 v[124:125], v[122:123], -v[124:125]
	v_add_f64 v[120:121], v[120:121], -v[124:125]
	v_cvt_f64_i32_e32 v[124:125], v15
	v_mul_f64 v[126:127], v[124:125], s[56:57]
	v_fma_f64 v[128:129], v[124:125], s[56:57], -v[126:127]
	v_fmac_f64_e32 v[128:129], s[58:59], v[124:125]
	v_add_f64 v[124:125], v[126:127], v[128:129]
	v_add_f64 v[126:127], v[124:125], -v[126:127]
	v_add_f64 v[126:127], v[128:129], -v[126:127]
	v_add_f64 v[128:129], v[124:125], v[122:123]
	v_add_f64 v[130:131], v[128:129], -v[124:125]
	v_add_f64 v[132:133], v[128:129], -v[130:131]
	;; [unrolled: 1-line block ×4, first 2 shown]
	v_add_f64 v[122:123], v[122:123], v[124:125]
	v_add_f64 v[124:125], v[126:127], v[120:121]
	v_add_f64 v[130:131], v[124:125], -v[126:127]
	v_add_f64 v[132:133], v[124:125], -v[130:131]
	v_add_f64 v[122:123], v[124:125], v[122:123]
	v_add_f64 v[126:127], v[126:127], -v[132:133]
	v_add_f64 v[120:121], v[120:121], -v[130:131]
	v_add_f64 v[124:125], v[128:129], v[122:123]
	v_add_f64 v[120:121], v[120:121], v[126:127]
	v_add_f64 v[126:127], v[124:125], -v[128:129]
	v_add_f64 v[122:123], v[122:123], -v[126:127]
	v_add_f64 v[120:121], v[120:121], v[122:123]
	v_add_f64 v[120:121], v[124:125], v[120:121]
	v_cmp_class_f64_e64 vcc, v[118:119], s10
	v_div_scale_f64 v[122:123], s[0:1], s[24:25], s[24:25], v[10:11]
	v_cndmask_b32_e32 v121, v121, v119, vcc
	v_cndmask_b32_e32 v120, v120, v118, vcc
	v_rcp_f64_e32 v[124:125], v[122:123]
	v_add_f64 v[120:121], v[120:121], s[36:37]
	v_add_f64 v[120:121], v[120:121], s[2:3]
	v_cmp_ngt_f64_e32 vcc, 0, v[118:119]
	v_cndmask_b32_e32 v15, v91, v121, vcc
	v_cmp_nge_f64_e32 vcc, 0, v[118:119]
	v_cndmask_b32_e32 v120, 0, v120, vcc
	v_cmp_neq_f64_e32 vcc, 0, v[118:119]
	v_fma_f64 v[118:119], -v[122:123], v[124:125], 1.0
	v_fmac_f64_e32 v[124:125], v[124:125], v[118:119]
	v_fma_f64 v[118:119], -v[122:123], v[124:125], 1.0
	v_cndmask_b32_e32 v121, v92, v15, vcc
	v_fmac_f64_e32 v[124:125], v[124:125], v[118:119]
	v_div_scale_f64 v[118:119], vcc, v[10:11], s[24:25], v[10:11]
	v_mul_f64 v[126:127], v[118:119], v[124:125]
	v_fma_f64 v[118:119], -v[122:123], v[126:127], v[118:119]
	v_add_f64 v[6:7], v[6:7], 0.5
	s_nop 0
	v_div_fmas_f64 v[118:119], v[118:119], v[124:125], v[126:127]
	v_div_fixup_f64 v[10:11], v[118:119], s[24:25], v[10:11]
	v_frexp_mant_f64_e32 v[118:119], v[10:11]
	v_cmp_gt_f64_e32 vcc, s[40:41], v[118:119]
	v_cndmask_b32_e64 v15, v90, 2.0, vcc
	v_mul_f64 v[118:119], v[118:119], v[14:15]
	v_add_f64 v[122:123], v[118:119], 1.0
	v_rcp_f64_e32 v[124:125], v[122:123]
	v_add_f64 v[128:129], v[122:123], -1.0
	v_add_f64 v[126:127], v[118:119], -1.0
	v_add_f64 v[118:119], v[118:119], -v[128:129]
	v_fma_f64 v[128:129], -v[122:123], v[124:125], 1.0
	v_fmac_f64_e32 v[124:125], v[128:129], v[124:125]
	v_fma_f64 v[128:129], -v[122:123], v[124:125], 1.0
	v_fmac_f64_e32 v[124:125], v[128:129], v[124:125]
	v_mul_f64 v[128:129], v[126:127], v[124:125]
	v_mul_f64 v[130:131], v[122:123], v[128:129]
	v_fma_f64 v[122:123], v[128:129], v[122:123], -v[130:131]
	v_fmac_f64_e32 v[122:123], v[128:129], v[118:119]
	v_add_f64 v[118:119], v[130:131], v[122:123]
	v_add_f64 v[132:133], v[126:127], -v[118:119]
	v_add_f64 v[130:131], v[118:119], -v[130:131]
	;; [unrolled: 1-line block ×5, first 2 shown]
	v_add_f64 v[118:119], v[122:123], v[118:119]
	v_add_f64 v[118:119], v[132:133], v[118:119]
	v_mul_f64 v[118:119], v[124:125], v[118:119]
	v_add_f64 v[122:123], v[128:129], v[118:119]
	v_add_f64 v[124:125], v[122:123], -v[128:129]
	v_add_f64 v[118:119], v[118:119], -v[124:125]
	v_mul_f64 v[124:125], v[122:123], v[122:123]
	v_fmac_f64_e32 v[0:1], s[44:45], v[124:125]
	v_fma_f64 v[0:1], v[124:125], v[0:1], s[46:47]
	v_fma_f64 v[0:1], v[124:125], v[0:1], s[48:49]
	;; [unrolled: 1-line block ×5, first 2 shown]
	v_ldexp_f64 v[126:127], v[122:123], 1
	v_mul_f64 v[122:123], v[122:123], v[124:125]
	v_mul_f64 v[0:1], v[122:123], v[0:1]
	v_add_f64 v[122:123], v[126:127], v[0:1]
	v_add_f64 v[124:125], v[122:123], -v[126:127]
	v_ldexp_f64 v[118:119], v[118:119], 1
	v_add_f64 v[0:1], v[0:1], -v[124:125]
	v_add_f64 v[0:1], v[118:119], v[0:1]
	v_frexp_exp_i32_f64_e32 v117, v[10:11]
	v_add_f64 v[118:119], v[122:123], v[0:1]
	v_subbrev_co_u32_e32 v15, vcc, 0, v117, vcc
	v_add_f64 v[122:123], v[118:119], -v[122:123]
	v_add_f64 v[0:1], v[0:1], -v[122:123]
	v_cvt_f64_i32_e32 v[122:123], v15
	v_mul_f64 v[124:125], v[122:123], s[56:57]
	v_fma_f64 v[126:127], v[122:123], s[56:57], -v[124:125]
	v_fmac_f64_e32 v[126:127], s[58:59], v[122:123]
	v_add_f64 v[122:123], v[124:125], v[126:127]
	v_add_f64 v[124:125], v[122:123], -v[124:125]
	v_add_f64 v[124:125], v[126:127], -v[124:125]
	v_add_f64 v[126:127], v[122:123], v[118:119]
	v_add_f64 v[128:129], v[126:127], -v[122:123]
	v_add_f64 v[130:131], v[126:127], -v[128:129]
	;; [unrolled: 1-line block ×4, first 2 shown]
	v_add_f64 v[118:119], v[118:119], v[122:123]
	v_add_f64 v[122:123], v[124:125], v[0:1]
	v_add_f64 v[128:129], v[122:123], -v[124:125]
	v_add_f64 v[130:131], v[122:123], -v[128:129]
	v_add_f64 v[118:119], v[122:123], v[118:119]
	v_add_f64 v[124:125], v[124:125], -v[130:131]
	v_add_f64 v[0:1], v[0:1], -v[128:129]
	v_add_f64 v[122:123], v[126:127], v[118:119]
	v_add_f64 v[0:1], v[0:1], v[124:125]
	v_add_f64 v[124:125], v[122:123], -v[126:127]
	v_add_f64 v[118:119], v[118:119], -v[124:125]
	v_add_f64 v[0:1], v[0:1], v[118:119]
	v_add_f64 v[0:1], v[122:123], v[0:1]
	v_cmp_class_f64_e64 vcc, v[10:11], s10
	v_cndmask_b32_e32 v0, v0, v10, vcc
	v_cndmask_b32_e32 v1, v1, v11, vcc
	v_cmp_ngt_f64_e32 vcc, 0, v[10:11]
	v_cndmask_b32_e32 v1, v91, v1, vcc
	v_cmp_nge_f64_e32 vcc, 0, v[10:11]
	v_cndmask_b32_e32 v0, 0, v0, vcc
	v_cmp_neq_f64_e32 vcc, 0, v[10:11]
	v_cndmask_b32_e32 v1, v92, v1, vcc
	v_fmac_f64_e32 v[120:121], v[6:7], v[0:1]
	v_add_f64 v[0:1], v[4:5], -v[120:121]
	v_cvt_u32_f64_e32 v4, v[8:9]
	v_cmp_le_f64_e32 vcc, v[2:3], v[0:1]
	v_cndmask_b32_e64 v118, 0, 1, vcc
	v_cndmask_b32_e32 v75, v75, v4, vcc
	v_mov_b32_e32 v117, v116
.LBB65_31:                              ;   in Loop: Header=BB65_21 Depth=2
	s_or_b64 exec, exec, s[20:21]
	v_cmp_gt_i32_e32 vcc, 2, v118
	s_or_b64 s[14:15], vcc, s[14:15]
	v_mov_b32_e32 v15, v117
	v_mov_b32_e32 v0, v87
	;; [unrolled: 1-line block ×5, first 2 shown]
	s_andn2_b64 exec, exec, s[14:15]
	s_cbranch_execnz .LBB65_21
; %bb.32:                               ;   in Loop: Header=BB65_21 Depth=2
	s_or_b64 exec, exec, s[14:15]
	v_cmp_ne_u32_e32 vcc, 0, v118
	s_or_b64 s[12:13], vcc, s[12:13]
	s_mov_b64 s[14:15], 0
	v_mov_b32_e32 v15, v117
	v_mov_b32_e32 v0, v87
	;; [unrolled: 1-line block ×5, first 2 shown]
	s_andn2_b64 exec, exec, s[12:13]
	s_cbranch_execnz .LBB65_21
; %bb.33:                               ;   in Loop: Header=BB65_5 Depth=1
	s_or_b64 exec, exec, s[12:13]
	v_readlane_b32 s20, v134, 21
	v_readlane_b32 s21, v134, 22
                                        ; implicit-def: $vgpr4_vgpr5
                                        ; implicit-def: $vgpr72_vgpr73
                                        ; implicit-def: $vgpr15
                                        ; implicit-def: $vgpr96
                                        ; implicit-def: $vgpr97
                                        ; implicit-def: $vgpr105
                                        ; implicit-def: $vgpr95
                                        ; implicit-def: $vgpr3
                                        ; implicit-def: $vgpr98
                                        ; implicit-def: $vgpr99
                                        ; implicit-def: $vgpr100
                                        ; implicit-def: $vgpr101
                                        ; implicit-def: $vgpr103
                                        ; implicit-def: $vgpr104
                                        ; implicit-def: $vgpr106
                                        ; implicit-def: $vgpr107
                                        ; implicit-def: $vgpr108
                                        ; implicit-def: $vgpr109
                                        ; implicit-def: $vgpr110
                                        ; implicit-def: $vgpr111
                                        ; implicit-def: $vgpr112
                                        ; implicit-def: $vgpr113
                                        ; implicit-def: $vgpr102
                                        ; implicit-def: $vgpr114
.LBB65_34:                              ;   in Loop: Header=BB65_5 Depth=1
	s_andn2_saveexec_b64 s[6:7], s[6:7]
	s_cbranch_execz .LBB65_46
; %bb.35:                               ;   in Loop: Header=BB65_5 Depth=1
	v_add_co_u32_e32 v6, vcc, 1, v96
	v_cndmask_b32_e64 v7, 0, 1, vcc
	v_addc_co_u32_e32 v10, vcc, 0, v97, vcc
	v_cmp_eq_u32_e32 vcc, 0, v10
	v_cndmask_b32_e32 v7, 0, v7, vcc
	v_add_u32_e32 v8, v7, v17
	v_cmp_eq_u32_e32 vcc, 0, v8
	v_cndmask_b32_e32 v11, 0, v7, vcc
	v_mad_u64_u32 v[6:7], s[0:1], v6, s9, 0
	v_mad_u64_u32 v[8:9], s[0:1], v8, s8, 0
	v_xor_b32_e32 v7, v7, v73
	v_xor_b32_e32 v9, v9, v72
	v_xor_b32_e32 v7, v11, v7
	v_xor_b32_e32 v9, v10, v9
	v_mad_u64_u32 v[72:73], s[0:1], v7, s8, 0
	v_mad_u64_u32 v[10:11], s[0:1], v9, s9, 0
	v_xor_b32_e32 v7, v98, v73
	v_xor_b32_e32 v7, v7, v8
	v_xor_b32_e32 v8, v99, v11
	v_xor_b32_e32 v8, v8, v6
	;; [unrolled: 6-line block ×8, first 2 shown]
	v_mad_u64_u32 v[74:75], s[0:1], v7, s9, 0
	v_mad_u64_u32 v[8:9], s[0:1], v6, s8, 0
	v_xor_b32_e32 v6, v114, v75
	v_xor_b32_e32 v6, v6, v10
	v_mad_u64_u32 v[6:7], s[0:1], v6, s8, 0
	v_xor_b32_e32 v7, v7, v8
	v_xor_b32_e32 v10, v105, v7
	v_cmp_lt_i32_e32 vcc, 1, v15
                                        ; implicit-def: $vgpr8
	s_and_saveexec_b64 s[0:1], vcc
	s_xor_b64 s[0:1], exec, s[0:1]
	s_cbranch_execz .LBB65_41
; %bb.36:                               ;   in Loop: Header=BB65_5 Depth=1
	v_cmp_lt_i32_e32 vcc, 2, v15
                                        ; implicit-def: $vgpr8
	s_and_saveexec_b64 s[12:13], vcc
	s_xor_b64 s[12:13], exec, s[12:13]
; %bb.37:                               ;   in Loop: Header=BB65_5 Depth=1
	v_xor_b32_e32 v0, v102, v9
	v_xor_b32_e32 v0, v0, v72
	v_mul_hi_u32 v0, v0, s9
	v_xor_b32_e32 v0, v0, v74
	v_xor_b32_e32 v8, v95, v0
; %bb.38:                               ;   in Loop: Header=BB65_5 Depth=1
	s_andn2_saveexec_b64 s[12:13], s[12:13]
; %bb.39:                               ;   in Loop: Header=BB65_5 Depth=1
	v_mov_b32_e32 v8, v6
	v_mov_b32_e32 v6, v10
	;; [unrolled: 1-line block ×4, first 2 shown]
; %bb.40:                               ;   in Loop: Header=BB65_5 Depth=1
	s_or_b64 exec, exec, s[12:13]
                                        ; implicit-def: $vgpr15
.LBB65_41:                              ;   in Loop: Header=BB65_5 Depth=1
	s_andn2_saveexec_b64 s[0:1], s[0:1]
	s_cbranch_execz .LBB65_45
; %bb.42:                               ;   in Loop: Header=BB65_5 Depth=1
	v_cmp_eq_u32_e32 vcc, 1, v15
	v_mov_b32_e32 v8, v3
	v_mov_b32_e32 v6, v2
	;; [unrolled: 1-line block ×3, first 2 shown]
	s_and_saveexec_b64 s[12:13], vcc
; %bb.43:                               ;   in Loop: Header=BB65_5 Depth=1
	v_mov_b32_e32 v8, v10
	v_mov_b32_e32 v6, v3
	;; [unrolled: 1-line block ×4, first 2 shown]
; %bb.44:                               ;   in Loop: Header=BB65_5 Depth=1
	s_or_b64 exec, exec, s[12:13]
	v_mov_b32_e32 v3, v0
	v_mov_b32_e32 v10, v7
.LBB65_45:                              ;   in Loop: Header=BB65_5 Depth=1
	s_or_b64 exec, exec, s[0:1]
	v_mov_b32_e32 v11, v14
	v_lshlrev_b64 v[0:1], 21, v[10:11]
	v_xor_b32_e32 v2, v0, v3
	v_cvt_f64_u32_e32 v[0:1], v1
	v_ldexp_f64 v[0:1], v[0:1], 32
	v_cvt_f64_u32_e32 v[2:3], v2
	v_add_f64 v[0:1], v[0:1], v[2:3]
	v_mov_b32_e32 v2, 0
	v_mov_b32_e32 v3, 0x3ca00000
	v_fmac_f64_e32 v[2:3], 0x3ca00000, v[0:1]
	v_mov_b32_e32 v9, v14
	v_lshlrev_b64 v[0:1], 21, v[8:9]
	v_frexp_mant_f64_e32 v[8:9], v[2:3]
	v_cmp_gt_f64_e32 vcc, s[40:41], v[8:9]
	v_cndmask_b32_e64 v15, v90, 2.0, vcc
	v_frexp_exp_i32_f64_e32 v10, v[2:3]
	v_mul_f64 v[8:9], v[8:9], v[14:15]
	v_subbrev_co_u32_e32 v15, vcc, 0, v10, vcc
	v_add_f64 v[10:11], v[8:9], 1.0
	v_rcp_f64_e32 v[72:73], v[10:11]
	v_add_f64 v[76:77], v[10:11], -1.0
	v_add_f64 v[74:75], v[8:9], -1.0
	v_add_f64 v[8:9], v[8:9], -v[76:77]
	v_fma_f64 v[76:77], -v[10:11], v[72:73], 1.0
	v_fmac_f64_e32 v[72:73], v[76:77], v[72:73]
	v_fma_f64 v[76:77], -v[10:11], v[72:73], 1.0
	v_fmac_f64_e32 v[72:73], v[76:77], v[72:73]
	v_mul_f64 v[76:77], v[74:75], v[72:73]
	v_mul_f64 v[78:79], v[10:11], v[76:77]
	v_fma_f64 v[10:11], v[76:77], v[10:11], -v[78:79]
	v_fmac_f64_e32 v[10:11], v[76:77], v[8:9]
	v_add_f64 v[8:9], v[78:79], v[10:11]
	v_add_f64 v[80:81], v[74:75], -v[8:9]
	v_add_f64 v[78:79], v[8:9], -v[78:79]
	;; [unrolled: 1-line block ×5, first 2 shown]
	v_add_f64 v[8:9], v[10:11], v[8:9]
	v_add_f64 v[8:9], v[80:81], v[8:9]
	v_mul_f64 v[8:9], v[72:73], v[8:9]
	v_add_f64 v[10:11], v[76:77], v[8:9]
	v_add_f64 v[72:73], v[10:11], -v[76:77]
	v_add_f64 v[8:9], v[8:9], -v[72:73]
	v_mul_f64 v[72:73], v[10:11], v[10:11]
	v_pk_mov_b32 v[74:75], v[18:19], v[18:19] op_sel:[0,1]
	v_fmac_f64_e32 v[74:75], s[44:45], v[72:73]
	v_pk_mov_b32 v[76:77], v[20:21], v[20:21] op_sel:[0,1]
	v_fmac_f64_e32 v[76:77], v[72:73], v[74:75]
	;; [unrolled: 2-line block ×6, first 2 shown]
	v_ldexp_f64 v[74:75], v[10:11], 1
	v_mul_f64 v[10:11], v[10:11], v[72:73]
	v_mul_f64 v[10:11], v[10:11], v[76:77]
	v_add_f64 v[72:73], v[74:75], v[10:11]
	v_add_f64 v[74:75], v[72:73], -v[74:75]
	v_ldexp_f64 v[8:9], v[8:9], 1
	v_add_f64 v[10:11], v[10:11], -v[74:75]
	v_add_f64 v[8:9], v[8:9], v[10:11]
	v_add_f64 v[10:11], v[72:73], v[8:9]
	v_add_f64 v[72:73], v[10:11], -v[72:73]
	v_add_f64 v[8:9], v[8:9], -v[72:73]
	v_cvt_f64_i32_e32 v[72:73], v15
	v_mul_f64 v[74:75], v[72:73], s[56:57]
	v_fma_f64 v[76:77], v[72:73], s[56:57], -v[74:75]
	v_fmac_f64_e32 v[76:77], s[58:59], v[72:73]
	v_add_f64 v[72:73], v[74:75], v[76:77]
	v_add_f64 v[74:75], v[72:73], -v[74:75]
	v_add_f64 v[74:75], v[76:77], -v[74:75]
	v_add_f64 v[76:77], v[72:73], v[10:11]
	v_add_f64 v[78:79], v[76:77], -v[72:73]
	v_add_f64 v[80:81], v[76:77], -v[78:79]
	;; [unrolled: 1-line block ×4, first 2 shown]
	v_add_f64 v[10:11], v[10:11], v[72:73]
	v_add_f64 v[72:73], v[74:75], v[8:9]
	v_add_f64 v[78:79], v[72:73], -v[74:75]
	v_add_f64 v[80:81], v[72:73], -v[78:79]
	v_add_f64 v[10:11], v[72:73], v[10:11]
	v_add_f64 v[74:75], v[74:75], -v[80:81]
	v_add_f64 v[8:9], v[8:9], -v[78:79]
	v_add_f64 v[72:73], v[76:77], v[10:11]
	v_add_f64 v[8:9], v[8:9], v[74:75]
	v_add_f64 v[74:75], v[72:73], -v[76:77]
	v_add_f64 v[10:11], v[10:11], -v[74:75]
	s_mov_b32 s14, 0
	v_add_f64 v[8:9], v[8:9], v[10:11]
	s_mov_b32 s15, 0x7ff00000
	v_add_f64 v[8:9], v[72:73], v[8:9]
	v_cmp_eq_f64_e32 vcc, s[14:15], v[2:3]
	v_cndmask_b32_e32 v9, v9, v3, vcc
	v_cndmask_b32_e32 v8, v8, v2, vcc
	v_mul_f64 v[8:9], v[8:9], -2.0
	v_cmp_neq_f64_e32 vcc, 0, v[2:3]
	s_mov_b32 s0, 0
	v_cndmask_b32_e32 v3, v93, v9, vcc
	v_cndmask_b32_e32 v2, 0, v8, vcc
	s_brev_b32 s1, 8
	v_cmp_gt_f64_e32 vcc, s[0:1], v[2:3]
	v_cndmask_b32_e64 v8, 0, 1, vcc
	v_lshlrev_b32_e32 v8, 8, v8
	v_ldexp_f64 v[2:3], v[2:3], v8
	v_xor_b32_e32 v6, v0, v6
	v_cvt_f64_u32_e32 v[0:1], v1
	v_rsq_f64_e32 v[8:9], v[2:3]
	v_ldexp_f64 v[0:1], v[0:1], 32
	v_cvt_f64_u32_e32 v[6:7], v6
	v_add_f64 v[0:1], v[0:1], v[6:7]
	v_mov_b32_e32 v6, 0
	v_mov_b32_e32 v7, 0x3cb00000
	v_fmac_f64_e32 v[6:7], 0x3cb00000, v[0:1]
	v_mul_f64 v[0:1], v[2:3], v[8:9]
	v_mul_f64 v[8:9], v[8:9], 0.5
	v_fma_f64 v[10:11], -v[8:9], v[0:1], 0.5
	v_fmac_f64_e32 v[0:1], v[0:1], v[10:11]
	v_fma_f64 v[72:73], -v[0:1], v[0:1], v[2:3]
	v_fmac_f64_e32 v[8:9], v[8:9], v[10:11]
	v_fmac_f64_e32 v[0:1], v[72:73], v[8:9]
	v_fma_f64 v[10:11], -v[0:1], v[0:1], v[2:3]
	v_fmac_f64_e32 v[0:1], v[10:11], v[8:9]
	v_cndmask_b32_e32 v8, 0, v89, vcc
	v_ldexp_f64 v[0:1], v[0:1], v8
	v_cmp_class_f64_e32 vcc, v[2:3], v88
	v_cndmask_b32_e32 v1, v1, v3, vcc
	v_cndmask_b32_e32 v0, v0, v2, vcc
	v_mul_f64 v[2:3], v[6:7], 0.5
	v_fract_f64_e32 v[8:9], v[2:3]
	v_add_f64 v[8:9], v[8:9], v[8:9]
	v_cmp_neq_f64_e32 vcc, s[14:15], v[2:3]
	v_cndmask_b32_e32 v2, 0, v8, vcc
	v_cndmask_b32_e32 v3, 0, v9, vcc
	v_cmp_lt_f64_e32 vcc, 1.0, v[6:7]
	v_cndmask_b32_e32 v3, v7, v3, vcc
	v_cndmask_b32_e32 v2, v6, v2, vcc
	v_add_f64 v[8:9], v[2:3], v[2:3]
	v_rndne_f64_e32 v[8:9], v[8:9]
	v_fmac_f64_e32 v[2:3], -0.5, v[8:9]
	s_mov_b32 s12, 0xf99eb0bb
	v_cvt_i32_f64_e32 v15, v[8:9]
	v_mul_f64 v[8:9], v[2:3], v[2:3]
	v_pk_mov_b32 v[10:11], v[48:49], v[48:49] op_sel:[0,1]
	s_mov_b32 s13, 0x3f3e357e
	v_fmac_f64_e32 v[10:11], s[12:13], v[8:9]
	v_pk_mov_b32 v[72:73], v[50:51], v[50:51] op_sel:[0,1]
	v_fmac_f64_e32 v[72:73], v[8:9], v[10:11]
	v_pk_mov_b32 v[10:11], v[52:53], v[52:53] op_sel:[0,1]
	;; [unrolled: 2-line block ×4, first 2 shown]
	v_fmac_f64_e32 v[10:11], v[8:9], v[72:73]
	v_mul_f64 v[72:73], v[2:3], v[8:9]
	s_mov_b32 s12, 0x54442d18
	v_mul_f64 v[10:11], v[72:73], v[10:11]
	s_mov_b32 s13, 0x400921fb
	v_fmac_f64_e32 v[10:11], s[12:13], v[2:3]
	s_mov_b32 s12, 0x2e21c33
	v_pk_mov_b32 v[2:3], v[58:59], v[58:59] op_sel:[0,1]
	s_mov_b32 s13, 0xbf1b1673
	v_fmac_f64_e32 v[2:3], s[12:13], v[8:9]
	v_pk_mov_b32 v[72:73], v[60:61], v[60:61] op_sel:[0,1]
	v_fmac_f64_e32 v[72:73], v[8:9], v[2:3]
	v_pk_mov_b32 v[2:3], v[62:63], v[62:63] op_sel:[0,1]
	;; [unrolled: 2-line block ×5, first 2 shown]
	v_fmac_f64_e32 v[72:73], v[8:9], v[2:3]
	v_fma_f64 v[2:3], v[8:9], v[72:73], 1.0
	v_and_b32_e32 v9, 1, v15
	v_lshlrev_b32_e32 v8, 30, v15
	v_cmp_eq_u32_e32 vcc, 0, v9
	v_cndmask_b32_e32 v10, v2, v10, vcc
	v_cndmask_b32_e32 v2, v3, v11, vcc
	v_xor_b32_e32 v3, v8, v7
	v_and_b32_e32 v3, 0x80000000, v3
	v_cmp_gt_f64_e32 vcc, s[0:1], v[4:5]
	v_xor_b32_e32 v11, v2, v3
	v_cndmask_b32_e64 v2, 0, 1, vcc
	v_lshlrev_b32_e32 v2, 8, v2
	v_ldexp_f64 v[2:3], v[4:5], v2
	v_rsq_f64_e32 v[8:9], v[2:3]
	v_cmp_lg_f64_e64 s[0:1], s[14:15], v[6:7]
	v_cndmask_b32_e64 v6, 0, v10, s[0:1]
	v_cndmask_b32_e64 v7, v91, v11, s[0:1]
	v_mul_f64 v[0:1], v[0:1], v[6:7]
	v_mul_f64 v[6:7], v[2:3], v[8:9]
	v_mul_f64 v[8:9], v[8:9], 0.5
	v_fma_f64 v[10:11], -v[8:9], v[6:7], 0.5
	v_fmac_f64_e32 v[6:7], v[6:7], v[10:11]
	v_fma_f64 v[72:73], -v[6:7], v[6:7], v[2:3]
	v_fmac_f64_e32 v[8:9], v[8:9], v[10:11]
	v_fmac_f64_e32 v[6:7], v[72:73], v[8:9]
	v_fma_f64 v[10:11], -v[6:7], v[6:7], v[2:3]
	v_fmac_f64_e32 v[6:7], v[10:11], v[8:9]
	v_cndmask_b32_e32 v8, 0, v89, vcc
	v_ldexp_f64 v[6:7], v[6:7], v8
	v_cmp_class_f64_e32 vcc, v[2:3], v88
	v_cndmask_b32_e32 v3, v7, v3, vcc
	v_cndmask_b32_e32 v2, v6, v2, vcc
	v_fmac_f64_e32 v[4:5], v[2:3], v[0:1]
	v_trunc_f64_e32 v[0:1], v[4:5]
	v_add_f64 v[2:3], v[4:5], -v[0:1]
	v_cmp_ge_f64_e64 vcc, |v[2:3]|, 0.5
	v_cndmask_b32_e32 v2, 0, v90, vcc
	s_brev_b32 s0, -2
	v_bfi_b32 v15, s0, v2, v5
	v_add_f64 v[0:1], v[0:1], v[14:15]
	v_cvt_u32_f64_e32 v75, v[0:1]
.LBB65_46:                              ;   in Loop: Header=BB65_5 Depth=1
	s_or_b64 exec, exec, s[6:7]
                                        ; implicit-def: $vgpr4_vgpr5
                                        ; implicit-def: $vgpr72_vgpr73
                                        ; implicit-def: $vgpr15
                                        ; implicit-def: $vgpr96
                                        ; implicit-def: $vgpr97
                                        ; implicit-def: $vgpr105
                                        ; implicit-def: $vgpr95
                                        ; implicit-def: $vgpr3
                                        ; implicit-def: $vgpr98
                                        ; implicit-def: $vgpr99
                                        ; implicit-def: $vgpr100
                                        ; implicit-def: $vgpr101
                                        ; implicit-def: $vgpr103
                                        ; implicit-def: $vgpr104
                                        ; implicit-def: $vgpr106
                                        ; implicit-def: $vgpr107
                                        ; implicit-def: $vgpr108
                                        ; implicit-def: $vgpr109
                                        ; implicit-def: $vgpr110
                                        ; implicit-def: $vgpr111
                                        ; implicit-def: $vgpr112
                                        ; implicit-def: $vgpr113
                                        ; implicit-def: $vgpr102
                                        ; implicit-def: $vgpr114
.LBB65_47:                              ;   in Loop: Header=BB65_5 Depth=1
	s_andn2_saveexec_b64 s[6:7], s[16:17]
	s_cbranch_execz .LBB65_3
; %bb.48:                               ;   in Loop: Header=BB65_5 Depth=1
	v_readlane_b32 s0, v134, 19
	v_readlane_b32 s1, v134, 20
	s_mov_b32 s0, s62
	v_mul_f64 v[6:7], v[4:5], s[0:1]
	v_rndne_f64_e32 v[6:7], v[6:7]
	s_mov_b32 s64, s56
	v_fma_f64 v[10:11], v[6:7], s[64:65], -v[4:5]
	s_mov_b32 s66, s58
	v_fmac_f64_e32 v[10:11], s[66:67], v[6:7]
	v_pk_mov_b32 v[8:9], v[30:31], v[30:31] op_sel:[0,1]
	v_fmac_f64_e32 v[8:9], s[70:71], v[10:11]
	v_pk_mov_b32 v[74:75], v[32:33], v[32:33] op_sel:[0,1]
	;; [unrolled: 2-line block ×8, first 2 shown]
	s_mov_b32 s13, s1
	v_fmac_f64_e32 v[74:75], v[10:11], v[8:9]
	v_pk_mov_b32 v[76:77], v[46:47], v[46:47] op_sel:[0,1]
	s_mov_b32 s0, 0
	v_fmac_f64_e32 v[76:77], v[10:11], v[74:75]
	s_mov_b32 s1, 0xc0900000
	v_fma_f64 v[74:75], v[10:11], v[76:77], 1.0
	v_cmp_ngt_f64_e32 vcc, s[0:1], v[4:5]
	s_mov_b32 s0, 0
	v_fma_f64 v[10:11], v[10:11], v[74:75], 1.0
	v_cvt_i32_f64_e32 v6, v[6:7]
	s_mov_b32 s1, 0x4090cc00
	v_ldexp_f64 v[6:7], v[10:11], v6
	v_cmp_nlt_f64_e64 s[0:1], s[0:1], v[4:5]
	v_mov_b32_e32 v8, 0
	v_cndmask_b32_e32 v7, v93, v7, vcc
	s_and_b64 vcc, s[0:1], vcc
	v_writelane_b32 v134, s12, 19
	v_mov_b32_e32 v9, 0x3ff00000
	v_mov_b32_e32 v78, 0
	v_cndmask_b32_e64 v11, 0, v7, s[0:1]
	v_cndmask_b32_e32 v10, 0, v6, vcc
	s_mov_b32 s14, -1
	s_mov_b64 s[0:1], 0
	v_mov_b32_e32 v79, v17
	v_writelane_b32 v134, s13, 20
	s_branch .LBB65_50
.LBB65_49:                              ;   in Loop: Header=BB65_50 Depth=2
	s_or_b64 exec, exec, s[12:13]
	v_cmp_eq_u32_e32 vcc, 1, v15
	v_cndmask_b32_e32 v0, v0, v1, vcc
	v_cmp_eq_u32_e32 vcc, 2, v15
	v_cndmask_b32_e32 v0, v0, v2, vcc
	;; [unrolled: 2-line block ×6, first 2 shown]
	v_lshrrev_b32_e32 v0, 11, v0
	v_cvt_f64_u32_e32 v[0:1], v0
	v_ldexp_f64 v[0:1], v[0:1], 32
	v_cvt_f64_u32_e32 v[2:3], v2
	v_add_f64 v[0:1], v[0:1], v[2:3]
	v_mov_b32_e32 v2, 0
	v_mov_b32_e32 v3, 0x3ca00000
	v_fmac_f64_e32 v[2:3], 0x3ca00000, v[0:1]
	v_mul_f64 v[8:9], v[8:9], v[2:3]
	v_cmp_ngt_f64_e32 vcc, v[8:9], v[10:11]
	s_add_i32 s14, s14, 1
	s_or_b64 s[0:1], vcc, s[0:1]
	v_mov_b32_e32 v75, s14
	v_mov_b32_e32 v15, v81
	;; [unrolled: 1-line block ×6, first 2 shown]
	s_andn2_b64 exec, exec, s[0:1]
	s_cbranch_execz .LBB65_2
.LBB65_50:                              ;   Parent Loop BB65_5 Depth=1
                                        ; =>  This Inner Loop Header: Depth=2
	v_add_u32_e32 v80, 1, v15
	v_pk_mov_b32 v[6:7], v[2:3], v[2:3] op_sel:[0,1]
	v_cmp_eq_u32_e32 vcc, 4, v80
	v_pk_mov_b32 v[4:5], v[0:1], v[0:1] op_sel:[0,1]
	v_mov_b32_e32 v77, v0
	v_mov_b32_e32 v76, v1
	;; [unrolled: 1-line block ×4, first 2 shown]
	s_and_saveexec_b64 s[12:13], vcc
	s_cbranch_execz .LBB65_52
; %bb.51:                               ;   in Loop: Header=BB65_50 Depth=2
	v_add_co_u32_e32 v96, vcc, 1, v96
	v_cndmask_b32_e64 v4, 0, 1, vcc
	v_addc_co_u32_e32 v97, vcc, 0, v97, vcc
	v_cmp_eq_u32_e32 vcc, 0, v97
	v_cndmask_b32_e32 v4, 0, v4, vcc
	v_add_u32_e32 v79, v4, v79
	v_cmp_eq_u32_e32 vcc, 0, v79
	v_cndmask_b32_e32 v4, 0, v4, vcc
	v_add_u32_e32 v78, v4, v78
	v_mad_u64_u32 v[4:5], s[16:17], v96, s9, 0
	v_mad_u64_u32 v[6:7], s[16:17], v79, s8, 0
	v_xor_b32_e32 v5, v5, v73
	v_xor_b32_e32 v7, v7, v72
	v_xor_b32_e32 v5, v78, v5
	v_xor_b32_e32 v7, v97, v7
	v_mad_u64_u32 v[76:77], s[16:17], v5, s8, 0
	v_mad_u64_u32 v[74:75], s[16:17], v7, s9, 0
	v_xor_b32_e32 v5, v98, v77
	v_xor_b32_e32 v5, v5, v6
	v_xor_b32_e32 v6, v99, v75
	v_xor_b32_e32 v6, v6, v4
	;; [unrolled: 6-line block ×10, first 2 shown]
	v_mov_b32_e32 v80, 0
	v_mov_b32_e32 v5, v76
	;; [unrolled: 1-line block ×5, first 2 shown]
.LBB65_52:                              ;   in Loop: Header=BB65_50 Depth=2
	s_or_b64 exec, exec, s[12:13]
	v_add_u32_e32 v81, 1, v80
	v_cmp_eq_u32_e32 vcc, 4, v81
	s_and_saveexec_b64 s[12:13], vcc
	s_cbranch_execz .LBB65_49
; %bb.53:                               ;   in Loop: Header=BB65_50 Depth=2
	v_add_co_u32_e32 v96, vcc, 1, v96
	v_cndmask_b32_e64 v74, 0, 1, vcc
	v_addc_co_u32_e32 v97, vcc, 0, v97, vcc
	v_cmp_eq_u32_e32 vcc, 0, v97
	v_cndmask_b32_e32 v74, 0, v74, vcc
	v_add_u32_e32 v79, v74, v79
	v_cmp_eq_u32_e32 vcc, 0, v79
	v_cndmask_b32_e32 v74, 0, v74, vcc
	v_add_u32_e32 v78, v74, v78
	v_mad_u64_u32 v[74:75], s[16:17], v96, s9, 0
	v_mad_u64_u32 v[76:77], s[16:17], v79, s8, 0
	v_xor_b32_e32 v75, v75, v73
	v_xor_b32_e32 v77, v77, v72
	v_xor_b32_e32 v75, v78, v75
	v_xor_b32_e32 v77, v97, v77
	v_mad_u64_u32 v[84:85], s[16:17], v75, s8, 0
	v_mad_u64_u32 v[82:83], s[16:17], v77, s9, 0
	v_xor_b32_e32 v75, v98, v85
	v_xor_b32_e32 v75, v75, v76
	v_xor_b32_e32 v76, v99, v83
	v_xor_b32_e32 v76, v76, v74
	v_mad_u64_u32 v[74:75], s[16:17], v75, s9, 0
	v_mad_u64_u32 v[76:77], s[16:17], v76, s8, 0
	v_xor_b32_e32 v75, v101, v75
	v_xor_b32_e32 v77, v100, v77
	v_xor_b32_e32 v75, v75, v82
	v_xor_b32_e32 v77, v77, v84
	v_mad_u64_u32 v[84:85], s[16:17], v75, s8, 0
	v_mad_u64_u32 v[82:83], s[16:17], v77, s9, 0
	v_xor_b32_e32 v75, v103, v85
	v_xor_b32_e32 v75, v75, v76
	v_xor_b32_e32 v76, v104, v83
	v_xor_b32_e32 v76, v76, v74
	v_mad_u64_u32 v[74:75], s[16:17], v75, s9, 0
	v_mad_u64_u32 v[76:77], s[16:17], v76, s8, 0
	v_xor_b32_e32 v75, v107, v75
	v_xor_b32_e32 v77, v106, v77
	v_xor_b32_e32 v75, v75, v82
	v_xor_b32_e32 v77, v77, v84
	v_mad_u64_u32 v[84:85], s[16:17], v75, s8, 0
	v_mad_u64_u32 v[82:83], s[16:17], v77, s9, 0
	v_xor_b32_e32 v75, v108, v85
	v_xor_b32_e32 v75, v75, v76
	v_xor_b32_e32 v76, v109, v83
	v_xor_b32_e32 v76, v76, v74
	v_mad_u64_u32 v[74:75], s[16:17], v75, s9, 0
	v_mad_u64_u32 v[76:77], s[16:17], v76, s8, 0
	v_xor_b32_e32 v75, v111, v75
	v_xor_b32_e32 v77, v110, v77
	v_xor_b32_e32 v75, v75, v82
	v_xor_b32_e32 v77, v77, v84
	v_mad_u64_u32 v[84:85], s[16:17], v75, s8, 0
	v_mad_u64_u32 v[82:83], s[16:17], v77, s9, 0
	v_xor_b32_e32 v75, v112, v85
	v_xor_b32_e32 v75, v75, v76
	v_xor_b32_e32 v76, v113, v83
	v_xor_b32_e32 v74, v76, v74
	v_mad_u64_u32 v[86:87], s[16:17], v75, s9, 0
	v_mad_u64_u32 v[116:117], s[16:17], v74, s8, 0
	v_xor_b32_e32 v74, v102, v117
	v_xor_b32_e32 v75, v114, v87
	v_xor_b32_e32 v74, v74, v84
	v_xor_b32_e32 v76, v75, v82
	v_mad_u64_u32 v[74:75], s[16:17], v74, s9, 0
	v_mad_u64_u32 v[76:77], s[16:17], v76, s8, 0
	v_xor_b32_e32 v77, v77, v116
	v_xor_b32_e32 v75, v75, v86
	v_mov_b32_e32 v81, 0
	v_xor_b32_e32 v77, v105, v77
	v_xor_b32_e32 v82, v95, v75
	s_branch .LBB65_49
.LBB65_54:
	s_or_b64 exec, exec, s[18:19]
	s_and_saveexec_b64 s[0:1], s[60:61]
	s_xor_b64 s[0:1], exec, s[0:1]
	s_cbranch_execnz .LBB65_56
.LBB65_55:
	s_endpgm
.LBB65_56:
	s_trap 2
	; divergent unreachable
	s_endpgm
	.section	.rodata,"a",@progbits
	.p2align	6, 0x0
	.amdhsa_kernel _ZN2at4cuda12_GLOBAL__N_121kernelPointwiseApply2IZN12_GLOBAL__N_119poisson_cuda_kernelIdEEvRKNS_10TensorBaseES7_NS_15PhiloxCudaStateEEUlRdRKdE_ddjLin1ELin1ELi1ELi512ELi2EEEvNS0_6detail10TensorInfoIT0_T2_EENSE_IT1_SG_EESG_T_
		.amdhsa_group_segment_fixed_size 0
		.amdhsa_private_segment_fixed_size 0
		.amdhsa_kernarg_size 728
		.amdhsa_user_sgpr_count 6
		.amdhsa_user_sgpr_private_segment_buffer 1
		.amdhsa_user_sgpr_dispatch_ptr 0
		.amdhsa_user_sgpr_queue_ptr 0
		.amdhsa_user_sgpr_kernarg_segment_ptr 1
		.amdhsa_user_sgpr_dispatch_id 0
		.amdhsa_user_sgpr_flat_scratch_init 0
		.amdhsa_user_sgpr_kernarg_preload_length 0
		.amdhsa_user_sgpr_kernarg_preload_offset 0
		.amdhsa_user_sgpr_private_segment_size 0
		.amdhsa_uses_dynamic_stack 0
		.amdhsa_system_sgpr_private_segment_wavefront_offset 0
		.amdhsa_system_sgpr_workgroup_id_x 1
		.amdhsa_system_sgpr_workgroup_id_y 0
		.amdhsa_system_sgpr_workgroup_id_z 0
		.amdhsa_system_sgpr_workgroup_info 0
		.amdhsa_system_vgpr_workitem_id 0
		.amdhsa_next_free_vgpr 135
		.amdhsa_next_free_sgpr 96
		.amdhsa_accum_offset 136
		.amdhsa_reserve_vcc 1
		.amdhsa_reserve_flat_scratch 0
		.amdhsa_float_round_mode_32 0
		.amdhsa_float_round_mode_16_64 0
		.amdhsa_float_denorm_mode_32 3
		.amdhsa_float_denorm_mode_16_64 3
		.amdhsa_dx10_clamp 1
		.amdhsa_ieee_mode 1
		.amdhsa_fp16_overflow 0
		.amdhsa_tg_split 0
		.amdhsa_exception_fp_ieee_invalid_op 0
		.amdhsa_exception_fp_denorm_src 0
		.amdhsa_exception_fp_ieee_div_zero 0
		.amdhsa_exception_fp_ieee_overflow 0
		.amdhsa_exception_fp_ieee_underflow 0
		.amdhsa_exception_fp_ieee_inexact 0
		.amdhsa_exception_int_div_zero 0
	.end_amdhsa_kernel
	.section	.text._ZN2at4cuda12_GLOBAL__N_121kernelPointwiseApply2IZN12_GLOBAL__N_119poisson_cuda_kernelIdEEvRKNS_10TensorBaseES7_NS_15PhiloxCudaStateEEUlRdRKdE_ddjLin1ELin1ELi1ELi512ELi2EEEvNS0_6detail10TensorInfoIT0_T2_EENSE_IT1_SG_EESG_T_,"axG",@progbits,_ZN2at4cuda12_GLOBAL__N_121kernelPointwiseApply2IZN12_GLOBAL__N_119poisson_cuda_kernelIdEEvRKNS_10TensorBaseES7_NS_15PhiloxCudaStateEEUlRdRKdE_ddjLin1ELin1ELi1ELi512ELi2EEEvNS0_6detail10TensorInfoIT0_T2_EENSE_IT1_SG_EESG_T_,comdat
.Lfunc_end65:
	.size	_ZN2at4cuda12_GLOBAL__N_121kernelPointwiseApply2IZN12_GLOBAL__N_119poisson_cuda_kernelIdEEvRKNS_10TensorBaseES7_NS_15PhiloxCudaStateEEUlRdRKdE_ddjLin1ELin1ELi1ELi512ELi2EEEvNS0_6detail10TensorInfoIT0_T2_EENSE_IT1_SG_EESG_T_, .Lfunc_end65-_ZN2at4cuda12_GLOBAL__N_121kernelPointwiseApply2IZN12_GLOBAL__N_119poisson_cuda_kernelIdEEvRKNS_10TensorBaseES7_NS_15PhiloxCudaStateEEUlRdRKdE_ddjLin1ELin1ELi1ELi512ELi2EEEvNS0_6detail10TensorInfoIT0_T2_EENSE_IT1_SG_EESG_T_
                                        ; -- End function
	.section	.AMDGPU.csdata,"",@progbits
; Kernel info:
; codeLenInByte = 13940
; NumSgprs: 100
; NumVgprs: 135
; NumAgprs: 0
; TotalNumVgprs: 135
; ScratchSize: 0
; MemoryBound: 0
; FloatMode: 240
; IeeeMode: 1
; LDSByteSize: 0 bytes/workgroup (compile time only)
; SGPRBlocks: 12
; VGPRBlocks: 16
; NumSGPRsForWavesPerEU: 100
; NumVGPRsForWavesPerEU: 135
; AccumOffset: 136
; Occupancy: 3
; WaveLimiterHint : 1
; COMPUTE_PGM_RSRC2:SCRATCH_EN: 0
; COMPUTE_PGM_RSRC2:USER_SGPR: 6
; COMPUTE_PGM_RSRC2:TRAP_HANDLER: 0
; COMPUTE_PGM_RSRC2:TGID_X_EN: 1
; COMPUTE_PGM_RSRC2:TGID_Y_EN: 0
; COMPUTE_PGM_RSRC2:TGID_Z_EN: 0
; COMPUTE_PGM_RSRC2:TIDIG_COMP_CNT: 0
; COMPUTE_PGM_RSRC3_GFX90A:ACCUM_OFFSET: 33
; COMPUTE_PGM_RSRC3_GFX90A:TG_SPLIT: 0
	.section	.text._ZN2at4cuda12_GLOBAL__N_121kernelPointwiseApply2IZN12_GLOBAL__N_119poisson_cuda_kernelIdEEvRKNS_10TensorBaseES7_NS_15PhiloxCudaStateEEUlRdRKdE_ddmLi1ELi1ELi1ELi512ELi2EEEvNS0_6detail10TensorInfoIT0_T2_EENSE_IT1_SG_EESG_T_,"axG",@progbits,_ZN2at4cuda12_GLOBAL__N_121kernelPointwiseApply2IZN12_GLOBAL__N_119poisson_cuda_kernelIdEEvRKNS_10TensorBaseES7_NS_15PhiloxCudaStateEEUlRdRKdE_ddmLi1ELi1ELi1ELi512ELi2EEEvNS0_6detail10TensorInfoIT0_T2_EENSE_IT1_SG_EESG_T_,comdat
	.globl	_ZN2at4cuda12_GLOBAL__N_121kernelPointwiseApply2IZN12_GLOBAL__N_119poisson_cuda_kernelIdEEvRKNS_10TensorBaseES7_NS_15PhiloxCudaStateEEUlRdRKdE_ddmLi1ELi1ELi1ELi512ELi2EEEvNS0_6detail10TensorInfoIT0_T2_EENSE_IT1_SG_EESG_T_ ; -- Begin function _ZN2at4cuda12_GLOBAL__N_121kernelPointwiseApply2IZN12_GLOBAL__N_119poisson_cuda_kernelIdEEvRKNS_10TensorBaseES7_NS_15PhiloxCudaStateEEUlRdRKdE_ddmLi1ELi1ELi1ELi512ELi2EEEvNS0_6detail10TensorInfoIT0_T2_EENSE_IT1_SG_EESG_T_
	.p2align	8
	.type	_ZN2at4cuda12_GLOBAL__N_121kernelPointwiseApply2IZN12_GLOBAL__N_119poisson_cuda_kernelIdEEvRKNS_10TensorBaseES7_NS_15PhiloxCudaStateEEUlRdRKdE_ddmLi1ELi1ELi1ELi512ELi2EEEvNS0_6detail10TensorInfoIT0_T2_EENSE_IT1_SG_EESG_T_,@function
_ZN2at4cuda12_GLOBAL__N_121kernelPointwiseApply2IZN12_GLOBAL__N_119poisson_cuda_kernelIdEEvRKNS_10TensorBaseES7_NS_15PhiloxCudaStateEEUlRdRKdE_ddmLi1ELi1ELi1ELi512ELi2EEEvNS0_6detail10TensorInfoIT0_T2_EENSE_IT1_SG_EESG_T_: ; @_ZN2at4cuda12_GLOBAL__N_121kernelPointwiseApply2IZN12_GLOBAL__N_119poisson_cuda_kernelIdEEvRKNS_10TensorBaseES7_NS_15PhiloxCudaStateEEUlRdRKdE_ddmLi1ELi1ELi1ELi512ELi2EEEvNS0_6detail10TensorInfoIT0_T2_EENSE_IT1_SG_EESG_T_
; %bb.0:
	s_load_dword s2, s[4:5], 0x374
	s_load_dwordx8 s[8:15], s[4:5], 0x340
                                        ; implicit-def: $vgpr132 : SGPR spill to VGPR lane
	s_add_u32 s0, s4, 0x368
	s_addc_u32 s1, s5, 0
	v_mov_b32_e32 v13, 0
	s_waitcnt lgkmcnt(0)
	s_and_b32 s2, s2, 0xffff
	v_writelane_b32 v132, s8, 0
	v_writelane_b32 v132, s9, 1
	;; [unrolled: 1-line block ×4, first 2 shown]
	s_mul_i32 s6, s6, s2
	v_writelane_b32 v132, s12, 4
	v_add_u32_e32 v12, s6, v0
	v_writelane_b32 v132, s13, 5
	v_writelane_b32 v132, s14, 6
	v_cmp_gt_u64_e32 vcc, s[8:9], v[12:13]
	v_writelane_b32 v132, s15, 7
	s_and_saveexec_b64 s[6:7], vcc
	s_cbranch_execz .LBB66_46
; %bb.1:
	s_getpc_b64 s[6:7]
	s_add_u32 s6, s6, .str@rel32@lo+4
	s_addc_u32 s7, s7, .str@rel32@hi+12
	s_cmp_eq_u64 s[6:7], 0
	s_mov_b64 s[6:7], 0
	s_cbranch_scc1 .LBB66_47
; %bb.2:
	s_load_dword s3, s[4:5], 0x360
	s_load_dwordx2 s[8:9], s[4:5], 0x0
	s_mov_b32 s33, 0xcd9e8d57
                                        ; kill: killed $sgpr0 killed $sgpr1
	s_mov_b32 s34, 0
	s_mov_b32 s40, 0x55555555
	s_waitcnt lgkmcnt(0)
	s_bitcmp1_b32 s3, 0
	v_writelane_b32 v132, s8, 8
	v_writelane_b32 v132, s9, 9
	s_load_dwordx2 s[8:9], s[4:5], 0xd0
	s_mov_b32 s42, 0x6b47b09a
	s_mov_b32 s44, 0xbf559e2b
	s_mov_b32 s46, 0xd7f4df2e
	s_mov_b32 s48, 0x16291751
	s_waitcnt lgkmcnt(0)
	v_writelane_b32 v132, s8, 10
	v_writelane_b32 v132, s9, 11
	s_load_dwordx2 s[16:17], s[4:5], 0x1a0
	s_load_dwordx2 s[8:9], s[4:5], 0x270
	s_mov_b32 s50, 0x9b27acf1
	s_mov_b32 s52, 0x998ef7b6
	;; [unrolled: 1-line block ×4, first 2 shown]
	s_waitcnt lgkmcnt(0)
	v_writelane_b32 v132, s8, 12
	v_writelane_b32 v132, s9, 13
	s_load_dword s8, s[0:1], 0x0
	v_mad_u64_u32 v[14:15], s[0:1], v12, s33, 0
	s_mov_b32 s62, 0x652b82fe
	s_mov_b32 s14, 0x6a5dcb37
	s_waitcnt lgkmcnt(0)
	s_mul_i32 s0, s8, s2
	v_writelane_b32 v132, s0, 14
	s_cselect_b64 s[0:1], -1, 0
	v_cndmask_b32_e64 v0, 0, 1, s[0:1]
	v_cmp_ne_u32_e64 s[0:1], 1, v0
	v_writelane_b32 v132, s0, 15
	v_writelane_b32 v132, s1, 16
	;; [unrolled: 1-line block ×3, first 2 shown]
	s_mov_b32 s10, 0
	s_mov_b32 s12, 0
	;; [unrolled: 1-line block ×4, first 2 shown]
	v_writelane_b32 v132, s17, 18
	s_mov_b32 s80, 0x4e4e324f
	s_mov_b32 s82, 0
	s_mov_b32 s84, 0x992b2855
	s_mov_b32 s86, 0
	s_mov_b32 s88, 0x7f8b9c81
	s_mov_b32 s90, 0x51a32f5d
	s_mov_b32 s92, 0x61d3b4d8
	s_mov_b32 s94, 0x8ed4171b
	s_mov_b32 s30, 0xb6c30b05
	s_movk_i32 s26, 0xf950
	s_mov_b32 s36, 0xc864beb5
	s_mov_b32 s24, 0
	;; [unrolled: 1-line block ×4, first 2 shown]
	v_mov_b32_e32 v16, 0
	v_mov_b32_e32 v18, v15
	s_mov_b32 s8, 0xd2511f53
	s_mov_b32 s35, 0x40080000
	;; [unrolled: 1-line block ×12, first 2 shown]
	s_movk_i32 s9, 0x204
	s_mov_b32 s63, 0x3ff71547
	s_mov_b32 s65, 0xbfe62e42
	;; [unrolled: 1-line block ×8, first 2 shown]
	v_mov_b32_e32 v20, 0x6b47b09a
	v_mov_b32_e32 v22, 0xd7f4df2e
	;; [unrolled: 1-line block ×26, first 2 shown]
	v_pk_mov_b32 v[72:73], v[12:13], v[12:13] op_sel:[0,1]
	v_mov_b32_e32 v13, s17
	v_mov_b32_e32 v15, 0x260
	;; [unrolled: 1-line block ×33, first 2 shown]
	s_mov_b32 s81, 0x3ee4f051
	s_mov_b32 s83, 0x40180000
	;; [unrolled: 1-line block ×13, first 2 shown]
	v_writelane_b32 v132, s0, 19
                                        ; kill: killed $sgpr4 killed $sgpr5
	v_writelane_b32 v132, s1, 20
                                        ; implicit-def: $sgpr28_sgpr29
                                        ; implicit-def: $sgpr20_sgpr21
                                        ; implicit-def: $sgpr16_sgpr17
	s_branch .LBB66_6
.LBB66_3:                               ;   in Loop: Header=BB66_6 Depth=1
	s_or_b64 exec, exec, s[18:19]
.LBB66_4:                               ;   in Loop: Header=BB66_6 Depth=1
	s_or_b64 exec, exec, s[4:5]
	v_readlane_b32 s4, v132, 10
	v_readlane_b32 s5, v132, 11
	v_mul_lo_u32 v2, v73, s4
	v_mul_lo_u32 v3, v72, s5
	v_mad_u64_u32 v[0:1], s[4:5], v72, s4, 0
	v_add3_u32 v1, v1, v3, v2
	v_cndmask_b32_e64 v1, 0, v1, s[2:3]
	v_cndmask_b32_e64 v0, 0, v0, s[2:3]
	v_readlane_b32 s2, v132, 8
	v_lshlrev_b64 v[0:1], 3, v[0:1]
	v_readlane_b32 s3, v132, 9
	v_mov_b32_e32 v2, s3
	v_add_co_u32_e32 v0, vcc, s2, v0
	v_addc_co_u32_e32 v1, vcc, v2, v1, vcc
	v_cvt_f64_u32_e32 v[2:3], v77
	s_mov_b32 s2, 0
	global_store_dwordx2 v[0:1], v[2:3], off
	v_mov_b32_e32 v0, s2
	v_readlane_b32 s2, v132, 14
	v_add_co_u32_e32 v72, vcc, s2, v72
	v_readlane_b32 s68, v132, 0
	v_addc_co_u32_e32 v73, vcc, v73, v0, vcc
	v_readlane_b32 s69, v132, 1
	v_cmp_le_u64_e32 vcc, s[68:69], v[72:73]
	s_andn2_b64 s[2:3], s[20:21], exec
	s_and_b64 s[4:5], vcc, exec
	s_andn2_b64 s[16:17], s[16:17], exec
	s_or_b64 s[20:21], s[2:3], s[4:5]
	v_readlane_b32 s70, v132, 2
	v_readlane_b32 s71, v132, 3
	v_readlane_b32 s72, v132, 4
	v_readlane_b32 s73, v132, 5
	v_readlane_b32 s74, v132, 6
	v_readlane_b32 s75, v132, 7
.LBB66_5:                               ;   in Loop: Header=BB66_6 Depth=1
	s_or_b64 exec, exec, s[0:1]
	s_and_b64 s[0:1], exec, s[20:21]
	s_or_b64 s[6:7], s[0:1], s[6:7]
	s_andn2_b64 s[0:1], s[28:29], exec
	s_and_b64 s[2:3], s[16:17], exec
	s_or_b64 s[28:29], s[0:1], s[2:3]
	s_andn2_b64 exec, exec, s[6:7]
	s_cbranch_execz .LBB66_45
.LBB66_6:                               ; =>This Loop Header: Depth=1
                                        ;     Child Loop BB66_12 Depth 2
                                        ;     Child Loop BB66_41 Depth 2
	v_readlane_b32 s0, v132, 12
	v_readlane_b32 s68, v132, 0
	v_readlane_b32 s1, v132, 13
	v_sub_u32_e32 v2, s68, v72
	v_mul_lo_u32 v3, v73, s0
	v_mul_lo_u32 v4, v72, s1
	v_mad_u64_u32 v[0:1], s[0:1], v72, s0, 0
	v_add3_u32 v1, v1, v4, v3
	v_cmp_lt_i32_e64 s[2:3], 0, v2
	v_cndmask_b32_e64 v1, 0, v1, s[2:3]
	v_cndmask_b32_e64 v0, 0, v0, s[2:3]
	v_lshlrev_b64 v[0:1], 3, v[0:1]
	v_readlane_b32 s0, v132, 17
	v_add_co_u32_e32 v0, vcc, s0, v0
	v_addc_co_u32_e32 v1, vcc, v13, v1, vcc
	global_load_dwordx2 v[4:5], v[0:1], off
	v_readlane_b32 s1, v132, 18
	s_or_b64 s[16:17], s[16:17], exec
	s_or_b64 s[20:21], s[20:21], exec
	v_readlane_b32 s69, v132, 1
	v_readlane_b32 s70, v132, 2
	;; [unrolled: 1-line block ×7, first 2 shown]
	s_waitcnt vmcnt(0)
	v_cmp_le_f64_e32 vcc, 0, v[4:5]
	s_and_saveexec_b64 s[0:1], vcc
	s_cbranch_execz .LBB66_5
; %bb.7:                                ;   in Loop: Header=BB66_6 Depth=1
	v_readlane_b32 s4, v132, 15
	v_readlane_b32 s68, v132, 0
	;; [unrolled: 1-line block ×7, first 2 shown]
	s_and_b64 vcc, exec, s[4:5]
	v_pk_mov_b32 v[0:1], s[72:73], s[72:73] op_sel:[0,1]
	v_pk_mov_b32 v[74:75], s[70:71], s[70:71] op_sel:[0,1]
	v_readlane_b32 s69, v132, 1
	v_readlane_b32 s74, v132, 6
	;; [unrolled: 1-line block ×3, first 2 shown]
	s_cbranch_vccnz .LBB66_9
; %bb.8:                                ;   in Loop: Header=BB66_6 Depth=1
	v_readlane_b32 s68, v132, 0
	v_readlane_b32 s72, v132, 4
	;; [unrolled: 1-line block ×3, first 2 shown]
	v_pk_mov_b32 v[0:1], s[72:73], s[72:73] op_sel:[0,1]
	v_readlane_b32 s70, v132, 2
	v_readlane_b32 s71, v132, 3
	flat_load_dwordx2 v[0:1], v[0:1]
	v_pk_mov_b32 v[2:3], s[70:71], s[70:71] op_sel:[0,1]
	flat_load_dwordx2 v[74:75], v[2:3]
	v_readlane_b32 s74, v132, 6
	v_readlane_b32 s75, v132, 7
	v_mov_b32_e32 v2, s75
	v_readlane_b32 s69, v132, 1
	s_waitcnt vmcnt(0) lgkmcnt(0)
	v_add_co_u32_e32 v0, vcc, s74, v0
	v_addc_co_u32_e32 v1, vcc, v1, v2, vcc
.LBB66_9:                               ;   in Loop: Header=BB66_6 Depth=1
	v_alignbit_b32 v95, v1, v0, 2
	v_and_b32_e32 v17, 3, v0
	v_lshrrev_b32_e32 v96, 2, v1
	v_mad_u64_u32 v[0:1], s[4:5], v95, s8, 0
	v_xor_b32_e32 v3, v18, v74
	v_mov_b32_e32 v2, v75
	v_xor_b32_e32 v1, v1, v75
	s_mov_b32 s4, 0xbb67ae85
	v_xor_b32_e32 v3, v3, v96
	v_add_co_u32_e32 v98, vcc, s4, v2
	v_mad_u64_u32 v[6:7], s[4:5], v3, s8, 0
	v_mad_u64_u32 v[8:9], s[4:5], v1, s33, 0
	v_add_co_u32_e32 v97, vcc, 0x9e3779b9, v74
	v_xor_b32_e32 v1, v14, v9
	v_xor_b32_e32 v3, v98, v7
	s_mov_b32 s4, 0x3c6ef372
	v_xor_b32_e32 v1, v1, v97
	v_xor_b32_e32 v3, v3, v0
	v_add_co_u32_e32 v99, vcc, s4, v74
	s_mov_b32 s4, 0x76cf5d0a
	v_add_co_u32_e32 v100, vcc, s4, v2
	v_mad_u64_u32 v[0:1], s[4:5], v1, s8, 0
	v_mad_u64_u32 v[10:11], s[4:5], v3, s33, 0
	v_xor_b32_e32 v3, v99, v11
	v_xor_b32_e32 v1, v100, v1
	s_mov_b32 s4, 0xdaa66d2b
	v_xor_b32_e32 v3, v3, v8
	v_xor_b32_e32 v1, v1, v6
	v_add_co_u32_e32 v102, vcc, s4, v74
	s_mov_b32 s4, 0x32370b8f
	v_add_co_u32_e32 v103, vcc, s4, v2
	v_mad_u64_u32 v[6:7], s[4:5], v3, s8, 0
	v_mad_u64_u32 v[8:9], s[4:5], v1, s33, 0
	;; [unrolled: 10-line block ×7, first 2 shown]
	v_xor_b32_e32 v1, v101, v1
	v_xor_b32_e32 v3, v113, v3
	;; [unrolled: 1-line block ×4, first 2 shown]
	v_mad_u64_u32 v[6:7], s[4:5], v1, s8, 0
	v_mad_u64_u32 v[8:9], s[4:5], v8, s33, 0
	s_mov_b32 s4, 0
	v_add_u32_e32 v104, 0x8ff34781, v74
	v_add_u32_e32 v94, 0x96a522ad, v75
	v_xor_b32_e32 v0, v9, v0
	v_xor_b32_e32 v2, v7, v2
	s_mov_b32 s5, 0x40500000
	v_mov_b32_e32 v3, v6
	v_mov_b32_e32 v1, v8
	v_xor_b32_e32 v0, v104, v0
	v_xor_b32_e32 v2, v94, v2
	v_cmp_ngt_f64_e32 vcc, s[4:5], v[4:5]
                                        ; implicit-def: $vgpr77
	s_and_saveexec_b64 s[4:5], vcc
	s_xor_b64 s[68:69], exec, s[4:5]
	s_cbranch_execz .LBB66_38
; %bb.10:                               ;   in Loop: Header=BB66_6 Depth=1
	s_mov_b32 s4, 0
	s_mov_b32 s5, 0x40af4000
	v_cmp_ge_f64_e32 vcc, s[4:5], v[4:5]
                                        ; implicit-def: $vgpr77
	s_and_saveexec_b64 s[4:5], vcc
	s_xor_b64 s[70:71], exec, s[4:5]
	s_cbranch_execz .LBB66_25
; %bb.11:                               ;   in Loop: Header=BB66_6 Depth=1
	s_mov_b32 s18, 0xae147ae1
	s_mov_b32 s19, 0xc00ae147
	v_div_scale_f64 v[6:7], s[4:5], v[4:5], v[4:5], s[18:19]
	v_rcp_f64_e32 v[8:9], v[6:7]
	s_mov_b32 s4, 0
	v_mul_f64 v[78:79], v[4:5], s[34:35]
	s_brev_b32 s5, 8
	v_cmp_gt_f64_e64 s[4:5], s[4:5], v[78:79]
	v_cndmask_b32_e64 v80, 0, 1, s[4:5]
	v_fma_f64 v[76:77], -v[6:7], v[8:9], 1.0
	v_lshlrev_b32_e32 v80, 8, v80
	v_fmac_f64_e32 v[8:9], v[8:9], v[76:77]
	v_ldexp_f64 v[78:79], v[78:79], v80
	v_fma_f64 v[76:77], -v[6:7], v[8:9], 1.0
	v_rsq_f64_e32 v[80:81], v[78:79]
	v_div_scale_f64 v[10:11], vcc, s[18:19], v[4:5], s[18:19]
	v_fmac_f64_e32 v[8:9], v[8:9], v[76:77]
	v_mul_f64 v[76:77], v[10:11], v[8:9]
	v_fma_f64 v[6:7], -v[6:7], v[76:77], v[10:11]
	s_nop 0
	v_div_fmas_f64 v[6:7], v[6:7], v[8:9], v[76:77]
	v_mul_f64 v[8:9], v[78:79], v[80:81]
	v_mul_f64 v[10:11], v[80:81], 0.5
	v_fma_f64 v[76:77], -v[10:11], v[8:9], 0.5
	v_fmac_f64_e32 v[8:9], v[8:9], v[76:77]
	v_fma_f64 v[80:81], -v[8:9], v[8:9], v[78:79]
	v_fmac_f64_e32 v[10:11], v[10:11], v[76:77]
	v_fmac_f64_e32 v[8:9], v[80:81], v[10:11]
	v_fma_f64 v[76:77], -v[8:9], v[8:9], v[78:79]
	v_fmac_f64_e32 v[8:9], v[76:77], v[10:11]
	v_cndmask_b32_e64 v10, 0, v19, s[4:5]
	v_ldexp_f64 v[8:9], v[8:9], v10
	v_cmp_class_f64_e32 vcc, v[78:79], v15
	s_mov_b32 s22, 0x54442d18
	v_cndmask_b32_e32 v9, v9, v79, vcc
	v_cndmask_b32_e32 v8, v8, v78, vcc
	s_mov_b32 s23, 0x400921fb
	v_div_scale_f64 v[10:11], s[4:5], v[8:9], v[8:9], s[22:23]
	v_rcp_f64_e32 v[78:79], v[10:11]
	s_mov_b32 s4, 0x95810625
	v_div_fixup_f64 v[6:7], v[6:7], v[4:5], s[18:19]
	s_mov_b32 s5, 0x3fe88b43
	v_fma_f64 v[80:81], -v[10:11], v[78:79], 1.0
	v_fmac_f64_e32 v[78:79], v[78:79], v[80:81]
	v_fma_f64 v[80:81], -v[10:11], v[78:79], 1.0
	v_fmac_f64_e32 v[78:79], v[78:79], v[80:81]
	v_div_scale_f64 v[80:81], vcc, s[22:23], v[8:9], s[22:23]
	v_mul_f64 v[82:83], v[80:81], v[78:79]
	v_fma_f64 v[10:11], -v[10:11], v[82:83], v[80:81]
	v_add_f64 v[6:7], v[6:7], s[4:5]
	s_nop 0
	v_div_fmas_f64 v[10:11], v[10:11], v[78:79], v[82:83]
	v_div_fixup_f64 v[78:79], v[10:11], v[8:9], s[22:23]
	v_frexp_mant_f64_e32 v[8:9], v[6:7]
	v_cmp_gt_f64_e32 vcc, s[40:41], v[8:9]
	v_mov_b32_e32 v76, 0
	v_cndmask_b32_e64 v77, v90, 2.0, vcc
	v_frexp_exp_i32_f64_e32 v10, v[6:7]
	v_mul_f64 v[8:9], v[8:9], v[76:77]
	v_subbrev_co_u32_e32 v77, vcc, 0, v10, vcc
	v_add_f64 v[10:11], v[8:9], 1.0
	v_rcp_f64_e32 v[82:83], v[10:11]
	v_add_f64 v[86:87], v[10:11], -1.0
	v_add_f64 v[84:85], v[8:9], -1.0
	v_add_f64 v[8:9], v[8:9], -v[86:87]
	v_fma_f64 v[86:87], -v[10:11], v[82:83], 1.0
	v_fmac_f64_e32 v[82:83], v[86:87], v[82:83]
	v_fma_f64 v[86:87], -v[10:11], v[82:83], 1.0
	v_fmac_f64_e32 v[82:83], v[86:87], v[82:83]
	v_mul_f64 v[86:87], v[84:85], v[82:83]
	v_mul_f64 v[88:89], v[10:11], v[86:87]
	v_fma_f64 v[10:11], v[86:87], v[10:11], -v[88:89]
	v_fmac_f64_e32 v[10:11], v[86:87], v[8:9]
	v_add_f64 v[8:9], v[88:89], v[10:11]
	v_add_f64 v[114:115], v[84:85], -v[8:9]
	v_add_f64 v[88:89], v[8:9], -v[88:89]
	;; [unrolled: 1-line block ×5, first 2 shown]
	v_add_f64 v[8:9], v[10:11], v[8:9]
	v_add_f64 v[8:9], v[114:115], v[8:9]
	v_mul_f64 v[8:9], v[82:83], v[8:9]
	v_add_f64 v[10:11], v[86:87], v[8:9]
	v_add_f64 v[82:83], v[10:11], -v[86:87]
	v_add_f64 v[8:9], v[8:9], -v[82:83]
	v_mul_f64 v[82:83], v[10:11], v[10:11]
	v_pk_mov_b32 v[84:85], s[42:43], s[42:43] op_sel:[0,1]
	v_fma_f64 v[86:87], s[44:45], v[82:83], v[84:85]
	v_fma_f64 v[86:87], v[82:83], v[86:87], s[46:47]
	;; [unrolled: 1-line block ×5, first 2 shown]
	s_mov_b32 s55, s41
	v_fma_f64 v[86:87], v[82:83], v[86:87], s[54:55]
	v_ldexp_f64 v[88:89], v[10:11], 1
	v_mul_f64 v[10:11], v[10:11], v[82:83]
	v_mul_f64 v[10:11], v[10:11], v[86:87]
	v_add_f64 v[82:83], v[88:89], v[10:11]
	v_add_f64 v[86:87], v[82:83], -v[88:89]
	v_ldexp_f64 v[8:9], v[8:9], 1
	v_add_f64 v[10:11], v[10:11], -v[86:87]
	v_add_f64 v[8:9], v[8:9], v[10:11]
	v_add_f64 v[10:11], v[82:83], v[8:9]
	v_add_f64 v[82:83], v[10:11], -v[82:83]
	v_add_f64 v[8:9], v[8:9], -v[82:83]
	v_cvt_f64_i32_e32 v[82:83], v77
	v_mul_f64 v[86:87], v[82:83], s[56:57]
	v_fma_f64 v[88:89], v[82:83], s[56:57], -v[86:87]
	v_fmac_f64_e32 v[88:89], s[58:59], v[82:83]
	v_add_f64 v[82:83], v[86:87], v[88:89]
	v_add_f64 v[86:87], v[82:83], -v[86:87]
	v_add_f64 v[86:87], v[88:89], -v[86:87]
	v_add_f64 v[88:89], v[82:83], v[10:11]
	v_add_f64 v[114:115], v[88:89], -v[82:83]
	v_add_f64 v[116:117], v[88:89], -v[114:115]
	;; [unrolled: 1-line block ×4, first 2 shown]
	v_add_f64 v[10:11], v[10:11], v[82:83]
	v_add_f64 v[82:83], v[86:87], v[8:9]
	v_add_f64 v[114:115], v[82:83], -v[86:87]
	v_add_f64 v[116:117], v[82:83], -v[114:115]
	v_add_f64 v[10:11], v[82:83], v[10:11]
	v_add_f64 v[86:87], v[86:87], -v[116:117]
	v_add_f64 v[8:9], v[8:9], -v[114:115]
	v_add_f64 v[82:83], v[88:89], v[10:11]
	v_add_f64 v[8:9], v[8:9], v[86:87]
	v_add_f64 v[86:87], v[82:83], -v[88:89]
	v_add_f64 v[10:11], v[10:11], -v[86:87]
	v_add_f64 v[8:9], v[8:9], v[10:11]
	v_add_f64 v[8:9], v[82:83], v[8:9]
	v_cmp_class_f64_e64 vcc, v[6:7], s9
	v_cndmask_b32_e32 v8, v8, v6, vcc
	v_cndmask_b32_e32 v9, v9, v7, vcc
	v_cmp_ngt_f64_e32 vcc, 0, v[6:7]
	v_cndmask_b32_e32 v9, v91, v9, vcc
	v_cmp_nge_f64_e32 vcc, 0, v[6:7]
	v_cndmask_b32_e32 v8, 0, v8, vcc
	v_cmp_neq_f64_e32 vcc, 0, v[6:7]
	v_cndmask_b32_e32 v9, v92, v9, vcc
	v_add_f64 v[6:7], v[8:9], -v[4:5]
	v_frexp_mant_f64_e32 v[8:9], v[78:79]
	v_cmp_gt_f64_e32 vcc, s[40:41], v[8:9]
	v_cndmask_b32_e64 v77, v90, 2.0, vcc
	v_frexp_exp_i32_f64_e32 v10, v[78:79]
	v_mul_f64 v[8:9], v[8:9], v[76:77]
	v_subbrev_co_u32_e32 v77, vcc, 0, v10, vcc
	v_add_f64 v[10:11], v[8:9], 1.0
	v_rcp_f64_e32 v[82:83], v[10:11]
	v_add_f64 v[88:89], v[10:11], -1.0
	v_add_f64 v[86:87], v[8:9], -1.0
	v_add_f64 v[8:9], v[8:9], -v[88:89]
	v_fma_f64 v[88:89], -v[10:11], v[82:83], 1.0
	v_fmac_f64_e32 v[82:83], v[88:89], v[82:83]
	v_fma_f64 v[88:89], -v[10:11], v[82:83], 1.0
	v_fmac_f64_e32 v[82:83], v[88:89], v[82:83]
	v_mul_f64 v[88:89], v[86:87], v[82:83]
	v_mul_f64 v[114:115], v[10:11], v[88:89]
	v_fma_f64 v[10:11], v[88:89], v[10:11], -v[114:115]
	v_fmac_f64_e32 v[10:11], v[88:89], v[8:9]
	v_add_f64 v[8:9], v[114:115], v[10:11]
	v_add_f64 v[116:117], v[86:87], -v[8:9]
	v_add_f64 v[114:115], v[8:9], -v[114:115]
	;; [unrolled: 1-line block ×5, first 2 shown]
	v_add_f64 v[8:9], v[10:11], v[8:9]
	v_add_f64 v[8:9], v[116:117], v[8:9]
	v_mul_f64 v[8:9], v[82:83], v[8:9]
	v_add_f64 v[10:11], v[88:89], v[8:9]
	v_add_f64 v[82:83], v[10:11], -v[88:89]
	v_add_f64 v[8:9], v[8:9], -v[82:83]
	v_mul_f64 v[82:83], v[10:11], v[10:11]
	v_fma_f64 v[86:87], s[44:45], v[82:83], v[84:85]
	v_fma_f64 v[86:87], v[82:83], v[86:87], s[46:47]
	;; [unrolled: 1-line block ×6, first 2 shown]
	v_ldexp_f64 v[88:89], v[10:11], 1
	v_mul_f64 v[10:11], v[10:11], v[82:83]
	v_mul_f64 v[10:11], v[10:11], v[86:87]
	v_add_f64 v[82:83], v[88:89], v[10:11]
	v_add_f64 v[86:87], v[82:83], -v[88:89]
	v_ldexp_f64 v[8:9], v[8:9], 1
	v_add_f64 v[10:11], v[10:11], -v[86:87]
	v_add_f64 v[8:9], v[8:9], v[10:11]
	v_add_f64 v[10:11], v[82:83], v[8:9]
	v_add_f64 v[82:83], v[10:11], -v[82:83]
	v_add_f64 v[8:9], v[8:9], -v[82:83]
	v_cvt_f64_i32_e32 v[82:83], v77
	v_mul_f64 v[86:87], v[82:83], s[56:57]
	v_fma_f64 v[88:89], v[82:83], s[56:57], -v[86:87]
	v_fmac_f64_e32 v[88:89], s[58:59], v[82:83]
	v_add_f64 v[82:83], v[86:87], v[88:89]
	v_add_f64 v[86:87], v[82:83], -v[86:87]
	v_add_f64 v[86:87], v[88:89], -v[86:87]
	v_add_f64 v[88:89], v[82:83], v[10:11]
	v_add_f64 v[114:115], v[88:89], -v[82:83]
	v_add_f64 v[116:117], v[88:89], -v[114:115]
	;; [unrolled: 1-line block ×4, first 2 shown]
	v_add_f64 v[10:11], v[10:11], v[82:83]
	v_add_f64 v[82:83], v[86:87], v[8:9]
	v_add_f64 v[114:115], v[82:83], -v[86:87]
	v_add_f64 v[116:117], v[82:83], -v[114:115]
	v_add_f64 v[10:11], v[82:83], v[10:11]
	v_add_f64 v[86:87], v[86:87], -v[116:117]
	v_add_f64 v[8:9], v[8:9], -v[114:115]
	v_add_f64 v[82:83], v[88:89], v[10:11]
	v_add_f64 v[8:9], v[8:9], v[86:87]
	v_add_f64 v[86:87], v[82:83], -v[88:89]
	v_add_f64 v[10:11], v[10:11], -v[86:87]
	s_mov_b32 s4, 0
	v_add_f64 v[8:9], v[8:9], v[10:11]
	s_mov_b32 s5, 0x7ff00000
	v_add_f64 v[8:9], v[82:83], v[8:9]
	v_cmp_eq_f64_e32 vcc, s[4:5], v[78:79]
	v_cndmask_b32_e32 v8, v8, v78, vcc
	v_cndmask_b32_e32 v9, v9, v79, vcc
	v_cmp_neq_f64_e32 vcc, 0, v[78:79]
	v_cndmask_b32_e32 v9, v92, v9, vcc
	v_cndmask_b32_e32 v8, 0, v8, vcc
	v_mul_f64 v[80:81], v[4:5], v[78:79]
	v_add_f64 v[82:83], v[6:7], -v[8:9]
	v_frexp_exp_i32_f64_e32 v6, v[4:5]
	v_frexp_mant_f64_e32 v[4:5], v[4:5]
	v_cmp_gt_f64_e32 vcc, s[40:41], v[4:5]
	v_cndmask_b32_e64 v77, v90, 2.0, vcc
	v_mul_f64 v[4:5], v[4:5], v[76:77]
	v_subbrev_co_u32_e32 v77, vcc, 0, v6, vcc
	v_add_f64 v[6:7], v[4:5], 1.0
	v_rcp_f64_e32 v[8:9], v[6:7]
	v_add_f64 v[86:87], v[6:7], -1.0
	v_add_f64 v[10:11], v[4:5], -1.0
	v_add_f64 v[4:5], v[4:5], -v[86:87]
	v_fma_f64 v[86:87], -v[6:7], v[8:9], 1.0
	v_fmac_f64_e32 v[8:9], v[86:87], v[8:9]
	v_fma_f64 v[86:87], -v[6:7], v[8:9], 1.0
	v_fmac_f64_e32 v[8:9], v[86:87], v[8:9]
	v_mul_f64 v[86:87], v[10:11], v[8:9]
	v_mul_f64 v[88:89], v[6:7], v[86:87]
	v_fma_f64 v[6:7], v[86:87], v[6:7], -v[88:89]
	v_fmac_f64_e32 v[6:7], v[86:87], v[4:5]
	v_add_f64 v[4:5], v[88:89], v[6:7]
	v_add_f64 v[114:115], v[10:11], -v[4:5]
	v_add_f64 v[88:89], v[4:5], -v[88:89]
	;; [unrolled: 1-line block ×5, first 2 shown]
	v_add_f64 v[4:5], v[6:7], v[4:5]
	v_add_f64 v[4:5], v[114:115], v[4:5]
	v_mul_f64 v[4:5], v[8:9], v[4:5]
	v_add_f64 v[6:7], v[86:87], v[4:5]
	v_add_f64 v[8:9], v[6:7], -v[86:87]
	v_add_f64 v[4:5], v[4:5], -v[8:9]
	v_mul_f64 v[8:9], v[6:7], v[6:7]
	v_fmac_f64_e32 v[84:85], s[44:45], v[8:9]
	v_fma_f64 v[10:11], v[8:9], v[84:85], s[46:47]
	v_fma_f64 v[10:11], v[8:9], v[10:11], s[48:49]
	;; [unrolled: 1-line block ×5, first 2 shown]
	v_ldexp_f64 v[84:85], v[6:7], 1
	v_mul_f64 v[6:7], v[6:7], v[8:9]
	v_mul_f64 v[6:7], v[6:7], v[10:11]
	v_add_f64 v[8:9], v[84:85], v[6:7]
	v_add_f64 v[10:11], v[8:9], -v[84:85]
	v_ldexp_f64 v[4:5], v[4:5], 1
	v_add_f64 v[6:7], v[6:7], -v[10:11]
	v_add_f64 v[4:5], v[4:5], v[6:7]
	v_add_f64 v[6:7], v[8:9], v[4:5]
	v_add_f64 v[8:9], v[6:7], -v[8:9]
	v_add_f64 v[4:5], v[4:5], -v[8:9]
	v_cvt_f64_i32_e32 v[8:9], v77
	v_mul_f64 v[10:11], v[8:9], s[56:57]
	v_fma_f64 v[84:85], v[8:9], s[56:57], -v[10:11]
	v_fmac_f64_e32 v[84:85], s[58:59], v[8:9]
	v_add_f64 v[8:9], v[10:11], v[84:85]
	v_add_f64 v[10:11], v[8:9], -v[10:11]
	v_add_f64 v[10:11], v[84:85], -v[10:11]
	v_add_f64 v[84:85], v[8:9], v[6:7]
	v_add_f64 v[86:87], v[84:85], -v[8:9]
	v_add_f64 v[88:89], v[84:85], -v[86:87]
	;; [unrolled: 1-line block ×4, first 2 shown]
	v_add_f64 v[6:7], v[6:7], v[8:9]
	v_add_f64 v[8:9], v[10:11], v[4:5]
	v_add_f64 v[86:87], v[8:9], -v[10:11]
	v_add_f64 v[88:89], v[8:9], -v[86:87]
	v_add_f64 v[6:7], v[8:9], v[6:7]
	v_add_f64 v[10:11], v[10:11], -v[88:89]
	v_add_f64 v[4:5], v[4:5], -v[86:87]
	v_add_f64 v[8:9], v[84:85], v[6:7]
	v_add_f64 v[4:5], v[4:5], v[10:11]
	v_add_f64 v[10:11], v[8:9], -v[84:85]
	v_add_f64 v[6:7], v[6:7], -v[10:11]
	v_add_f64 v[4:5], v[4:5], v[6:7]
	v_add_f64 v[84:85], v[8:9], v[4:5]
	s_mov_b64 s[60:61], 0
	s_mov_b64 s[18:19], 0
	v_mov_b32_e32 v114, v12
                                        ; implicit-def: $vgpr77
.LBB66_12:                              ;   Parent Loop BB66_6 Depth=1
                                        ; =>  This Inner Loop Header: Depth=2
	v_add_u32_e32 v115, 1, v17
	v_pk_mov_b32 v[10:11], v[2:3], v[2:3] op_sel:[0,1]
	v_cmp_eq_u32_e32 vcc, 4, v115
	v_pk_mov_b32 v[8:9], v[0:1], v[0:1] op_sel:[0,1]
	v_mov_b32_e32 v89, v0
	v_mov_b32_e32 v88, v1
	;; [unrolled: 1-line block ×4, first 2 shown]
	s_and_saveexec_b64 s[4:5], vcc
	s_cbranch_execz .LBB66_14
; %bb.13:                               ;   in Loop: Header=BB66_12 Depth=2
	v_add_co_u32_e32 v95, vcc, 1, v95
	v_cndmask_b32_e64 v4, 0, 1, vcc
	v_addc_co_u32_e32 v96, vcc, 0, v96, vcc
	v_cmp_eq_u32_e32 vcc, 0, v96
	v_cndmask_b32_e32 v4, 0, v4, vcc
	v_add_u32_e32 v114, v4, v114
	v_cmp_eq_u32_e32 vcc, 0, v114
	v_cndmask_b32_e32 v4, 0, v4, vcc
	v_add_u32_e32 v76, v4, v76
	v_mad_u64_u32 v[4:5], s[22:23], v95, s8, 0
	v_mad_u64_u32 v[6:7], s[22:23], v114, s33, 0
	v_xor_b32_e32 v5, v5, v75
	v_xor_b32_e32 v7, v7, v74
	v_xor_b32_e32 v5, v76, v5
	v_xor_b32_e32 v7, v96, v7
	v_mad_u64_u32 v[10:11], s[22:23], v5, s33, 0
	v_mad_u64_u32 v[8:9], s[22:23], v7, s8, 0
	v_xor_b32_e32 v5, v97, v11
	v_xor_b32_e32 v5, v5, v6
	v_xor_b32_e32 v6, v98, v9
	v_xor_b32_e32 v6, v6, v4
	;; [unrolled: 6-line block ×10, first 2 shown]
	v_mov_b32_e32 v115, 0
	v_mov_b32_e32 v9, v88
	;; [unrolled: 1-line block ×5, first 2 shown]
.LBB66_14:                              ;   in Loop: Header=BB66_12 Depth=2
	s_or_b64 exec, exec, s[4:5]
	v_add_u32_e32 v116, 1, v115
	v_pk_mov_b32 v[4:5], v[8:9], v[8:9] op_sel:[0,1]
	v_cmp_eq_u32_e32 vcc, 4, v116
	v_pk_mov_b32 v[6:7], v[10:11], v[10:11] op_sel:[0,1]
	s_and_saveexec_b64 s[4:5], vcc
	s_cbranch_execz .LBB66_16
; %bb.15:                               ;   in Loop: Header=BB66_12 Depth=2
	v_add_co_u32_e32 v95, vcc, 1, v95
	v_cndmask_b32_e64 v4, 0, 1, vcc
	v_addc_co_u32_e32 v96, vcc, 0, v96, vcc
	v_cmp_eq_u32_e32 vcc, 0, v96
	v_cndmask_b32_e32 v4, 0, v4, vcc
	v_add_u32_e32 v114, v4, v114
	v_cmp_eq_u32_e32 vcc, 0, v114
	v_cndmask_b32_e32 v4, 0, v4, vcc
	v_add_u32_e32 v76, v4, v76
	v_mad_u64_u32 v[4:5], s[22:23], v95, s8, 0
	v_mad_u64_u32 v[6:7], s[22:23], v114, s33, 0
	v_xor_b32_e32 v5, v5, v75
	v_xor_b32_e32 v7, v7, v74
	v_xor_b32_e32 v5, v76, v5
	v_xor_b32_e32 v7, v96, v7
	v_mad_u64_u32 v[88:89], s[22:23], v5, s33, 0
	v_mad_u64_u32 v[86:87], s[22:23], v7, s8, 0
	v_xor_b32_e32 v5, v97, v89
	v_xor_b32_e32 v5, v5, v6
	v_xor_b32_e32 v6, v98, v87
	v_xor_b32_e32 v6, v6, v4
	v_mad_u64_u32 v[4:5], s[22:23], v5, s8, 0
	v_mad_u64_u32 v[6:7], s[22:23], v6, s33, 0
	v_xor_b32_e32 v5, v100, v5
	v_xor_b32_e32 v7, v99, v7
	v_xor_b32_e32 v5, v5, v86
	v_xor_b32_e32 v7, v7, v88
	v_mad_u64_u32 v[88:89], s[22:23], v5, s33, 0
	v_mad_u64_u32 v[86:87], s[22:23], v7, s8, 0
	v_xor_b32_e32 v5, v102, v89
	v_xor_b32_e32 v5, v5, v6
	v_xor_b32_e32 v6, v103, v87
	v_xor_b32_e32 v6, v6, v4
	v_mad_u64_u32 v[4:5], s[22:23], v5, s8, 0
	v_mad_u64_u32 v[6:7], s[22:23], v6, s33, 0
	v_xor_b32_e32 v5, v106, v5
	v_xor_b32_e32 v7, v105, v7
	v_xor_b32_e32 v5, v5, v86
	v_xor_b32_e32 v7, v7, v88
	v_mad_u64_u32 v[88:89], s[22:23], v5, s33, 0
	v_mad_u64_u32 v[86:87], s[22:23], v7, s8, 0
	v_xor_b32_e32 v5, v107, v89
	v_xor_b32_e32 v5, v5, v6
	v_xor_b32_e32 v6, v108, v87
	v_xor_b32_e32 v6, v6, v4
	v_mad_u64_u32 v[4:5], s[22:23], v5, s8, 0
	v_mad_u64_u32 v[6:7], s[22:23], v6, s33, 0
	v_xor_b32_e32 v5, v110, v5
	v_xor_b32_e32 v7, v109, v7
	v_xor_b32_e32 v5, v5, v86
	v_xor_b32_e32 v7, v7, v88
	v_mad_u64_u32 v[88:89], s[22:23], v5, s33, 0
	v_mad_u64_u32 v[86:87], s[22:23], v7, s8, 0
	v_xor_b32_e32 v5, v111, v89
	v_xor_b32_e32 v5, v5, v6
	v_xor_b32_e32 v6, v112, v87
	v_xor_b32_e32 v4, v6, v4
	v_mad_u64_u32 v[6:7], s[22:23], v5, s8, 0
	v_mad_u64_u32 v[4:5], s[22:23], v4, s33, 0
	v_xor_b32_e32 v5, v101, v5
	v_xor_b32_e32 v7, v113, v7
	v_xor_b32_e32 v5, v5, v88
	v_xor_b32_e32 v7, v7, v86
	v_mad_u64_u32 v[86:87], s[22:23], v5, s8, 0
	v_mad_u64_u32 v[88:89], s[22:23], v7, s33, 0
	v_xor_b32_e32 v4, v89, v4
	v_xor_b32_e32 v5, v87, v6
	v_xor_b32_e32 v4, v104, v4
	v_xor_b32_e32 v6, v94, v5
	v_mov_b32_e32 v116, 0
	v_mov_b32_e32 v5, v88
	;; [unrolled: 1-line block ×5, first 2 shown]
.LBB66_16:                              ;   in Loop: Header=BB66_12 Depth=2
	s_or_b64 exec, exec, s[4:5]
	v_cmp_eq_u32_e32 vcc, 1, v17
	v_cndmask_b32_e32 v0, v0, v1, vcc
	v_cmp_eq_u32_e32 vcc, 2, v17
	v_cndmask_b32_e32 v0, v0, v2, vcc
	;; [unrolled: 2-line block ×6, first 2 shown]
	v_lshrrev_b32_e32 v0, 11, v0
	v_cvt_f64_u32_e32 v[0:1], v0
	v_ldexp_f64 v[0:1], v[0:1], 32
	v_cvt_f64_u32_e32 v[2:3], v2
	v_add_f64 v[0:1], v[0:1], v[2:3]
	v_mov_b32_e32 v2, 0
	v_mov_b32_e32 v3, 0x3ca00000
	v_fmac_f64_e32 v[2:3], 0x3ca00000, v[0:1]
	v_add_f64 v[0:1], -v[2:3], 1.0
	v_div_scale_f64 v[8:9], s[4:5], v[2:3], v[2:3], v[0:1]
	v_rcp_f64_e32 v[10:11], v[8:9]
	v_mov_b32_e32 v117, 2
	v_fma_f64 v[118:119], -v[8:9], v[10:11], 1.0
	v_fmac_f64_e32 v[10:11], v[10:11], v[118:119]
	v_fma_f64 v[118:119], -v[8:9], v[10:11], 1.0
	v_fmac_f64_e32 v[10:11], v[10:11], v[118:119]
	v_div_scale_f64 v[118:119], vcc, v[0:1], v[2:3], v[0:1]
	v_mul_f64 v[120:121], v[118:119], v[10:11]
	v_fma_f64 v[8:9], -v[8:9], v[120:121], v[118:119]
	s_nop 1
	v_div_fmas_f64 v[8:9], v[8:9], v[10:11], v[120:121]
	v_div_fixup_f64 v[0:1], v[8:9], v[2:3], v[0:1]
	v_frexp_mant_f64_e32 v[2:3], v[0:1]
	v_cmp_gt_f64_e32 vcc, s[40:41], v[2:3]
	v_cndmask_b32_e64 v17, v90, 2.0, vcc
	v_frexp_exp_i32_f64_e32 v8, v[0:1]
	v_mul_f64 v[2:3], v[2:3], v[16:17]
	v_subbrev_co_u32_e32 v17, vcc, 0, v8, vcc
	v_add_f64 v[8:9], v[2:3], 1.0
	v_rcp_f64_e32 v[10:11], v[8:9]
	v_add_f64 v[120:121], v[8:9], -1.0
	v_add_f64 v[118:119], v[2:3], -1.0
	v_add_f64 v[2:3], v[2:3], -v[120:121]
	v_fma_f64 v[120:121], -v[8:9], v[10:11], 1.0
	v_fmac_f64_e32 v[10:11], v[120:121], v[10:11]
	v_fma_f64 v[120:121], -v[8:9], v[10:11], 1.0
	v_fmac_f64_e32 v[10:11], v[120:121], v[10:11]
	v_mul_f64 v[120:121], v[118:119], v[10:11]
	v_mul_f64 v[122:123], v[8:9], v[120:121]
	v_fma_f64 v[8:9], v[120:121], v[8:9], -v[122:123]
	v_fmac_f64_e32 v[8:9], v[120:121], v[2:3]
	v_add_f64 v[2:3], v[122:123], v[8:9]
	v_add_f64 v[124:125], v[118:119], -v[2:3]
	v_add_f64 v[122:123], v[2:3], -v[122:123]
	;; [unrolled: 1-line block ×5, first 2 shown]
	v_add_f64 v[2:3], v[8:9], v[2:3]
	v_add_f64 v[2:3], v[124:125], v[2:3]
	v_mul_f64 v[2:3], v[10:11], v[2:3]
	v_add_f64 v[8:9], v[120:121], v[2:3]
	v_add_f64 v[10:11], v[8:9], -v[120:121]
	v_add_f64 v[2:3], v[2:3], -v[10:11]
	v_mul_f64 v[10:11], v[8:9], v[8:9]
	v_pk_mov_b32 v[118:119], v[20:21], v[20:21] op_sel:[0,1]
	v_fmac_f64_e32 v[118:119], s[44:45], v[10:11]
	v_pk_mov_b32 v[120:121], v[22:23], v[22:23] op_sel:[0,1]
	v_fmac_f64_e32 v[120:121], v[10:11], v[118:119]
	;; [unrolled: 2-line block ×6, first 2 shown]
	v_ldexp_f64 v[118:119], v[8:9], 1
	v_mul_f64 v[8:9], v[8:9], v[10:11]
	v_mul_f64 v[8:9], v[8:9], v[120:121]
	v_add_f64 v[10:11], v[118:119], v[8:9]
	v_add_f64 v[118:119], v[10:11], -v[118:119]
	v_ldexp_f64 v[2:3], v[2:3], 1
	v_add_f64 v[8:9], v[8:9], -v[118:119]
	v_add_f64 v[2:3], v[2:3], v[8:9]
	v_add_f64 v[8:9], v[10:11], v[2:3]
	v_add_f64 v[10:11], v[8:9], -v[10:11]
	v_add_f64 v[2:3], v[2:3], -v[10:11]
	v_cvt_f64_i32_e32 v[10:11], v17
	v_mul_f64 v[118:119], v[10:11], s[56:57]
	v_fma_f64 v[120:121], v[10:11], s[56:57], -v[118:119]
	v_fmac_f64_e32 v[120:121], s[58:59], v[10:11]
	v_add_f64 v[10:11], v[118:119], v[120:121]
	v_add_f64 v[118:119], v[10:11], -v[118:119]
	v_add_f64 v[118:119], v[120:121], -v[118:119]
	v_add_f64 v[120:121], v[10:11], v[8:9]
	v_add_f64 v[122:123], v[120:121], -v[10:11]
	v_add_f64 v[124:125], v[120:121], -v[122:123]
	v_add_f64 v[10:11], v[10:11], -v[124:125]
	v_add_f64 v[8:9], v[8:9], -v[122:123]
	v_add_f64 v[8:9], v[8:9], v[10:11]
	v_add_f64 v[10:11], v[118:119], v[2:3]
	v_add_f64 v[122:123], v[10:11], -v[118:119]
	v_add_f64 v[124:125], v[10:11], -v[122:123]
	v_add_f64 v[8:9], v[10:11], v[8:9]
	v_add_f64 v[118:119], v[118:119], -v[124:125]
	v_add_f64 v[2:3], v[2:3], -v[122:123]
	v_add_f64 v[10:11], v[120:121], v[8:9]
	v_add_f64 v[2:3], v[2:3], v[118:119]
	v_add_f64 v[118:119], v[10:11], -v[120:121]
	v_add_f64 v[8:9], v[8:9], -v[118:119]
	v_add_f64 v[2:3], v[2:3], v[8:9]
	v_add_f64 v[2:3], v[10:11], v[2:3]
	v_cmp_class_f64_e64 vcc, v[0:1], s9
	v_cndmask_b32_e32 v2, v2, v0, vcc
	v_cndmask_b32_e32 v3, v3, v1, vcc
	v_cmp_ngt_f64_e32 vcc, 0, v[0:1]
	v_cndmask_b32_e32 v3, v91, v3, vcc
	v_cmp_nge_f64_e32 vcc, 0, v[0:1]
	v_cndmask_b32_e32 v2, 0, v2, vcc
	v_cmp_neq_f64_e32 vcc, 0, v[0:1]
	v_cndmask_b32_e32 v3, v92, v3, vcc
	v_add_f64 v[0:1], v[80:81], -v[2:3]
	v_div_scale_f64 v[2:3], s[4:5], v[78:79], v[78:79], v[0:1]
	v_rcp_f64_e32 v[8:9], v[2:3]
	v_fma_f64 v[10:11], -v[2:3], v[8:9], 1.0
	v_fmac_f64_e32 v[8:9], v[8:9], v[10:11]
	v_fma_f64 v[10:11], -v[2:3], v[8:9], 1.0
	v_fmac_f64_e32 v[8:9], v[8:9], v[10:11]
	v_div_scale_f64 v[10:11], vcc, v[0:1], v[78:79], v[0:1]
	v_mul_f64 v[118:119], v[10:11], v[8:9]
	v_fma_f64 v[2:3], -v[2:3], v[118:119], v[10:11]
	s_nop 1
	v_div_fmas_f64 v[2:3], v[2:3], v[8:9], v[118:119]
	v_div_fixup_f64 v[10:11], v[2:3], v[78:79], v[0:1]
	v_add_f64 v[0:1], v[10:11], 0.5
	v_floor_f64_e32 v[8:9], v[0:1]
	v_cmp_ngt_f64_e32 vcc, 0, v[8:9]
	s_and_saveexec_b64 s[22:23], vcc
	s_cbranch_execz .LBB66_22
; %bb.17:                               ;   in Loop: Header=BB66_12 Depth=2
	v_add_u32_e32 v17, 1, v116
	v_pk_mov_b32 v[0:1], v[4:5], v[4:5] op_sel:[0,1]
	v_cmp_eq_u32_e32 vcc, 4, v17
	v_pk_mov_b32 v[2:3], v[6:7], v[6:7] op_sel:[0,1]
	s_and_saveexec_b64 s[4:5], vcc
	s_cbranch_execz .LBB66_19
; %bb.18:                               ;   in Loop: Header=BB66_12 Depth=2
	v_add_co_u32_e32 v95, vcc, 1, v95
	v_cndmask_b32_e64 v0, 0, 1, vcc
	v_addc_co_u32_e32 v96, vcc, 0, v96, vcc
	v_cmp_eq_u32_e32 vcc, 0, v96
	v_cndmask_b32_e32 v0, 0, v0, vcc
	v_add_u32_e32 v114, v0, v114
	v_cmp_eq_u32_e32 vcc, 0, v114
	v_cndmask_b32_e32 v0, 0, v0, vcc
	v_add_u32_e32 v76, v0, v76
	v_mad_u64_u32 v[0:1], vcc, v95, s8, 0
	v_mad_u64_u32 v[2:3], vcc, v114, s33, 0
	v_xor_b32_e32 v1, v1, v75
	v_xor_b32_e32 v3, v3, v74
	v_xor_b32_e32 v1, v76, v1
	v_xor_b32_e32 v3, v96, v3
	v_mad_u64_u32 v[88:89], vcc, v1, s33, 0
	v_mad_u64_u32 v[86:87], vcc, v3, s8, 0
	v_xor_b32_e32 v1, v97, v89
	v_xor_b32_e32 v1, v1, v2
	v_xor_b32_e32 v2, v98, v87
	v_xor_b32_e32 v2, v2, v0
	;; [unrolled: 6-line block ×10, first 2 shown]
	v_mov_b32_e32 v17, 0
	v_mov_b32_e32 v1, v88
	;; [unrolled: 1-line block ×5, first 2 shown]
.LBB66_19:                              ;   in Loop: Header=BB66_12 Depth=2
	s_or_b64 exec, exec, s[4:5]
	v_add_u32_e32 v115, 1, v17
	v_cmp_eq_u32_e32 vcc, 4, v115
	s_and_saveexec_b64 s[4:5], vcc
	s_cbranch_execz .LBB66_21
; %bb.20:                               ;   in Loop: Header=BB66_12 Depth=2
	v_add_co_u32_e32 v95, vcc, 1, v95
	v_cndmask_b32_e64 v86, 0, 1, vcc
	v_addc_co_u32_e32 v96, vcc, 0, v96, vcc
	v_cmp_eq_u32_e32 vcc, 0, v96
	v_cndmask_b32_e32 v86, 0, v86, vcc
	v_add_u32_e32 v114, v86, v114
	v_cmp_eq_u32_e32 vcc, 0, v114
	v_cndmask_b32_e32 v86, 0, v86, vcc
	v_add_u32_e32 v76, v86, v76
	v_mad_u64_u32 v[86:87], vcc, v95, s8, 0
	v_mad_u64_u32 v[88:89], vcc, v114, s33, 0
	v_xor_b32_e32 v87, v87, v75
	v_xor_b32_e32 v89, v89, v74
	v_xor_b32_e32 v87, v76, v87
	v_xor_b32_e32 v89, v96, v89
	v_mad_u64_u32 v[120:121], vcc, v87, s33, 0
	v_mad_u64_u32 v[118:119], vcc, v89, s8, 0
	v_xor_b32_e32 v87, v97, v121
	v_xor_b32_e32 v87, v87, v88
	v_xor_b32_e32 v88, v98, v119
	v_xor_b32_e32 v88, v88, v86
	;; [unrolled: 6-line block ×9, first 2 shown]
	v_mad_u64_u32 v[86:87], vcc, v86, s8, 0
	v_mad_u64_u32 v[88:89], vcc, v88, s33, 0
	v_xor_b32_e32 v89, v89, v124
	v_xor_b32_e32 v87, v87, v122
	v_mov_b32_e32 v115, 0
	v_xor_b32_e32 v89, v104, v89
	v_xor_b32_e32 v87, v94, v87
.LBB66_21:                              ;   in Loop: Header=BB66_12 Depth=2
	s_or_b64 exec, exec, s[4:5]
	v_cmp_eq_u32_e32 vcc, 1, v116
	v_cndmask_b32_e32 v4, v4, v5, vcc
	v_cmp_eq_u32_e32 vcc, 2, v116
	v_cndmask_b32_e32 v4, v4, v6, vcc
	;; [unrolled: 2-line block ×6, first 2 shown]
	v_lshrrev_b32_e32 v0, 11, v0
	v_cvt_f64_u32_e32 v[0:1], v0
	v_ldexp_f64 v[0:1], v[0:1], 32
	v_cvt_f64_u32_e32 v[2:3], v4
	v_add_f64 v[0:1], v[0:1], v[2:3]
	v_mov_b32_e32 v2, 0
	v_mov_b32_e32 v3, 0x3ca00000
	v_fma_f64 v[4:5], -v[78:79], v[10:11], v[80:81]
	v_fmac_f64_e32 v[2:3], 0x3ca00000, v[0:1]
	v_mul_f64 v[0:1], v[4:5], s[62:63]
	v_rndne_f64_e32 v[0:1], v[0:1]
	s_mov_b32 s64, s56
	v_fma_f64 v[6:7], s[64:65], v[0:1], v[4:5]
	s_mov_b32 s66, s58
	v_fmac_f64_e32 v[6:7], s[66:67], v[0:1]
	v_pk_mov_b32 v[10:11], v[32:33], v[32:33] op_sel:[0,1]
	v_fmac_f64_e32 v[10:11], s[14:15], v[6:7]
	v_pk_mov_b32 v[116:117], v[34:35], v[34:35] op_sel:[0,1]
	v_fmac_f64_e32 v[116:117], v[6:7], v[10:11]
	v_pk_mov_b32 v[10:11], v[36:37], v[36:37] op_sel:[0,1]
	v_fmac_f64_e32 v[10:11], v[6:7], v[116:117]
	v_pk_mov_b32 v[116:117], v[38:39], v[38:39] op_sel:[0,1]
	v_fmac_f64_e32 v[116:117], v[6:7], v[10:11]
	v_pk_mov_b32 v[10:11], v[40:41], v[40:41] op_sel:[0,1]
	v_fmac_f64_e32 v[10:11], v[6:7], v[116:117]
	v_pk_mov_b32 v[116:117], v[42:43], v[42:43] op_sel:[0,1]
	v_fmac_f64_e32 v[116:117], v[6:7], v[10:11]
	v_pk_mov_b32 v[10:11], v[44:45], v[44:45] op_sel:[0,1]
	v_fmac_f64_e32 v[10:11], v[6:7], v[116:117]
	v_pk_mov_b32 v[116:117], v[46:47], v[46:47] op_sel:[0,1]
	v_fmac_f64_e32 v[116:117], v[6:7], v[10:11]
	v_pk_mov_b32 v[10:11], v[48:49], v[48:49] op_sel:[0,1]
	v_fmac_f64_e32 v[10:11], v[6:7], v[116:117]
	v_fma_f64 v[10:11], v[6:7], v[10:11], 1.0
	v_fma_f64 v[6:7], v[6:7], v[10:11], 1.0
	v_cvt_i32_f64_e32 v0, v[0:1]
	v_ldexp_f64 v[0:1], v[6:7], v0
	v_add_f64 v[0:1], v[0:1], 1.0
	v_cmp_nlt_f64_e32 vcc, s[10:11], v[4:5]
	v_cmp_ngt_f64_e64 s[4:5], s[12:13], v[4:5]
	v_cndmask_b32_e32 v1, v93, v1, vcc
	s_and_b64 vcc, s[4:5], vcc
	v_cndmask_b32_e64 v1, v90, v1, s[4:5]
	v_cndmask_b32_e32 v0, 0, v0, vcc
	v_mul_f64 v[0:1], v[0:1], v[0:1]
	v_div_scale_f64 v[6:7], s[4:5], v[0:1], v[0:1], v[2:3]
	v_rcp_f64_e32 v[10:11], v[6:7]
	s_mov_b32 s55, s41
	s_mov_b32 s4, 0
	;; [unrolled: 1-line block ×3, first 2 shown]
	v_fma_f64 v[116:117], -v[6:7], v[10:11], 1.0
	v_fmac_f64_e32 v[10:11], v[10:11], v[116:117]
	v_fma_f64 v[116:117], -v[6:7], v[10:11], 1.0
	v_fmac_f64_e32 v[10:11], v[10:11], v[116:117]
	v_div_scale_f64 v[116:117], vcc, v[2:3], v[0:1], v[2:3]
	v_mul_f64 v[118:119], v[116:117], v[10:11]
	v_fma_f64 v[6:7], -v[6:7], v[118:119], v[116:117]
	s_nop 1
	v_div_fmas_f64 v[6:7], v[6:7], v[10:11], v[118:119]
	v_div_fixup_f64 v[2:3], v[6:7], v[0:1], v[2:3]
	v_frexp_mant_f64_e32 v[0:1], v[2:3]
	v_cmp_gt_f64_e32 vcc, s[40:41], v[0:1]
	v_cndmask_b32_e64 v17, v90, 2.0, vcc
	v_frexp_exp_i32_f64_e32 v6, v[2:3]
	v_mul_f64 v[0:1], v[0:1], v[16:17]
	v_subbrev_co_u32_e32 v17, vcc, 0, v6, vcc
	v_add_f64 v[6:7], v[0:1], 1.0
	v_rcp_f64_e32 v[10:11], v[6:7]
	v_add_f64 v[118:119], v[6:7], -1.0
	v_add_f64 v[116:117], v[0:1], -1.0
	v_add_f64 v[0:1], v[0:1], -v[118:119]
	v_fma_f64 v[118:119], -v[6:7], v[10:11], 1.0
	v_fmac_f64_e32 v[10:11], v[118:119], v[10:11]
	v_fma_f64 v[118:119], -v[6:7], v[10:11], 1.0
	v_fmac_f64_e32 v[10:11], v[118:119], v[10:11]
	v_mul_f64 v[118:119], v[116:117], v[10:11]
	v_mul_f64 v[120:121], v[6:7], v[118:119]
	v_fma_f64 v[6:7], v[118:119], v[6:7], -v[120:121]
	v_fmac_f64_e32 v[6:7], v[118:119], v[0:1]
	v_add_f64 v[0:1], v[120:121], v[6:7]
	v_add_f64 v[122:123], v[116:117], -v[0:1]
	v_add_f64 v[120:121], v[0:1], -v[120:121]
	;; [unrolled: 1-line block ×5, first 2 shown]
	v_add_f64 v[0:1], v[6:7], v[0:1]
	v_add_f64 v[0:1], v[122:123], v[0:1]
	v_mul_f64 v[0:1], v[10:11], v[0:1]
	v_add_f64 v[6:7], v[118:119], v[0:1]
	v_add_f64 v[10:11], v[6:7], -v[118:119]
	v_add_f64 v[10:11], v[0:1], -v[10:11]
	v_mul_f64 v[116:117], v[6:7], v[6:7]
	v_pk_mov_b32 v[0:1], s[42:43], s[42:43] op_sel:[0,1]
	v_fma_f64 v[118:119], s[44:45], v[116:117], v[0:1]
	v_fma_f64 v[118:119], v[116:117], v[118:119], s[46:47]
	;; [unrolled: 1-line block ×6, first 2 shown]
	v_ldexp_f64 v[120:121], v[6:7], 1
	v_mul_f64 v[6:7], v[6:7], v[116:117]
	v_mul_f64 v[6:7], v[6:7], v[118:119]
	v_add_f64 v[116:117], v[120:121], v[6:7]
	v_add_f64 v[118:119], v[116:117], -v[120:121]
	v_ldexp_f64 v[10:11], v[10:11], 1
	v_add_f64 v[6:7], v[6:7], -v[118:119]
	v_add_f64 v[6:7], v[10:11], v[6:7]
	v_add_f64 v[10:11], v[116:117], v[6:7]
	v_add_f64 v[116:117], v[10:11], -v[116:117]
	v_add_f64 v[6:7], v[6:7], -v[116:117]
	v_cvt_f64_i32_e32 v[116:117], v17
	v_mul_f64 v[118:119], v[116:117], s[56:57]
	v_fma_f64 v[120:121], v[116:117], s[56:57], -v[118:119]
	v_fmac_f64_e32 v[120:121], s[58:59], v[116:117]
	v_add_f64 v[116:117], v[118:119], v[120:121]
	v_add_f64 v[118:119], v[116:117], -v[118:119]
	v_add_f64 v[118:119], v[120:121], -v[118:119]
	v_add_f64 v[120:121], v[116:117], v[10:11]
	v_add_f64 v[122:123], v[120:121], -v[116:117]
	v_add_f64 v[124:125], v[120:121], -v[122:123]
	v_add_f64 v[116:117], v[116:117], -v[124:125]
	v_add_f64 v[10:11], v[10:11], -v[122:123]
	v_add_f64 v[10:11], v[10:11], v[116:117]
	v_add_f64 v[116:117], v[118:119], v[6:7]
	v_add_f64 v[122:123], v[116:117], -v[118:119]
	v_add_f64 v[124:125], v[116:117], -v[122:123]
	v_add_f64 v[10:11], v[116:117], v[10:11]
	v_add_f64 v[118:119], v[118:119], -v[124:125]
	v_add_f64 v[6:7], v[6:7], -v[122:123]
	v_add_f64 v[116:117], v[120:121], v[10:11]
	v_add_f64 v[6:7], v[6:7], v[118:119]
	v_add_f64 v[118:119], v[116:117], -v[120:121]
	v_add_f64 v[10:11], v[10:11], -v[118:119]
	v_add_f64 v[6:7], v[6:7], v[10:11]
	v_add_f64 v[6:7], v[116:117], v[6:7]
	v_cmp_class_f64_e64 vcc, v[2:3], s9
	v_cndmask_b32_e32 v17, v6, v2, vcc
	v_cndmask_b32_e32 v6, v7, v3, vcc
	v_cmp_neq_f64_e32 vcc, 0, v[2:3]
	v_cndmask_b32_e32 v3, v92, v6, vcc
	v_add_f64 v[6:7], v[8:9], 1.0
	v_add_f64 v[6:7], v[6:7], -1.0
	v_add_f64 v[116:117], v[6:7], s[4:5]
	v_div_scale_f64 v[10:11], s[4:5], v[116:117], v[116:117], s[76:77]
	v_rcp_f64_e32 v[118:119], v[10:11]
	v_cndmask_b32_e32 v2, 0, v17, vcc
	v_add_f64 v[2:3], v[4:5], v[2:3]
	v_fma_f64 v[4:5], v[84:85], v[8:9], v[82:83]
	v_fma_f64 v[120:121], -v[10:11], v[118:119], 1.0
	v_fmac_f64_e32 v[118:119], v[118:119], v[120:121]
	v_fma_f64 v[120:121], -v[10:11], v[118:119], 1.0
	v_fmac_f64_e32 v[118:119], v[118:119], v[120:121]
	v_div_scale_f64 v[120:121], vcc, s[76:77], v[116:117], s[76:77]
	v_mul_f64 v[122:123], v[120:121], v[118:119]
	v_fma_f64 v[120:121], -v[10:11], v[122:123], v[120:121]
	v_add_f64 v[10:11], v[6:7], s[78:79]
	v_div_scale_f64 v[124:125], s[4:5], v[10:11], v[10:11], s[80:81]
	v_rcp_f64_e32 v[126:127], v[124:125]
	v_div_fmas_f64 v[118:119], v[120:121], v[118:119], v[122:123]
	v_div_fixup_f64 v[116:117], v[118:119], v[116:117], s[76:77]
	v_add_f64 v[122:123], v[6:7], s[82:83]
	v_fma_f64 v[118:119], -v[124:125], v[126:127], 1.0
	v_fmac_f64_e32 v[126:127], v[126:127], v[118:119]
	v_fma_f64 v[118:119], -v[124:125], v[126:127], 1.0
	v_fmac_f64_e32 v[126:127], v[126:127], v[118:119]
	v_div_scale_f64 v[118:119], vcc, s[80:81], v[10:11], s[80:81]
	v_mul_f64 v[120:121], v[118:119], v[126:127]
	v_fma_f64 v[118:119], -v[124:125], v[120:121], v[118:119]
	v_div_scale_f64 v[124:125], s[4:5], v[122:123], v[122:123], s[84:85]
	v_rcp_f64_e32 v[128:129], v[124:125]
	v_div_fmas_f64 v[118:119], v[118:119], v[126:127], v[120:121]
	v_add_f64 v[116:117], v[116:117], 0
	v_div_fixup_f64 v[118:119], v[118:119], v[10:11], s[80:81]
	v_add_f64 v[116:117], v[118:119], v[116:117]
	v_fma_f64 v[118:119], -v[124:125], v[128:129], 1.0
	v_fmac_f64_e32 v[128:129], v[128:129], v[118:119]
	v_fma_f64 v[118:119], -v[124:125], v[128:129], 1.0
	v_fmac_f64_e32 v[128:129], v[128:129], v[118:119]
	v_div_scale_f64 v[118:119], vcc, s[84:85], v[122:123], s[84:85]
	v_mul_f64 v[120:121], v[118:119], v[128:129]
	v_fma_f64 v[118:119], -v[124:125], v[120:121], v[118:119]
	v_add_f64 v[124:125], v[6:7], s[86:87]
	v_div_scale_f64 v[126:127], s[4:5], v[124:125], v[124:125], s[88:89]
	v_rcp_f64_e32 v[130:131], v[126:127]
	v_div_fmas_f64 v[118:119], v[118:119], v[128:129], v[120:121]
	v_div_fixup_f64 v[118:119], v[118:119], v[122:123], s[84:85]
	v_add_f64 v[116:117], v[116:117], v[118:119]
	v_fma_f64 v[118:119], -v[126:127], v[130:131], 1.0
	v_fmac_f64_e32 v[130:131], v[130:131], v[118:119]
	v_fma_f64 v[118:119], -v[126:127], v[130:131], 1.0
	v_fmac_f64_e32 v[130:131], v[130:131], v[118:119]
	v_div_scale_f64 v[118:119], vcc, s[88:89], v[124:125], s[88:89]
	v_mul_f64 v[120:121], v[118:119], v[130:131]
	v_add_f64 v[122:123], v[6:7], 4.0
	v_fma_f64 v[118:119], -v[126:127], v[120:121], v[118:119]
	v_div_scale_f64 v[126:127], s[4:5], v[122:123], v[122:123], s[90:91]
	v_rcp_f64_e32 v[128:129], v[126:127]
	v_div_fmas_f64 v[118:119], v[118:119], v[130:131], v[120:121]
	v_div_fixup_f64 v[118:119], v[118:119], v[124:125], s[88:89]
	v_add_f64 v[116:117], v[118:119], v[116:117]
	v_fma_f64 v[118:119], -v[126:127], v[128:129], 1.0
	v_fmac_f64_e32 v[128:129], v[128:129], v[118:119]
	v_fma_f64 v[118:119], -v[126:127], v[128:129], 1.0
	v_fmac_f64_e32 v[128:129], v[128:129], v[118:119]
	v_div_scale_f64 v[118:119], vcc, s[90:91], v[122:123], s[90:91]
	v_mul_f64 v[120:121], v[118:119], v[128:129]
	v_add_f64 v[124:125], v[6:7], s[34:35]
	v_fma_f64 v[118:119], -v[126:127], v[120:121], v[118:119]
	v_div_scale_f64 v[126:127], s[4:5], v[124:125], v[124:125], s[92:93]
	v_rcp_f64_e32 v[130:131], v[126:127]
	v_div_fmas_f64 v[118:119], v[118:119], v[128:129], v[120:121]
	v_div_fixup_f64 v[118:119], v[118:119], v[122:123], s[90:91]
	v_add_f64 v[116:117], v[116:117], v[118:119]
	v_fma_f64 v[118:119], -v[126:127], v[130:131], 1.0
	v_fmac_f64_e32 v[130:131], v[130:131], v[118:119]
	v_fma_f64 v[118:119], -v[126:127], v[130:131], 1.0
	v_fmac_f64_e32 v[130:131], v[130:131], v[118:119]
	v_div_scale_f64 v[118:119], vcc, s[92:93], v[124:125], s[92:93]
	v_mul_f64 v[120:121], v[118:119], v[130:131]
	v_add_f64 v[122:123], v[6:7], 2.0
	v_fma_f64 v[118:119], -v[126:127], v[120:121], v[118:119]
	v_div_scale_f64 v[126:127], s[4:5], v[122:123], v[122:123], s[94:95]
	v_rcp_f64_e32 v[128:129], v[126:127]
	v_div_fmas_f64 v[118:119], v[118:119], v[130:131], v[120:121]
	v_div_fixup_f64 v[118:119], v[118:119], v[124:125], s[92:93]
	v_add_f64 v[116:117], v[118:119], v[116:117]
	v_fma_f64 v[118:119], -v[126:127], v[128:129], 1.0
	v_fmac_f64_e32 v[128:129], v[128:129], v[118:119]
	v_fma_f64 v[118:119], -v[126:127], v[128:129], 1.0
	v_fmac_f64_e32 v[128:129], v[128:129], v[118:119]
	v_div_scale_f64 v[118:119], vcc, s[94:95], v[122:123], s[94:95]
	v_mul_f64 v[120:121], v[118:119], v[128:129]
	v_add_f64 v[124:125], v[6:7], 1.0
	v_fma_f64 v[118:119], -v[126:127], v[120:121], v[118:119]
	v_div_scale_f64 v[126:127], s[4:5], v[124:125], v[124:125], s[30:31]
	v_rcp_f64_e32 v[130:131], v[126:127]
	v_div_fmas_f64 v[118:119], v[118:119], v[128:129], v[120:121]
	v_div_fixup_f64 v[118:119], v[118:119], v[122:123], s[94:95]
	v_add_f64 v[116:117], v[116:117], v[118:119]
	v_fma_f64 v[118:119], -v[126:127], v[130:131], 1.0
	v_fmac_f64_e32 v[130:131], v[130:131], v[118:119]
	v_fma_f64 v[118:119], -v[126:127], v[130:131], 1.0
	v_fmac_f64_e32 v[130:131], v[130:131], v[118:119]
	v_div_scale_f64 v[118:119], vcc, s[30:31], v[124:125], s[30:31]
	v_mul_f64 v[120:121], v[118:119], v[130:131]
	v_fma_f64 v[118:119], -v[126:127], v[120:121], v[118:119]
	v_add_f64 v[10:11], v[10:11], 0.5
	s_nop 0
	v_div_fmas_f64 v[118:119], v[118:119], v[130:131], v[120:121]
	v_div_fixup_f64 v[118:119], v[118:119], v[124:125], s[30:31]
	v_add_f64 v[116:117], v[118:119], v[116:117]
	v_add_f64 v[116:117], v[116:117], s[26:27]
	v_frexp_mant_f64_e32 v[118:119], v[116:117]
	v_cmp_gt_f64_e32 vcc, s[40:41], v[118:119]
	v_cndmask_b32_e64 v17, v90, 2.0, vcc
	v_frexp_exp_i32_f64_e32 v120, v[116:117]
	v_mul_f64 v[118:119], v[118:119], v[16:17]
	v_subbrev_co_u32_e32 v17, vcc, 0, v120, vcc
	v_add_f64 v[120:121], v[118:119], 1.0
	v_rcp_f64_e32 v[122:123], v[120:121]
	v_add_f64 v[126:127], v[120:121], -1.0
	v_add_f64 v[124:125], v[118:119], -1.0
	v_add_f64 v[118:119], v[118:119], -v[126:127]
	v_fma_f64 v[126:127], -v[120:121], v[122:123], 1.0
	v_fmac_f64_e32 v[122:123], v[126:127], v[122:123]
	v_fma_f64 v[126:127], -v[120:121], v[122:123], 1.0
	v_fmac_f64_e32 v[122:123], v[126:127], v[122:123]
	v_mul_f64 v[126:127], v[124:125], v[122:123]
	v_mul_f64 v[128:129], v[120:121], v[126:127]
	v_fma_f64 v[120:121], v[126:127], v[120:121], -v[128:129]
	v_fmac_f64_e32 v[120:121], v[126:127], v[118:119]
	v_add_f64 v[118:119], v[128:129], v[120:121]
	v_add_f64 v[130:131], v[124:125], -v[118:119]
	v_add_f64 v[128:129], v[118:119], -v[128:129]
	;; [unrolled: 1-line block ×5, first 2 shown]
	v_add_f64 v[118:119], v[120:121], v[118:119]
	v_add_f64 v[118:119], v[130:131], v[118:119]
	v_mul_f64 v[118:119], v[122:123], v[118:119]
	v_add_f64 v[120:121], v[126:127], v[118:119]
	v_add_f64 v[122:123], v[120:121], -v[126:127]
	v_add_f64 v[118:119], v[118:119], -v[122:123]
	v_mul_f64 v[122:123], v[120:121], v[120:121]
	v_fma_f64 v[124:125], s[44:45], v[122:123], v[0:1]
	v_fma_f64 v[124:125], v[122:123], v[124:125], s[46:47]
	;; [unrolled: 1-line block ×6, first 2 shown]
	v_ldexp_f64 v[126:127], v[120:121], 1
	v_mul_f64 v[120:121], v[120:121], v[122:123]
	v_mul_f64 v[120:121], v[120:121], v[124:125]
	v_add_f64 v[122:123], v[126:127], v[120:121]
	v_add_f64 v[124:125], v[122:123], -v[126:127]
	v_ldexp_f64 v[118:119], v[118:119], 1
	v_add_f64 v[120:121], v[120:121], -v[124:125]
	v_add_f64 v[118:119], v[118:119], v[120:121]
	v_add_f64 v[120:121], v[122:123], v[118:119]
	v_add_f64 v[122:123], v[120:121], -v[122:123]
	v_add_f64 v[118:119], v[118:119], -v[122:123]
	v_cvt_f64_i32_e32 v[122:123], v17
	v_mul_f64 v[124:125], v[122:123], s[56:57]
	v_fma_f64 v[126:127], v[122:123], s[56:57], -v[124:125]
	v_fmac_f64_e32 v[126:127], s[58:59], v[122:123]
	v_add_f64 v[122:123], v[124:125], v[126:127]
	v_add_f64 v[124:125], v[122:123], -v[124:125]
	v_add_f64 v[124:125], v[126:127], -v[124:125]
	v_add_f64 v[126:127], v[122:123], v[120:121]
	v_add_f64 v[128:129], v[126:127], -v[122:123]
	v_add_f64 v[130:131], v[126:127], -v[128:129]
	;; [unrolled: 1-line block ×4, first 2 shown]
	v_add_f64 v[120:121], v[120:121], v[122:123]
	v_add_f64 v[122:123], v[124:125], v[118:119]
	v_add_f64 v[128:129], v[122:123], -v[124:125]
	v_add_f64 v[130:131], v[122:123], -v[128:129]
	v_add_f64 v[120:121], v[122:123], v[120:121]
	v_add_f64 v[124:125], v[124:125], -v[130:131]
	v_add_f64 v[118:119], v[118:119], -v[128:129]
	v_add_f64 v[122:123], v[126:127], v[120:121]
	v_add_f64 v[118:119], v[118:119], v[124:125]
	v_add_f64 v[124:125], v[122:123], -v[126:127]
	v_add_f64 v[120:121], v[120:121], -v[124:125]
	v_add_f64 v[118:119], v[118:119], v[120:121]
	v_add_f64 v[118:119], v[122:123], v[118:119]
	v_cmp_class_f64_e64 vcc, v[116:117], s9
	v_div_scale_f64 v[120:121], s[4:5], s[38:39], s[38:39], v[10:11]
	v_cndmask_b32_e32 v119, v119, v117, vcc
	v_cndmask_b32_e32 v118, v118, v116, vcc
	v_rcp_f64_e32 v[122:123], v[120:121]
	v_add_f64 v[118:119], v[118:119], s[36:37]
	v_add_f64 v[118:119], v[118:119], s[24:25]
	v_cmp_ngt_f64_e32 vcc, 0, v[116:117]
	v_cndmask_b32_e32 v17, v91, v119, vcc
	v_cmp_nge_f64_e32 vcc, 0, v[116:117]
	v_cndmask_b32_e32 v118, 0, v118, vcc
	v_cmp_neq_f64_e32 vcc, 0, v[116:117]
	v_fma_f64 v[116:117], -v[120:121], v[122:123], 1.0
	v_fmac_f64_e32 v[122:123], v[122:123], v[116:117]
	v_fma_f64 v[116:117], -v[120:121], v[122:123], 1.0
	v_cndmask_b32_e32 v119, v92, v17, vcc
	v_fmac_f64_e32 v[122:123], v[122:123], v[116:117]
	v_div_scale_f64 v[116:117], vcc, v[10:11], s[38:39], v[10:11]
	v_mul_f64 v[124:125], v[116:117], v[122:123]
	v_fma_f64 v[116:117], -v[120:121], v[124:125], v[116:117]
	v_add_f64 v[6:7], v[6:7], 0.5
	s_nop 0
	v_div_fmas_f64 v[116:117], v[116:117], v[122:123], v[124:125]
	v_div_fixup_f64 v[10:11], v[116:117], s[38:39], v[10:11]
	v_frexp_mant_f64_e32 v[116:117], v[10:11]
	v_cmp_gt_f64_e32 vcc, s[40:41], v[116:117]
	v_cndmask_b32_e64 v17, v90, 2.0, vcc
	v_frexp_exp_i32_f64_e32 v120, v[10:11]
	v_mul_f64 v[116:117], v[116:117], v[16:17]
	v_subbrev_co_u32_e32 v17, vcc, 0, v120, vcc
	v_add_f64 v[120:121], v[116:117], 1.0
	v_rcp_f64_e32 v[122:123], v[120:121]
	v_add_f64 v[126:127], v[120:121], -1.0
	v_add_f64 v[124:125], v[116:117], -1.0
	v_add_f64 v[116:117], v[116:117], -v[126:127]
	v_fma_f64 v[126:127], -v[120:121], v[122:123], 1.0
	v_fmac_f64_e32 v[122:123], v[126:127], v[122:123]
	v_fma_f64 v[126:127], -v[120:121], v[122:123], 1.0
	v_fmac_f64_e32 v[122:123], v[126:127], v[122:123]
	v_mul_f64 v[126:127], v[124:125], v[122:123]
	v_mul_f64 v[128:129], v[120:121], v[126:127]
	v_fma_f64 v[120:121], v[126:127], v[120:121], -v[128:129]
	v_fmac_f64_e32 v[120:121], v[126:127], v[116:117]
	v_add_f64 v[116:117], v[128:129], v[120:121]
	v_add_f64 v[130:131], v[124:125], -v[116:117]
	v_add_f64 v[128:129], v[116:117], -v[128:129]
	;; [unrolled: 1-line block ×5, first 2 shown]
	v_add_f64 v[116:117], v[120:121], v[116:117]
	v_add_f64 v[116:117], v[130:131], v[116:117]
	v_mul_f64 v[116:117], v[122:123], v[116:117]
	v_add_f64 v[120:121], v[126:127], v[116:117]
	v_add_f64 v[122:123], v[120:121], -v[126:127]
	v_add_f64 v[116:117], v[116:117], -v[122:123]
	v_mul_f64 v[122:123], v[120:121], v[120:121]
	v_fmac_f64_e32 v[0:1], s[44:45], v[122:123]
	v_fma_f64 v[0:1], v[122:123], v[0:1], s[46:47]
	v_fma_f64 v[0:1], v[122:123], v[0:1], s[48:49]
	;; [unrolled: 1-line block ×5, first 2 shown]
	v_ldexp_f64 v[124:125], v[120:121], 1
	v_mul_f64 v[120:121], v[120:121], v[122:123]
	v_mul_f64 v[0:1], v[120:121], v[0:1]
	v_add_f64 v[120:121], v[124:125], v[0:1]
	v_add_f64 v[122:123], v[120:121], -v[124:125]
	v_ldexp_f64 v[116:117], v[116:117], 1
	v_add_f64 v[0:1], v[0:1], -v[122:123]
	v_add_f64 v[0:1], v[116:117], v[0:1]
	v_add_f64 v[116:117], v[120:121], v[0:1]
	v_add_f64 v[120:121], v[116:117], -v[120:121]
	v_add_f64 v[0:1], v[0:1], -v[120:121]
	v_cvt_f64_i32_e32 v[120:121], v17
	v_mul_f64 v[122:123], v[120:121], s[56:57]
	v_fma_f64 v[124:125], v[120:121], s[56:57], -v[122:123]
	v_fmac_f64_e32 v[124:125], s[58:59], v[120:121]
	v_add_f64 v[120:121], v[122:123], v[124:125]
	v_add_f64 v[122:123], v[120:121], -v[122:123]
	v_add_f64 v[122:123], v[124:125], -v[122:123]
	v_add_f64 v[124:125], v[120:121], v[116:117]
	v_add_f64 v[126:127], v[124:125], -v[120:121]
	v_add_f64 v[128:129], v[124:125], -v[126:127]
	;; [unrolled: 1-line block ×4, first 2 shown]
	v_add_f64 v[116:117], v[116:117], v[120:121]
	v_add_f64 v[120:121], v[122:123], v[0:1]
	v_add_f64 v[126:127], v[120:121], -v[122:123]
	v_add_f64 v[128:129], v[120:121], -v[126:127]
	v_add_f64 v[116:117], v[120:121], v[116:117]
	v_add_f64 v[122:123], v[122:123], -v[128:129]
	v_add_f64 v[0:1], v[0:1], -v[126:127]
	v_add_f64 v[120:121], v[124:125], v[116:117]
	v_add_f64 v[0:1], v[0:1], v[122:123]
	v_add_f64 v[122:123], v[120:121], -v[124:125]
	v_add_f64 v[116:117], v[116:117], -v[122:123]
	v_add_f64 v[0:1], v[0:1], v[116:117]
	v_add_f64 v[0:1], v[120:121], v[0:1]
	v_cmp_class_f64_e64 vcc, v[10:11], s9
	v_cndmask_b32_e32 v0, v0, v10, vcc
	v_cndmask_b32_e32 v1, v1, v11, vcc
	v_cmp_ngt_f64_e32 vcc, 0, v[10:11]
	v_cndmask_b32_e32 v1, v91, v1, vcc
	v_cmp_nge_f64_e32 vcc, 0, v[10:11]
	v_cndmask_b32_e32 v0, 0, v0, vcc
	v_cmp_neq_f64_e32 vcc, 0, v[10:11]
	v_cndmask_b32_e32 v1, v92, v1, vcc
	v_fmac_f64_e32 v[118:119], v[6:7], v[0:1]
	v_add_f64 v[0:1], v[4:5], -v[118:119]
	v_cvt_u32_f64_e32 v4, v[8:9]
	v_cmp_le_f64_e32 vcc, v[2:3], v[0:1]
	v_cndmask_b32_e64 v117, 0, 1, vcc
	v_cndmask_b32_e32 v77, v77, v4, vcc
	v_mov_b32_e32 v116, v115
.LBB66_22:                              ;   in Loop: Header=BB66_12 Depth=2
	s_or_b64 exec, exec, s[22:23]
	v_cmp_gt_i32_e32 vcc, 2, v117
	s_or_b64 s[18:19], vcc, s[18:19]
	v_mov_b32_e32 v17, v116
	v_mov_b32_e32 v0, v89
	;; [unrolled: 1-line block ×5, first 2 shown]
	s_andn2_b64 exec, exec, s[18:19]
	s_cbranch_execnz .LBB66_12
; %bb.23:                               ;   in Loop: Header=BB66_12 Depth=2
	s_or_b64 exec, exec, s[18:19]
	v_cmp_ne_u32_e32 vcc, 0, v117
	s_or_b64 s[60:61], vcc, s[60:61]
	s_mov_b64 s[18:19], 0
	v_mov_b32_e32 v17, v116
	v_mov_b32_e32 v0, v89
	;; [unrolled: 1-line block ×5, first 2 shown]
	s_andn2_b64 exec, exec, s[60:61]
	s_cbranch_execnz .LBB66_12
; %bb.24:                               ;   in Loop: Header=BB66_6 Depth=1
	s_or_b64 exec, exec, s[60:61]
                                        ; implicit-def: $vgpr4_vgpr5
                                        ; implicit-def: $vgpr74_vgpr75
                                        ; implicit-def: $vgpr17
                                        ; implicit-def: $vgpr95
                                        ; implicit-def: $vgpr96
                                        ; implicit-def: $vgpr104
                                        ; implicit-def: $vgpr94
                                        ; implicit-def: $vgpr3
                                        ; implicit-def: $vgpr97
                                        ; implicit-def: $vgpr98
                                        ; implicit-def: $vgpr99
                                        ; implicit-def: $vgpr100
                                        ; implicit-def: $vgpr102
                                        ; implicit-def: $vgpr103
                                        ; implicit-def: $vgpr105
                                        ; implicit-def: $vgpr106
                                        ; implicit-def: $vgpr107
                                        ; implicit-def: $vgpr108
                                        ; implicit-def: $vgpr109
                                        ; implicit-def: $vgpr110
                                        ; implicit-def: $vgpr111
                                        ; implicit-def: $vgpr112
                                        ; implicit-def: $vgpr101
                                        ; implicit-def: $vgpr113
.LBB66_25:                              ;   in Loop: Header=BB66_6 Depth=1
	s_andn2_saveexec_b64 s[18:19], s[70:71]
	s_cbranch_execz .LBB66_37
; %bb.26:                               ;   in Loop: Header=BB66_6 Depth=1
	v_add_co_u32_e32 v6, vcc, 1, v95
	v_cndmask_b32_e64 v7, 0, 1, vcc
	v_addc_co_u32_e32 v10, vcc, 0, v96, vcc
	v_cmp_eq_u32_e32 vcc, 0, v10
	v_cndmask_b32_e32 v7, 0, v7, vcc
	v_add_u32_e32 v8, v7, v12
	v_cmp_eq_u32_e32 vcc, 0, v8
	v_cndmask_b32_e32 v11, 0, v7, vcc
	v_mad_u64_u32 v[6:7], s[4:5], v6, s8, 0
	v_mad_u64_u32 v[8:9], s[4:5], v8, s33, 0
	v_xor_b32_e32 v7, v7, v75
	v_xor_b32_e32 v9, v9, v74
	v_xor_b32_e32 v7, v11, v7
	v_xor_b32_e32 v9, v10, v9
	v_mad_u64_u32 v[74:75], s[4:5], v7, s33, 0
	v_mad_u64_u32 v[10:11], s[4:5], v9, s8, 0
	v_xor_b32_e32 v7, v97, v75
	v_xor_b32_e32 v7, v7, v8
	v_xor_b32_e32 v8, v98, v11
	v_xor_b32_e32 v8, v8, v6
	;; [unrolled: 6-line block ×8, first 2 shown]
	v_mad_u64_u32 v[76:77], s[4:5], v7, s8, 0
	v_mad_u64_u32 v[8:9], s[4:5], v6, s33, 0
	v_xor_b32_e32 v6, v113, v77
	v_xor_b32_e32 v6, v6, v10
	v_mad_u64_u32 v[6:7], s[4:5], v6, s33, 0
	v_xor_b32_e32 v7, v7, v8
	v_xor_b32_e32 v10, v104, v7
	v_cmp_lt_i32_e32 vcc, 1, v17
                                        ; implicit-def: $vgpr8
	s_and_saveexec_b64 s[4:5], vcc
	s_xor_b64 s[4:5], exec, s[4:5]
	s_cbranch_execz .LBB66_32
; %bb.27:                               ;   in Loop: Header=BB66_6 Depth=1
	v_cmp_lt_i32_e32 vcc, 2, v17
                                        ; implicit-def: $vgpr8
	s_and_saveexec_b64 s[22:23], vcc
	s_xor_b64 s[22:23], exec, s[22:23]
; %bb.28:                               ;   in Loop: Header=BB66_6 Depth=1
	v_xor_b32_e32 v0, v101, v9
	v_xor_b32_e32 v0, v0, v74
	v_mul_hi_u32 v0, v0, s8
	v_xor_b32_e32 v0, v0, v76
	v_xor_b32_e32 v8, v94, v0
; %bb.29:                               ;   in Loop: Header=BB66_6 Depth=1
	s_andn2_saveexec_b64 s[22:23], s[22:23]
; %bb.30:                               ;   in Loop: Header=BB66_6 Depth=1
	v_mov_b32_e32 v8, v6
	v_mov_b32_e32 v6, v10
	;; [unrolled: 1-line block ×4, first 2 shown]
; %bb.31:                               ;   in Loop: Header=BB66_6 Depth=1
	s_or_b64 exec, exec, s[22:23]
                                        ; implicit-def: $vgpr17
.LBB66_32:                              ;   in Loop: Header=BB66_6 Depth=1
	s_andn2_saveexec_b64 s[4:5], s[4:5]
	s_cbranch_execz .LBB66_36
; %bb.33:                               ;   in Loop: Header=BB66_6 Depth=1
	v_cmp_eq_u32_e32 vcc, 1, v17
	v_mov_b32_e32 v8, v3
	v_mov_b32_e32 v6, v2
	;; [unrolled: 1-line block ×3, first 2 shown]
	s_and_saveexec_b64 s[22:23], vcc
; %bb.34:                               ;   in Loop: Header=BB66_6 Depth=1
	v_mov_b32_e32 v8, v10
	v_mov_b32_e32 v6, v3
	;; [unrolled: 1-line block ×4, first 2 shown]
; %bb.35:                               ;   in Loop: Header=BB66_6 Depth=1
	s_or_b64 exec, exec, s[22:23]
	v_mov_b32_e32 v3, v0
	v_mov_b32_e32 v10, v7
.LBB66_36:                              ;   in Loop: Header=BB66_6 Depth=1
	s_or_b64 exec, exec, s[4:5]
	v_mov_b32_e32 v11, v16
	v_lshlrev_b64 v[0:1], 21, v[10:11]
	v_xor_b32_e32 v2, v0, v3
	v_cvt_f64_u32_e32 v[0:1], v1
	v_ldexp_f64 v[0:1], v[0:1], 32
	v_cvt_f64_u32_e32 v[2:3], v2
	v_add_f64 v[0:1], v[0:1], v[2:3]
	v_mov_b32_e32 v2, 0
	v_mov_b32_e32 v3, 0x3ca00000
	v_fmac_f64_e32 v[2:3], 0x3ca00000, v[0:1]
	v_mov_b32_e32 v9, v16
	v_lshlrev_b64 v[0:1], 21, v[8:9]
	v_frexp_mant_f64_e32 v[8:9], v[2:3]
	v_cmp_gt_f64_e32 vcc, s[40:41], v[8:9]
	v_cndmask_b32_e64 v17, v90, 2.0, vcc
	v_frexp_exp_i32_f64_e32 v10, v[2:3]
	v_mul_f64 v[8:9], v[8:9], v[16:17]
	v_subbrev_co_u32_e32 v17, vcc, 0, v10, vcc
	v_add_f64 v[10:11], v[8:9], 1.0
	v_rcp_f64_e32 v[74:75], v[10:11]
	v_add_f64 v[78:79], v[10:11], -1.0
	v_add_f64 v[76:77], v[8:9], -1.0
	v_add_f64 v[8:9], v[8:9], -v[78:79]
	v_fma_f64 v[78:79], -v[10:11], v[74:75], 1.0
	v_fmac_f64_e32 v[74:75], v[78:79], v[74:75]
	v_fma_f64 v[78:79], -v[10:11], v[74:75], 1.0
	v_fmac_f64_e32 v[74:75], v[78:79], v[74:75]
	v_mul_f64 v[78:79], v[76:77], v[74:75]
	v_mul_f64 v[80:81], v[10:11], v[78:79]
	v_fma_f64 v[10:11], v[78:79], v[10:11], -v[80:81]
	v_fmac_f64_e32 v[10:11], v[78:79], v[8:9]
	v_add_f64 v[8:9], v[80:81], v[10:11]
	v_add_f64 v[82:83], v[76:77], -v[8:9]
	v_add_f64 v[80:81], v[8:9], -v[80:81]
	;; [unrolled: 1-line block ×5, first 2 shown]
	v_add_f64 v[8:9], v[10:11], v[8:9]
	v_add_f64 v[8:9], v[82:83], v[8:9]
	v_mul_f64 v[8:9], v[74:75], v[8:9]
	v_add_f64 v[10:11], v[78:79], v[8:9]
	v_add_f64 v[74:75], v[10:11], -v[78:79]
	v_add_f64 v[8:9], v[8:9], -v[74:75]
	v_mul_f64 v[74:75], v[10:11], v[10:11]
	v_pk_mov_b32 v[76:77], v[20:21], v[20:21] op_sel:[0,1]
	v_fmac_f64_e32 v[76:77], s[44:45], v[74:75]
	v_pk_mov_b32 v[78:79], v[22:23], v[22:23] op_sel:[0,1]
	v_fmac_f64_e32 v[78:79], v[74:75], v[76:77]
	;; [unrolled: 2-line block ×6, first 2 shown]
	v_ldexp_f64 v[76:77], v[10:11], 1
	v_mul_f64 v[10:11], v[10:11], v[74:75]
	v_mul_f64 v[10:11], v[10:11], v[78:79]
	v_add_f64 v[74:75], v[76:77], v[10:11]
	v_add_f64 v[76:77], v[74:75], -v[76:77]
	v_ldexp_f64 v[8:9], v[8:9], 1
	v_add_f64 v[10:11], v[10:11], -v[76:77]
	v_add_f64 v[8:9], v[8:9], v[10:11]
	v_add_f64 v[10:11], v[74:75], v[8:9]
	v_add_f64 v[74:75], v[10:11], -v[74:75]
	v_add_f64 v[8:9], v[8:9], -v[74:75]
	v_cvt_f64_i32_e32 v[74:75], v17
	v_mul_f64 v[76:77], v[74:75], s[56:57]
	v_fma_f64 v[78:79], v[74:75], s[56:57], -v[76:77]
	v_fmac_f64_e32 v[78:79], s[58:59], v[74:75]
	v_add_f64 v[74:75], v[76:77], v[78:79]
	v_add_f64 v[76:77], v[74:75], -v[76:77]
	v_add_f64 v[76:77], v[78:79], -v[76:77]
	v_add_f64 v[78:79], v[74:75], v[10:11]
	v_add_f64 v[80:81], v[78:79], -v[74:75]
	v_add_f64 v[82:83], v[78:79], -v[80:81]
	;; [unrolled: 1-line block ×4, first 2 shown]
	v_add_f64 v[10:11], v[10:11], v[74:75]
	v_add_f64 v[74:75], v[76:77], v[8:9]
	v_add_f64 v[80:81], v[74:75], -v[76:77]
	v_add_f64 v[82:83], v[74:75], -v[80:81]
	v_add_f64 v[10:11], v[74:75], v[10:11]
	v_add_f64 v[76:77], v[76:77], -v[82:83]
	v_add_f64 v[8:9], v[8:9], -v[80:81]
	v_add_f64 v[74:75], v[78:79], v[10:11]
	v_add_f64 v[8:9], v[8:9], v[76:77]
	v_add_f64 v[76:77], v[74:75], -v[78:79]
	v_add_f64 v[10:11], v[10:11], -v[76:77]
	s_mov_b32 s60, 0
	v_add_f64 v[8:9], v[8:9], v[10:11]
	s_mov_b32 s61, 0x7ff00000
	v_add_f64 v[8:9], v[74:75], v[8:9]
	v_cmp_eq_f64_e32 vcc, s[60:61], v[2:3]
	v_cndmask_b32_e32 v9, v9, v3, vcc
	v_cndmask_b32_e32 v8, v8, v2, vcc
	v_mul_f64 v[8:9], v[8:9], -2.0
	v_cmp_neq_f64_e32 vcc, 0, v[2:3]
	s_mov_b32 s4, 0
	v_cndmask_b32_e32 v3, v93, v9, vcc
	v_cndmask_b32_e32 v2, 0, v8, vcc
	s_brev_b32 s5, 8
	v_cmp_gt_f64_e32 vcc, s[4:5], v[2:3]
	v_cndmask_b32_e64 v8, 0, 1, vcc
	v_lshlrev_b32_e32 v8, 8, v8
	v_ldexp_f64 v[2:3], v[2:3], v8
	v_xor_b32_e32 v6, v0, v6
	v_cvt_f64_u32_e32 v[0:1], v1
	v_rsq_f64_e32 v[8:9], v[2:3]
	v_ldexp_f64 v[0:1], v[0:1], 32
	v_cvt_f64_u32_e32 v[6:7], v6
	v_add_f64 v[0:1], v[0:1], v[6:7]
	v_mov_b32_e32 v6, 0
	v_mov_b32_e32 v7, 0x3cb00000
	v_fmac_f64_e32 v[6:7], 0x3cb00000, v[0:1]
	v_mul_f64 v[0:1], v[2:3], v[8:9]
	v_mul_f64 v[8:9], v[8:9], 0.5
	v_fma_f64 v[10:11], -v[8:9], v[0:1], 0.5
	v_fmac_f64_e32 v[0:1], v[0:1], v[10:11]
	v_fma_f64 v[74:75], -v[0:1], v[0:1], v[2:3]
	v_fmac_f64_e32 v[8:9], v[8:9], v[10:11]
	v_fmac_f64_e32 v[0:1], v[74:75], v[8:9]
	v_fma_f64 v[10:11], -v[0:1], v[0:1], v[2:3]
	v_fmac_f64_e32 v[0:1], v[10:11], v[8:9]
	v_cndmask_b32_e32 v8, 0, v19, vcc
	v_ldexp_f64 v[0:1], v[0:1], v8
	v_cmp_class_f64_e32 vcc, v[2:3], v15
	v_cndmask_b32_e32 v1, v1, v3, vcc
	v_cndmask_b32_e32 v0, v0, v2, vcc
	v_mul_f64 v[2:3], v[6:7], 0.5
	v_fract_f64_e32 v[8:9], v[2:3]
	v_add_f64 v[8:9], v[8:9], v[8:9]
	v_cmp_neq_f64_e32 vcc, s[60:61], v[2:3]
	v_cndmask_b32_e32 v2, 0, v8, vcc
	v_cndmask_b32_e32 v3, 0, v9, vcc
	v_cmp_lt_f64_e32 vcc, 1.0, v[6:7]
	v_cndmask_b32_e32 v3, v7, v3, vcc
	v_cndmask_b32_e32 v2, v6, v2, vcc
	v_add_f64 v[8:9], v[2:3], v[2:3]
	v_rndne_f64_e32 v[8:9], v[8:9]
	v_fmac_f64_e32 v[2:3], -0.5, v[8:9]
	s_mov_b32 s22, 0xf99eb0bb
	v_cvt_i32_f64_e32 v17, v[8:9]
	v_mul_f64 v[8:9], v[2:3], v[2:3]
	v_pk_mov_b32 v[10:11], v[50:51], v[50:51] op_sel:[0,1]
	s_mov_b32 s23, 0x3f3e357e
	v_fmac_f64_e32 v[10:11], s[22:23], v[8:9]
	v_pk_mov_b32 v[74:75], v[52:53], v[52:53] op_sel:[0,1]
	v_fmac_f64_e32 v[74:75], v[8:9], v[10:11]
	v_pk_mov_b32 v[10:11], v[54:55], v[54:55] op_sel:[0,1]
	;; [unrolled: 2-line block ×4, first 2 shown]
	v_fmac_f64_e32 v[10:11], v[8:9], v[74:75]
	v_mul_f64 v[74:75], v[2:3], v[8:9]
	s_mov_b32 s22, 0x54442d18
	v_mul_f64 v[10:11], v[74:75], v[10:11]
	s_mov_b32 s23, 0x400921fb
	v_fmac_f64_e32 v[10:11], s[22:23], v[2:3]
	s_mov_b32 s22, 0x2e21c33
	v_pk_mov_b32 v[2:3], v[60:61], v[60:61] op_sel:[0,1]
	s_mov_b32 s23, 0xbf1b1673
	v_fmac_f64_e32 v[2:3], s[22:23], v[8:9]
	v_pk_mov_b32 v[74:75], v[62:63], v[62:63] op_sel:[0,1]
	v_fmac_f64_e32 v[74:75], v[8:9], v[2:3]
	v_pk_mov_b32 v[2:3], v[64:65], v[64:65] op_sel:[0,1]
	;; [unrolled: 2-line block ×5, first 2 shown]
	v_fmac_f64_e32 v[74:75], v[8:9], v[2:3]
	v_fma_f64 v[2:3], v[8:9], v[74:75], 1.0
	v_and_b32_e32 v9, 1, v17
	v_lshlrev_b32_e32 v8, 30, v17
	v_cmp_eq_u32_e32 vcc, 0, v9
	v_cndmask_b32_e32 v10, v2, v10, vcc
	v_cndmask_b32_e32 v2, v3, v11, vcc
	v_xor_b32_e32 v3, v8, v7
	v_and_b32_e32 v3, 0x80000000, v3
	v_cmp_gt_f64_e32 vcc, s[4:5], v[4:5]
	v_xor_b32_e32 v11, v2, v3
	v_cndmask_b32_e64 v2, 0, 1, vcc
	v_lshlrev_b32_e32 v2, 8, v2
	v_ldexp_f64 v[2:3], v[4:5], v2
	v_rsq_f64_e32 v[8:9], v[2:3]
	v_cmp_lg_f64_e64 s[4:5], s[60:61], v[6:7]
	v_cndmask_b32_e64 v6, 0, v10, s[4:5]
	v_cndmask_b32_e64 v7, v91, v11, s[4:5]
	v_mul_f64 v[0:1], v[0:1], v[6:7]
	v_mul_f64 v[6:7], v[2:3], v[8:9]
	v_mul_f64 v[8:9], v[8:9], 0.5
	v_fma_f64 v[10:11], -v[8:9], v[6:7], 0.5
	v_fmac_f64_e32 v[6:7], v[6:7], v[10:11]
	v_fma_f64 v[74:75], -v[6:7], v[6:7], v[2:3]
	v_fmac_f64_e32 v[8:9], v[8:9], v[10:11]
	v_fmac_f64_e32 v[6:7], v[74:75], v[8:9]
	v_fma_f64 v[10:11], -v[6:7], v[6:7], v[2:3]
	v_fmac_f64_e32 v[6:7], v[10:11], v[8:9]
	v_cndmask_b32_e32 v8, 0, v19, vcc
	v_ldexp_f64 v[6:7], v[6:7], v8
	v_cmp_class_f64_e32 vcc, v[2:3], v15
	v_cndmask_b32_e32 v3, v7, v3, vcc
	v_cndmask_b32_e32 v2, v6, v2, vcc
	v_fmac_f64_e32 v[4:5], v[2:3], v[0:1]
	v_trunc_f64_e32 v[0:1], v[4:5]
	v_add_f64 v[2:3], v[4:5], -v[0:1]
	v_cmp_ge_f64_e64 vcc, |v[2:3]|, 0.5
	v_cndmask_b32_e32 v2, 0, v90, vcc
	s_brev_b32 s4, -2
	v_bfi_b32 v17, s4, v2, v5
	v_add_f64 v[0:1], v[0:1], v[16:17]
	v_cvt_u32_f64_e32 v77, v[0:1]
.LBB66_37:                              ;   in Loop: Header=BB66_6 Depth=1
	s_or_b64 exec, exec, s[18:19]
                                        ; implicit-def: $vgpr4_vgpr5
                                        ; implicit-def: $vgpr74_vgpr75
                                        ; implicit-def: $vgpr17
                                        ; implicit-def: $vgpr95
                                        ; implicit-def: $vgpr96
                                        ; implicit-def: $vgpr104
                                        ; implicit-def: $vgpr94
                                        ; implicit-def: $vgpr3
                                        ; implicit-def: $vgpr97
                                        ; implicit-def: $vgpr98
                                        ; implicit-def: $vgpr99
                                        ; implicit-def: $vgpr100
                                        ; implicit-def: $vgpr102
                                        ; implicit-def: $vgpr103
                                        ; implicit-def: $vgpr105
                                        ; implicit-def: $vgpr106
                                        ; implicit-def: $vgpr107
                                        ; implicit-def: $vgpr108
                                        ; implicit-def: $vgpr109
                                        ; implicit-def: $vgpr110
                                        ; implicit-def: $vgpr111
                                        ; implicit-def: $vgpr112
                                        ; implicit-def: $vgpr101
                                        ; implicit-def: $vgpr113
.LBB66_38:                              ;   in Loop: Header=BB66_6 Depth=1
	s_andn2_saveexec_b64 s[4:5], s[68:69]
	s_cbranch_execz .LBB66_4
; %bb.39:                               ;   in Loop: Header=BB66_6 Depth=1
	v_readlane_b32 s18, v132, 19
	v_readlane_b32 s19, v132, 20
	s_mov_b32 s18, s62
	v_mul_f64 v[6:7], v[4:5], s[18:19]
	v_rndne_f64_e32 v[6:7], v[6:7]
	s_mov_b32 s64, s56
	v_fma_f64 v[10:11], v[6:7], s[64:65], -v[4:5]
	s_mov_b32 s66, s58
	v_fmac_f64_e32 v[10:11], s[66:67], v[6:7]
	v_pk_mov_b32 v[8:9], v[32:33], v[32:33] op_sel:[0,1]
	v_fmac_f64_e32 v[8:9], s[14:15], v[10:11]
	v_pk_mov_b32 v[76:77], v[34:35], v[34:35] op_sel:[0,1]
	;; [unrolled: 2-line block ×9, first 2 shown]
	v_fmac_f64_e32 v[78:79], v[10:11], v[76:77]
	s_mov_b32 s23, s19
	v_fma_f64 v[76:77], v[10:11], v[78:79], 1.0
	s_mov_b32 s18, 0
	v_fma_f64 v[10:11], v[10:11], v[76:77], 1.0
	v_cvt_i32_f64_e32 v6, v[6:7]
	s_mov_b32 s19, 0x4090cc00
	v_mov_b32_e32 v8, 0
	v_ldexp_f64 v[6:7], v[10:11], v6
	v_cmp_nlt_f64_e32 vcc, s[18:19], v[4:5]
	v_writelane_b32 v132, s22, 19
	v_mov_b32_e32 v9, 0x3ff00000
	v_mov_b32_e32 v80, 0
	v_cndmask_b32_e32 v11, 0, v7, vcc
	v_cndmask_b32_e32 v10, 0, v6, vcc
	s_mov_b32 s55, -1
	s_mov_b64 s[18:19], 0
	v_mov_b32_e32 v81, v12
	v_writelane_b32 v132, s23, 20
	s_branch .LBB66_41
.LBB66_40:                              ;   in Loop: Header=BB66_41 Depth=2
	s_or_b64 exec, exec, s[22:23]
	v_cmp_eq_u32_e32 vcc, 1, v17
	v_cndmask_b32_e32 v0, v0, v1, vcc
	v_cmp_eq_u32_e32 vcc, 2, v17
	v_cndmask_b32_e32 v0, v0, v2, vcc
	;; [unrolled: 2-line block ×6, first 2 shown]
	v_lshrrev_b32_e32 v0, 11, v0
	v_cvt_f64_u32_e32 v[0:1], v0
	v_ldexp_f64 v[0:1], v[0:1], 32
	v_cvt_f64_u32_e32 v[2:3], v2
	v_add_f64 v[0:1], v[0:1], v[2:3]
	v_mov_b32_e32 v2, 0
	v_mov_b32_e32 v3, 0x3ca00000
	v_fmac_f64_e32 v[2:3], 0x3ca00000, v[0:1]
	v_mul_f64 v[8:9], v[8:9], v[2:3]
	v_cmp_ngt_f64_e32 vcc, v[8:9], v[10:11]
	s_add_i32 s55, s55, 1
	s_or_b64 s[18:19], vcc, s[18:19]
	v_mov_b32_e32 v77, s55
	v_mov_b32_e32 v17, v83
	;; [unrolled: 1-line block ×6, first 2 shown]
	s_andn2_b64 exec, exec, s[18:19]
	s_cbranch_execz .LBB66_3
.LBB66_41:                              ;   Parent Loop BB66_6 Depth=1
                                        ; =>  This Inner Loop Header: Depth=2
	v_add_u32_e32 v82, 1, v17
	v_pk_mov_b32 v[6:7], v[2:3], v[2:3] op_sel:[0,1]
	v_cmp_eq_u32_e32 vcc, 4, v82
	v_pk_mov_b32 v[4:5], v[0:1], v[0:1] op_sel:[0,1]
	v_mov_b32_e32 v79, v0
	v_mov_b32_e32 v78, v1
	;; [unrolled: 1-line block ×4, first 2 shown]
	s_and_saveexec_b64 s[22:23], vcc
	s_cbranch_execz .LBB66_43
; %bb.42:                               ;   in Loop: Header=BB66_41 Depth=2
	v_add_co_u32_e32 v95, vcc, 1, v95
	v_cndmask_b32_e64 v4, 0, 1, vcc
	v_addc_co_u32_e32 v96, vcc, 0, v96, vcc
	v_cmp_eq_u32_e32 vcc, 0, v96
	v_cndmask_b32_e32 v4, 0, v4, vcc
	v_add_u32_e32 v81, v4, v81
	v_cmp_eq_u32_e32 vcc, 0, v81
	v_cndmask_b32_e32 v4, 0, v4, vcc
	v_add_u32_e32 v80, v4, v80
	v_mad_u64_u32 v[4:5], s[60:61], v95, s8, 0
	v_mad_u64_u32 v[6:7], s[60:61], v81, s33, 0
	v_xor_b32_e32 v5, v5, v75
	v_xor_b32_e32 v7, v7, v74
	v_xor_b32_e32 v5, v80, v5
	v_xor_b32_e32 v7, v96, v7
	v_mad_u64_u32 v[78:79], s[60:61], v5, s33, 0
	v_mad_u64_u32 v[76:77], s[60:61], v7, s8, 0
	v_xor_b32_e32 v5, v97, v79
	v_xor_b32_e32 v5, v5, v6
	v_xor_b32_e32 v6, v98, v77
	v_xor_b32_e32 v6, v6, v4
	;; [unrolled: 6-line block ×10, first 2 shown]
	v_mov_b32_e32 v82, 0
	v_mov_b32_e32 v5, v78
	;; [unrolled: 1-line block ×5, first 2 shown]
.LBB66_43:                              ;   in Loop: Header=BB66_41 Depth=2
	s_or_b64 exec, exec, s[22:23]
	v_add_u32_e32 v83, 1, v82
	v_cmp_eq_u32_e32 vcc, 4, v83
	s_and_saveexec_b64 s[22:23], vcc
	s_cbranch_execz .LBB66_40
; %bb.44:                               ;   in Loop: Header=BB66_41 Depth=2
	v_add_co_u32_e32 v95, vcc, 1, v95
	v_cndmask_b32_e64 v76, 0, 1, vcc
	v_addc_co_u32_e32 v96, vcc, 0, v96, vcc
	v_cmp_eq_u32_e32 vcc, 0, v96
	v_cndmask_b32_e32 v76, 0, v76, vcc
	v_add_u32_e32 v81, v76, v81
	v_cmp_eq_u32_e32 vcc, 0, v81
	v_cndmask_b32_e32 v76, 0, v76, vcc
	v_add_u32_e32 v80, v76, v80
	v_mad_u64_u32 v[76:77], s[60:61], v95, s8, 0
	v_mad_u64_u32 v[78:79], s[60:61], v81, s33, 0
	v_xor_b32_e32 v77, v77, v75
	v_xor_b32_e32 v79, v79, v74
	v_xor_b32_e32 v77, v80, v77
	v_xor_b32_e32 v79, v96, v79
	v_mad_u64_u32 v[86:87], s[60:61], v77, s33, 0
	v_mad_u64_u32 v[84:85], s[60:61], v79, s8, 0
	v_xor_b32_e32 v77, v97, v87
	v_xor_b32_e32 v77, v77, v78
	v_xor_b32_e32 v78, v98, v85
	v_xor_b32_e32 v78, v78, v76
	;; [unrolled: 6-line block ×9, first 2 shown]
	v_mad_u64_u32 v[76:77], s[60:61], v76, s8, 0
	v_mad_u64_u32 v[78:79], s[60:61], v78, s33, 0
	v_xor_b32_e32 v79, v79, v114
	v_xor_b32_e32 v77, v77, v88
	v_mov_b32_e32 v83, 0
	v_xor_b32_e32 v79, v104, v79
	v_xor_b32_e32 v84, v94, v77
	s_branch .LBB66_40
.LBB66_45:
	s_or_b64 exec, exec, s[6:7]
	s_and_b64 exec, exec, s[28:29]
	s_cbranch_execnz .LBB66_48
.LBB66_46:
	s_endpgm
.LBB66_47:
	s_mov_b64 s[28:29], -1
	s_and_b64 exec, exec, s[28:29]
	s_cbranch_execz .LBB66_46
.LBB66_48:
	s_trap 2
	; divergent unreachable
	s_endpgm
	.section	.rodata,"a",@progbits
	.p2align	6, 0x0
	.amdhsa_kernel _ZN2at4cuda12_GLOBAL__N_121kernelPointwiseApply2IZN12_GLOBAL__N_119poisson_cuda_kernelIdEEvRKNS_10TensorBaseES7_NS_15PhiloxCudaStateEEUlRdRKdE_ddmLi1ELi1ELi1ELi512ELi2EEEvNS0_6detail10TensorInfoIT0_T2_EENSE_IT1_SG_EESG_T_
		.amdhsa_group_segment_fixed_size 0
		.amdhsa_private_segment_fixed_size 0
		.amdhsa_kernarg_size 1128
		.amdhsa_user_sgpr_count 6
		.amdhsa_user_sgpr_private_segment_buffer 1
		.amdhsa_user_sgpr_dispatch_ptr 0
		.amdhsa_user_sgpr_queue_ptr 0
		.amdhsa_user_sgpr_kernarg_segment_ptr 1
		.amdhsa_user_sgpr_dispatch_id 0
		.amdhsa_user_sgpr_flat_scratch_init 0
		.amdhsa_user_sgpr_kernarg_preload_length 0
		.amdhsa_user_sgpr_kernarg_preload_offset 0
		.amdhsa_user_sgpr_private_segment_size 0
		.amdhsa_uses_dynamic_stack 0
		.amdhsa_system_sgpr_private_segment_wavefront_offset 0
		.amdhsa_system_sgpr_workgroup_id_x 1
		.amdhsa_system_sgpr_workgroup_id_y 0
		.amdhsa_system_sgpr_workgroup_id_z 0
		.amdhsa_system_sgpr_workgroup_info 0
		.amdhsa_system_vgpr_workitem_id 0
		.amdhsa_next_free_vgpr 133
		.amdhsa_next_free_sgpr 96
		.amdhsa_accum_offset 136
		.amdhsa_reserve_vcc 1
		.amdhsa_reserve_flat_scratch 0
		.amdhsa_float_round_mode_32 0
		.amdhsa_float_round_mode_16_64 0
		.amdhsa_float_denorm_mode_32 3
		.amdhsa_float_denorm_mode_16_64 3
		.amdhsa_dx10_clamp 1
		.amdhsa_ieee_mode 1
		.amdhsa_fp16_overflow 0
		.amdhsa_tg_split 0
		.amdhsa_exception_fp_ieee_invalid_op 0
		.amdhsa_exception_fp_denorm_src 0
		.amdhsa_exception_fp_ieee_div_zero 0
		.amdhsa_exception_fp_ieee_overflow 0
		.amdhsa_exception_fp_ieee_underflow 0
		.amdhsa_exception_fp_ieee_inexact 0
		.amdhsa_exception_int_div_zero 0
	.end_amdhsa_kernel
	.section	.text._ZN2at4cuda12_GLOBAL__N_121kernelPointwiseApply2IZN12_GLOBAL__N_119poisson_cuda_kernelIdEEvRKNS_10TensorBaseES7_NS_15PhiloxCudaStateEEUlRdRKdE_ddmLi1ELi1ELi1ELi512ELi2EEEvNS0_6detail10TensorInfoIT0_T2_EENSE_IT1_SG_EESG_T_,"axG",@progbits,_ZN2at4cuda12_GLOBAL__N_121kernelPointwiseApply2IZN12_GLOBAL__N_119poisson_cuda_kernelIdEEvRKNS_10TensorBaseES7_NS_15PhiloxCudaStateEEUlRdRKdE_ddmLi1ELi1ELi1ELi512ELi2EEEvNS0_6detail10TensorInfoIT0_T2_EENSE_IT1_SG_EESG_T_,comdat
.Lfunc_end66:
	.size	_ZN2at4cuda12_GLOBAL__N_121kernelPointwiseApply2IZN12_GLOBAL__N_119poisson_cuda_kernelIdEEvRKNS_10TensorBaseES7_NS_15PhiloxCudaStateEEUlRdRKdE_ddmLi1ELi1ELi1ELi512ELi2EEEvNS0_6detail10TensorInfoIT0_T2_EENSE_IT1_SG_EESG_T_, .Lfunc_end66-_ZN2at4cuda12_GLOBAL__N_121kernelPointwiseApply2IZN12_GLOBAL__N_119poisson_cuda_kernelIdEEvRKNS_10TensorBaseES7_NS_15PhiloxCudaStateEEUlRdRKdE_ddmLi1ELi1ELi1ELi512ELi2EEEvNS0_6detail10TensorInfoIT0_T2_EENSE_IT1_SG_EESG_T_
                                        ; -- End function
	.section	.AMDGPU.csdata,"",@progbits
; Kernel info:
; codeLenInByte = 13620
; NumSgprs: 100
; NumVgprs: 133
; NumAgprs: 0
; TotalNumVgprs: 133
; ScratchSize: 0
; MemoryBound: 0
; FloatMode: 240
; IeeeMode: 1
; LDSByteSize: 0 bytes/workgroup (compile time only)
; SGPRBlocks: 12
; VGPRBlocks: 16
; NumSGPRsForWavesPerEU: 100
; NumVGPRsForWavesPerEU: 133
; AccumOffset: 136
; Occupancy: 3
; WaveLimiterHint : 1
; COMPUTE_PGM_RSRC2:SCRATCH_EN: 0
; COMPUTE_PGM_RSRC2:USER_SGPR: 6
; COMPUTE_PGM_RSRC2:TRAP_HANDLER: 0
; COMPUTE_PGM_RSRC2:TGID_X_EN: 1
; COMPUTE_PGM_RSRC2:TGID_Y_EN: 0
; COMPUTE_PGM_RSRC2:TGID_Z_EN: 0
; COMPUTE_PGM_RSRC2:TIDIG_COMP_CNT: 0
; COMPUTE_PGM_RSRC3_GFX90A:ACCUM_OFFSET: 33
; COMPUTE_PGM_RSRC3_GFX90A:TG_SPLIT: 0
	.section	.text._ZN2at4cuda12_GLOBAL__N_121kernelPointwiseApply2IZN12_GLOBAL__N_119poisson_cuda_kernelIdEEvRKNS_10TensorBaseES7_NS_15PhiloxCudaStateEEUlRdRKdE_ddmLin1ELin1ELi1ELi512ELi2EEEvNS0_6detail10TensorInfoIT0_T2_EENSE_IT1_SG_EESG_T_,"axG",@progbits,_ZN2at4cuda12_GLOBAL__N_121kernelPointwiseApply2IZN12_GLOBAL__N_119poisson_cuda_kernelIdEEvRKNS_10TensorBaseES7_NS_15PhiloxCudaStateEEUlRdRKdE_ddmLin1ELin1ELi1ELi512ELi2EEEvNS0_6detail10TensorInfoIT0_T2_EENSE_IT1_SG_EESG_T_,comdat
	.globl	_ZN2at4cuda12_GLOBAL__N_121kernelPointwiseApply2IZN12_GLOBAL__N_119poisson_cuda_kernelIdEEvRKNS_10TensorBaseES7_NS_15PhiloxCudaStateEEUlRdRKdE_ddmLin1ELin1ELi1ELi512ELi2EEEvNS0_6detail10TensorInfoIT0_T2_EENSE_IT1_SG_EESG_T_ ; -- Begin function _ZN2at4cuda12_GLOBAL__N_121kernelPointwiseApply2IZN12_GLOBAL__N_119poisson_cuda_kernelIdEEvRKNS_10TensorBaseES7_NS_15PhiloxCudaStateEEUlRdRKdE_ddmLin1ELin1ELi1ELi512ELi2EEEvNS0_6detail10TensorInfoIT0_T2_EENSE_IT1_SG_EESG_T_
	.p2align	8
	.type	_ZN2at4cuda12_GLOBAL__N_121kernelPointwiseApply2IZN12_GLOBAL__N_119poisson_cuda_kernelIdEEvRKNS_10TensorBaseES7_NS_15PhiloxCudaStateEEUlRdRKdE_ddmLin1ELin1ELi1ELi512ELi2EEEvNS0_6detail10TensorInfoIT0_T2_EENSE_IT1_SG_EESG_T_,@function
_ZN2at4cuda12_GLOBAL__N_121kernelPointwiseApply2IZN12_GLOBAL__N_119poisson_cuda_kernelIdEEvRKNS_10TensorBaseES7_NS_15PhiloxCudaStateEEUlRdRKdE_ddmLin1ELin1ELi1ELi512ELi2EEEvNS0_6detail10TensorInfoIT0_T2_EENSE_IT1_SG_EESG_T_: ; @_ZN2at4cuda12_GLOBAL__N_121kernelPointwiseApply2IZN12_GLOBAL__N_119poisson_cuda_kernelIdEEvRKNS_10TensorBaseES7_NS_15PhiloxCudaStateEEUlRdRKdE_ddmLin1ELin1ELi1ELi512ELi2EEEvNS0_6detail10TensorInfoIT0_T2_EENSE_IT1_SG_EESG_T_
; %bb.0:
	s_load_dword s2, s[4:5], 0x374
	s_load_dwordx8 s[8:15], s[4:5], 0x340
	s_add_u32 s0, s4, 0x368
	s_addc_u32 s1, s5, 0
	v_mov_b32_e32 v14, 0
	s_waitcnt lgkmcnt(0)
	s_and_b32 s2, s2, 0xffff
	s_mul_i32 s6, s6, s2
	v_add_u32_e32 v12, s6, v0
	v_mov_b32_e32 v13, v14
	v_cmp_gt_u64_e32 vcc, s[8:9], v[12:13]
	s_and_saveexec_b64 s[6:7], vcc
	s_cbranch_execz .LBB67_63
; %bb.1:
	s_load_dword s3, s[0:1], 0x0
	s_load_dword s18, s[4:5], 0x198
	;; [unrolled: 1-line block ×4, first 2 shown]
	s_load_dwordx2 s[20:21], s[4:5], 0x1a0
                                        ; implicit-def: $vgpr134 : SGPR spill to VGPR lane
	s_add_u32 s16, s4, 0x1a0
	s_addc_u32 s17, s5, 0
	s_waitcnt lgkmcnt(0)
	s_cmp_gt_i32 s18, 1
                                        ; kill: killed $sgpr0 killed $sgpr1
	s_cselect_b64 s[0:1], -1, 0
	v_writelane_b32 v134, s20, 0
	v_writelane_b32 v134, s21, 1
	s_load_dwordx2 s[20:21], s[4:5], 0xd0
	s_cmp_gt_i32 s19, 1
	s_mov_b32 s33, 0xcd9e8d57
	s_mul_i32 s2, s3, s2
	s_mov_b32 s42, 0
	s_waitcnt lgkmcnt(0)
	v_writelane_b32 v134, s20, 2
	v_writelane_b32 v134, s21, 3
	;; [unrolled: 1-line block ×4, first 2 shown]
	s_load_dwordx2 s[0:1], s[4:5], 0x270
	s_mov_b32 s48, 0x55555555
	s_mov_b32 s50, 0x6b47b09a
	;; [unrolled: 1-line block ×4, first 2 shown]
	s_waitcnt lgkmcnt(0)
	v_writelane_b32 v134, s0, 6
	v_writelane_b32 v134, s1, 7
	s_cselect_b64 s[0:1], -1, 0
	v_writelane_b32 v134, s0, 8
	v_writelane_b32 v134, s1, 9
	s_load_dwordx2 s[0:1], s[4:5], 0x0
	s_mov_b32 s56, 0x16291751
	s_mov_b32 s58, 0x9b27acf1
	;; [unrolled: 1-line block ×4, first 2 shown]
	s_waitcnt lgkmcnt(0)
	v_writelane_b32 v134, s0, 10
	v_writelane_b32 v134, s1, 11
	s_getpc_b64 s[0:1]
	s_add_u32 s0, s0, .str@rel32@lo+4
	s_addc_u32 s1, s1, .str@rel32@hi+12
	s_cmp_eq_u64 s[0:1], 0
	s_cselect_b64 s[0:1], -1, 0
	s_bitcmp1_b32 s6, 0
	s_cselect_b64 s[6:7], -1, 0
	v_writelane_b32 v134, s6, 12
	v_writelane_b32 v134, s7, 13
	v_mad_u64_u32 v[16:17], s[6:7], v12, s33, 0
	v_writelane_b32 v134, s2, 14
	s_mov_b32 s6, 0
	s_add_i32 s2, s18, 1
	v_writelane_b32 v134, s2, 15
	s_add_i32 s2, s18, -1
	s_mov_b32 s3, s6
	s_lshl_b64 s[2:3], s[2:3], 3
	s_add_u32 s2, s2, s4
	s_addc_u32 s3, s3, s5
	s_add_u32 s2, s2, 8
	s_addc_u32 s3, s3, 0
	v_writelane_b32 v134, s2, 16
	v_writelane_b32 v134, s3, 17
	s_add_i32 s2, s19, 1
	v_writelane_b32 v134, s2, 18
	s_add_i32 s2, s19, -1
	s_mov_b32 s3, s6
	s_lshl_b64 s[2:3], s[2:3], 3
	s_add_u32 s2, s2, s16
	s_addc_u32 s3, s3, s17
	s_add_u32 s2, s2, 8
	s_addc_u32 s3, s3, 0
	v_writelane_b32 v134, s2, 19
	v_writelane_b32 v134, s3, 20
	s_xor_b64 s[0:1], s[0:1], -1
	v_writelane_b32 v134, s0, 21
	s_mov_b32 s66, 0x3b39803f
	s_mov_b32 s70, 0x652b82fe
	v_writelane_b32 v134, s1, 22
	s_mov_b32 s78, 0x6a5dcb37
	s_mov_b32 s80, 0
	;; [unrolled: 1-line block ×15, first 2 shown]
	s_movk_i32 s68, 0xf950
	s_mov_b32 s24, 0xc864beb5
	s_mov_b32 s18, 0
	;; [unrolled: 1-line block ×4, first 2 shown]
	s_mov_b64 s[26:27], 0
	v_mov_b32_e32 v18, v17
	s_mov_b32 s74, 0xd2511f53
	s_mov_b32 s43, 0x40080000
	;; [unrolled: 1-line block ×12, first 2 shown]
	s_movk_i32 s75, 0x204
	s_mov_b32 s71, 0x3ff71547
	s_mov_b32 s73, 0xbfe62e42
	v_mov_b32_e32 v20, 0x6b47b09a
	v_mov_b32_e32 v22, 0xd7f4df2e
	;; [unrolled: 1-line block ×26, first 2 shown]
	v_pk_mov_b32 v[72:73], v[12:13], v[12:13] op_sel:[0,1]
	v_mov_b32_e32 v13, 0x260
	v_mov_b32_e32 v17, 0xffffff80
	;; [unrolled: 1-line block ×32, first 2 shown]
	s_mov_b32 s77, 0xbc7abc9e
	s_mov_b32 s79, 0x3e5ade15
	;; [unrolled: 1-line block ×20, first 2 shown]
	v_writelane_b32 v134, s0, 23
	v_writelane_b32 v134, s1, 24
                                        ; implicit-def: $sgpr4_sgpr5
                                        ; implicit-def: $sgpr30_sgpr31
	s_branch .LBB67_5
.LBB67_2:                               ;   in Loop: Header=BB67_5 Depth=1
	s_or_b64 exec, exec, s[0:1]
.LBB67_3:                               ;   in Loop: Header=BB67_5 Depth=1
	s_or_b64 exec, exec, s[6:7]
	v_readlane_b32 s0, v134, 10
	v_lshlrev_b64 v[0:1], 3, v[74:75]
	v_readlane_b32 s1, v134, 11
	v_mov_b32_e32 v2, s1
	v_add_co_u32_e32 v0, vcc, s0, v0
	v_addc_co_u32_e32 v1, vcc, v2, v1, vcc
	v_cvt_f64_u32_e32 v[2:3], v79
	s_mov_b32 s0, 0
	global_store_dwordx2 v[0:1], v[2:3], off
	v_mov_b32_e32 v0, s0
	v_readlane_b32 s0, v134, 14
	v_add_co_u32_e32 v72, vcc, s0, v72
	v_addc_co_u32_e32 v73, vcc, v73, v0, vcc
	v_cmp_le_u64_e32 vcc, s[8:9], v[72:73]
	s_andn2_b64 s[30:31], s[30:31], exec
	s_orn2_b64 s[0:1], vcc, exec
.LBB67_4:                               ;   in Loop: Header=BB67_5 Depth=1
	s_or_b64 exec, exec, s[2:3]
	s_and_b64 s[0:1], exec, s[0:1]
	s_or_b64 s[26:27], s[0:1], s[26:27]
	s_andn2_b64 s[0:1], s[4:5], exec
	s_and_b64 s[2:3], s[30:31], exec
	s_or_b64 s[4:5], s[0:1], s[2:3]
	s_andn2_b64 exec, exec, s[26:27]
	s_cbranch_execz .LBB67_62
.LBB67_5:                               ; =>This Loop Header: Depth=1
                                        ;     Child Loop BB67_7 Depth 2
                                        ;     Child Loop BB67_16 Depth 2
                                        ;     Child Loop BB67_29 Depth 2
                                        ;     Child Loop BB67_58 Depth 2
	v_sub_u32_e32 v0, s8, v72
	v_cmp_lt_i32_e64 s[0:1], 0, v0
	v_pk_mov_b32 v[74:75], 0, 0
	s_and_saveexec_b64 s[6:7], s[0:1]
	s_cbranch_execz .LBB67_14
; %bb.6:                                ;   in Loop: Header=BB67_5 Depth=1
	v_readlane_b32 s2, v134, 4
	v_readlane_b32 s3, v134, 5
	;; [unrolled: 1-line block ×3, first 2 shown]
	s_andn2_b64 vcc, exec, s[2:3]
	v_pk_mov_b32 v[0:1], 0, 0
	v_readlane_b32 s17, v134, 17
	v_readlane_b32 s63, v134, 15
	v_pk_mov_b32 v[2:3], v[72:73], v[72:73] op_sel:[0,1]
	v_pk_mov_b32 v[4:5], v[72:73], v[72:73] op_sel:[0,1]
	s_cbranch_vccnz .LBB67_13
.LBB67_7:                               ;   Parent Loop BB67_5 Depth=1
                                        ; =>  This Inner Loop Header: Depth=2
	s_load_dwordx2 s[20:21], s[16:17], 0x0
                                        ; implicit-def: $vgpr4_vgpr5
	s_waitcnt lgkmcnt(0)
	v_or_b32_e32 v15, s21, v3
	v_cmp_ne_u64_e32 vcc, 0, v[14:15]
	s_and_saveexec_b64 s[2:3], vcc
	s_xor_b64 s[28:29], exec, s[2:3]
	s_cbranch_execz .LBB67_9
; %bb.8:                                ;   in Loop: Header=BB67_7 Depth=2
	v_cvt_f32_u32_e32 v4, s20
	v_cvt_f32_u32_e32 v5, s21
	s_sub_u32 s2, 0, s20
	s_subb_u32 s3, 0, s21
	v_mac_f32_e32 v4, 0x4f800000, v5
	v_rcp_f32_e32 v4, v4
	v_mul_f32_e32 v4, 0x5f7ffffc, v4
	v_mul_f32_e32 v5, 0x2f800000, v4
	v_trunc_f32_e32 v5, v5
	v_mac_f32_e32 v4, 0xcf800000, v5
	v_cvt_u32_f32_e32 v5, v5
	v_cvt_u32_f32_e32 v4, v4
	v_mul_lo_u32 v6, s2, v5
	v_mul_hi_u32 v8, s2, v4
	v_mul_lo_u32 v7, s3, v4
	v_add_u32_e32 v6, v8, v6
	v_mul_lo_u32 v9, s2, v4
	v_add_u32_e32 v6, v6, v7
	v_mul_hi_u32 v8, v4, v9
	v_mul_lo_u32 v10, v4, v6
	v_mul_hi_u32 v7, v4, v6
	v_add_co_u32_e32 v8, vcc, v8, v10
	v_addc_co_u32_e32 v7, vcc, 0, v7, vcc
	v_mul_hi_u32 v11, v5, v9
	v_mul_lo_u32 v9, v5, v9
	v_add_co_u32_e32 v8, vcc, v8, v9
	v_mul_hi_u32 v10, v5, v6
	v_addc_co_u32_e32 v7, vcc, v7, v11, vcc
	v_addc_co_u32_e32 v8, vcc, 0, v10, vcc
	v_mul_lo_u32 v6, v5, v6
	v_add_co_u32_e32 v6, vcc, v7, v6
	v_addc_co_u32_e32 v7, vcc, 0, v8, vcc
	v_add_co_u32_e32 v4, vcc, v4, v6
	v_addc_co_u32_e32 v5, vcc, v5, v7, vcc
	v_mul_lo_u32 v6, s2, v5
	v_mul_hi_u32 v7, s2, v4
	v_add_u32_e32 v6, v7, v6
	v_mul_lo_u32 v7, s3, v4
	v_add_u32_e32 v6, v6, v7
	v_mul_lo_u32 v8, s2, v4
	v_mul_hi_u32 v9, v5, v8
	v_mul_lo_u32 v10, v5, v8
	v_mul_lo_u32 v15, v4, v6
	v_mul_hi_u32 v8, v4, v8
	v_mul_hi_u32 v11, v4, v6
	v_add_co_u32_e32 v8, vcc, v8, v15
	v_addc_co_u32_e32 v11, vcc, 0, v11, vcc
	v_add_co_u32_e32 v8, vcc, v8, v10
	v_mul_hi_u32 v7, v5, v6
	v_addc_co_u32_e32 v8, vcc, v11, v9, vcc
	v_addc_co_u32_e32 v7, vcc, 0, v7, vcc
	v_mul_lo_u32 v6, v5, v6
	v_add_co_u32_e32 v6, vcc, v8, v6
	v_addc_co_u32_e32 v7, vcc, 0, v7, vcc
	v_add_co_u32_e32 v6, vcc, v4, v6
	v_addc_co_u32_e32 v7, vcc, v5, v7, vcc
	v_mad_u64_u32 v[4:5], s[2:3], v2, v7, 0
	v_mul_hi_u32 v8, v2, v6
	v_add_co_u32_e32 v8, vcc, v8, v4
	v_addc_co_u32_e32 v9, vcc, 0, v5, vcc
	v_mad_u64_u32 v[4:5], s[2:3], v3, v7, 0
	v_mad_u64_u32 v[6:7], s[2:3], v3, v6, 0
	v_add_co_u32_e32 v6, vcc, v8, v6
	v_addc_co_u32_e32 v6, vcc, v9, v7, vcc
	v_addc_co_u32_e32 v5, vcc, 0, v5, vcc
	v_add_co_u32_e32 v6, vcc, v6, v4
	v_addc_co_u32_e32 v7, vcc, 0, v5, vcc
	v_mul_lo_u32 v8, s21, v6
	v_mul_lo_u32 v9, s20, v7
	v_mad_u64_u32 v[4:5], s[2:3], s20, v6, 0
	v_add3_u32 v5, v5, v9, v8
	v_sub_u32_e32 v8, v3, v5
	v_mov_b32_e32 v9, s21
	v_sub_co_u32_e32 v4, vcc, v2, v4
	v_subb_co_u32_e64 v8, s[2:3], v8, v9, vcc
	v_subrev_co_u32_e64 v9, s[2:3], s20, v4
	v_subbrev_co_u32_e64 v8, s[2:3], 0, v8, s[2:3]
	v_cmp_le_u32_e64 s[2:3], s21, v8
	v_cndmask_b32_e64 v10, 0, -1, s[2:3]
	v_cmp_le_u32_e64 s[2:3], s20, v9
	v_cndmask_b32_e64 v9, 0, -1, s[2:3]
	v_cmp_eq_u32_e64 s[2:3], s21, v8
	v_cndmask_b32_e64 v8, v10, v9, s[2:3]
	v_add_co_u32_e64 v9, s[2:3], 2, v6
	v_addc_co_u32_e64 v10, s[2:3], 0, v7, s[2:3]
	v_add_co_u32_e64 v11, s[2:3], 1, v6
	v_addc_co_u32_e64 v15, s[2:3], 0, v7, s[2:3]
	v_subb_co_u32_e32 v5, vcc, v3, v5, vcc
	v_cmp_ne_u32_e64 s[2:3], 0, v8
	v_cmp_le_u32_e32 vcc, s21, v5
	v_cndmask_b32_e64 v8, v15, v10, s[2:3]
	v_cndmask_b32_e64 v10, 0, -1, vcc
	v_cmp_le_u32_e32 vcc, s20, v4
	v_cndmask_b32_e64 v4, 0, -1, vcc
	v_cmp_eq_u32_e32 vcc, s21, v5
	v_cndmask_b32_e32 v4, v10, v4, vcc
	v_cmp_ne_u32_e32 vcc, 0, v4
	v_cndmask_b32_e64 v4, v11, v9, s[2:3]
	v_cndmask_b32_e32 v5, v7, v8, vcc
	v_cndmask_b32_e32 v4, v6, v4, vcc
.LBB67_9:                               ;   in Loop: Header=BB67_7 Depth=2
	s_andn2_saveexec_b64 s[2:3], s[28:29]
	s_cbranch_execz .LBB67_11
; %bb.10:                               ;   in Loop: Header=BB67_7 Depth=2
	v_cvt_f32_u32_e32 v4, s20
	s_sub_i32 s28, 0, s20
	v_rcp_iflag_f32_e32 v4, v4
	v_mul_f32_e32 v4, 0x4f7ffffe, v4
	v_cvt_u32_f32_e32 v4, v4
	v_mul_lo_u32 v5, s28, v4
	v_mul_hi_u32 v5, v4, v5
	v_add_u32_e32 v4, v4, v5
	v_mul_hi_u32 v4, v2, v4
	v_mul_lo_u32 v5, v4, s20
	v_sub_u32_e32 v5, v2, v5
	v_add_u32_e32 v6, 1, v4
	v_subrev_u32_e32 v7, s20, v5
	v_cmp_le_u32_e32 vcc, s20, v5
	v_cndmask_b32_e32 v5, v5, v7, vcc
	v_cndmask_b32_e32 v4, v4, v6, vcc
	v_add_u32_e32 v6, 1, v4
	v_cmp_le_u32_e32 vcc, s20, v5
	v_cndmask_b32_e32 v4, v4, v6, vcc
	v_mov_b32_e32 v5, v14
.LBB67_11:                              ;   in Loop: Header=BB67_7 Depth=2
	s_or_b64 exec, exec, s[2:3]
	v_mad_u64_u32 v[6:7], s[2:3], v4, s20, 0
	s_load_dwordx2 s[2:3], s[16:17], 0xc8
	v_mul_lo_u32 v8, v5, s20
	v_mul_lo_u32 v9, v4, s21
	v_add3_u32 v7, v7, v9, v8
	v_sub_co_u32_e32 v2, vcc, v2, v6
	s_add_i32 s63, s63, -1
	v_subb_co_u32_e32 v3, vcc, v3, v7, vcc
	s_add_u32 s16, s16, -8
	s_waitcnt lgkmcnt(0)
	v_mul_lo_u32 v3, s2, v3
	v_mul_lo_u32 v6, s3, v2
	v_mad_u64_u32 v[0:1], s[2:3], s2, v2, v[0:1]
	s_addc_u32 s17, s17, -1
	s_cmp_gt_u32 s63, 2
	v_add3_u32 v1, v6, v1, v3
	s_cbranch_scc0 .LBB67_13
; %bb.12:                               ;   in Loop: Header=BB67_7 Depth=2
	v_pk_mov_b32 v[2:3], v[4:5], v[4:5] op_sel:[0,1]
	s_branch .LBB67_7
.LBB67_13:                              ;   in Loop: Header=BB67_5 Depth=1
	v_readlane_b32 s16, v134, 2
	v_readlane_b32 s17, v134, 3
	v_mad_u64_u32 v[74:75], s[2:3], s16, v4, v[0:1]
	v_mul_lo_u32 v0, s16, v5
	v_mul_lo_u32 v1, s17, v4
	v_add3_u32 v75, v1, v75, v0
.LBB67_14:                              ;   in Loop: Header=BB67_5 Depth=1
	s_or_b64 exec, exec, s[6:7]
	v_pk_mov_b32 v[0:1], 0, 0
	s_and_saveexec_b64 s[2:3], s[0:1]
	s_cbranch_execz .LBB67_23
; %bb.15:                               ;   in Loop: Header=BB67_5 Depth=1
	v_readlane_b32 s0, v134, 8
	v_readlane_b32 s1, v134, 9
	;; [unrolled: 1-line block ×3, first 2 shown]
	s_andn2_b64 vcc, exec, s[0:1]
	v_pk_mov_b32 v[0:1], 0, 0
	v_readlane_b32 s7, v134, 20
	v_readlane_b32 s28, v134, 18
	v_pk_mov_b32 v[2:3], v[72:73], v[72:73] op_sel:[0,1]
	v_pk_mov_b32 v[4:5], v[72:73], v[72:73] op_sel:[0,1]
	s_cbranch_vccnz .LBB67_22
.LBB67_16:                              ;   Parent Loop BB67_5 Depth=1
                                        ; =>  This Inner Loop Header: Depth=2
	s_load_dwordx2 s[16:17], s[6:7], 0x0
                                        ; implicit-def: $vgpr4_vgpr5
	s_waitcnt lgkmcnt(0)
	v_or_b32_e32 v15, s17, v3
	v_cmp_ne_u64_e32 vcc, 0, v[14:15]
	s_and_saveexec_b64 s[0:1], vcc
	s_xor_b64 s[20:21], exec, s[0:1]
	s_cbranch_execz .LBB67_18
; %bb.17:                               ;   in Loop: Header=BB67_16 Depth=2
	v_cvt_f32_u32_e32 v4, s16
	v_cvt_f32_u32_e32 v5, s17
	s_sub_u32 s0, 0, s16
	s_subb_u32 s1, 0, s17
	v_mac_f32_e32 v4, 0x4f800000, v5
	v_rcp_f32_e32 v4, v4
	v_mul_f32_e32 v4, 0x5f7ffffc, v4
	v_mul_f32_e32 v5, 0x2f800000, v4
	v_trunc_f32_e32 v5, v5
	v_mac_f32_e32 v4, 0xcf800000, v5
	v_cvt_u32_f32_e32 v5, v5
	v_cvt_u32_f32_e32 v4, v4
	v_mul_lo_u32 v6, s0, v5
	v_mul_hi_u32 v8, s0, v4
	v_mul_lo_u32 v7, s1, v4
	v_add_u32_e32 v6, v8, v6
	v_mul_lo_u32 v9, s0, v4
	v_add_u32_e32 v6, v6, v7
	v_mul_hi_u32 v8, v4, v9
	v_mul_lo_u32 v10, v4, v6
	v_mul_hi_u32 v7, v4, v6
	v_add_co_u32_e32 v8, vcc, v8, v10
	v_addc_co_u32_e32 v7, vcc, 0, v7, vcc
	v_mul_hi_u32 v11, v5, v9
	v_mul_lo_u32 v9, v5, v9
	v_add_co_u32_e32 v8, vcc, v8, v9
	v_mul_hi_u32 v10, v5, v6
	v_addc_co_u32_e32 v7, vcc, v7, v11, vcc
	v_addc_co_u32_e32 v8, vcc, 0, v10, vcc
	v_mul_lo_u32 v6, v5, v6
	v_add_co_u32_e32 v6, vcc, v7, v6
	v_addc_co_u32_e32 v7, vcc, 0, v8, vcc
	v_add_co_u32_e32 v4, vcc, v4, v6
	v_addc_co_u32_e32 v5, vcc, v5, v7, vcc
	v_mul_lo_u32 v6, s0, v5
	v_mul_hi_u32 v7, s0, v4
	v_add_u32_e32 v6, v7, v6
	v_mul_lo_u32 v7, s1, v4
	v_add_u32_e32 v6, v6, v7
	v_mul_lo_u32 v8, s0, v4
	v_mul_hi_u32 v9, v5, v8
	v_mul_lo_u32 v10, v5, v8
	v_mul_lo_u32 v15, v4, v6
	v_mul_hi_u32 v8, v4, v8
	v_mul_hi_u32 v11, v4, v6
	v_add_co_u32_e32 v8, vcc, v8, v15
	v_addc_co_u32_e32 v11, vcc, 0, v11, vcc
	v_add_co_u32_e32 v8, vcc, v8, v10
	v_mul_hi_u32 v7, v5, v6
	v_addc_co_u32_e32 v8, vcc, v11, v9, vcc
	v_addc_co_u32_e32 v7, vcc, 0, v7, vcc
	v_mul_lo_u32 v6, v5, v6
	v_add_co_u32_e32 v6, vcc, v8, v6
	v_addc_co_u32_e32 v7, vcc, 0, v7, vcc
	v_add_co_u32_e32 v6, vcc, v4, v6
	v_addc_co_u32_e32 v7, vcc, v5, v7, vcc
	v_mad_u64_u32 v[4:5], s[0:1], v2, v7, 0
	v_mul_hi_u32 v8, v2, v6
	v_add_co_u32_e32 v8, vcc, v8, v4
	v_addc_co_u32_e32 v9, vcc, 0, v5, vcc
	v_mad_u64_u32 v[4:5], s[0:1], v3, v7, 0
	v_mad_u64_u32 v[6:7], s[0:1], v3, v6, 0
	v_add_co_u32_e32 v6, vcc, v8, v6
	v_addc_co_u32_e32 v6, vcc, v9, v7, vcc
	v_addc_co_u32_e32 v5, vcc, 0, v5, vcc
	v_add_co_u32_e32 v6, vcc, v6, v4
	v_addc_co_u32_e32 v7, vcc, 0, v5, vcc
	v_mul_lo_u32 v8, s17, v6
	v_mul_lo_u32 v9, s16, v7
	v_mad_u64_u32 v[4:5], s[0:1], s16, v6, 0
	v_add3_u32 v5, v5, v9, v8
	v_sub_u32_e32 v8, v3, v5
	v_mov_b32_e32 v9, s17
	v_sub_co_u32_e32 v4, vcc, v2, v4
	v_subb_co_u32_e64 v8, s[0:1], v8, v9, vcc
	v_subrev_co_u32_e64 v9, s[0:1], s16, v4
	v_subbrev_co_u32_e64 v8, s[0:1], 0, v8, s[0:1]
	v_cmp_le_u32_e64 s[0:1], s17, v8
	v_cndmask_b32_e64 v10, 0, -1, s[0:1]
	v_cmp_le_u32_e64 s[0:1], s16, v9
	v_cndmask_b32_e64 v9, 0, -1, s[0:1]
	v_cmp_eq_u32_e64 s[0:1], s17, v8
	v_cndmask_b32_e64 v8, v10, v9, s[0:1]
	v_add_co_u32_e64 v9, s[0:1], 2, v6
	v_addc_co_u32_e64 v10, s[0:1], 0, v7, s[0:1]
	v_add_co_u32_e64 v11, s[0:1], 1, v6
	v_addc_co_u32_e64 v15, s[0:1], 0, v7, s[0:1]
	v_subb_co_u32_e32 v5, vcc, v3, v5, vcc
	v_cmp_ne_u32_e64 s[0:1], 0, v8
	v_cmp_le_u32_e32 vcc, s17, v5
	v_cndmask_b32_e64 v8, v15, v10, s[0:1]
	v_cndmask_b32_e64 v10, 0, -1, vcc
	v_cmp_le_u32_e32 vcc, s16, v4
	v_cndmask_b32_e64 v4, 0, -1, vcc
	v_cmp_eq_u32_e32 vcc, s17, v5
	v_cndmask_b32_e32 v4, v10, v4, vcc
	v_cmp_ne_u32_e32 vcc, 0, v4
	v_cndmask_b32_e64 v4, v11, v9, s[0:1]
	v_cndmask_b32_e32 v5, v7, v8, vcc
	v_cndmask_b32_e32 v4, v6, v4, vcc
.LBB67_18:                              ;   in Loop: Header=BB67_16 Depth=2
	s_andn2_saveexec_b64 s[0:1], s[20:21]
	s_cbranch_execz .LBB67_20
; %bb.19:                               ;   in Loop: Header=BB67_16 Depth=2
	v_cvt_f32_u32_e32 v4, s16
	s_sub_i32 s20, 0, s16
	v_rcp_iflag_f32_e32 v4, v4
	v_mul_f32_e32 v4, 0x4f7ffffe, v4
	v_cvt_u32_f32_e32 v4, v4
	v_mul_lo_u32 v5, s20, v4
	v_mul_hi_u32 v5, v4, v5
	v_add_u32_e32 v4, v4, v5
	v_mul_hi_u32 v4, v2, v4
	v_mul_lo_u32 v5, v4, s16
	v_sub_u32_e32 v5, v2, v5
	v_add_u32_e32 v6, 1, v4
	v_subrev_u32_e32 v7, s16, v5
	v_cmp_le_u32_e32 vcc, s16, v5
	v_cndmask_b32_e32 v5, v5, v7, vcc
	v_cndmask_b32_e32 v4, v4, v6, vcc
	v_add_u32_e32 v6, 1, v4
	v_cmp_le_u32_e32 vcc, s16, v5
	v_cndmask_b32_e32 v4, v4, v6, vcc
	v_mov_b32_e32 v5, v14
.LBB67_20:                              ;   in Loop: Header=BB67_16 Depth=2
	s_or_b64 exec, exec, s[0:1]
	v_mad_u64_u32 v[6:7], s[0:1], v4, s16, 0
	s_load_dwordx2 s[0:1], s[6:7], 0xc8
	v_mul_lo_u32 v8, v5, s16
	v_mul_lo_u32 v9, v4, s17
	v_add3_u32 v7, v7, v9, v8
	v_sub_co_u32_e32 v2, vcc, v2, v6
	s_add_i32 s28, s28, -1
	v_subb_co_u32_e32 v3, vcc, v3, v7, vcc
	s_add_u32 s6, s6, -8
	s_waitcnt lgkmcnt(0)
	v_mul_lo_u32 v3, s0, v3
	v_mul_lo_u32 v6, s1, v2
	v_mad_u64_u32 v[0:1], s[0:1], s0, v2, v[0:1]
	s_addc_u32 s7, s7, -1
	s_cmp_gt_u32 s28, 2
	v_add3_u32 v1, v6, v1, v3
	s_cbranch_scc0 .LBB67_22
; %bb.21:                               ;   in Loop: Header=BB67_16 Depth=2
	v_pk_mov_b32 v[2:3], v[4:5], v[4:5] op_sel:[0,1]
	s_branch .LBB67_16
.LBB67_22:                              ;   in Loop: Header=BB67_5 Depth=1
	v_readlane_b32 s6, v134, 6
	v_readlane_b32 s7, v134, 7
	v_mad_u64_u32 v[0:1], s[0:1], s6, v4, v[0:1]
	v_mul_lo_u32 v2, s6, v5
	v_mul_lo_u32 v3, s7, v4
	v_add3_u32 v1, v3, v1, v2
.LBB67_23:                              ;   in Loop: Header=BB67_5 Depth=1
	s_or_b64 exec, exec, s[2:3]
	v_readlane_b32 s0, v134, 0
	v_lshlrev_b64 v[0:1], 3, v[0:1]
	v_readlane_b32 s1, v134, 1
	v_mov_b32_e32 v2, s1
	v_add_co_u32_e32 v0, vcc, s0, v0
	v_addc_co_u32_e32 v1, vcc, v2, v1, vcc
	global_load_dwordx2 v[4:5], v[0:1], off
	v_readlane_b32 s2, v134, 21
	v_readlane_b32 s3, v134, 22
	s_mov_b64 s[0:1], -1
	s_or_b64 s[30:31], s[30:31], exec
	s_waitcnt vmcnt(0)
	v_cmp_le_f64_e32 vcc, 0, v[4:5]
	s_and_b64 s[6:7], s[2:3], vcc
	s_and_saveexec_b64 s[2:3], s[6:7]
	s_cbranch_execz .LBB67_4
; %bb.24:                               ;   in Loop: Header=BB67_5 Depth=1
	v_readlane_b32 s0, v134, 12
	v_readlane_b32 s1, v134, 13
	s_andn2_b64 vcc, exec, s[0:1]
	v_pk_mov_b32 v[0:1], s[12:13], s[12:13] op_sel:[0,1]
	v_pk_mov_b32 v[76:77], s[10:11], s[10:11] op_sel:[0,1]
	s_cbranch_vccnz .LBB67_26
; %bb.25:                               ;   in Loop: Header=BB67_5 Depth=1
	v_pk_mov_b32 v[0:1], s[12:13], s[12:13] op_sel:[0,1]
	flat_load_dwordx2 v[0:1], v[0:1]
	v_pk_mov_b32 v[2:3], s[10:11], s[10:11] op_sel:[0,1]
	flat_load_dwordx2 v[76:77], v[2:3]
	v_mov_b32_e32 v2, s15
	s_waitcnt vmcnt(0) lgkmcnt(0)
	v_add_co_u32_e32 v0, vcc, s14, v0
	v_addc_co_u32_e32 v1, vcc, v1, v2, vcc
.LBB67_26:                              ;   in Loop: Header=BB67_5 Depth=1
	v_alignbit_b32 v96, v1, v0, 2
	v_and_b32_e32 v15, 3, v0
	v_lshrrev_b32_e32 v97, 2, v1
	v_mad_u64_u32 v[0:1], s[0:1], v96, s74, 0
	v_xor_b32_e32 v3, v18, v76
	v_mov_b32_e32 v2, v77
	v_xor_b32_e32 v1, v1, v77
	s_mov_b32 s0, 0xbb67ae85
	v_xor_b32_e32 v3, v3, v97
	v_add_co_u32_e32 v99, vcc, s0, v2
	v_mad_u64_u32 v[6:7], s[0:1], v3, s74, 0
	v_mad_u64_u32 v[8:9], s[0:1], v1, s33, 0
	v_add_co_u32_e32 v98, vcc, 0x9e3779b9, v76
	v_xor_b32_e32 v1, v16, v9
	v_xor_b32_e32 v3, v99, v7
	s_mov_b32 s0, 0x3c6ef372
	v_xor_b32_e32 v1, v1, v98
	v_xor_b32_e32 v3, v3, v0
	v_add_co_u32_e32 v100, vcc, s0, v76
	s_mov_b32 s0, 0x76cf5d0a
	v_add_co_u32_e32 v101, vcc, s0, v2
	v_mad_u64_u32 v[0:1], s[0:1], v1, s74, 0
	v_mad_u64_u32 v[10:11], s[0:1], v3, s33, 0
	v_xor_b32_e32 v3, v100, v11
	v_xor_b32_e32 v1, v101, v1
	s_mov_b32 s0, 0xdaa66d2b
	v_xor_b32_e32 v3, v3, v8
	v_xor_b32_e32 v1, v1, v6
	v_add_co_u32_e32 v103, vcc, s0, v76
	s_mov_b32 s0, 0x32370b8f
	v_add_co_u32_e32 v104, vcc, s0, v2
	v_mad_u64_u32 v[6:7], s[0:1], v3, s74, 0
	v_mad_u64_u32 v[8:9], s[0:1], v1, s33, 0
	v_xor_b32_e32 v1, v103, v9
	v_xor_b32_e32 v3, v104, v7
	s_mov_b32 s0, 0x78dde6e4
	v_xor_b32_e32 v1, v1, v10
	v_xor_b32_e32 v3, v3, v0
	v_add_co_u32_e32 v106, vcc, s0, v76
	s_mov_b32 s0, 0xed9eba14
	v_add_co_u32_e32 v107, vcc, s0, v2
	v_mad_u64_u32 v[0:1], s[0:1], v1, s74, 0
	v_mad_u64_u32 v[10:11], s[0:1], v3, s33, 0
	v_xor_b32_e32 v3, v106, v11
	v_xor_b32_e32 v1, v107, v1
	s_mov_b32 s0, 0x1715609d
	v_xor_b32_e32 v3, v3, v8
	v_xor_b32_e32 v1, v1, v6
	v_add_co_u32_e32 v108, vcc, s0, v76
	s_mov_b32 s0, 0xa9066899
	v_add_co_u32_e32 v109, vcc, s0, v2
	v_mad_u64_u32 v[6:7], s[0:1], v3, s74, 0
	v_mad_u64_u32 v[8:9], s[0:1], v1, s33, 0
	v_xor_b32_e32 v1, v108, v9
	v_xor_b32_e32 v3, v109, v7
	s_mov_b32 s0, 0xb54cda56
	v_xor_b32_e32 v1, v1, v10
	v_xor_b32_e32 v3, v3, v0
	v_add_co_u32_e32 v110, vcc, s0, v76
	s_mov_b32 s0, 0x646e171e
	v_add_co_u32_e32 v111, vcc, s0, v2
	v_mad_u64_u32 v[0:1], s[0:1], v1, s74, 0
	v_mad_u64_u32 v[10:11], s[0:1], v3, s33, 0
	v_xor_b32_e32 v3, v110, v11
	v_xor_b32_e32 v1, v111, v1
	s_mov_b32 s0, 0x5384540f
	v_xor_b32_e32 v3, v3, v8
	v_xor_b32_e32 v1, v1, v6
	v_add_co_u32_e32 v112, vcc, s0, v76
	s_mov_b32 s0, 0x1fd5c5a3
	v_add_co_u32_e32 v113, vcc, s0, v2
	v_mad_u64_u32 v[6:7], s[0:1], v3, s74, 0
	v_mad_u64_u32 v[8:9], s[0:1], v1, s33, 0
	v_xor_b32_e32 v1, v112, v9
	v_xor_b32_e32 v3, v113, v7
	s_mov_b32 s0, 0xf1bbcdc8
	v_xor_b32_e32 v1, v1, v10
	v_xor_b32_e32 v0, v3, v0
	v_add_co_u32_e32 v102, vcc, s0, v76
	s_mov_b32 s0, 0xdb3d7428
	v_add_co_u32_e32 v114, vcc, s0, v2
	v_mad_u64_u32 v[2:3], s[0:1], v1, s74, 0
	v_mad_u64_u32 v[0:1], s[0:1], v0, s33, 0
	v_xor_b32_e32 v1, v102, v1
	v_xor_b32_e32 v3, v114, v3
	;; [unrolled: 1-line block ×4, first 2 shown]
	v_mad_u64_u32 v[6:7], s[0:1], v1, s74, 0
	v_mad_u64_u32 v[8:9], s[0:1], v8, s33, 0
	s_mov_b32 s0, 0
	v_add_u32_e32 v105, 0x8ff34781, v76
	v_add_u32_e32 v95, 0x96a522ad, v77
	v_xor_b32_e32 v0, v9, v0
	v_xor_b32_e32 v2, v7, v2
	s_mov_b32 s1, 0x40500000
	v_mov_b32_e32 v3, v6
	v_mov_b32_e32 v1, v8
	v_xor_b32_e32 v0, v105, v0
	v_xor_b32_e32 v2, v95, v2
	v_cmp_ngt_f64_e32 vcc, s[0:1], v[4:5]
                                        ; implicit-def: $vgpr79
	s_and_saveexec_b64 s[0:1], vcc
	s_xor_b64 s[16:17], exec, s[0:1]
	s_cbranch_execz .LBB67_55
; %bb.27:                               ;   in Loop: Header=BB67_5 Depth=1
	s_mov_b32 s0, 0
	s_mov_b32 s1, 0x40af4000
	v_cmp_ge_f64_e32 vcc, s[0:1], v[4:5]
                                        ; implicit-def: $vgpr79
	s_and_saveexec_b64 s[0:1], vcc
	s_xor_b64 s[0:1], exec, s[0:1]
	s_cbranch_execz .LBB67_42
; %bb.28:                               ;   in Loop: Header=BB67_5 Depth=1
	s_mov_b32 s6, 0xae147ae1
	v_writelane_b32 v134, s0, 25
	s_mov_b32 s7, 0xc00ae147
	v_writelane_b32 v134, s1, 26
	v_div_scale_f64 v[6:7], s[0:1], v[4:5], v[4:5], s[6:7]
	v_rcp_f64_e32 v[8:9], v[6:7]
	s_mov_b32 s0, 0
	v_mul_f64 v[80:81], v[4:5], s[42:43]
	s_brev_b32 s1, 8
	v_cmp_gt_f64_e64 s[0:1], s[0:1], v[80:81]
	v_cndmask_b32_e64 v82, 0, 1, s[0:1]
	v_fma_f64 v[78:79], -v[6:7], v[8:9], 1.0
	v_lshlrev_b32_e32 v82, 8, v82
	v_fmac_f64_e32 v[8:9], v[8:9], v[78:79]
	v_ldexp_f64 v[80:81], v[80:81], v82
	v_fma_f64 v[78:79], -v[6:7], v[8:9], 1.0
	v_rsq_f64_e32 v[82:83], v[80:81]
	v_div_scale_f64 v[10:11], vcc, s[6:7], v[4:5], s[6:7]
	v_fmac_f64_e32 v[8:9], v[8:9], v[78:79]
	v_mul_f64 v[78:79], v[10:11], v[8:9]
	v_fma_f64 v[6:7], -v[6:7], v[78:79], v[10:11]
	s_nop 0
	v_div_fmas_f64 v[6:7], v[6:7], v[8:9], v[78:79]
	v_mul_f64 v[8:9], v[80:81], v[82:83]
	v_mul_f64 v[10:11], v[82:83], 0.5
	v_fma_f64 v[78:79], -v[10:11], v[8:9], 0.5
	v_fmac_f64_e32 v[8:9], v[8:9], v[78:79]
	v_fma_f64 v[82:83], -v[8:9], v[8:9], v[80:81]
	v_fmac_f64_e32 v[10:11], v[10:11], v[78:79]
	v_fmac_f64_e32 v[8:9], v[82:83], v[10:11]
	v_fma_f64 v[78:79], -v[8:9], v[8:9], v[80:81]
	v_fmac_f64_e32 v[8:9], v[78:79], v[10:11]
	v_cndmask_b32_e64 v10, 0, v17, s[0:1]
	v_ldexp_f64 v[8:9], v[8:9], v10
	v_cmp_class_f64_e32 vcc, v[80:81], v13
	s_mov_b32 s20, 0x54442d18
	v_cndmask_b32_e32 v9, v9, v81, vcc
	v_cndmask_b32_e32 v8, v8, v80, vcc
	s_mov_b32 s21, 0x400921fb
	v_div_scale_f64 v[10:11], s[0:1], v[8:9], v[8:9], s[20:21]
	v_rcp_f64_e32 v[80:81], v[10:11]
	s_mov_b32 s0, 0x95810625
	v_div_fixup_f64 v[6:7], v[6:7], v[4:5], s[6:7]
	s_mov_b32 s1, 0x3fe88b43
	v_fma_f64 v[82:83], -v[10:11], v[80:81], 1.0
	v_fmac_f64_e32 v[80:81], v[80:81], v[82:83]
	v_fma_f64 v[82:83], -v[10:11], v[80:81], 1.0
	v_fmac_f64_e32 v[80:81], v[80:81], v[82:83]
	v_div_scale_f64 v[82:83], vcc, s[20:21], v[8:9], s[20:21]
	v_mul_f64 v[84:85], v[82:83], v[80:81]
	v_fma_f64 v[10:11], -v[10:11], v[84:85], v[82:83]
	v_add_f64 v[6:7], v[6:7], s[0:1]
	s_nop 0
	v_div_fmas_f64 v[10:11], v[10:11], v[80:81], v[84:85]
	v_div_fixup_f64 v[80:81], v[10:11], v[8:9], s[20:21]
	v_frexp_mant_f64_e32 v[8:9], v[6:7]
	v_cmp_gt_f64_e32 vcc, s[48:49], v[8:9]
	v_mov_b32_e32 v78, 0
	v_cndmask_b32_e64 v79, v19, 2.0, vcc
	v_frexp_exp_i32_f64_e32 v10, v[6:7]
	v_mul_f64 v[8:9], v[8:9], v[78:79]
	v_subbrev_co_u32_e32 v79, vcc, 0, v10, vcc
	v_add_f64 v[10:11], v[8:9], 1.0
	v_rcp_f64_e32 v[84:85], v[10:11]
	v_add_f64 v[88:89], v[10:11], -1.0
	v_add_f64 v[86:87], v[8:9], -1.0
	v_add_f64 v[8:9], v[8:9], -v[88:89]
	v_fma_f64 v[88:89], -v[10:11], v[84:85], 1.0
	v_fmac_f64_e32 v[84:85], v[88:89], v[84:85]
	v_fma_f64 v[88:89], -v[10:11], v[84:85], 1.0
	v_fmac_f64_e32 v[84:85], v[88:89], v[84:85]
	v_mul_f64 v[88:89], v[86:87], v[84:85]
	v_mul_f64 v[90:91], v[10:11], v[88:89]
	v_fma_f64 v[10:11], v[88:89], v[10:11], -v[90:91]
	v_fmac_f64_e32 v[10:11], v[88:89], v[8:9]
	v_add_f64 v[8:9], v[90:91], v[10:11]
	v_add_f64 v[116:117], v[86:87], -v[8:9]
	v_add_f64 v[90:91], v[8:9], -v[90:91]
	;; [unrolled: 1-line block ×5, first 2 shown]
	v_add_f64 v[8:9], v[10:11], v[8:9]
	v_add_f64 v[8:9], v[116:117], v[8:9]
	v_mul_f64 v[8:9], v[84:85], v[8:9]
	v_add_f64 v[10:11], v[88:89], v[8:9]
	v_add_f64 v[84:85], v[10:11], -v[88:89]
	v_add_f64 v[8:9], v[8:9], -v[84:85]
	v_mul_f64 v[84:85], v[10:11], v[10:11]
	v_pk_mov_b32 v[86:87], s[50:51], s[50:51] op_sel:[0,1]
	v_fma_f64 v[88:89], s[52:53], v[84:85], v[86:87]
	v_fma_f64 v[88:89], v[84:85], v[88:89], s[54:55]
	;; [unrolled: 1-line block ×5, first 2 shown]
	s_mov_b32 s63, s49
	v_fma_f64 v[88:89], v[84:85], v[88:89], s[62:63]
	v_ldexp_f64 v[90:91], v[10:11], 1
	v_mul_f64 v[10:11], v[10:11], v[84:85]
	v_mul_f64 v[10:11], v[10:11], v[88:89]
	v_add_f64 v[84:85], v[90:91], v[10:11]
	v_add_f64 v[88:89], v[84:85], -v[90:91]
	v_ldexp_f64 v[8:9], v[8:9], 1
	v_add_f64 v[10:11], v[10:11], -v[88:89]
	v_add_f64 v[8:9], v[8:9], v[10:11]
	v_add_f64 v[10:11], v[84:85], v[8:9]
	v_add_f64 v[84:85], v[10:11], -v[84:85]
	v_add_f64 v[8:9], v[8:9], -v[84:85]
	v_cvt_f64_i32_e32 v[84:85], v79
	v_mul_f64 v[88:89], v[84:85], s[64:65]
	v_fma_f64 v[90:91], v[84:85], s[64:65], -v[88:89]
	v_fmac_f64_e32 v[90:91], s[66:67], v[84:85]
	v_add_f64 v[84:85], v[88:89], v[90:91]
	v_add_f64 v[88:89], v[84:85], -v[88:89]
	v_add_f64 v[88:89], v[90:91], -v[88:89]
	v_add_f64 v[90:91], v[84:85], v[10:11]
	v_add_f64 v[116:117], v[90:91], -v[84:85]
	v_add_f64 v[118:119], v[90:91], -v[116:117]
	;; [unrolled: 1-line block ×4, first 2 shown]
	v_add_f64 v[10:11], v[10:11], v[84:85]
	v_add_f64 v[84:85], v[88:89], v[8:9]
	v_add_f64 v[116:117], v[84:85], -v[88:89]
	v_add_f64 v[118:119], v[84:85], -v[116:117]
	v_add_f64 v[10:11], v[84:85], v[10:11]
	v_add_f64 v[88:89], v[88:89], -v[118:119]
	v_add_f64 v[8:9], v[8:9], -v[116:117]
	v_add_f64 v[84:85], v[90:91], v[10:11]
	v_add_f64 v[8:9], v[8:9], v[88:89]
	v_add_f64 v[88:89], v[84:85], -v[90:91]
	v_add_f64 v[10:11], v[10:11], -v[88:89]
	v_add_f64 v[8:9], v[8:9], v[10:11]
	v_add_f64 v[8:9], v[84:85], v[8:9]
	v_cmp_class_f64_e64 vcc, v[6:7], s75
	v_cndmask_b32_e32 v8, v8, v6, vcc
	v_cndmask_b32_e32 v9, v9, v7, vcc
	v_cmp_ngt_f64_e32 vcc, 0, v[6:7]
	v_cndmask_b32_e32 v9, v92, v9, vcc
	v_cmp_nge_f64_e32 vcc, 0, v[6:7]
	v_cndmask_b32_e32 v8, 0, v8, vcc
	v_cmp_neq_f64_e32 vcc, 0, v[6:7]
	v_cndmask_b32_e32 v9, v93, v9, vcc
	v_add_f64 v[6:7], v[8:9], -v[4:5]
	v_frexp_mant_f64_e32 v[8:9], v[80:81]
	v_cmp_gt_f64_e32 vcc, s[48:49], v[8:9]
	v_cndmask_b32_e64 v79, v19, 2.0, vcc
	v_frexp_exp_i32_f64_e32 v10, v[80:81]
	v_mul_f64 v[8:9], v[8:9], v[78:79]
	v_subbrev_co_u32_e32 v79, vcc, 0, v10, vcc
	v_add_f64 v[10:11], v[8:9], 1.0
	v_rcp_f64_e32 v[84:85], v[10:11]
	v_add_f64 v[90:91], v[10:11], -1.0
	v_add_f64 v[88:89], v[8:9], -1.0
	v_add_f64 v[8:9], v[8:9], -v[90:91]
	v_fma_f64 v[90:91], -v[10:11], v[84:85], 1.0
	v_fmac_f64_e32 v[84:85], v[90:91], v[84:85]
	v_fma_f64 v[90:91], -v[10:11], v[84:85], 1.0
	v_fmac_f64_e32 v[84:85], v[90:91], v[84:85]
	v_mul_f64 v[90:91], v[88:89], v[84:85]
	v_mul_f64 v[116:117], v[10:11], v[90:91]
	v_fma_f64 v[10:11], v[90:91], v[10:11], -v[116:117]
	v_fmac_f64_e32 v[10:11], v[90:91], v[8:9]
	v_add_f64 v[8:9], v[116:117], v[10:11]
	v_add_f64 v[118:119], v[88:89], -v[8:9]
	v_add_f64 v[116:117], v[8:9], -v[116:117]
	;; [unrolled: 1-line block ×5, first 2 shown]
	v_add_f64 v[8:9], v[10:11], v[8:9]
	v_add_f64 v[8:9], v[118:119], v[8:9]
	v_mul_f64 v[8:9], v[84:85], v[8:9]
	v_add_f64 v[10:11], v[90:91], v[8:9]
	v_add_f64 v[84:85], v[10:11], -v[90:91]
	v_add_f64 v[8:9], v[8:9], -v[84:85]
	v_mul_f64 v[84:85], v[10:11], v[10:11]
	v_fma_f64 v[88:89], s[52:53], v[84:85], v[86:87]
	v_fma_f64 v[88:89], v[84:85], v[88:89], s[54:55]
	;; [unrolled: 1-line block ×6, first 2 shown]
	v_ldexp_f64 v[90:91], v[10:11], 1
	v_mul_f64 v[10:11], v[10:11], v[84:85]
	v_mul_f64 v[10:11], v[10:11], v[88:89]
	v_add_f64 v[84:85], v[90:91], v[10:11]
	v_add_f64 v[88:89], v[84:85], -v[90:91]
	v_ldexp_f64 v[8:9], v[8:9], 1
	v_add_f64 v[10:11], v[10:11], -v[88:89]
	v_add_f64 v[8:9], v[8:9], v[10:11]
	v_add_f64 v[10:11], v[84:85], v[8:9]
	v_add_f64 v[84:85], v[10:11], -v[84:85]
	v_add_f64 v[8:9], v[8:9], -v[84:85]
	v_cvt_f64_i32_e32 v[84:85], v79
	v_mul_f64 v[88:89], v[84:85], s[64:65]
	v_fma_f64 v[90:91], v[84:85], s[64:65], -v[88:89]
	v_fmac_f64_e32 v[90:91], s[66:67], v[84:85]
	v_add_f64 v[84:85], v[88:89], v[90:91]
	v_add_f64 v[88:89], v[84:85], -v[88:89]
	v_add_f64 v[88:89], v[90:91], -v[88:89]
	v_add_f64 v[90:91], v[84:85], v[10:11]
	v_add_f64 v[116:117], v[90:91], -v[84:85]
	v_add_f64 v[118:119], v[90:91], -v[116:117]
	;; [unrolled: 1-line block ×4, first 2 shown]
	v_add_f64 v[10:11], v[10:11], v[84:85]
	v_add_f64 v[84:85], v[88:89], v[8:9]
	v_add_f64 v[116:117], v[84:85], -v[88:89]
	v_add_f64 v[118:119], v[84:85], -v[116:117]
	v_add_f64 v[10:11], v[84:85], v[10:11]
	v_add_f64 v[88:89], v[88:89], -v[118:119]
	v_add_f64 v[8:9], v[8:9], -v[116:117]
	v_add_f64 v[84:85], v[90:91], v[10:11]
	v_add_f64 v[8:9], v[8:9], v[88:89]
	v_add_f64 v[88:89], v[84:85], -v[90:91]
	v_add_f64 v[10:11], v[10:11], -v[88:89]
	s_mov_b32 s0, 0
	v_add_f64 v[8:9], v[8:9], v[10:11]
	s_mov_b32 s1, 0x7ff00000
	v_add_f64 v[8:9], v[84:85], v[8:9]
	v_cmp_eq_f64_e32 vcc, s[0:1], v[80:81]
	v_cndmask_b32_e32 v8, v8, v80, vcc
	v_cndmask_b32_e32 v9, v9, v81, vcc
	v_cmp_neq_f64_e32 vcc, 0, v[80:81]
	v_cndmask_b32_e32 v9, v93, v9, vcc
	v_cndmask_b32_e32 v8, 0, v8, vcc
	v_mul_f64 v[82:83], v[4:5], v[80:81]
	v_add_f64 v[84:85], v[6:7], -v[8:9]
	v_frexp_exp_i32_f64_e32 v6, v[4:5]
	v_frexp_mant_f64_e32 v[4:5], v[4:5]
	v_cmp_gt_f64_e32 vcc, s[48:49], v[4:5]
	v_cndmask_b32_e64 v79, v19, 2.0, vcc
	v_mul_f64 v[4:5], v[4:5], v[78:79]
	v_subbrev_co_u32_e32 v79, vcc, 0, v6, vcc
	v_add_f64 v[6:7], v[4:5], 1.0
	v_rcp_f64_e32 v[8:9], v[6:7]
	v_add_f64 v[88:89], v[6:7], -1.0
	v_add_f64 v[10:11], v[4:5], -1.0
	v_add_f64 v[4:5], v[4:5], -v[88:89]
	v_fma_f64 v[88:89], -v[6:7], v[8:9], 1.0
	v_fmac_f64_e32 v[8:9], v[88:89], v[8:9]
	v_fma_f64 v[88:89], -v[6:7], v[8:9], 1.0
	v_fmac_f64_e32 v[8:9], v[88:89], v[8:9]
	v_mul_f64 v[88:89], v[10:11], v[8:9]
	v_mul_f64 v[90:91], v[6:7], v[88:89]
	v_fma_f64 v[6:7], v[88:89], v[6:7], -v[90:91]
	v_fmac_f64_e32 v[6:7], v[88:89], v[4:5]
	v_add_f64 v[4:5], v[90:91], v[6:7]
	v_add_f64 v[116:117], v[10:11], -v[4:5]
	v_add_f64 v[90:91], v[4:5], -v[90:91]
	;; [unrolled: 1-line block ×5, first 2 shown]
	v_add_f64 v[4:5], v[6:7], v[4:5]
	v_add_f64 v[4:5], v[116:117], v[4:5]
	v_mul_f64 v[4:5], v[8:9], v[4:5]
	v_add_f64 v[6:7], v[88:89], v[4:5]
	v_add_f64 v[8:9], v[6:7], -v[88:89]
	v_add_f64 v[4:5], v[4:5], -v[8:9]
	v_mul_f64 v[8:9], v[6:7], v[6:7]
	v_fmac_f64_e32 v[86:87], s[52:53], v[8:9]
	v_fma_f64 v[10:11], v[8:9], v[86:87], s[54:55]
	v_fma_f64 v[10:11], v[8:9], v[10:11], s[56:57]
	;; [unrolled: 1-line block ×5, first 2 shown]
	v_ldexp_f64 v[86:87], v[6:7], 1
	v_mul_f64 v[6:7], v[6:7], v[8:9]
	v_mul_f64 v[6:7], v[6:7], v[10:11]
	v_add_f64 v[8:9], v[86:87], v[6:7]
	v_add_f64 v[10:11], v[8:9], -v[86:87]
	v_ldexp_f64 v[4:5], v[4:5], 1
	v_add_f64 v[6:7], v[6:7], -v[10:11]
	v_add_f64 v[4:5], v[4:5], v[6:7]
	v_add_f64 v[6:7], v[8:9], v[4:5]
	v_add_f64 v[8:9], v[6:7], -v[8:9]
	v_add_f64 v[4:5], v[4:5], -v[8:9]
	v_cvt_f64_i32_e32 v[8:9], v79
	v_mul_f64 v[10:11], v[8:9], s[64:65]
	v_fma_f64 v[86:87], v[8:9], s[64:65], -v[10:11]
	v_fmac_f64_e32 v[86:87], s[66:67], v[8:9]
	v_add_f64 v[8:9], v[10:11], v[86:87]
	v_add_f64 v[10:11], v[8:9], -v[10:11]
	v_add_f64 v[10:11], v[86:87], -v[10:11]
	v_add_f64 v[86:87], v[8:9], v[6:7]
	v_add_f64 v[88:89], v[86:87], -v[8:9]
	v_add_f64 v[90:91], v[86:87], -v[88:89]
	;; [unrolled: 1-line block ×4, first 2 shown]
	v_add_f64 v[6:7], v[6:7], v[8:9]
	v_add_f64 v[8:9], v[10:11], v[4:5]
	v_add_f64 v[88:89], v[8:9], -v[10:11]
	v_add_f64 v[90:91], v[8:9], -v[88:89]
	v_add_f64 v[6:7], v[8:9], v[6:7]
	v_add_f64 v[10:11], v[10:11], -v[90:91]
	v_add_f64 v[4:5], v[4:5], -v[88:89]
	v_add_f64 v[8:9], v[86:87], v[6:7]
	v_add_f64 v[4:5], v[4:5], v[10:11]
	v_add_f64 v[10:11], v[8:9], -v[86:87]
	v_add_f64 v[6:7], v[6:7], -v[10:11]
	v_add_f64 v[4:5], v[4:5], v[6:7]
	v_add_f64 v[86:87], v[8:9], v[4:5]
	s_mov_b64 s[28:29], 0
	s_mov_b64 s[6:7], 0
	v_mov_b32_e32 v115, v12
                                        ; implicit-def: $vgpr79
.LBB67_29:                              ;   Parent Loop BB67_5 Depth=1
                                        ; =>  This Inner Loop Header: Depth=2
	v_add_u32_e32 v116, 1, v15
	v_pk_mov_b32 v[10:11], v[2:3], v[2:3] op_sel:[0,1]
	v_cmp_eq_u32_e32 vcc, 4, v116
	v_pk_mov_b32 v[8:9], v[0:1], v[0:1] op_sel:[0,1]
	v_mov_b32_e32 v91, v0
	v_mov_b32_e32 v90, v1
	;; [unrolled: 1-line block ×4, first 2 shown]
	s_and_saveexec_b64 s[0:1], vcc
	s_cbranch_execz .LBB67_31
; %bb.30:                               ;   in Loop: Header=BB67_29 Depth=2
	v_add_co_u32_e32 v96, vcc, 1, v96
	v_cndmask_b32_e64 v4, 0, 1, vcc
	v_addc_co_u32_e32 v97, vcc, 0, v97, vcc
	v_cmp_eq_u32_e32 vcc, 0, v97
	v_cndmask_b32_e32 v4, 0, v4, vcc
	v_add_u32_e32 v115, v4, v115
	v_cmp_eq_u32_e32 vcc, 0, v115
	v_cndmask_b32_e32 v4, 0, v4, vcc
	v_add_u32_e32 v78, v4, v78
	v_mad_u64_u32 v[4:5], s[20:21], v96, s74, 0
	v_mad_u64_u32 v[6:7], s[20:21], v115, s33, 0
	v_xor_b32_e32 v5, v5, v77
	v_xor_b32_e32 v7, v7, v76
	v_xor_b32_e32 v5, v78, v5
	v_xor_b32_e32 v7, v97, v7
	v_mad_u64_u32 v[10:11], s[20:21], v5, s33, 0
	v_mad_u64_u32 v[8:9], s[20:21], v7, s74, 0
	v_xor_b32_e32 v5, v98, v11
	v_xor_b32_e32 v5, v5, v6
	v_xor_b32_e32 v6, v99, v9
	v_xor_b32_e32 v6, v6, v4
	;; [unrolled: 6-line block ×10, first 2 shown]
	v_mov_b32_e32 v116, 0
	v_mov_b32_e32 v9, v90
	;; [unrolled: 1-line block ×5, first 2 shown]
.LBB67_31:                              ;   in Loop: Header=BB67_29 Depth=2
	s_or_b64 exec, exec, s[0:1]
	v_add_u32_e32 v117, 1, v116
	v_pk_mov_b32 v[4:5], v[8:9], v[8:9] op_sel:[0,1]
	v_cmp_eq_u32_e32 vcc, 4, v117
	v_pk_mov_b32 v[6:7], v[10:11], v[10:11] op_sel:[0,1]
	s_and_saveexec_b64 s[0:1], vcc
	s_cbranch_execz .LBB67_33
; %bb.32:                               ;   in Loop: Header=BB67_29 Depth=2
	v_add_co_u32_e32 v96, vcc, 1, v96
	v_cndmask_b32_e64 v4, 0, 1, vcc
	v_addc_co_u32_e32 v97, vcc, 0, v97, vcc
	v_cmp_eq_u32_e32 vcc, 0, v97
	v_cndmask_b32_e32 v4, 0, v4, vcc
	v_add_u32_e32 v115, v4, v115
	v_cmp_eq_u32_e32 vcc, 0, v115
	v_cndmask_b32_e32 v4, 0, v4, vcc
	v_add_u32_e32 v78, v4, v78
	v_mad_u64_u32 v[4:5], s[20:21], v96, s74, 0
	v_mad_u64_u32 v[6:7], s[20:21], v115, s33, 0
	v_xor_b32_e32 v5, v5, v77
	v_xor_b32_e32 v7, v7, v76
	v_xor_b32_e32 v5, v78, v5
	v_xor_b32_e32 v7, v97, v7
	v_mad_u64_u32 v[90:91], s[20:21], v5, s33, 0
	v_mad_u64_u32 v[88:89], s[20:21], v7, s74, 0
	v_xor_b32_e32 v5, v98, v91
	v_xor_b32_e32 v5, v5, v6
	v_xor_b32_e32 v6, v99, v89
	v_xor_b32_e32 v6, v6, v4
	;; [unrolled: 6-line block ×10, first 2 shown]
	v_mov_b32_e32 v117, 0
	v_mov_b32_e32 v5, v90
	;; [unrolled: 1-line block ×5, first 2 shown]
.LBB67_33:                              ;   in Loop: Header=BB67_29 Depth=2
	s_or_b64 exec, exec, s[0:1]
	v_cmp_eq_u32_e32 vcc, 1, v15
	v_cndmask_b32_e32 v0, v0, v1, vcc
	v_cmp_eq_u32_e32 vcc, 2, v15
	v_cndmask_b32_e32 v0, v0, v2, vcc
	;; [unrolled: 2-line block ×6, first 2 shown]
	v_lshrrev_b32_e32 v0, 11, v0
	v_cvt_f64_u32_e32 v[0:1], v0
	v_ldexp_f64 v[0:1], v[0:1], 32
	v_cvt_f64_u32_e32 v[2:3], v2
	v_add_f64 v[0:1], v[0:1], v[2:3]
	v_mov_b32_e32 v2, 0
	v_mov_b32_e32 v3, 0x3ca00000
	v_fmac_f64_e32 v[2:3], 0x3ca00000, v[0:1]
	v_add_f64 v[0:1], -v[2:3], 1.0
	v_div_scale_f64 v[8:9], s[0:1], v[2:3], v[2:3], v[0:1]
	v_rcp_f64_e32 v[10:11], v[8:9]
	v_fma_f64 v[118:119], -v[8:9], v[10:11], 1.0
	v_fmac_f64_e32 v[10:11], v[10:11], v[118:119]
	v_fma_f64 v[118:119], -v[8:9], v[10:11], 1.0
	v_fmac_f64_e32 v[10:11], v[10:11], v[118:119]
	v_div_scale_f64 v[118:119], vcc, v[0:1], v[2:3], v[0:1]
	v_mul_f64 v[120:121], v[118:119], v[10:11]
	v_fma_f64 v[8:9], -v[8:9], v[120:121], v[118:119]
	s_nop 1
	v_div_fmas_f64 v[8:9], v[8:9], v[10:11], v[120:121]
	v_div_fixup_f64 v[0:1], v[8:9], v[2:3], v[0:1]
	v_frexp_mant_f64_e32 v[2:3], v[0:1]
	v_cmp_gt_f64_e32 vcc, s[48:49], v[2:3]
	v_cndmask_b32_e64 v15, v19, 2.0, vcc
	v_frexp_exp_i32_f64_e32 v8, v[0:1]
	v_mul_f64 v[2:3], v[2:3], v[14:15]
	v_subbrev_co_u32_e32 v15, vcc, 0, v8, vcc
	v_add_f64 v[8:9], v[2:3], 1.0
	v_rcp_f64_e32 v[10:11], v[8:9]
	v_add_f64 v[120:121], v[8:9], -1.0
	v_add_f64 v[118:119], v[2:3], -1.0
	v_add_f64 v[2:3], v[2:3], -v[120:121]
	v_fma_f64 v[120:121], -v[8:9], v[10:11], 1.0
	v_fmac_f64_e32 v[10:11], v[120:121], v[10:11]
	v_fma_f64 v[120:121], -v[8:9], v[10:11], 1.0
	v_fmac_f64_e32 v[10:11], v[120:121], v[10:11]
	v_mul_f64 v[120:121], v[118:119], v[10:11]
	v_mul_f64 v[122:123], v[8:9], v[120:121]
	v_fma_f64 v[8:9], v[120:121], v[8:9], -v[122:123]
	v_fmac_f64_e32 v[8:9], v[120:121], v[2:3]
	v_add_f64 v[2:3], v[122:123], v[8:9]
	v_add_f64 v[124:125], v[118:119], -v[2:3]
	v_add_f64 v[122:123], v[2:3], -v[122:123]
	;; [unrolled: 1-line block ×5, first 2 shown]
	v_add_f64 v[2:3], v[8:9], v[2:3]
	v_add_f64 v[2:3], v[124:125], v[2:3]
	v_mul_f64 v[2:3], v[10:11], v[2:3]
	v_add_f64 v[8:9], v[120:121], v[2:3]
	v_add_f64 v[10:11], v[8:9], -v[120:121]
	v_add_f64 v[2:3], v[2:3], -v[10:11]
	v_mul_f64 v[10:11], v[8:9], v[8:9]
	v_pk_mov_b32 v[118:119], v[20:21], v[20:21] op_sel:[0,1]
	v_fmac_f64_e32 v[118:119], s[52:53], v[10:11]
	v_pk_mov_b32 v[120:121], v[22:23], v[22:23] op_sel:[0,1]
	v_fmac_f64_e32 v[120:121], v[10:11], v[118:119]
	;; [unrolled: 2-line block ×6, first 2 shown]
	v_ldexp_f64 v[118:119], v[8:9], 1
	v_mul_f64 v[8:9], v[8:9], v[10:11]
	v_mul_f64 v[8:9], v[8:9], v[120:121]
	v_add_f64 v[10:11], v[118:119], v[8:9]
	v_add_f64 v[118:119], v[10:11], -v[118:119]
	v_ldexp_f64 v[2:3], v[2:3], 1
	v_add_f64 v[8:9], v[8:9], -v[118:119]
	v_add_f64 v[2:3], v[2:3], v[8:9]
	v_add_f64 v[8:9], v[10:11], v[2:3]
	v_add_f64 v[10:11], v[8:9], -v[10:11]
	v_add_f64 v[2:3], v[2:3], -v[10:11]
	v_cvt_f64_i32_e32 v[10:11], v15
	v_mul_f64 v[118:119], v[10:11], s[64:65]
	v_fma_f64 v[120:121], v[10:11], s[64:65], -v[118:119]
	v_fmac_f64_e32 v[120:121], s[66:67], v[10:11]
	v_add_f64 v[10:11], v[118:119], v[120:121]
	v_add_f64 v[118:119], v[10:11], -v[118:119]
	v_add_f64 v[118:119], v[120:121], -v[118:119]
	v_add_f64 v[120:121], v[10:11], v[8:9]
	v_add_f64 v[122:123], v[120:121], -v[10:11]
	v_add_f64 v[124:125], v[120:121], -v[122:123]
	;; [unrolled: 1-line block ×4, first 2 shown]
	v_add_f64 v[8:9], v[8:9], v[10:11]
	v_add_f64 v[10:11], v[118:119], v[2:3]
	v_add_f64 v[122:123], v[10:11], -v[118:119]
	v_add_f64 v[124:125], v[10:11], -v[122:123]
	v_add_f64 v[8:9], v[10:11], v[8:9]
	v_add_f64 v[118:119], v[118:119], -v[124:125]
	v_add_f64 v[2:3], v[2:3], -v[122:123]
	v_add_f64 v[10:11], v[120:121], v[8:9]
	v_add_f64 v[2:3], v[2:3], v[118:119]
	v_add_f64 v[118:119], v[10:11], -v[120:121]
	v_add_f64 v[8:9], v[8:9], -v[118:119]
	v_add_f64 v[2:3], v[2:3], v[8:9]
	v_add_f64 v[2:3], v[10:11], v[2:3]
	v_cmp_class_f64_e64 vcc, v[0:1], s75
	v_cndmask_b32_e32 v2, v2, v0, vcc
	v_cndmask_b32_e32 v3, v3, v1, vcc
	v_cmp_ngt_f64_e32 vcc, 0, v[0:1]
	v_cndmask_b32_e32 v3, v92, v3, vcc
	v_cmp_nge_f64_e32 vcc, 0, v[0:1]
	v_cndmask_b32_e32 v2, 0, v2, vcc
	v_cmp_neq_f64_e32 vcc, 0, v[0:1]
	v_cndmask_b32_e32 v3, v93, v3, vcc
	v_add_f64 v[0:1], v[82:83], -v[2:3]
	v_div_scale_f64 v[2:3], s[0:1], v[80:81], v[80:81], v[0:1]
	v_rcp_f64_e32 v[8:9], v[2:3]
	v_fma_f64 v[10:11], -v[2:3], v[8:9], 1.0
	v_fmac_f64_e32 v[8:9], v[8:9], v[10:11]
	v_fma_f64 v[10:11], -v[2:3], v[8:9], 1.0
	v_fmac_f64_e32 v[8:9], v[8:9], v[10:11]
	v_div_scale_f64 v[10:11], vcc, v[0:1], v[80:81], v[0:1]
	v_mul_f64 v[118:119], v[10:11], v[8:9]
	v_fma_f64 v[2:3], -v[2:3], v[118:119], v[10:11]
	s_nop 1
	v_div_fmas_f64 v[2:3], v[2:3], v[8:9], v[118:119]
	v_div_fixup_f64 v[10:11], v[2:3], v[80:81], v[0:1]
	v_add_f64 v[0:1], v[10:11], 0.5
	v_floor_f64_e32 v[8:9], v[0:1]
	v_cmp_ngt_f64_e32 vcc, 0, v[8:9]
	v_mov_b32_e32 v118, 2
	s_and_saveexec_b64 s[20:21], vcc
	s_cbranch_execz .LBB67_39
; %bb.34:                               ;   in Loop: Header=BB67_29 Depth=2
	v_add_u32_e32 v15, 1, v117
	v_pk_mov_b32 v[0:1], v[4:5], v[4:5] op_sel:[0,1]
	v_cmp_eq_u32_e32 vcc, 4, v15
	v_pk_mov_b32 v[2:3], v[6:7], v[6:7] op_sel:[0,1]
	s_and_saveexec_b64 s[0:1], vcc
	s_cbranch_execz .LBB67_36
; %bb.35:                               ;   in Loop: Header=BB67_29 Depth=2
	v_add_co_u32_e32 v96, vcc, 1, v96
	v_cndmask_b32_e64 v0, 0, 1, vcc
	v_addc_co_u32_e32 v97, vcc, 0, v97, vcc
	v_cmp_eq_u32_e32 vcc, 0, v97
	v_cndmask_b32_e32 v0, 0, v0, vcc
	v_add_u32_e32 v115, v0, v115
	v_cmp_eq_u32_e32 vcc, 0, v115
	v_cndmask_b32_e32 v0, 0, v0, vcc
	v_add_u32_e32 v78, v0, v78
	v_mad_u64_u32 v[0:1], vcc, v96, s74, 0
	v_mad_u64_u32 v[2:3], vcc, v115, s33, 0
	v_xor_b32_e32 v1, v1, v77
	v_xor_b32_e32 v3, v3, v76
	v_xor_b32_e32 v1, v78, v1
	v_xor_b32_e32 v3, v97, v3
	v_mad_u64_u32 v[90:91], vcc, v1, s33, 0
	v_mad_u64_u32 v[88:89], vcc, v3, s74, 0
	v_xor_b32_e32 v1, v98, v91
	v_xor_b32_e32 v1, v1, v2
	v_xor_b32_e32 v2, v99, v89
	v_xor_b32_e32 v2, v2, v0
	v_mad_u64_u32 v[0:1], vcc, v1, s74, 0
	v_mad_u64_u32 v[2:3], vcc, v2, s33, 0
	v_xor_b32_e32 v1, v101, v1
	v_xor_b32_e32 v3, v100, v3
	v_xor_b32_e32 v1, v1, v88
	v_xor_b32_e32 v3, v3, v90
	v_mad_u64_u32 v[90:91], vcc, v1, s33, 0
	v_mad_u64_u32 v[88:89], vcc, v3, s74, 0
	v_xor_b32_e32 v1, v103, v91
	v_xor_b32_e32 v1, v1, v2
	v_xor_b32_e32 v2, v104, v89
	v_xor_b32_e32 v2, v2, v0
	v_mad_u64_u32 v[0:1], vcc, v1, s74, 0
	v_mad_u64_u32 v[2:3], vcc, v2, s33, 0
	v_xor_b32_e32 v1, v107, v1
	v_xor_b32_e32 v3, v106, v3
	v_xor_b32_e32 v1, v1, v88
	v_xor_b32_e32 v3, v3, v90
	v_mad_u64_u32 v[90:91], vcc, v1, s33, 0
	v_mad_u64_u32 v[88:89], vcc, v3, s74, 0
	v_xor_b32_e32 v1, v108, v91
	v_xor_b32_e32 v1, v1, v2
	v_xor_b32_e32 v2, v109, v89
	v_xor_b32_e32 v2, v2, v0
	v_mad_u64_u32 v[0:1], vcc, v1, s74, 0
	v_mad_u64_u32 v[2:3], vcc, v2, s33, 0
	v_xor_b32_e32 v1, v111, v1
	v_xor_b32_e32 v3, v110, v3
	v_xor_b32_e32 v1, v1, v88
	v_xor_b32_e32 v3, v3, v90
	v_mad_u64_u32 v[90:91], vcc, v1, s33, 0
	v_mad_u64_u32 v[88:89], vcc, v3, s74, 0
	v_xor_b32_e32 v1, v112, v91
	v_xor_b32_e32 v1, v1, v2
	v_xor_b32_e32 v2, v113, v89
	v_xor_b32_e32 v0, v2, v0
	v_mad_u64_u32 v[2:3], vcc, v1, s74, 0
	v_mad_u64_u32 v[0:1], vcc, v0, s33, 0
	v_xor_b32_e32 v1, v102, v1
	v_xor_b32_e32 v3, v114, v3
	v_xor_b32_e32 v1, v1, v90
	v_xor_b32_e32 v3, v3, v88
	v_mad_u64_u32 v[88:89], vcc, v1, s74, 0
	v_mad_u64_u32 v[90:91], vcc, v3, s33, 0
	v_xor_b32_e32 v0, v91, v0
	v_xor_b32_e32 v1, v89, v2
	v_xor_b32_e32 v0, v105, v0
	v_xor_b32_e32 v2, v95, v1
	v_mov_b32_e32 v15, 0
	v_mov_b32_e32 v1, v90
	;; [unrolled: 1-line block ×5, first 2 shown]
.LBB67_36:                              ;   in Loop: Header=BB67_29 Depth=2
	s_or_b64 exec, exec, s[0:1]
	v_add_u32_e32 v116, 1, v15
	v_cmp_eq_u32_e32 vcc, 4, v116
	s_and_saveexec_b64 s[0:1], vcc
	s_cbranch_execz .LBB67_38
; %bb.37:                               ;   in Loop: Header=BB67_29 Depth=2
	v_add_co_u32_e32 v96, vcc, 1, v96
	v_cndmask_b32_e64 v88, 0, 1, vcc
	v_addc_co_u32_e32 v97, vcc, 0, v97, vcc
	v_cmp_eq_u32_e32 vcc, 0, v97
	v_cndmask_b32_e32 v88, 0, v88, vcc
	v_add_u32_e32 v115, v88, v115
	v_cmp_eq_u32_e32 vcc, 0, v115
	v_cndmask_b32_e32 v88, 0, v88, vcc
	v_add_u32_e32 v78, v88, v78
	v_mad_u64_u32 v[88:89], vcc, v96, s74, 0
	v_mad_u64_u32 v[90:91], vcc, v115, s33, 0
	v_xor_b32_e32 v89, v89, v77
	v_xor_b32_e32 v91, v91, v76
	v_xor_b32_e32 v89, v78, v89
	v_xor_b32_e32 v91, v97, v91
	v_mad_u64_u32 v[120:121], vcc, v89, s33, 0
	v_mad_u64_u32 v[118:119], vcc, v91, s74, 0
	v_xor_b32_e32 v89, v98, v121
	v_xor_b32_e32 v89, v89, v90
	v_xor_b32_e32 v90, v99, v119
	v_xor_b32_e32 v90, v90, v88
	;; [unrolled: 6-line block ×9, first 2 shown]
	v_mad_u64_u32 v[88:89], vcc, v88, s74, 0
	v_mad_u64_u32 v[90:91], vcc, v90, s33, 0
	v_xor_b32_e32 v91, v91, v124
	v_xor_b32_e32 v89, v89, v122
	v_mov_b32_e32 v116, 0
	v_xor_b32_e32 v91, v105, v91
	v_xor_b32_e32 v89, v95, v89
.LBB67_38:                              ;   in Loop: Header=BB67_29 Depth=2
	s_or_b64 exec, exec, s[0:1]
	v_cmp_eq_u32_e32 vcc, 1, v117
	v_cndmask_b32_e32 v4, v4, v5, vcc
	v_cmp_eq_u32_e32 vcc, 2, v117
	v_cndmask_b32_e32 v4, v4, v6, vcc
	;; [unrolled: 2-line block ×6, first 2 shown]
	v_lshrrev_b32_e32 v0, 11, v0
	v_cvt_f64_u32_e32 v[0:1], v0
	v_ldexp_f64 v[0:1], v[0:1], 32
	v_cvt_f64_u32_e32 v[2:3], v4
	v_add_f64 v[0:1], v[0:1], v[2:3]
	v_mov_b32_e32 v2, 0
	v_mov_b32_e32 v3, 0x3ca00000
	v_fma_f64 v[4:5], -v[80:81], v[10:11], v[82:83]
	v_fmac_f64_e32 v[2:3], 0x3ca00000, v[0:1]
	v_mul_f64 v[0:1], v[4:5], s[70:71]
	v_rndne_f64_e32 v[0:1], v[0:1]
	s_mov_b32 s72, s64
	v_fma_f64 v[6:7], s[72:73], v[0:1], v[4:5]
	s_mov_b32 s76, s66
	v_fmac_f64_e32 v[6:7], s[76:77], v[0:1]
	v_pk_mov_b32 v[10:11], v[32:33], v[32:33] op_sel:[0,1]
	v_fmac_f64_e32 v[10:11], s[78:79], v[6:7]
	v_pk_mov_b32 v[118:119], v[34:35], v[34:35] op_sel:[0,1]
	;; [unrolled: 2-line block ×9, first 2 shown]
	v_fmac_f64_e32 v[10:11], v[6:7], v[118:119]
	v_fma_f64 v[10:11], v[6:7], v[10:11], 1.0
	v_fma_f64 v[6:7], v[6:7], v[10:11], 1.0
	v_cvt_i32_f64_e32 v0, v[0:1]
	v_ldexp_f64 v[0:1], v[6:7], v0
	v_add_f64 v[0:1], v[0:1], 1.0
	v_cmp_nlt_f64_e32 vcc, s[80:81], v[4:5]
	v_cmp_ngt_f64_e64 s[0:1], s[82:83], v[4:5]
	v_cndmask_b32_e32 v1, v94, v1, vcc
	s_and_b64 vcc, s[0:1], vcc
	v_cndmask_b32_e64 v1, v19, v1, s[0:1]
	v_cndmask_b32_e32 v0, 0, v0, vcc
	v_mul_f64 v[0:1], v[0:1], v[0:1]
	v_div_scale_f64 v[6:7], s[0:1], v[0:1], v[0:1], v[2:3]
	v_rcp_f64_e32 v[10:11], v[6:7]
	s_mov_b32 s63, s49
	v_fma_f64 v[118:119], -v[6:7], v[10:11], 1.0
	v_fmac_f64_e32 v[10:11], v[10:11], v[118:119]
	v_fma_f64 v[118:119], -v[6:7], v[10:11], 1.0
	v_fmac_f64_e32 v[10:11], v[10:11], v[118:119]
	v_div_scale_f64 v[118:119], vcc, v[2:3], v[0:1], v[2:3]
	v_mul_f64 v[120:121], v[118:119], v[10:11]
	v_fma_f64 v[6:7], -v[6:7], v[120:121], v[118:119]
	s_nop 1
	v_div_fmas_f64 v[6:7], v[6:7], v[10:11], v[120:121]
	v_div_fixup_f64 v[2:3], v[6:7], v[0:1], v[2:3]
	v_frexp_mant_f64_e32 v[0:1], v[2:3]
	v_cmp_gt_f64_e32 vcc, s[48:49], v[0:1]
	v_cndmask_b32_e64 v15, v19, 2.0, vcc
	v_frexp_exp_i32_f64_e32 v6, v[2:3]
	v_mul_f64 v[0:1], v[0:1], v[14:15]
	v_subbrev_co_u32_e32 v15, vcc, 0, v6, vcc
	v_add_f64 v[6:7], v[0:1], 1.0
	v_rcp_f64_e32 v[10:11], v[6:7]
	v_add_f64 v[120:121], v[6:7], -1.0
	v_add_f64 v[118:119], v[0:1], -1.0
	v_add_f64 v[0:1], v[0:1], -v[120:121]
	v_fma_f64 v[120:121], -v[6:7], v[10:11], 1.0
	v_fmac_f64_e32 v[10:11], v[120:121], v[10:11]
	v_fma_f64 v[120:121], -v[6:7], v[10:11], 1.0
	v_fmac_f64_e32 v[10:11], v[120:121], v[10:11]
	v_mul_f64 v[120:121], v[118:119], v[10:11]
	v_mul_f64 v[122:123], v[6:7], v[120:121]
	v_fma_f64 v[6:7], v[120:121], v[6:7], -v[122:123]
	v_fmac_f64_e32 v[6:7], v[120:121], v[0:1]
	v_add_f64 v[0:1], v[122:123], v[6:7]
	v_add_f64 v[124:125], v[118:119], -v[0:1]
	v_add_f64 v[122:123], v[0:1], -v[122:123]
	;; [unrolled: 1-line block ×5, first 2 shown]
	v_add_f64 v[0:1], v[6:7], v[0:1]
	v_add_f64 v[0:1], v[124:125], v[0:1]
	v_mul_f64 v[0:1], v[10:11], v[0:1]
	v_add_f64 v[6:7], v[120:121], v[0:1]
	v_add_f64 v[10:11], v[6:7], -v[120:121]
	v_add_f64 v[10:11], v[0:1], -v[10:11]
	v_mul_f64 v[118:119], v[6:7], v[6:7]
	v_pk_mov_b32 v[0:1], s[50:51], s[50:51] op_sel:[0,1]
	v_fma_f64 v[120:121], s[52:53], v[118:119], v[0:1]
	v_fma_f64 v[120:121], v[118:119], v[120:121], s[54:55]
	v_fma_f64 v[120:121], v[118:119], v[120:121], s[56:57]
	v_fma_f64 v[120:121], v[118:119], v[120:121], s[58:59]
	v_fma_f64 v[120:121], v[118:119], v[120:121], s[60:61]
	v_fma_f64 v[120:121], v[118:119], v[120:121], s[62:63]
	v_ldexp_f64 v[122:123], v[6:7], 1
	v_mul_f64 v[6:7], v[6:7], v[118:119]
	v_mul_f64 v[6:7], v[6:7], v[120:121]
	v_add_f64 v[118:119], v[122:123], v[6:7]
	v_add_f64 v[120:121], v[118:119], -v[122:123]
	v_ldexp_f64 v[10:11], v[10:11], 1
	v_add_f64 v[6:7], v[6:7], -v[120:121]
	v_add_f64 v[6:7], v[10:11], v[6:7]
	v_add_f64 v[10:11], v[118:119], v[6:7]
	v_add_f64 v[118:119], v[10:11], -v[118:119]
	v_add_f64 v[6:7], v[6:7], -v[118:119]
	v_cvt_f64_i32_e32 v[118:119], v15
	v_mul_f64 v[120:121], v[118:119], s[64:65]
	v_fma_f64 v[122:123], v[118:119], s[64:65], -v[120:121]
	v_fmac_f64_e32 v[122:123], s[66:67], v[118:119]
	v_add_f64 v[118:119], v[120:121], v[122:123]
	v_add_f64 v[120:121], v[118:119], -v[120:121]
	v_add_f64 v[120:121], v[122:123], -v[120:121]
	v_add_f64 v[122:123], v[118:119], v[10:11]
	v_add_f64 v[124:125], v[122:123], -v[118:119]
	v_add_f64 v[126:127], v[122:123], -v[124:125]
	;; [unrolled: 1-line block ×4, first 2 shown]
	v_add_f64 v[10:11], v[10:11], v[118:119]
	v_add_f64 v[118:119], v[120:121], v[6:7]
	v_add_f64 v[124:125], v[118:119], -v[120:121]
	v_add_f64 v[126:127], v[118:119], -v[124:125]
	v_add_f64 v[10:11], v[118:119], v[10:11]
	v_add_f64 v[120:121], v[120:121], -v[126:127]
	v_add_f64 v[6:7], v[6:7], -v[124:125]
	v_add_f64 v[118:119], v[122:123], v[10:11]
	v_add_f64 v[6:7], v[6:7], v[120:121]
	v_add_f64 v[120:121], v[118:119], -v[122:123]
	v_add_f64 v[10:11], v[10:11], -v[120:121]
	v_add_f64 v[6:7], v[6:7], v[10:11]
	v_add_f64 v[6:7], v[118:119], v[6:7]
	v_cmp_class_f64_e64 vcc, v[2:3], s75
	v_cndmask_b32_e32 v15, v6, v2, vcc
	v_cndmask_b32_e32 v6, v7, v3, vcc
	v_cmp_neq_f64_e32 vcc, 0, v[2:3]
	v_cndmask_b32_e32 v3, v93, v6, vcc
	v_add_f64 v[6:7], v[8:9], 1.0
	v_add_f64 v[6:7], v[6:7], -1.0
	v_add_f64 v[118:119], v[6:7], s[84:85]
	v_div_scale_f64 v[10:11], s[0:1], v[118:119], v[118:119], s[86:87]
	v_rcp_f64_e32 v[120:121], v[10:11]
	v_cndmask_b32_e32 v2, 0, v15, vcc
	v_add_f64 v[2:3], v[4:5], v[2:3]
	v_fma_f64 v[4:5], v[86:87], v[8:9], v[84:85]
	v_fma_f64 v[122:123], -v[10:11], v[120:121], 1.0
	v_fmac_f64_e32 v[120:121], v[120:121], v[122:123]
	v_fma_f64 v[122:123], -v[10:11], v[120:121], 1.0
	v_fmac_f64_e32 v[120:121], v[120:121], v[122:123]
	v_div_scale_f64 v[122:123], vcc, s[86:87], v[118:119], s[86:87]
	v_mul_f64 v[124:125], v[122:123], v[120:121]
	v_fma_f64 v[122:123], -v[10:11], v[124:125], v[122:123]
	v_add_f64 v[10:11], v[6:7], s[88:89]
	v_div_scale_f64 v[126:127], s[0:1], v[10:11], v[10:11], s[90:91]
	v_rcp_f64_e32 v[128:129], v[126:127]
	v_div_fmas_f64 v[120:121], v[122:123], v[120:121], v[124:125]
	v_div_fixup_f64 v[118:119], v[120:121], v[118:119], s[86:87]
	v_add_f64 v[124:125], v[6:7], s[92:93]
	v_fma_f64 v[120:121], -v[126:127], v[128:129], 1.0
	v_fmac_f64_e32 v[128:129], v[128:129], v[120:121]
	v_fma_f64 v[120:121], -v[126:127], v[128:129], 1.0
	v_fmac_f64_e32 v[128:129], v[128:129], v[120:121]
	v_div_scale_f64 v[120:121], vcc, s[90:91], v[10:11], s[90:91]
	v_mul_f64 v[122:123], v[120:121], v[128:129]
	v_fma_f64 v[120:121], -v[126:127], v[122:123], v[120:121]
	v_div_scale_f64 v[126:127], s[0:1], v[124:125], v[124:125], s[94:95]
	v_rcp_f64_e32 v[130:131], v[126:127]
	v_div_fmas_f64 v[120:121], v[120:121], v[128:129], v[122:123]
	v_add_f64 v[118:119], v[118:119], 0
	v_div_fixup_f64 v[120:121], v[120:121], v[10:11], s[90:91]
	v_add_f64 v[118:119], v[120:121], v[118:119]
	v_fma_f64 v[120:121], -v[126:127], v[130:131], 1.0
	v_fmac_f64_e32 v[130:131], v[130:131], v[120:121]
	v_fma_f64 v[120:121], -v[126:127], v[130:131], 1.0
	v_fmac_f64_e32 v[130:131], v[130:131], v[120:121]
	v_div_scale_f64 v[120:121], vcc, s[94:95], v[124:125], s[94:95]
	v_mul_f64 v[122:123], v[120:121], v[130:131]
	v_fma_f64 v[120:121], -v[126:127], v[122:123], v[120:121]
	v_add_f64 v[126:127], v[6:7], s[40:41]
	v_div_scale_f64 v[128:129], s[0:1], v[126:127], v[126:127], s[36:37]
	v_rcp_f64_e32 v[132:133], v[128:129]
	v_div_fmas_f64 v[120:121], v[120:121], v[130:131], v[122:123]
	v_div_fixup_f64 v[120:121], v[120:121], v[124:125], s[94:95]
	v_add_f64 v[118:119], v[118:119], v[120:121]
	v_fma_f64 v[120:121], -v[128:129], v[132:133], 1.0
	v_fmac_f64_e32 v[132:133], v[132:133], v[120:121]
	v_fma_f64 v[120:121], -v[128:129], v[132:133], 1.0
	v_fmac_f64_e32 v[132:133], v[132:133], v[120:121]
	v_div_scale_f64 v[120:121], vcc, s[36:37], v[126:127], s[36:37]
	v_mul_f64 v[122:123], v[120:121], v[132:133]
	v_add_f64 v[124:125], v[6:7], 4.0
	v_fma_f64 v[120:121], -v[128:129], v[122:123], v[120:121]
	v_div_scale_f64 v[128:129], s[0:1], v[124:125], v[124:125], s[38:39]
	v_rcp_f64_e32 v[130:131], v[128:129]
	v_div_fmas_f64 v[120:121], v[120:121], v[132:133], v[122:123]
	v_div_fixup_f64 v[120:121], v[120:121], v[126:127], s[36:37]
	v_add_f64 v[118:119], v[120:121], v[118:119]
	v_fma_f64 v[120:121], -v[128:129], v[130:131], 1.0
	v_fmac_f64_e32 v[130:131], v[130:131], v[120:121]
	v_fma_f64 v[120:121], -v[128:129], v[130:131], 1.0
	v_fmac_f64_e32 v[130:131], v[130:131], v[120:121]
	v_div_scale_f64 v[120:121], vcc, s[38:39], v[124:125], s[38:39]
	v_mul_f64 v[122:123], v[120:121], v[130:131]
	v_add_f64 v[126:127], v[6:7], s[42:43]
	v_fma_f64 v[120:121], -v[128:129], v[122:123], v[120:121]
	v_div_scale_f64 v[128:129], s[0:1], v[126:127], v[126:127], s[44:45]
	v_rcp_f64_e32 v[132:133], v[128:129]
	v_div_fmas_f64 v[120:121], v[120:121], v[130:131], v[122:123]
	v_div_fixup_f64 v[120:121], v[120:121], v[124:125], s[38:39]
	v_add_f64 v[118:119], v[118:119], v[120:121]
	v_fma_f64 v[120:121], -v[128:129], v[132:133], 1.0
	v_fmac_f64_e32 v[132:133], v[132:133], v[120:121]
	v_fma_f64 v[120:121], -v[128:129], v[132:133], 1.0
	v_fmac_f64_e32 v[132:133], v[132:133], v[120:121]
	v_div_scale_f64 v[120:121], vcc, s[44:45], v[126:127], s[44:45]
	v_mul_f64 v[122:123], v[120:121], v[132:133]
	v_add_f64 v[124:125], v[6:7], 2.0
	v_fma_f64 v[120:121], -v[128:129], v[122:123], v[120:121]
	v_div_scale_f64 v[128:129], s[0:1], v[124:125], v[124:125], s[34:35]
	v_rcp_f64_e32 v[130:131], v[128:129]
	v_div_fmas_f64 v[120:121], v[120:121], v[132:133], v[122:123]
	v_div_fixup_f64 v[120:121], v[120:121], v[126:127], s[44:45]
	v_add_f64 v[118:119], v[120:121], v[118:119]
	v_fma_f64 v[120:121], -v[128:129], v[130:131], 1.0
	v_fmac_f64_e32 v[130:131], v[130:131], v[120:121]
	v_fma_f64 v[120:121], -v[128:129], v[130:131], 1.0
	v_fmac_f64_e32 v[130:131], v[130:131], v[120:121]
	v_div_scale_f64 v[120:121], vcc, s[34:35], v[124:125], s[34:35]
	v_mul_f64 v[122:123], v[120:121], v[130:131]
	v_add_f64 v[126:127], v[6:7], 1.0
	v_fma_f64 v[120:121], -v[128:129], v[122:123], v[120:121]
	v_div_scale_f64 v[128:129], s[0:1], v[126:127], v[126:127], s[46:47]
	v_rcp_f64_e32 v[132:133], v[128:129]
	v_div_fmas_f64 v[120:121], v[120:121], v[130:131], v[122:123]
	v_div_fixup_f64 v[120:121], v[120:121], v[124:125], s[34:35]
	v_add_f64 v[118:119], v[118:119], v[120:121]
	v_fma_f64 v[120:121], -v[128:129], v[132:133], 1.0
	v_fmac_f64_e32 v[132:133], v[132:133], v[120:121]
	v_fma_f64 v[120:121], -v[128:129], v[132:133], 1.0
	v_fmac_f64_e32 v[132:133], v[132:133], v[120:121]
	v_div_scale_f64 v[120:121], vcc, s[46:47], v[126:127], s[46:47]
	v_mul_f64 v[122:123], v[120:121], v[132:133]
	v_fma_f64 v[120:121], -v[128:129], v[122:123], v[120:121]
	v_add_f64 v[10:11], v[10:11], 0.5
	s_nop 0
	v_div_fmas_f64 v[120:121], v[120:121], v[132:133], v[122:123]
	v_div_fixup_f64 v[120:121], v[120:121], v[126:127], s[46:47]
	v_add_f64 v[118:119], v[120:121], v[118:119]
	v_add_f64 v[118:119], v[118:119], s[68:69]
	v_frexp_mant_f64_e32 v[120:121], v[118:119]
	v_cmp_gt_f64_e32 vcc, s[48:49], v[120:121]
	v_cndmask_b32_e64 v15, v19, 2.0, vcc
	v_mul_f64 v[120:121], v[120:121], v[14:15]
	v_add_f64 v[122:123], v[120:121], 1.0
	v_rcp_f64_e32 v[124:125], v[122:123]
	v_add_f64 v[128:129], v[122:123], -1.0
	v_add_f64 v[126:127], v[120:121], -1.0
	v_add_f64 v[120:121], v[120:121], -v[128:129]
	v_fma_f64 v[128:129], -v[122:123], v[124:125], 1.0
	v_fmac_f64_e32 v[124:125], v[128:129], v[124:125]
	v_fma_f64 v[128:129], -v[122:123], v[124:125], 1.0
	v_fmac_f64_e32 v[124:125], v[128:129], v[124:125]
	v_mul_f64 v[128:129], v[126:127], v[124:125]
	v_mul_f64 v[130:131], v[122:123], v[128:129]
	v_fma_f64 v[122:123], v[128:129], v[122:123], -v[130:131]
	v_fmac_f64_e32 v[122:123], v[128:129], v[120:121]
	v_add_f64 v[120:121], v[130:131], v[122:123]
	v_add_f64 v[132:133], v[126:127], -v[120:121]
	v_add_f64 v[130:131], v[120:121], -v[130:131]
	;; [unrolled: 1-line block ×5, first 2 shown]
	v_add_f64 v[120:121], v[122:123], v[120:121]
	v_add_f64 v[120:121], v[132:133], v[120:121]
	v_mul_f64 v[120:121], v[124:125], v[120:121]
	v_add_f64 v[122:123], v[128:129], v[120:121]
	v_add_f64 v[124:125], v[122:123], -v[128:129]
	v_add_f64 v[120:121], v[120:121], -v[124:125]
	v_mul_f64 v[124:125], v[122:123], v[122:123]
	v_fma_f64 v[126:127], s[52:53], v[124:125], v[0:1]
	v_fma_f64 v[126:127], v[124:125], v[126:127], s[54:55]
	v_fma_f64 v[126:127], v[124:125], v[126:127], s[56:57]
	v_fma_f64 v[126:127], v[124:125], v[126:127], s[58:59]
	v_fma_f64 v[126:127], v[124:125], v[126:127], s[60:61]
	v_fma_f64 v[126:127], v[124:125], v[126:127], s[62:63]
	v_ldexp_f64 v[128:129], v[122:123], 1
	v_mul_f64 v[122:123], v[122:123], v[124:125]
	v_mul_f64 v[122:123], v[122:123], v[126:127]
	v_add_f64 v[124:125], v[128:129], v[122:123]
	v_add_f64 v[126:127], v[124:125], -v[128:129]
	v_ldexp_f64 v[120:121], v[120:121], 1
	v_add_f64 v[122:123], v[122:123], -v[126:127]
	v_add_f64 v[120:121], v[120:121], v[122:123]
	v_frexp_exp_i32_f64_e32 v117, v[118:119]
	v_add_f64 v[122:123], v[124:125], v[120:121]
	v_subbrev_co_u32_e32 v15, vcc, 0, v117, vcc
	v_add_f64 v[124:125], v[122:123], -v[124:125]
	v_add_f64 v[120:121], v[120:121], -v[124:125]
	v_cvt_f64_i32_e32 v[124:125], v15
	v_mul_f64 v[126:127], v[124:125], s[64:65]
	v_fma_f64 v[128:129], v[124:125], s[64:65], -v[126:127]
	v_fmac_f64_e32 v[128:129], s[66:67], v[124:125]
	v_add_f64 v[124:125], v[126:127], v[128:129]
	v_add_f64 v[126:127], v[124:125], -v[126:127]
	v_add_f64 v[126:127], v[128:129], -v[126:127]
	v_add_f64 v[128:129], v[124:125], v[122:123]
	v_add_f64 v[130:131], v[128:129], -v[124:125]
	v_add_f64 v[132:133], v[128:129], -v[130:131]
	;; [unrolled: 1-line block ×4, first 2 shown]
	v_add_f64 v[122:123], v[122:123], v[124:125]
	v_add_f64 v[124:125], v[126:127], v[120:121]
	v_add_f64 v[130:131], v[124:125], -v[126:127]
	v_add_f64 v[132:133], v[124:125], -v[130:131]
	v_add_f64 v[122:123], v[124:125], v[122:123]
	v_add_f64 v[126:127], v[126:127], -v[132:133]
	v_add_f64 v[120:121], v[120:121], -v[130:131]
	v_add_f64 v[124:125], v[128:129], v[122:123]
	v_add_f64 v[120:121], v[120:121], v[126:127]
	v_add_f64 v[126:127], v[124:125], -v[128:129]
	v_add_f64 v[122:123], v[122:123], -v[126:127]
	v_add_f64 v[120:121], v[120:121], v[122:123]
	v_add_f64 v[120:121], v[124:125], v[120:121]
	v_cmp_class_f64_e64 vcc, v[118:119], s75
	v_div_scale_f64 v[122:123], s[0:1], s[22:23], s[22:23], v[10:11]
	v_cndmask_b32_e32 v121, v121, v119, vcc
	v_cndmask_b32_e32 v120, v120, v118, vcc
	v_rcp_f64_e32 v[124:125], v[122:123]
	v_add_f64 v[120:121], v[120:121], s[24:25]
	v_add_f64 v[120:121], v[120:121], s[18:19]
	v_cmp_ngt_f64_e32 vcc, 0, v[118:119]
	v_cndmask_b32_e32 v15, v92, v121, vcc
	v_cmp_nge_f64_e32 vcc, 0, v[118:119]
	v_cndmask_b32_e32 v120, 0, v120, vcc
	v_cmp_neq_f64_e32 vcc, 0, v[118:119]
	v_fma_f64 v[118:119], -v[122:123], v[124:125], 1.0
	v_fmac_f64_e32 v[124:125], v[124:125], v[118:119]
	v_fma_f64 v[118:119], -v[122:123], v[124:125], 1.0
	v_cndmask_b32_e32 v121, v93, v15, vcc
	v_fmac_f64_e32 v[124:125], v[124:125], v[118:119]
	v_div_scale_f64 v[118:119], vcc, v[10:11], s[22:23], v[10:11]
	v_mul_f64 v[126:127], v[118:119], v[124:125]
	v_fma_f64 v[118:119], -v[122:123], v[126:127], v[118:119]
	v_add_f64 v[6:7], v[6:7], 0.5
	s_nop 0
	v_div_fmas_f64 v[118:119], v[118:119], v[124:125], v[126:127]
	v_div_fixup_f64 v[10:11], v[118:119], s[22:23], v[10:11]
	v_frexp_mant_f64_e32 v[118:119], v[10:11]
	v_cmp_gt_f64_e32 vcc, s[48:49], v[118:119]
	v_cndmask_b32_e64 v15, v19, 2.0, vcc
	v_mul_f64 v[118:119], v[118:119], v[14:15]
	v_add_f64 v[122:123], v[118:119], 1.0
	v_rcp_f64_e32 v[124:125], v[122:123]
	v_add_f64 v[128:129], v[122:123], -1.0
	v_add_f64 v[126:127], v[118:119], -1.0
	v_add_f64 v[118:119], v[118:119], -v[128:129]
	v_fma_f64 v[128:129], -v[122:123], v[124:125], 1.0
	v_fmac_f64_e32 v[124:125], v[128:129], v[124:125]
	v_fma_f64 v[128:129], -v[122:123], v[124:125], 1.0
	v_fmac_f64_e32 v[124:125], v[128:129], v[124:125]
	v_mul_f64 v[128:129], v[126:127], v[124:125]
	v_mul_f64 v[130:131], v[122:123], v[128:129]
	v_fma_f64 v[122:123], v[128:129], v[122:123], -v[130:131]
	v_fmac_f64_e32 v[122:123], v[128:129], v[118:119]
	v_add_f64 v[118:119], v[130:131], v[122:123]
	v_add_f64 v[132:133], v[126:127], -v[118:119]
	v_add_f64 v[130:131], v[118:119], -v[130:131]
	;; [unrolled: 1-line block ×5, first 2 shown]
	v_add_f64 v[118:119], v[122:123], v[118:119]
	v_add_f64 v[118:119], v[132:133], v[118:119]
	v_mul_f64 v[118:119], v[124:125], v[118:119]
	v_add_f64 v[122:123], v[128:129], v[118:119]
	v_add_f64 v[124:125], v[122:123], -v[128:129]
	v_add_f64 v[118:119], v[118:119], -v[124:125]
	v_mul_f64 v[124:125], v[122:123], v[122:123]
	v_fmac_f64_e32 v[0:1], s[52:53], v[124:125]
	v_fma_f64 v[0:1], v[124:125], v[0:1], s[54:55]
	v_fma_f64 v[0:1], v[124:125], v[0:1], s[56:57]
	;; [unrolled: 1-line block ×5, first 2 shown]
	v_ldexp_f64 v[126:127], v[122:123], 1
	v_mul_f64 v[122:123], v[122:123], v[124:125]
	v_mul_f64 v[0:1], v[122:123], v[0:1]
	v_add_f64 v[122:123], v[126:127], v[0:1]
	v_add_f64 v[124:125], v[122:123], -v[126:127]
	v_ldexp_f64 v[118:119], v[118:119], 1
	v_add_f64 v[0:1], v[0:1], -v[124:125]
	v_add_f64 v[0:1], v[118:119], v[0:1]
	v_frexp_exp_i32_f64_e32 v117, v[10:11]
	v_add_f64 v[118:119], v[122:123], v[0:1]
	v_subbrev_co_u32_e32 v15, vcc, 0, v117, vcc
	v_add_f64 v[122:123], v[118:119], -v[122:123]
	v_add_f64 v[0:1], v[0:1], -v[122:123]
	v_cvt_f64_i32_e32 v[122:123], v15
	v_mul_f64 v[124:125], v[122:123], s[64:65]
	v_fma_f64 v[126:127], v[122:123], s[64:65], -v[124:125]
	v_fmac_f64_e32 v[126:127], s[66:67], v[122:123]
	v_add_f64 v[122:123], v[124:125], v[126:127]
	v_add_f64 v[124:125], v[122:123], -v[124:125]
	v_add_f64 v[124:125], v[126:127], -v[124:125]
	v_add_f64 v[126:127], v[122:123], v[118:119]
	v_add_f64 v[128:129], v[126:127], -v[122:123]
	v_add_f64 v[130:131], v[126:127], -v[128:129]
	;; [unrolled: 1-line block ×4, first 2 shown]
	v_add_f64 v[118:119], v[118:119], v[122:123]
	v_add_f64 v[122:123], v[124:125], v[0:1]
	v_add_f64 v[128:129], v[122:123], -v[124:125]
	v_add_f64 v[130:131], v[122:123], -v[128:129]
	v_add_f64 v[118:119], v[122:123], v[118:119]
	v_add_f64 v[124:125], v[124:125], -v[130:131]
	v_add_f64 v[0:1], v[0:1], -v[128:129]
	v_add_f64 v[122:123], v[126:127], v[118:119]
	v_add_f64 v[0:1], v[0:1], v[124:125]
	v_add_f64 v[124:125], v[122:123], -v[126:127]
	v_add_f64 v[118:119], v[118:119], -v[124:125]
	v_add_f64 v[0:1], v[0:1], v[118:119]
	v_add_f64 v[0:1], v[122:123], v[0:1]
	v_cmp_class_f64_e64 vcc, v[10:11], s75
	v_cndmask_b32_e32 v0, v0, v10, vcc
	v_cndmask_b32_e32 v1, v1, v11, vcc
	v_cmp_ngt_f64_e32 vcc, 0, v[10:11]
	v_cndmask_b32_e32 v1, v92, v1, vcc
	v_cmp_nge_f64_e32 vcc, 0, v[10:11]
	v_cndmask_b32_e32 v0, 0, v0, vcc
	v_cmp_neq_f64_e32 vcc, 0, v[10:11]
	v_cndmask_b32_e32 v1, v93, v1, vcc
	v_fmac_f64_e32 v[120:121], v[6:7], v[0:1]
	v_add_f64 v[0:1], v[4:5], -v[120:121]
	v_cvt_u32_f64_e32 v4, v[8:9]
	v_cmp_le_f64_e32 vcc, v[2:3], v[0:1]
	v_cndmask_b32_e64 v118, 0, 1, vcc
	v_cndmask_b32_e32 v79, v79, v4, vcc
	v_mov_b32_e32 v117, v116
.LBB67_39:                              ;   in Loop: Header=BB67_29 Depth=2
	s_or_b64 exec, exec, s[20:21]
	v_cmp_gt_i32_e32 vcc, 2, v118
	s_or_b64 s[6:7], vcc, s[6:7]
	v_mov_b32_e32 v15, v117
	v_mov_b32_e32 v0, v91
	;; [unrolled: 1-line block ×5, first 2 shown]
	s_andn2_b64 exec, exec, s[6:7]
	s_cbranch_execnz .LBB67_29
; %bb.40:                               ;   in Loop: Header=BB67_29 Depth=2
	s_or_b64 exec, exec, s[6:7]
	v_cmp_ne_u32_e32 vcc, 0, v118
	s_or_b64 s[28:29], vcc, s[28:29]
	s_mov_b64 s[6:7], 0
	v_mov_b32_e32 v15, v117
	v_mov_b32_e32 v0, v91
	;; [unrolled: 1-line block ×5, first 2 shown]
	s_andn2_b64 exec, exec, s[28:29]
	s_cbranch_execnz .LBB67_29
; %bb.41:                               ;   in Loop: Header=BB67_5 Depth=1
	s_or_b64 exec, exec, s[28:29]
	v_readlane_b32 s0, v134, 25
	v_readlane_b32 s1, v134, 26
                                        ; implicit-def: $vgpr4_vgpr5
                                        ; implicit-def: $vgpr76_vgpr77
                                        ; implicit-def: $vgpr15
                                        ; implicit-def: $vgpr96
                                        ; implicit-def: $vgpr97
                                        ; implicit-def: $vgpr105
                                        ; implicit-def: $vgpr95
                                        ; implicit-def: $vgpr3
                                        ; implicit-def: $vgpr98
                                        ; implicit-def: $vgpr99
                                        ; implicit-def: $vgpr100
                                        ; implicit-def: $vgpr101
                                        ; implicit-def: $vgpr103
                                        ; implicit-def: $vgpr104
                                        ; implicit-def: $vgpr106
                                        ; implicit-def: $vgpr107
                                        ; implicit-def: $vgpr108
                                        ; implicit-def: $vgpr109
                                        ; implicit-def: $vgpr110
                                        ; implicit-def: $vgpr111
                                        ; implicit-def: $vgpr112
                                        ; implicit-def: $vgpr113
                                        ; implicit-def: $vgpr102
                                        ; implicit-def: $vgpr114
.LBB67_42:                              ;   in Loop: Header=BB67_5 Depth=1
	s_andn2_saveexec_b64 s[6:7], s[0:1]
	s_cbranch_execz .LBB67_54
; %bb.43:                               ;   in Loop: Header=BB67_5 Depth=1
	v_add_co_u32_e32 v6, vcc, 1, v96
	v_cndmask_b32_e64 v7, 0, 1, vcc
	v_addc_co_u32_e32 v10, vcc, 0, v97, vcc
	v_cmp_eq_u32_e32 vcc, 0, v10
	v_cndmask_b32_e32 v7, 0, v7, vcc
	v_add_u32_e32 v8, v7, v12
	v_cmp_eq_u32_e32 vcc, 0, v8
	v_cndmask_b32_e32 v11, 0, v7, vcc
	v_mad_u64_u32 v[6:7], s[0:1], v6, s74, 0
	v_mad_u64_u32 v[8:9], s[0:1], v8, s33, 0
	v_xor_b32_e32 v7, v7, v77
	v_xor_b32_e32 v9, v9, v76
	v_xor_b32_e32 v7, v11, v7
	v_xor_b32_e32 v9, v10, v9
	v_mad_u64_u32 v[76:77], s[0:1], v7, s33, 0
	v_mad_u64_u32 v[10:11], s[0:1], v9, s74, 0
	v_xor_b32_e32 v7, v98, v77
	v_xor_b32_e32 v7, v7, v8
	v_xor_b32_e32 v8, v99, v11
	v_xor_b32_e32 v8, v8, v6
	v_mad_u64_u32 v[6:7], s[0:1], v7, s74, 0
	v_mad_u64_u32 v[8:9], s[0:1], v8, s33, 0
	v_xor_b32_e32 v7, v101, v7
	v_xor_b32_e32 v9, v100, v9
	v_xor_b32_e32 v7, v7, v10
	v_xor_b32_e32 v9, v9, v76
	v_mad_u64_u32 v[76:77], s[0:1], v7, s33, 0
	v_mad_u64_u32 v[10:11], s[0:1], v9, s74, 0
	v_xor_b32_e32 v7, v103, v77
	v_xor_b32_e32 v7, v7, v8
	v_xor_b32_e32 v8, v104, v11
	v_xor_b32_e32 v8, v8, v6
	v_mad_u64_u32 v[6:7], s[0:1], v7, s74, 0
	v_mad_u64_u32 v[8:9], s[0:1], v8, s33, 0
	v_xor_b32_e32 v7, v107, v7
	v_xor_b32_e32 v9, v106, v9
	v_xor_b32_e32 v7, v7, v10
	v_xor_b32_e32 v9, v9, v76
	v_mad_u64_u32 v[76:77], s[0:1], v7, s33, 0
	v_mad_u64_u32 v[10:11], s[0:1], v9, s74, 0
	v_xor_b32_e32 v7, v108, v77
	v_xor_b32_e32 v7, v7, v8
	v_xor_b32_e32 v8, v109, v11
	v_xor_b32_e32 v8, v8, v6
	v_mad_u64_u32 v[6:7], s[0:1], v7, s74, 0
	v_mad_u64_u32 v[8:9], s[0:1], v8, s33, 0
	v_xor_b32_e32 v7, v111, v7
	v_xor_b32_e32 v9, v110, v9
	v_xor_b32_e32 v7, v7, v10
	v_xor_b32_e32 v9, v9, v76
	v_mad_u64_u32 v[76:77], s[0:1], v7, s33, 0
	v_mad_u64_u32 v[10:11], s[0:1], v9, s74, 0
	v_xor_b32_e32 v7, v112, v77
	v_xor_b32_e32 v7, v7, v8
	v_xor_b32_e32 v8, v113, v11
	v_xor_b32_e32 v6, v8, v6
	v_mad_u64_u32 v[78:79], s[0:1], v7, s74, 0
	v_mad_u64_u32 v[8:9], s[0:1], v6, s33, 0
	v_xor_b32_e32 v6, v114, v79
	v_xor_b32_e32 v6, v6, v10
	v_mad_u64_u32 v[6:7], s[0:1], v6, s33, 0
	v_xor_b32_e32 v7, v7, v8
	v_xor_b32_e32 v10, v105, v7
	v_cmp_lt_i32_e32 vcc, 1, v15
                                        ; implicit-def: $vgpr8
	s_and_saveexec_b64 s[0:1], vcc
	s_xor_b64 s[0:1], exec, s[0:1]
	s_cbranch_execz .LBB67_49
; %bb.44:                               ;   in Loop: Header=BB67_5 Depth=1
	v_cmp_lt_i32_e32 vcc, 2, v15
                                        ; implicit-def: $vgpr8
	s_and_saveexec_b64 s[20:21], vcc
	s_xor_b64 s[20:21], exec, s[20:21]
; %bb.45:                               ;   in Loop: Header=BB67_5 Depth=1
	v_xor_b32_e32 v0, v102, v9
	v_xor_b32_e32 v0, v0, v76
	v_mul_hi_u32 v0, v0, s74
	v_xor_b32_e32 v0, v0, v78
	v_xor_b32_e32 v8, v95, v0
; %bb.46:                               ;   in Loop: Header=BB67_5 Depth=1
	s_andn2_saveexec_b64 s[20:21], s[20:21]
; %bb.47:                               ;   in Loop: Header=BB67_5 Depth=1
	v_mov_b32_e32 v8, v6
	v_mov_b32_e32 v6, v10
	;; [unrolled: 1-line block ×4, first 2 shown]
; %bb.48:                               ;   in Loop: Header=BB67_5 Depth=1
	s_or_b64 exec, exec, s[20:21]
                                        ; implicit-def: $vgpr15
.LBB67_49:                              ;   in Loop: Header=BB67_5 Depth=1
	s_andn2_saveexec_b64 s[0:1], s[0:1]
	s_cbranch_execz .LBB67_53
; %bb.50:                               ;   in Loop: Header=BB67_5 Depth=1
	v_cmp_eq_u32_e32 vcc, 1, v15
	v_mov_b32_e32 v8, v3
	v_mov_b32_e32 v6, v2
	;; [unrolled: 1-line block ×3, first 2 shown]
	s_and_saveexec_b64 s[20:21], vcc
; %bb.51:                               ;   in Loop: Header=BB67_5 Depth=1
	v_mov_b32_e32 v8, v10
	v_mov_b32_e32 v6, v3
	;; [unrolled: 1-line block ×4, first 2 shown]
; %bb.52:                               ;   in Loop: Header=BB67_5 Depth=1
	s_or_b64 exec, exec, s[20:21]
	v_mov_b32_e32 v3, v0
	v_mov_b32_e32 v10, v7
.LBB67_53:                              ;   in Loop: Header=BB67_5 Depth=1
	s_or_b64 exec, exec, s[0:1]
	v_mov_b32_e32 v11, v14
	v_lshlrev_b64 v[0:1], 21, v[10:11]
	v_xor_b32_e32 v2, v0, v3
	v_cvt_f64_u32_e32 v[0:1], v1
	v_ldexp_f64 v[0:1], v[0:1], 32
	v_cvt_f64_u32_e32 v[2:3], v2
	v_add_f64 v[0:1], v[0:1], v[2:3]
	v_mov_b32_e32 v2, 0
	v_mov_b32_e32 v3, 0x3ca00000
	v_fmac_f64_e32 v[2:3], 0x3ca00000, v[0:1]
	v_mov_b32_e32 v9, v14
	v_lshlrev_b64 v[0:1], 21, v[8:9]
	v_frexp_mant_f64_e32 v[8:9], v[2:3]
	v_cmp_gt_f64_e32 vcc, s[48:49], v[8:9]
	v_cndmask_b32_e64 v15, v19, 2.0, vcc
	v_frexp_exp_i32_f64_e32 v10, v[2:3]
	v_mul_f64 v[8:9], v[8:9], v[14:15]
	v_subbrev_co_u32_e32 v15, vcc, 0, v10, vcc
	v_add_f64 v[10:11], v[8:9], 1.0
	v_rcp_f64_e32 v[76:77], v[10:11]
	v_add_f64 v[80:81], v[10:11], -1.0
	v_add_f64 v[78:79], v[8:9], -1.0
	v_add_f64 v[8:9], v[8:9], -v[80:81]
	v_fma_f64 v[80:81], -v[10:11], v[76:77], 1.0
	v_fmac_f64_e32 v[76:77], v[80:81], v[76:77]
	v_fma_f64 v[80:81], -v[10:11], v[76:77], 1.0
	v_fmac_f64_e32 v[76:77], v[80:81], v[76:77]
	v_mul_f64 v[80:81], v[78:79], v[76:77]
	v_mul_f64 v[82:83], v[10:11], v[80:81]
	v_fma_f64 v[10:11], v[80:81], v[10:11], -v[82:83]
	v_fmac_f64_e32 v[10:11], v[80:81], v[8:9]
	v_add_f64 v[8:9], v[82:83], v[10:11]
	v_add_f64 v[84:85], v[78:79], -v[8:9]
	v_add_f64 v[82:83], v[8:9], -v[82:83]
	;; [unrolled: 1-line block ×5, first 2 shown]
	v_add_f64 v[8:9], v[10:11], v[8:9]
	v_add_f64 v[8:9], v[84:85], v[8:9]
	v_mul_f64 v[8:9], v[76:77], v[8:9]
	v_add_f64 v[10:11], v[80:81], v[8:9]
	v_add_f64 v[76:77], v[10:11], -v[80:81]
	v_add_f64 v[8:9], v[8:9], -v[76:77]
	v_mul_f64 v[76:77], v[10:11], v[10:11]
	v_pk_mov_b32 v[78:79], v[20:21], v[20:21] op_sel:[0,1]
	v_fmac_f64_e32 v[78:79], s[52:53], v[76:77]
	v_pk_mov_b32 v[80:81], v[22:23], v[22:23] op_sel:[0,1]
	v_fmac_f64_e32 v[80:81], v[76:77], v[78:79]
	;; [unrolled: 2-line block ×6, first 2 shown]
	v_ldexp_f64 v[78:79], v[10:11], 1
	v_mul_f64 v[10:11], v[10:11], v[76:77]
	v_mul_f64 v[10:11], v[10:11], v[80:81]
	v_add_f64 v[76:77], v[78:79], v[10:11]
	v_add_f64 v[78:79], v[76:77], -v[78:79]
	v_ldexp_f64 v[8:9], v[8:9], 1
	v_add_f64 v[10:11], v[10:11], -v[78:79]
	v_add_f64 v[8:9], v[8:9], v[10:11]
	v_add_f64 v[10:11], v[76:77], v[8:9]
	v_add_f64 v[76:77], v[10:11], -v[76:77]
	v_add_f64 v[8:9], v[8:9], -v[76:77]
	v_cvt_f64_i32_e32 v[76:77], v15
	v_mul_f64 v[78:79], v[76:77], s[64:65]
	v_fma_f64 v[80:81], v[76:77], s[64:65], -v[78:79]
	v_fmac_f64_e32 v[80:81], s[66:67], v[76:77]
	v_add_f64 v[76:77], v[78:79], v[80:81]
	v_add_f64 v[78:79], v[76:77], -v[78:79]
	v_add_f64 v[78:79], v[80:81], -v[78:79]
	v_add_f64 v[80:81], v[76:77], v[10:11]
	v_add_f64 v[82:83], v[80:81], -v[76:77]
	v_add_f64 v[84:85], v[80:81], -v[82:83]
	;; [unrolled: 1-line block ×4, first 2 shown]
	v_add_f64 v[10:11], v[10:11], v[76:77]
	v_add_f64 v[76:77], v[78:79], v[8:9]
	v_add_f64 v[82:83], v[76:77], -v[78:79]
	v_add_f64 v[84:85], v[76:77], -v[82:83]
	v_add_f64 v[10:11], v[76:77], v[10:11]
	v_add_f64 v[78:79], v[78:79], -v[84:85]
	v_add_f64 v[8:9], v[8:9], -v[82:83]
	v_add_f64 v[76:77], v[80:81], v[10:11]
	v_add_f64 v[8:9], v[8:9], v[78:79]
	v_add_f64 v[78:79], v[76:77], -v[80:81]
	v_add_f64 v[10:11], v[10:11], -v[78:79]
	s_mov_b32 s28, 0
	v_add_f64 v[8:9], v[8:9], v[10:11]
	s_mov_b32 s29, 0x7ff00000
	v_add_f64 v[8:9], v[76:77], v[8:9]
	v_cmp_eq_f64_e32 vcc, s[28:29], v[2:3]
	v_cndmask_b32_e32 v9, v9, v3, vcc
	v_cndmask_b32_e32 v8, v8, v2, vcc
	v_mul_f64 v[8:9], v[8:9], -2.0
	v_cmp_neq_f64_e32 vcc, 0, v[2:3]
	s_mov_b32 s0, 0
	v_cndmask_b32_e32 v3, v94, v9, vcc
	v_cndmask_b32_e32 v2, 0, v8, vcc
	s_brev_b32 s1, 8
	v_cmp_gt_f64_e32 vcc, s[0:1], v[2:3]
	v_cndmask_b32_e64 v8, 0, 1, vcc
	v_lshlrev_b32_e32 v8, 8, v8
	v_ldexp_f64 v[2:3], v[2:3], v8
	v_xor_b32_e32 v6, v0, v6
	v_cvt_f64_u32_e32 v[0:1], v1
	v_rsq_f64_e32 v[8:9], v[2:3]
	v_ldexp_f64 v[0:1], v[0:1], 32
	v_cvt_f64_u32_e32 v[6:7], v6
	v_add_f64 v[0:1], v[0:1], v[6:7]
	v_mov_b32_e32 v6, 0
	v_mov_b32_e32 v7, 0x3cb00000
	v_fmac_f64_e32 v[6:7], 0x3cb00000, v[0:1]
	v_mul_f64 v[0:1], v[2:3], v[8:9]
	v_mul_f64 v[8:9], v[8:9], 0.5
	v_fma_f64 v[10:11], -v[8:9], v[0:1], 0.5
	v_fmac_f64_e32 v[0:1], v[0:1], v[10:11]
	v_fma_f64 v[76:77], -v[0:1], v[0:1], v[2:3]
	v_fmac_f64_e32 v[8:9], v[8:9], v[10:11]
	v_fmac_f64_e32 v[0:1], v[76:77], v[8:9]
	v_fma_f64 v[10:11], -v[0:1], v[0:1], v[2:3]
	v_fmac_f64_e32 v[0:1], v[10:11], v[8:9]
	v_cndmask_b32_e32 v8, 0, v17, vcc
	v_ldexp_f64 v[0:1], v[0:1], v8
	v_cmp_class_f64_e32 vcc, v[2:3], v13
	v_cndmask_b32_e32 v1, v1, v3, vcc
	v_cndmask_b32_e32 v0, v0, v2, vcc
	v_mul_f64 v[2:3], v[6:7], 0.5
	v_fract_f64_e32 v[8:9], v[2:3]
	v_add_f64 v[8:9], v[8:9], v[8:9]
	v_cmp_neq_f64_e32 vcc, s[28:29], v[2:3]
	v_cndmask_b32_e32 v2, 0, v8, vcc
	v_cndmask_b32_e32 v3, 0, v9, vcc
	v_cmp_lt_f64_e32 vcc, 1.0, v[6:7]
	v_cndmask_b32_e32 v3, v7, v3, vcc
	v_cndmask_b32_e32 v2, v6, v2, vcc
	v_add_f64 v[8:9], v[2:3], v[2:3]
	v_rndne_f64_e32 v[8:9], v[8:9]
	v_fmac_f64_e32 v[2:3], -0.5, v[8:9]
	s_mov_b32 s20, 0xf99eb0bb
	v_cvt_i32_f64_e32 v15, v[8:9]
	v_mul_f64 v[8:9], v[2:3], v[2:3]
	v_pk_mov_b32 v[10:11], v[50:51], v[50:51] op_sel:[0,1]
	s_mov_b32 s21, 0x3f3e357e
	v_fmac_f64_e32 v[10:11], s[20:21], v[8:9]
	v_pk_mov_b32 v[76:77], v[52:53], v[52:53] op_sel:[0,1]
	v_fmac_f64_e32 v[76:77], v[8:9], v[10:11]
	v_pk_mov_b32 v[10:11], v[54:55], v[54:55] op_sel:[0,1]
	;; [unrolled: 2-line block ×4, first 2 shown]
	v_fmac_f64_e32 v[10:11], v[8:9], v[76:77]
	v_mul_f64 v[76:77], v[2:3], v[8:9]
	s_mov_b32 s20, 0x54442d18
	v_mul_f64 v[10:11], v[76:77], v[10:11]
	s_mov_b32 s21, 0x400921fb
	v_fmac_f64_e32 v[10:11], s[20:21], v[2:3]
	s_mov_b32 s20, 0x2e21c33
	v_pk_mov_b32 v[2:3], v[60:61], v[60:61] op_sel:[0,1]
	s_mov_b32 s21, 0xbf1b1673
	v_fmac_f64_e32 v[2:3], s[20:21], v[8:9]
	v_pk_mov_b32 v[76:77], v[62:63], v[62:63] op_sel:[0,1]
	v_fmac_f64_e32 v[76:77], v[8:9], v[2:3]
	v_pk_mov_b32 v[2:3], v[64:65], v[64:65] op_sel:[0,1]
	;; [unrolled: 2-line block ×5, first 2 shown]
	v_fmac_f64_e32 v[76:77], v[8:9], v[2:3]
	v_fma_f64 v[2:3], v[8:9], v[76:77], 1.0
	v_and_b32_e32 v9, 1, v15
	v_lshlrev_b32_e32 v8, 30, v15
	v_cmp_eq_u32_e32 vcc, 0, v9
	v_cndmask_b32_e32 v10, v2, v10, vcc
	v_cndmask_b32_e32 v2, v3, v11, vcc
	v_xor_b32_e32 v3, v8, v7
	v_and_b32_e32 v3, 0x80000000, v3
	v_cmp_gt_f64_e32 vcc, s[0:1], v[4:5]
	v_xor_b32_e32 v11, v2, v3
	v_cndmask_b32_e64 v2, 0, 1, vcc
	v_lshlrev_b32_e32 v2, 8, v2
	v_ldexp_f64 v[2:3], v[4:5], v2
	v_rsq_f64_e32 v[8:9], v[2:3]
	v_cmp_lg_f64_e64 s[0:1], s[28:29], v[6:7]
	v_cndmask_b32_e64 v6, 0, v10, s[0:1]
	v_cndmask_b32_e64 v7, v92, v11, s[0:1]
	v_mul_f64 v[0:1], v[0:1], v[6:7]
	v_mul_f64 v[6:7], v[2:3], v[8:9]
	v_mul_f64 v[8:9], v[8:9], 0.5
	v_fma_f64 v[10:11], -v[8:9], v[6:7], 0.5
	v_fmac_f64_e32 v[6:7], v[6:7], v[10:11]
	v_fma_f64 v[76:77], -v[6:7], v[6:7], v[2:3]
	v_fmac_f64_e32 v[8:9], v[8:9], v[10:11]
	v_fmac_f64_e32 v[6:7], v[76:77], v[8:9]
	v_fma_f64 v[10:11], -v[6:7], v[6:7], v[2:3]
	v_fmac_f64_e32 v[6:7], v[10:11], v[8:9]
	v_cndmask_b32_e32 v8, 0, v17, vcc
	v_ldexp_f64 v[6:7], v[6:7], v8
	v_cmp_class_f64_e32 vcc, v[2:3], v13
	v_cndmask_b32_e32 v3, v7, v3, vcc
	v_cndmask_b32_e32 v2, v6, v2, vcc
	v_fmac_f64_e32 v[4:5], v[2:3], v[0:1]
	v_trunc_f64_e32 v[0:1], v[4:5]
	v_add_f64 v[2:3], v[4:5], -v[0:1]
	v_cmp_ge_f64_e64 vcc, |v[2:3]|, 0.5
	v_cndmask_b32_e32 v2, 0, v19, vcc
	s_brev_b32 s0, -2
	v_bfi_b32 v15, s0, v2, v5
	v_add_f64 v[0:1], v[0:1], v[14:15]
	v_cvt_u32_f64_e32 v79, v[0:1]
.LBB67_54:                              ;   in Loop: Header=BB67_5 Depth=1
	s_or_b64 exec, exec, s[6:7]
                                        ; implicit-def: $vgpr4_vgpr5
                                        ; implicit-def: $vgpr76_vgpr77
                                        ; implicit-def: $vgpr15
                                        ; implicit-def: $vgpr96
                                        ; implicit-def: $vgpr97
                                        ; implicit-def: $vgpr105
                                        ; implicit-def: $vgpr95
                                        ; implicit-def: $vgpr3
                                        ; implicit-def: $vgpr98
                                        ; implicit-def: $vgpr99
                                        ; implicit-def: $vgpr100
                                        ; implicit-def: $vgpr101
                                        ; implicit-def: $vgpr103
                                        ; implicit-def: $vgpr104
                                        ; implicit-def: $vgpr106
                                        ; implicit-def: $vgpr107
                                        ; implicit-def: $vgpr108
                                        ; implicit-def: $vgpr109
                                        ; implicit-def: $vgpr110
                                        ; implicit-def: $vgpr111
                                        ; implicit-def: $vgpr112
                                        ; implicit-def: $vgpr113
                                        ; implicit-def: $vgpr102
                                        ; implicit-def: $vgpr114
.LBB67_55:                              ;   in Loop: Header=BB67_5 Depth=1
	s_andn2_saveexec_b64 s[6:7], s[16:17]
	s_cbranch_execz .LBB67_3
; %bb.56:                               ;   in Loop: Header=BB67_5 Depth=1
	v_readlane_b32 s0, v134, 23
	v_readlane_b32 s1, v134, 24
	s_mov_b32 s0, s70
	v_mul_f64 v[6:7], v[4:5], s[0:1]
	v_rndne_f64_e32 v[6:7], v[6:7]
	s_mov_b32 s72, s64
	v_fma_f64 v[10:11], v[6:7], s[72:73], -v[4:5]
	s_mov_b32 s76, s66
	v_fmac_f64_e32 v[10:11], s[76:77], v[6:7]
	v_pk_mov_b32 v[8:9], v[32:33], v[32:33] op_sel:[0,1]
	v_fmac_f64_e32 v[8:9], s[78:79], v[10:11]
	v_pk_mov_b32 v[78:79], v[34:35], v[34:35] op_sel:[0,1]
	v_fmac_f64_e32 v[78:79], v[10:11], v[8:9]
	v_pk_mov_b32 v[8:9], v[36:37], v[36:37] op_sel:[0,1]
	v_fmac_f64_e32 v[8:9], v[10:11], v[78:79]
	v_pk_mov_b32 v[78:79], v[38:39], v[38:39] op_sel:[0,1]
	v_fmac_f64_e32 v[78:79], v[10:11], v[8:9]
	v_pk_mov_b32 v[8:9], v[40:41], v[40:41] op_sel:[0,1]
	v_fmac_f64_e32 v[8:9], v[10:11], v[78:79]
	v_pk_mov_b32 v[78:79], v[42:43], v[42:43] op_sel:[0,1]
	v_fmac_f64_e32 v[78:79], v[10:11], v[8:9]
	v_pk_mov_b32 v[8:9], v[44:45], v[44:45] op_sel:[0,1]
	v_fmac_f64_e32 v[8:9], v[10:11], v[78:79]
	v_pk_mov_b32 v[78:79], v[46:47], v[46:47] op_sel:[0,1]
	s_mov_b32 s17, s1
	v_fmac_f64_e32 v[78:79], v[10:11], v[8:9]
	v_pk_mov_b32 v[80:81], v[48:49], v[48:49] op_sel:[0,1]
	s_mov_b32 s0, 0
	v_fmac_f64_e32 v[80:81], v[10:11], v[78:79]
	s_mov_b32 s1, 0xc0900000
	v_fma_f64 v[78:79], v[10:11], v[80:81], 1.0
	v_cmp_ngt_f64_e32 vcc, s[0:1], v[4:5]
	s_mov_b32 s0, 0
	v_fma_f64 v[10:11], v[10:11], v[78:79], 1.0
	v_cvt_i32_f64_e32 v6, v[6:7]
	s_mov_b32 s1, 0x4090cc00
	v_ldexp_f64 v[6:7], v[10:11], v6
	v_cmp_nlt_f64_e64 s[0:1], s[0:1], v[4:5]
	v_mov_b32_e32 v8, 0
	v_cndmask_b32_e32 v7, v94, v7, vcc
	s_and_b64 vcc, s[0:1], vcc
	v_writelane_b32 v134, s16, 23
	v_mov_b32_e32 v9, 0x3ff00000
	v_mov_b32_e32 v82, 0
	v_cndmask_b32_e64 v11, 0, v7, s[0:1]
	v_cndmask_b32_e32 v10, 0, v6, vcc
	s_mov_b32 s20, -1
	s_mov_b64 s[0:1], 0
	v_mov_b32_e32 v83, v12
	v_writelane_b32 v134, s17, 24
	s_branch .LBB67_58
.LBB67_57:                              ;   in Loop: Header=BB67_58 Depth=2
	s_or_b64 exec, exec, s[16:17]
	v_cmp_eq_u32_e32 vcc, 1, v15
	v_cndmask_b32_e32 v0, v0, v1, vcc
	v_cmp_eq_u32_e32 vcc, 2, v15
	v_cndmask_b32_e32 v0, v0, v2, vcc
	;; [unrolled: 2-line block ×6, first 2 shown]
	v_lshrrev_b32_e32 v0, 11, v0
	v_cvt_f64_u32_e32 v[0:1], v0
	v_ldexp_f64 v[0:1], v[0:1], 32
	v_cvt_f64_u32_e32 v[2:3], v2
	v_add_f64 v[0:1], v[0:1], v[2:3]
	v_mov_b32_e32 v2, 0
	v_mov_b32_e32 v3, 0x3ca00000
	v_fmac_f64_e32 v[2:3], 0x3ca00000, v[0:1]
	v_mul_f64 v[8:9], v[8:9], v[2:3]
	v_cmp_ngt_f64_e32 vcc, v[8:9], v[10:11]
	s_add_i32 s20, s20, 1
	s_or_b64 s[0:1], vcc, s[0:1]
	v_mov_b32_e32 v79, s20
	v_mov_b32_e32 v15, v85
	;; [unrolled: 1-line block ×6, first 2 shown]
	s_andn2_b64 exec, exec, s[0:1]
	s_cbranch_execz .LBB67_2
.LBB67_58:                              ;   Parent Loop BB67_5 Depth=1
                                        ; =>  This Inner Loop Header: Depth=2
	v_add_u32_e32 v84, 1, v15
	v_pk_mov_b32 v[6:7], v[2:3], v[2:3] op_sel:[0,1]
	v_cmp_eq_u32_e32 vcc, 4, v84
	v_pk_mov_b32 v[4:5], v[0:1], v[0:1] op_sel:[0,1]
	v_mov_b32_e32 v81, v0
	v_mov_b32_e32 v80, v1
	;; [unrolled: 1-line block ×4, first 2 shown]
	s_and_saveexec_b64 s[16:17], vcc
	s_cbranch_execz .LBB67_60
; %bb.59:                               ;   in Loop: Header=BB67_58 Depth=2
	v_add_co_u32_e32 v96, vcc, 1, v96
	v_cndmask_b32_e64 v4, 0, 1, vcc
	v_addc_co_u32_e32 v97, vcc, 0, v97, vcc
	v_cmp_eq_u32_e32 vcc, 0, v97
	v_cndmask_b32_e32 v4, 0, v4, vcc
	v_add_u32_e32 v83, v4, v83
	v_cmp_eq_u32_e32 vcc, 0, v83
	v_cndmask_b32_e32 v4, 0, v4, vcc
	v_add_u32_e32 v82, v4, v82
	v_mad_u64_u32 v[4:5], s[28:29], v96, s74, 0
	v_mad_u64_u32 v[6:7], s[28:29], v83, s33, 0
	v_xor_b32_e32 v5, v5, v77
	v_xor_b32_e32 v7, v7, v76
	v_xor_b32_e32 v5, v82, v5
	v_xor_b32_e32 v7, v97, v7
	v_mad_u64_u32 v[80:81], s[28:29], v5, s33, 0
	v_mad_u64_u32 v[78:79], s[28:29], v7, s74, 0
	v_xor_b32_e32 v5, v98, v81
	v_xor_b32_e32 v5, v5, v6
	v_xor_b32_e32 v6, v99, v79
	v_xor_b32_e32 v6, v6, v4
	;; [unrolled: 6-line block ×10, first 2 shown]
	v_mov_b32_e32 v84, 0
	v_mov_b32_e32 v5, v80
	;; [unrolled: 1-line block ×5, first 2 shown]
.LBB67_60:                              ;   in Loop: Header=BB67_58 Depth=2
	s_or_b64 exec, exec, s[16:17]
	v_add_u32_e32 v85, 1, v84
	v_cmp_eq_u32_e32 vcc, 4, v85
	s_and_saveexec_b64 s[16:17], vcc
	s_cbranch_execz .LBB67_57
; %bb.61:                               ;   in Loop: Header=BB67_58 Depth=2
	v_add_co_u32_e32 v96, vcc, 1, v96
	v_cndmask_b32_e64 v78, 0, 1, vcc
	v_addc_co_u32_e32 v97, vcc, 0, v97, vcc
	v_cmp_eq_u32_e32 vcc, 0, v97
	v_cndmask_b32_e32 v78, 0, v78, vcc
	v_add_u32_e32 v83, v78, v83
	v_cmp_eq_u32_e32 vcc, 0, v83
	v_cndmask_b32_e32 v78, 0, v78, vcc
	v_add_u32_e32 v82, v78, v82
	v_mad_u64_u32 v[78:79], s[28:29], v96, s74, 0
	v_mad_u64_u32 v[80:81], s[28:29], v83, s33, 0
	v_xor_b32_e32 v79, v79, v77
	v_xor_b32_e32 v81, v81, v76
	v_xor_b32_e32 v79, v82, v79
	v_xor_b32_e32 v81, v97, v81
	v_mad_u64_u32 v[88:89], s[28:29], v79, s33, 0
	v_mad_u64_u32 v[86:87], s[28:29], v81, s74, 0
	v_xor_b32_e32 v79, v98, v89
	v_xor_b32_e32 v79, v79, v80
	v_xor_b32_e32 v80, v99, v87
	v_xor_b32_e32 v80, v80, v78
	;; [unrolled: 6-line block ×9, first 2 shown]
	v_mad_u64_u32 v[78:79], s[28:29], v78, s74, 0
	v_mad_u64_u32 v[80:81], s[28:29], v80, s33, 0
	v_xor_b32_e32 v81, v81, v116
	v_xor_b32_e32 v79, v79, v90
	v_mov_b32_e32 v85, 0
	v_xor_b32_e32 v81, v105, v81
	v_xor_b32_e32 v86, v95, v79
	s_branch .LBB67_57
.LBB67_62:
	s_or_b64 exec, exec, s[26:27]
	s_and_saveexec_b64 s[0:1], s[4:5]
	s_xor_b64 s[0:1], exec, s[0:1]
	s_cbranch_execnz .LBB67_64
.LBB67_63:
	s_endpgm
.LBB67_64:
	s_trap 2
	; divergent unreachable
	s_endpgm
	.section	.rodata,"a",@progbits
	.p2align	6, 0x0
	.amdhsa_kernel _ZN2at4cuda12_GLOBAL__N_121kernelPointwiseApply2IZN12_GLOBAL__N_119poisson_cuda_kernelIdEEvRKNS_10TensorBaseES7_NS_15PhiloxCudaStateEEUlRdRKdE_ddmLin1ELin1ELi1ELi512ELi2EEEvNS0_6detail10TensorInfoIT0_T2_EENSE_IT1_SG_EESG_T_
		.amdhsa_group_segment_fixed_size 0
		.amdhsa_private_segment_fixed_size 0
		.amdhsa_kernarg_size 1128
		.amdhsa_user_sgpr_count 6
		.amdhsa_user_sgpr_private_segment_buffer 1
		.amdhsa_user_sgpr_dispatch_ptr 0
		.amdhsa_user_sgpr_queue_ptr 0
		.amdhsa_user_sgpr_kernarg_segment_ptr 1
		.amdhsa_user_sgpr_dispatch_id 0
		.amdhsa_user_sgpr_flat_scratch_init 0
		.amdhsa_user_sgpr_kernarg_preload_length 0
		.amdhsa_user_sgpr_kernarg_preload_offset 0
		.amdhsa_user_sgpr_private_segment_size 0
		.amdhsa_uses_dynamic_stack 0
		.amdhsa_system_sgpr_private_segment_wavefront_offset 0
		.amdhsa_system_sgpr_workgroup_id_x 1
		.amdhsa_system_sgpr_workgroup_id_y 0
		.amdhsa_system_sgpr_workgroup_id_z 0
		.amdhsa_system_sgpr_workgroup_info 0
		.amdhsa_system_vgpr_workitem_id 0
		.amdhsa_next_free_vgpr 135
		.amdhsa_next_free_sgpr 96
		.amdhsa_accum_offset 136
		.amdhsa_reserve_vcc 1
		.amdhsa_reserve_flat_scratch 0
		.amdhsa_float_round_mode_32 0
		.amdhsa_float_round_mode_16_64 0
		.amdhsa_float_denorm_mode_32 3
		.amdhsa_float_denorm_mode_16_64 3
		.amdhsa_dx10_clamp 1
		.amdhsa_ieee_mode 1
		.amdhsa_fp16_overflow 0
		.amdhsa_tg_split 0
		.amdhsa_exception_fp_ieee_invalid_op 0
		.amdhsa_exception_fp_denorm_src 0
		.amdhsa_exception_fp_ieee_div_zero 0
		.amdhsa_exception_fp_ieee_overflow 0
		.amdhsa_exception_fp_ieee_underflow 0
		.amdhsa_exception_fp_ieee_inexact 0
		.amdhsa_exception_int_div_zero 0
	.end_amdhsa_kernel
	.section	.text._ZN2at4cuda12_GLOBAL__N_121kernelPointwiseApply2IZN12_GLOBAL__N_119poisson_cuda_kernelIdEEvRKNS_10TensorBaseES7_NS_15PhiloxCudaStateEEUlRdRKdE_ddmLin1ELin1ELi1ELi512ELi2EEEvNS0_6detail10TensorInfoIT0_T2_EENSE_IT1_SG_EESG_T_,"axG",@progbits,_ZN2at4cuda12_GLOBAL__N_121kernelPointwiseApply2IZN12_GLOBAL__N_119poisson_cuda_kernelIdEEvRKNS_10TensorBaseES7_NS_15PhiloxCudaStateEEUlRdRKdE_ddmLin1ELin1ELi1ELi512ELi2EEEvNS0_6detail10TensorInfoIT0_T2_EENSE_IT1_SG_EESG_T_,comdat
.Lfunc_end67:
	.size	_ZN2at4cuda12_GLOBAL__N_121kernelPointwiseApply2IZN12_GLOBAL__N_119poisson_cuda_kernelIdEEvRKNS_10TensorBaseES7_NS_15PhiloxCudaStateEEUlRdRKdE_ddmLin1ELin1ELi1ELi512ELi2EEEvNS0_6detail10TensorInfoIT0_T2_EENSE_IT1_SG_EESG_T_, .Lfunc_end67-_ZN2at4cuda12_GLOBAL__N_121kernelPointwiseApply2IZN12_GLOBAL__N_119poisson_cuda_kernelIdEEvRKNS_10TensorBaseES7_NS_15PhiloxCudaStateEEUlRdRKdE_ddmLin1ELin1ELi1ELi512ELi2EEEvNS0_6detail10TensorInfoIT0_T2_EENSE_IT1_SG_EESG_T_
                                        ; -- End function
	.section	.AMDGPU.csdata,"",@progbits
; Kernel info:
; codeLenInByte = 15452
; NumSgprs: 100
; NumVgprs: 135
; NumAgprs: 0
; TotalNumVgprs: 135
; ScratchSize: 0
; MemoryBound: 0
; FloatMode: 240
; IeeeMode: 1
; LDSByteSize: 0 bytes/workgroup (compile time only)
; SGPRBlocks: 12
; VGPRBlocks: 16
; NumSGPRsForWavesPerEU: 100
; NumVGPRsForWavesPerEU: 135
; AccumOffset: 136
; Occupancy: 3
; WaveLimiterHint : 1
; COMPUTE_PGM_RSRC2:SCRATCH_EN: 0
; COMPUTE_PGM_RSRC2:USER_SGPR: 6
; COMPUTE_PGM_RSRC2:TRAP_HANDLER: 0
; COMPUTE_PGM_RSRC2:TGID_X_EN: 1
; COMPUTE_PGM_RSRC2:TGID_Y_EN: 0
; COMPUTE_PGM_RSRC2:TGID_Z_EN: 0
; COMPUTE_PGM_RSRC2:TIDIG_COMP_CNT: 0
; COMPUTE_PGM_RSRC3_GFX90A:ACCUM_OFFSET: 33
; COMPUTE_PGM_RSRC3_GFX90A:TG_SPLIT: 0
	.section	.text._ZN2at4cuda12_GLOBAL__N_121kernelPointwiseApply2IZN12_GLOBAL__N_119poisson_cuda_kernelIfEEvRKNS_10TensorBaseES7_NS_15PhiloxCudaStateEEUlRfRKfE_ffjLi1ELi1ELi1ELi512ELi2EEEvNS0_6detail10TensorInfoIT0_T2_EENSE_IT1_SG_EESG_T_,"axG",@progbits,_ZN2at4cuda12_GLOBAL__N_121kernelPointwiseApply2IZN12_GLOBAL__N_119poisson_cuda_kernelIfEEvRKNS_10TensorBaseES7_NS_15PhiloxCudaStateEEUlRfRKfE_ffjLi1ELi1ELi1ELi512ELi2EEEvNS0_6detail10TensorInfoIT0_T2_EENSE_IT1_SG_EESG_T_,comdat
	.globl	_ZN2at4cuda12_GLOBAL__N_121kernelPointwiseApply2IZN12_GLOBAL__N_119poisson_cuda_kernelIfEEvRKNS_10TensorBaseES7_NS_15PhiloxCudaStateEEUlRfRKfE_ffjLi1ELi1ELi1ELi512ELi2EEEvNS0_6detail10TensorInfoIT0_T2_EENSE_IT1_SG_EESG_T_ ; -- Begin function _ZN2at4cuda12_GLOBAL__N_121kernelPointwiseApply2IZN12_GLOBAL__N_119poisson_cuda_kernelIfEEvRKNS_10TensorBaseES7_NS_15PhiloxCudaStateEEUlRfRKfE_ffjLi1ELi1ELi1ELi512ELi2EEEvNS0_6detail10TensorInfoIT0_T2_EENSE_IT1_SG_EESG_T_
	.p2align	8
	.type	_ZN2at4cuda12_GLOBAL__N_121kernelPointwiseApply2IZN12_GLOBAL__N_119poisson_cuda_kernelIfEEvRKNS_10TensorBaseES7_NS_15PhiloxCudaStateEEUlRfRKfE_ffjLi1ELi1ELi1ELi512ELi2EEEvNS0_6detail10TensorInfoIT0_T2_EENSE_IT1_SG_EESG_T_,@function
_ZN2at4cuda12_GLOBAL__N_121kernelPointwiseApply2IZN12_GLOBAL__N_119poisson_cuda_kernelIfEEvRKNS_10TensorBaseES7_NS_15PhiloxCudaStateEEUlRfRKfE_ffjLi1ELi1ELi1ELi512ELi2EEEvNS0_6detail10TensorInfoIT0_T2_EENSE_IT1_SG_EESG_T_: ; @_ZN2at4cuda12_GLOBAL__N_121kernelPointwiseApply2IZN12_GLOBAL__N_119poisson_cuda_kernelIfEEvRKNS_10TensorBaseES7_NS_15PhiloxCudaStateEEUlRfRKfE_ffjLi1ELi1ELi1ELi512ELi2EEEvNS0_6detail10TensorInfoIT0_T2_EENSE_IT1_SG_EESG_T_
; %bb.0:
	s_load_dword s2, s[4:5], 0x1e4
	s_load_dword s45, s[4:5], 0x1b0
	s_add_u32 s0, s4, 0x1d8
	s_addc_u32 s1, s5, 0
	s_waitcnt lgkmcnt(0)
	s_and_b32 s2, s2, 0xffff
	s_mul_i32 s6, s6, s2
	v_add_u32_e32 v17, s6, v0
	v_cmp_gt_u32_e32 vcc, s45, v17
	s_and_saveexec_b64 s[6:7], vcc
	s_cbranch_execz .LBB68_46
; %bb.1:
	s_getpc_b64 s[6:7]
	s_add_u32 s6, s6, .str@rel32@lo+4
	s_addc_u32 s7, s7, .str@rel32@hi+12
	s_cmp_eq_u64 s[6:7], 0
	s_mov_b64 s[6:7], 0
	s_cbranch_scc1 .LBB68_47
; %bb.2:
	s_load_dword s3, s[4:5], 0x1d0
	s_load_dwordx2 s[8:9], s[4:5], 0x0
                                        ; implicit-def: $vgpr132 : SGPR spill to VGPR lane
                                        ; kill: killed $sgpr0 killed $sgpr1
	s_mov_b32 s22, 0
	s_mov_b32 s28, 0x55555555
	;; [unrolled: 1-line block ×3, first 2 shown]
	s_waitcnt lgkmcnt(0)
	s_bitcmp1_b32 s3, 0
	v_writelane_b32 v132, s8, 0
	v_writelane_b32 v132, s9, 1
	s_load_dword s8, s[4:5], 0x6c
	s_mov_b32 s34, 0xbf559e2b
	s_mov_b32 s36, 0xd7f4df2e
	;; [unrolled: 1-line block ×4, first 2 shown]
	s_waitcnt lgkmcnt(0)
	v_writelane_b32 v132, s8, 2
	s_load_dwordx2 s[18:19], s[4:5], 0xd8
	s_load_dword s8, s[4:5], 0x144
	s_mov_b32 s42, 0x998ef7b6
	s_mov_b32 s46, 0xfefa39ef
	s_mov_b32 s48, 0x3b39803f
	s_mov_b32 s52, 0x652b82fe
	s_waitcnt lgkmcnt(0)
	v_writelane_b32 v132, s8, 3
	s_load_dwordx2 s[8:9], s[4:5], 0x1c8
	s_mov_b32 s58, 0x6a5dcb37
	s_mov_b32 s60, 0
	;; [unrolled: 1-line block ×4, first 2 shown]
	s_waitcnt lgkmcnt(0)
	v_writelane_b32 v132, s8, 4
	v_writelane_b32 v132, s9, 5
	s_load_dwordx4 s[8:11], s[4:5], 0x1b8
	s_mov_b32 s66, 0x8f3faeef
	s_mov_b32 s68, 0
	;; [unrolled: 1-line block ×4, first 2 shown]
	s_waitcnt lgkmcnt(0)
	v_writelane_b32 v132, s8, 6
	v_writelane_b32 v132, s9, 7
	;; [unrolled: 1-line block ×4, first 2 shown]
	s_load_dword s8, s[0:1], 0x0
	s_mov_b32 s11, 0xcd9e8d57
	v_mad_u64_u32 v[12:13], s[0:1], v17, s11, 0
	s_mov_b32 s74, 0x992b2855
	s_waitcnt lgkmcnt(0)
	s_mul_i32 s0, s8, s2
	v_writelane_b32 v132, s0, 10
	s_cselect_b64 s[0:1], -1, 0
	v_cndmask_b32_e64 v0, 0, 1, s[0:1]
	v_cmp_ne_u32_e64 s[0:1], 1, v0
	v_writelane_b32 v132, s0, 11
	v_writelane_b32 v132, s1, 12
	s_mov_b32 s76, 0
	s_mov_b32 s78, 0x7f8b9c81
	;; [unrolled: 1-line block ×6, first 2 shown]
	s_movk_i32 s90, 0xf950
	s_mov_b32 s92, 0xc864beb5
	s_mov_b32 s94, 0
	;; [unrolled: 1-line block ×4, first 2 shown]
	v_mov_b32_e32 v14, 0
	v_mov_b32_e32 v16, v13
	;; [unrolled: 1-line block ×3, first 2 shown]
	s_mov_b32 s33, 0xd2511f53
	s_mov_b32 s23, 0x40080000
	v_mov_b32_e32 v86, 0x260
	s_mov_b32 s29, 0x3fe55555
	s_mov_b32 s31, 0x3fc38538
	;; [unrolled: 1-line block ×10, first 2 shown]
	s_movk_i32 s10, 0x204
	s_mov_b32 s53, 0x3ff71547
	s_mov_b32 s55, 0xbfe62e42
	;; [unrolled: 1-line block ×7, first 2 shown]
	v_mov_b32_e32 v18, 0x6b47b09a
	v_mov_b32_e32 v20, 0xd7f4df2e
	;; [unrolled: 1-line block ×58, first 2 shown]
	s_mov_b32 s67, 0x3e843550
	s_mov_b32 s69, 0x401c0000
	;; [unrolled: 1-line block ×15, first 2 shown]
	v_writelane_b32 v132, s0, 13
                                        ; kill: killed $sgpr4 killed $sgpr5
	v_writelane_b32 v132, s1, 14
                                        ; implicit-def: $sgpr88_sgpr89
                                        ; implicit-def: $sgpr16_sgpr17
                                        ; implicit-def: $sgpr24_sgpr25
	s_branch .LBB68_6
.LBB68_3:                               ;   in Loop: Header=BB68_6 Depth=1
	s_or_b64 exec, exec, s[4:5]
.LBB68_4:                               ;   in Loop: Header=BB68_6 Depth=1
	s_or_b64 exec, exec, s[0:1]
	v_readlane_b32 s0, v132, 2
	v_mul_lo_u32 v0, v92, s0
	v_cndmask_b32_e64 v0, 0, v0, s[2:3]
	v_mov_b32_e32 v1, v14
	v_readlane_b32 s0, v132, 0
	v_lshlrev_b64 v[0:1], 2, v[0:1]
	v_readlane_b32 s1, v132, 1
	v_mov_b32_e32 v2, s1
	v_add_co_u32_e32 v0, vcc, s0, v0
	v_readlane_b32 s0, v132, 10
	v_cvt_f32_u32_e32 v3, v73
	v_addc_co_u32_e32 v1, vcc, v2, v1, vcc
	v_add_u32_e32 v92, s0, v92
	v_cmp_le_u32_e32 vcc, s45, v92
	s_andn2_b64 s[0:1], s[16:17], exec
	s_and_b64 s[2:3], vcc, exec
	s_andn2_b64 s[24:25], s[24:25], exec
	s_or_b64 s[16:17], s[0:1], s[2:3]
	global_store_dword v[0:1], v3, off
.LBB68_5:                               ;   in Loop: Header=BB68_6 Depth=1
	s_or_b64 exec, exec, s[26:27]
	s_and_b64 s[0:1], exec, s[16:17]
	s_or_b64 s[6:7], s[0:1], s[6:7]
	s_andn2_b64 s[0:1], s[88:89], exec
	s_and_b64 s[2:3], s[24:25], exec
	s_or_b64 s[88:89], s[0:1], s[2:3]
	s_andn2_b64 exec, exec, s[6:7]
	s_cbranch_execz .LBB68_45
.LBB68_6:                               ; =>This Loop Header: Depth=1
                                        ;     Child Loop BB68_12 Depth 2
                                        ;     Child Loop BB68_41 Depth 2
	v_sub_u32_e32 v0, s45, v92
	v_readlane_b32 s0, v132, 3
	v_mul_lo_u32 v1, v92, s0
	v_cmp_lt_i32_e64 s[2:3], 0, v0
	v_cndmask_b32_e64 v0, 0, v1, s[2:3]
	v_mov_b32_e32 v1, v14
	v_lshlrev_b64 v[0:1], 2, v[0:1]
	v_add_co_u32_e32 v0, vcc, s18, v0
	v_addc_co_u32_e32 v1, vcc, v13, v1, vcc
	global_load_dword v6, v[0:1], off
	s_or_b64 s[24:25], s[24:25], exec
	s_or_b64 s[16:17], s[16:17], exec
	s_waitcnt vmcnt(0)
	v_cmp_le_f32_e32 vcc, 0, v6
	s_and_saveexec_b64 s[26:27], vcc
	s_cbranch_execz .LBB68_5
; %bb.7:                                ;   in Loop: Header=BB68_6 Depth=1
	v_readlane_b32 s0, v132, 11
	v_readlane_b32 s12, v132, 6
	;; [unrolled: 1-line block ×6, first 2 shown]
	s_and_b64 vcc, exec, s[0:1]
	v_pk_mov_b32 v[0:1], s[14:15], s[14:15] op_sel:[0,1]
	v_pk_mov_b32 v[70:71], s[12:13], s[12:13] op_sel:[0,1]
	s_cbranch_vccnz .LBB68_9
; %bb.8:                                ;   in Loop: Header=BB68_6 Depth=1
	v_readlane_b32 s12, v132, 6
	v_readlane_b32 s14, v132, 8
	;; [unrolled: 1-line block ×3, first 2 shown]
	v_pk_mov_b32 v[0:1], s[14:15], s[14:15] op_sel:[0,1]
	v_readlane_b32 s13, v132, 7
	flat_load_dwordx2 v[0:1], v[0:1]
	v_pk_mov_b32 v[2:3], s[12:13], s[12:13] op_sel:[0,1]
	flat_load_dwordx2 v[70:71], v[2:3]
	v_readlane_b32 s0, v132, 4
	v_readlane_b32 s1, v132, 5
	v_mov_b32_e32 v2, s1
	s_waitcnt vmcnt(0) lgkmcnt(0)
	v_add_co_u32_e32 v0, vcc, s0, v0
	v_addc_co_u32_e32 v1, vcc, v1, v2, vcc
.LBB68_9:                               ;   in Loop: Header=BB68_6 Depth=1
	v_alignbit_b32 v94, v1, v0, 2
	v_and_b32_e32 v15, 3, v0
	v_lshrrev_b32_e32 v95, 2, v1
	v_mad_u64_u32 v[0:1], s[0:1], v94, s33, 0
	v_xor_b32_e32 v3, v16, v70
	v_mov_b32_e32 v2, v71
	v_xor_b32_e32 v1, v1, v71
	s_mov_b32 s0, 0xbb67ae85
	v_xor_b32_e32 v3, v3, v95
	v_add_co_u32_e32 v97, vcc, s0, v2
	v_mad_u64_u32 v[4:5], s[0:1], v3, s33, 0
	v_mad_u64_u32 v[8:9], s[0:1], v1, s11, 0
	v_add_co_u32_e32 v96, vcc, 0x9e3779b9, v70
	v_xor_b32_e32 v1, v12, v9
	v_xor_b32_e32 v3, v97, v5
	s_mov_b32 s0, 0x3c6ef372
	v_xor_b32_e32 v1, v1, v96
	v_xor_b32_e32 v3, v3, v0
	v_add_co_u32_e32 v98, vcc, s0, v70
	s_mov_b32 s0, 0x76cf5d0a
	v_add_co_u32_e32 v99, vcc, s0, v2
	v_mad_u64_u32 v[0:1], s[0:1], v1, s33, 0
	v_mad_u64_u32 v[10:11], s[0:1], v3, s11, 0
	v_xor_b32_e32 v3, v98, v11
	v_xor_b32_e32 v1, v99, v1
	s_mov_b32 s0, 0xdaa66d2b
	v_xor_b32_e32 v3, v3, v8
	v_xor_b32_e32 v1, v1, v4
	v_add_co_u32_e32 v101, vcc, s0, v70
	s_mov_b32 s0, 0x32370b8f
	v_add_co_u32_e32 v102, vcc, s0, v2
	v_mad_u64_u32 v[4:5], s[0:1], v3, s33, 0
	v_mad_u64_u32 v[8:9], s[0:1], v1, s11, 0
	;; [unrolled: 10-line block ×7, first 2 shown]
	v_xor_b32_e32 v1, v100, v1
	v_xor_b32_e32 v3, v112, v3
	;; [unrolled: 1-line block ×4, first 2 shown]
	v_mad_u64_u32 v[4:5], s[0:1], v1, s33, 0
	v_mad_u64_u32 v[8:9], s[0:1], v7, s11, 0
	v_add_u32_e32 v103, 0x8ff34781, v70
	v_add_u32_e32 v93, 0x96a522ad, v71
	v_xor_b32_e32 v0, v9, v0
	v_xor_b32_e32 v2, v5, v2
	s_mov_b32 s0, 0x42800000
	v_mov_b32_e32 v3, v4
	v_mov_b32_e32 v1, v8
	v_xor_b32_e32 v0, v103, v0
	v_xor_b32_e32 v2, v93, v2
	v_cvt_f64_f32_e32 v[4:5], v6
	v_cmp_ngt_f32_e32 vcc, s0, v6
                                        ; implicit-def: $vgpr73
	s_and_saveexec_b64 s[0:1], vcc
	s_xor_b64 s[50:51], exec, s[0:1]
	s_cbranch_execz .LBB68_38
; %bb.10:                               ;   in Loop: Header=BB68_6 Depth=1
	s_mov_b32 s0, 0x457a0000
	v_cmp_ge_f32_e32 vcc, s0, v6
                                        ; implicit-def: $vgpr73
	s_and_saveexec_b64 s[0:1], vcc
	s_xor_b64 s[12:13], exec, s[0:1]
	s_cbranch_execz .LBB68_25
; %bb.11:                               ;   in Loop: Header=BB68_6 Depth=1
	s_mov_b32 s8, 0xae147ae1
	s_mov_b32 s9, 0xc00ae147
	v_div_scale_f64 v[6:7], s[0:1], v[4:5], v[4:5], s[8:9]
	v_rcp_f64_e32 v[8:9], v[6:7]
	s_mov_b32 s0, 0
	v_mul_f64 v[74:75], v[4:5], s[22:23]
	s_brev_b32 s1, 8
	v_cmp_gt_f64_e64 s[4:5], s[0:1], v[74:75]
	v_cndmask_b32_e64 v76, 0, 1, s[4:5]
	v_fma_f64 v[72:73], -v[6:7], v[8:9], 1.0
	v_lshlrev_b32_e32 v76, 8, v76
	v_fmac_f64_e32 v[8:9], v[8:9], v[72:73]
	v_ldexp_f64 v[74:75], v[74:75], v76
	v_fma_f64 v[72:73], -v[6:7], v[8:9], 1.0
	v_rsq_f64_e32 v[76:77], v[74:75]
	v_div_scale_f64 v[10:11], vcc, s[8:9], v[4:5], s[8:9]
	v_fmac_f64_e32 v[8:9], v[8:9], v[72:73]
	v_mul_f64 v[72:73], v[10:11], v[8:9]
	v_fma_f64 v[6:7], -v[6:7], v[72:73], v[10:11]
	s_nop 0
	v_div_fmas_f64 v[6:7], v[6:7], v[8:9], v[72:73]
	v_mul_f64 v[8:9], v[74:75], v[76:77]
	v_mul_f64 v[10:11], v[76:77], 0.5
	v_fma_f64 v[72:73], -v[10:11], v[8:9], 0.5
	v_fmac_f64_e32 v[8:9], v[8:9], v[72:73]
	v_fma_f64 v[76:77], -v[8:9], v[8:9], v[74:75]
	v_fmac_f64_e32 v[10:11], v[10:11], v[72:73]
	v_fmac_f64_e32 v[8:9], v[76:77], v[10:11]
	v_fma_f64 v[72:73], -v[8:9], v[8:9], v[74:75]
	v_fmac_f64_e32 v[8:9], v[72:73], v[10:11]
	v_cndmask_b32_e64 v10, 0, v87, s[4:5]
	v_ldexp_f64 v[8:9], v[8:9], v10
	v_cmp_class_f64_e32 vcc, v[74:75], v86
	s_mov_b32 s4, 0x54442d18
	v_cndmask_b32_e32 v9, v9, v75, vcc
	v_cndmask_b32_e32 v8, v8, v74, vcc
	s_mov_b32 s5, 0x400921fb
	v_div_scale_f64 v[10:11], s[0:1], v[8:9], v[8:9], s[4:5]
	v_rcp_f64_e32 v[74:75], v[10:11]
	s_mov_b32 s0, 0x95810625
	v_div_fixup_f64 v[6:7], v[6:7], v[4:5], s[8:9]
	s_mov_b32 s1, 0x3fe88b43
	v_fma_f64 v[76:77], -v[10:11], v[74:75], 1.0
	v_fmac_f64_e32 v[74:75], v[74:75], v[76:77]
	v_fma_f64 v[76:77], -v[10:11], v[74:75], 1.0
	v_fmac_f64_e32 v[74:75], v[74:75], v[76:77]
	v_div_scale_f64 v[76:77], vcc, s[4:5], v[8:9], s[4:5]
	v_mul_f64 v[78:79], v[76:77], v[74:75]
	v_fma_f64 v[10:11], -v[10:11], v[78:79], v[76:77]
	v_add_f64 v[6:7], v[6:7], s[0:1]
	s_nop 0
	v_div_fmas_f64 v[10:11], v[10:11], v[74:75], v[78:79]
	v_div_fixup_f64 v[74:75], v[10:11], v[8:9], s[4:5]
	v_frexp_mant_f64_e32 v[8:9], v[6:7]
	v_cmp_gt_f64_e32 vcc, s[28:29], v[8:9]
	v_mov_b32_e32 v72, 0
	v_cndmask_b32_e64 v73, v88, 2.0, vcc
	v_frexp_exp_i32_f64_e32 v10, v[6:7]
	v_mul_f64 v[8:9], v[8:9], v[72:73]
	v_subbrev_co_u32_e32 v73, vcc, 0, v10, vcc
	v_add_f64 v[10:11], v[8:9], 1.0
	v_rcp_f64_e32 v[78:79], v[10:11]
	v_add_f64 v[82:83], v[10:11], -1.0
	v_add_f64 v[80:81], v[8:9], -1.0
	v_add_f64 v[8:9], v[8:9], -v[82:83]
	v_fma_f64 v[82:83], -v[10:11], v[78:79], 1.0
	v_fmac_f64_e32 v[78:79], v[82:83], v[78:79]
	v_fma_f64 v[82:83], -v[10:11], v[78:79], 1.0
	v_fmac_f64_e32 v[78:79], v[82:83], v[78:79]
	v_mul_f64 v[82:83], v[80:81], v[78:79]
	v_mul_f64 v[84:85], v[10:11], v[82:83]
	v_fma_f64 v[10:11], v[82:83], v[10:11], -v[84:85]
	v_fmac_f64_e32 v[10:11], v[82:83], v[8:9]
	v_add_f64 v[8:9], v[84:85], v[10:11]
	v_add_f64 v[114:115], v[80:81], -v[8:9]
	v_add_f64 v[84:85], v[8:9], -v[84:85]
	;; [unrolled: 1-line block ×5, first 2 shown]
	v_add_f64 v[8:9], v[10:11], v[8:9]
	v_add_f64 v[8:9], v[114:115], v[8:9]
	v_mul_f64 v[8:9], v[78:79], v[8:9]
	v_add_f64 v[10:11], v[82:83], v[8:9]
	v_add_f64 v[78:79], v[10:11], -v[82:83]
	v_add_f64 v[8:9], v[8:9], -v[78:79]
	v_mul_f64 v[78:79], v[10:11], v[10:11]
	v_pk_mov_b32 v[80:81], s[30:31], s[30:31] op_sel:[0,1]
	v_fma_f64 v[82:83], s[34:35], v[78:79], v[80:81]
	v_fma_f64 v[82:83], v[78:79], v[82:83], s[36:37]
	;; [unrolled: 1-line block ×4, first 2 shown]
	s_mov_b32 s19, s45
	v_fma_f64 v[82:83], v[78:79], v[82:83], s[42:43]
	s_mov_b32 s45, s29
	v_fma_f64 v[82:83], v[78:79], v[82:83], s[44:45]
	v_ldexp_f64 v[84:85], v[10:11], 1
	v_mul_f64 v[10:11], v[10:11], v[78:79]
	v_mul_f64 v[10:11], v[10:11], v[82:83]
	v_add_f64 v[78:79], v[84:85], v[10:11]
	v_add_f64 v[82:83], v[78:79], -v[84:85]
	v_ldexp_f64 v[8:9], v[8:9], 1
	v_add_f64 v[10:11], v[10:11], -v[82:83]
	v_add_f64 v[8:9], v[8:9], v[10:11]
	v_add_f64 v[10:11], v[78:79], v[8:9]
	v_add_f64 v[78:79], v[10:11], -v[78:79]
	v_add_f64 v[8:9], v[8:9], -v[78:79]
	v_cvt_f64_i32_e32 v[78:79], v73
	v_mul_f64 v[82:83], v[78:79], s[46:47]
	v_fma_f64 v[84:85], v[78:79], s[46:47], -v[82:83]
	v_fmac_f64_e32 v[84:85], s[48:49], v[78:79]
	v_add_f64 v[78:79], v[82:83], v[84:85]
	v_add_f64 v[82:83], v[78:79], -v[82:83]
	v_add_f64 v[82:83], v[84:85], -v[82:83]
	v_add_f64 v[84:85], v[78:79], v[10:11]
	v_add_f64 v[114:115], v[84:85], -v[78:79]
	v_add_f64 v[116:117], v[84:85], -v[114:115]
	;; [unrolled: 1-line block ×4, first 2 shown]
	v_add_f64 v[10:11], v[10:11], v[78:79]
	v_add_f64 v[78:79], v[82:83], v[8:9]
	v_add_f64 v[114:115], v[78:79], -v[82:83]
	v_add_f64 v[116:117], v[78:79], -v[114:115]
	v_add_f64 v[10:11], v[78:79], v[10:11]
	v_add_f64 v[82:83], v[82:83], -v[116:117]
	v_add_f64 v[8:9], v[8:9], -v[114:115]
	v_add_f64 v[78:79], v[84:85], v[10:11]
	v_add_f64 v[8:9], v[8:9], v[82:83]
	v_add_f64 v[82:83], v[78:79], -v[84:85]
	v_add_f64 v[10:11], v[10:11], -v[82:83]
	v_add_f64 v[8:9], v[8:9], v[10:11]
	v_add_f64 v[8:9], v[78:79], v[8:9]
	v_cmp_class_f64_e64 vcc, v[6:7], s10
	v_cndmask_b32_e32 v8, v8, v6, vcc
	v_cndmask_b32_e32 v9, v9, v7, vcc
	v_cmp_ngt_f64_e32 vcc, 0, v[6:7]
	v_cndmask_b32_e32 v9, v89, v9, vcc
	v_cmp_nge_f64_e32 vcc, 0, v[6:7]
	v_cndmask_b32_e32 v8, 0, v8, vcc
	v_cmp_neq_f64_e32 vcc, 0, v[6:7]
	v_cndmask_b32_e32 v9, v90, v9, vcc
	v_add_f64 v[6:7], v[8:9], -v[4:5]
	v_frexp_mant_f64_e32 v[8:9], v[74:75]
	v_cmp_gt_f64_e32 vcc, s[28:29], v[8:9]
	v_cndmask_b32_e64 v73, v88, 2.0, vcc
	v_frexp_exp_i32_f64_e32 v10, v[74:75]
	v_mul_f64 v[8:9], v[8:9], v[72:73]
	v_subbrev_co_u32_e32 v73, vcc, 0, v10, vcc
	v_add_f64 v[10:11], v[8:9], 1.0
	v_rcp_f64_e32 v[78:79], v[10:11]
	v_add_f64 v[84:85], v[10:11], -1.0
	v_add_f64 v[82:83], v[8:9], -1.0
	v_add_f64 v[8:9], v[8:9], -v[84:85]
	v_fma_f64 v[84:85], -v[10:11], v[78:79], 1.0
	v_fmac_f64_e32 v[78:79], v[84:85], v[78:79]
	v_fma_f64 v[84:85], -v[10:11], v[78:79], 1.0
	v_fmac_f64_e32 v[78:79], v[84:85], v[78:79]
	v_mul_f64 v[84:85], v[82:83], v[78:79]
	v_mul_f64 v[114:115], v[10:11], v[84:85]
	v_fma_f64 v[10:11], v[84:85], v[10:11], -v[114:115]
	v_fmac_f64_e32 v[10:11], v[84:85], v[8:9]
	v_add_f64 v[8:9], v[114:115], v[10:11]
	v_add_f64 v[116:117], v[82:83], -v[8:9]
	v_add_f64 v[114:115], v[8:9], -v[114:115]
	;; [unrolled: 1-line block ×5, first 2 shown]
	v_add_f64 v[8:9], v[10:11], v[8:9]
	v_add_f64 v[8:9], v[116:117], v[8:9]
	v_mul_f64 v[8:9], v[78:79], v[8:9]
	v_add_f64 v[10:11], v[84:85], v[8:9]
	v_add_f64 v[78:79], v[10:11], -v[84:85]
	v_add_f64 v[8:9], v[8:9], -v[78:79]
	v_mul_f64 v[78:79], v[10:11], v[10:11]
	v_fma_f64 v[82:83], s[34:35], v[78:79], v[80:81]
	v_fma_f64 v[82:83], v[78:79], v[82:83], s[36:37]
	;; [unrolled: 1-line block ×6, first 2 shown]
	v_ldexp_f64 v[84:85], v[10:11], 1
	v_mul_f64 v[10:11], v[10:11], v[78:79]
	v_mul_f64 v[10:11], v[10:11], v[82:83]
	v_add_f64 v[78:79], v[84:85], v[10:11]
	v_add_f64 v[82:83], v[78:79], -v[84:85]
	v_ldexp_f64 v[8:9], v[8:9], 1
	v_add_f64 v[10:11], v[10:11], -v[82:83]
	v_add_f64 v[8:9], v[8:9], v[10:11]
	v_add_f64 v[10:11], v[78:79], v[8:9]
	v_add_f64 v[78:79], v[10:11], -v[78:79]
	v_add_f64 v[8:9], v[8:9], -v[78:79]
	v_cvt_f64_i32_e32 v[78:79], v73
	v_mul_f64 v[82:83], v[78:79], s[46:47]
	v_fma_f64 v[84:85], v[78:79], s[46:47], -v[82:83]
	v_fmac_f64_e32 v[84:85], s[48:49], v[78:79]
	v_add_f64 v[78:79], v[82:83], v[84:85]
	v_add_f64 v[82:83], v[78:79], -v[82:83]
	v_add_f64 v[82:83], v[84:85], -v[82:83]
	v_add_f64 v[84:85], v[78:79], v[10:11]
	v_add_f64 v[114:115], v[84:85], -v[78:79]
	v_add_f64 v[116:117], v[84:85], -v[114:115]
	;; [unrolled: 1-line block ×4, first 2 shown]
	v_add_f64 v[10:11], v[10:11], v[78:79]
	v_add_f64 v[78:79], v[82:83], v[8:9]
	v_add_f64 v[114:115], v[78:79], -v[82:83]
	v_add_f64 v[116:117], v[78:79], -v[114:115]
	v_add_f64 v[10:11], v[78:79], v[10:11]
	v_add_f64 v[82:83], v[82:83], -v[116:117]
	v_add_f64 v[8:9], v[8:9], -v[114:115]
	v_add_f64 v[78:79], v[84:85], v[10:11]
	v_add_f64 v[8:9], v[8:9], v[82:83]
	v_add_f64 v[82:83], v[78:79], -v[84:85]
	v_add_f64 v[10:11], v[10:11], -v[82:83]
	s_mov_b32 s0, 0
	v_add_f64 v[8:9], v[8:9], v[10:11]
	s_mov_b32 s1, 0x7ff00000
	v_add_f64 v[8:9], v[78:79], v[8:9]
	v_cmp_eq_f64_e32 vcc, s[0:1], v[74:75]
	v_cndmask_b32_e32 v8, v8, v74, vcc
	v_cndmask_b32_e32 v9, v9, v75, vcc
	v_cmp_neq_f64_e32 vcc, 0, v[74:75]
	v_cndmask_b32_e32 v9, v90, v9, vcc
	v_cndmask_b32_e32 v8, 0, v8, vcc
	v_mul_f64 v[76:77], v[74:75], v[4:5]
	v_add_f64 v[78:79], v[6:7], -v[8:9]
	v_frexp_exp_i32_f64_e32 v6, v[4:5]
	v_frexp_mant_f64_e32 v[4:5], v[4:5]
	v_cmp_gt_f64_e32 vcc, s[28:29], v[4:5]
	v_cndmask_b32_e64 v73, v88, 2.0, vcc
	v_mul_f64 v[4:5], v[4:5], v[72:73]
	v_subbrev_co_u32_e32 v73, vcc, 0, v6, vcc
	v_add_f64 v[6:7], v[4:5], 1.0
	v_rcp_f64_e32 v[8:9], v[6:7]
	v_add_f64 v[82:83], v[6:7], -1.0
	v_add_f64 v[10:11], v[4:5], -1.0
	v_add_f64 v[4:5], v[4:5], -v[82:83]
	v_fma_f64 v[82:83], -v[6:7], v[8:9], 1.0
	v_fmac_f64_e32 v[8:9], v[82:83], v[8:9]
	v_fma_f64 v[82:83], -v[6:7], v[8:9], 1.0
	v_fmac_f64_e32 v[8:9], v[82:83], v[8:9]
	v_mul_f64 v[82:83], v[10:11], v[8:9]
	v_mul_f64 v[84:85], v[6:7], v[82:83]
	v_fma_f64 v[6:7], v[82:83], v[6:7], -v[84:85]
	v_fmac_f64_e32 v[6:7], v[82:83], v[4:5]
	v_add_f64 v[4:5], v[84:85], v[6:7]
	v_add_f64 v[114:115], v[10:11], -v[4:5]
	v_add_f64 v[84:85], v[4:5], -v[84:85]
	v_add_f64 v[10:11], v[10:11], -v[114:115]
	v_add_f64 v[4:5], v[10:11], -v[4:5]
	v_add_f64 v[6:7], v[84:85], -v[6:7]
	v_add_f64 v[4:5], v[6:7], v[4:5]
	v_add_f64 v[4:5], v[114:115], v[4:5]
	v_mul_f64 v[4:5], v[8:9], v[4:5]
	v_add_f64 v[6:7], v[82:83], v[4:5]
	v_add_f64 v[8:9], v[6:7], -v[82:83]
	v_add_f64 v[4:5], v[4:5], -v[8:9]
	v_mul_f64 v[8:9], v[6:7], v[6:7]
	v_fmac_f64_e32 v[80:81], s[34:35], v[8:9]
	v_fma_f64 v[10:11], v[8:9], v[80:81], s[36:37]
	v_fma_f64 v[10:11], v[8:9], v[10:11], s[38:39]
	;; [unrolled: 1-line block ×5, first 2 shown]
	v_ldexp_f64 v[80:81], v[6:7], 1
	v_mul_f64 v[6:7], v[6:7], v[8:9]
	v_mul_f64 v[6:7], v[6:7], v[10:11]
	v_add_f64 v[8:9], v[80:81], v[6:7]
	v_add_f64 v[10:11], v[8:9], -v[80:81]
	v_ldexp_f64 v[4:5], v[4:5], 1
	v_add_f64 v[6:7], v[6:7], -v[10:11]
	v_add_f64 v[4:5], v[4:5], v[6:7]
	v_add_f64 v[6:7], v[8:9], v[4:5]
	v_add_f64 v[8:9], v[6:7], -v[8:9]
	v_add_f64 v[4:5], v[4:5], -v[8:9]
	v_cvt_f64_i32_e32 v[8:9], v73
	v_mul_f64 v[10:11], v[8:9], s[46:47]
	v_fma_f64 v[80:81], v[8:9], s[46:47], -v[10:11]
	v_fmac_f64_e32 v[80:81], s[48:49], v[8:9]
	v_add_f64 v[8:9], v[10:11], v[80:81]
	v_add_f64 v[10:11], v[8:9], -v[10:11]
	v_add_f64 v[10:11], v[80:81], -v[10:11]
	v_add_f64 v[80:81], v[8:9], v[6:7]
	v_add_f64 v[82:83], v[80:81], -v[8:9]
	v_add_f64 v[84:85], v[80:81], -v[82:83]
	v_add_f64 v[8:9], v[8:9], -v[84:85]
	v_add_f64 v[6:7], v[6:7], -v[82:83]
	v_add_f64 v[6:7], v[6:7], v[8:9]
	v_add_f64 v[8:9], v[10:11], v[4:5]
	v_add_f64 v[82:83], v[8:9], -v[10:11]
	v_add_f64 v[84:85], v[8:9], -v[82:83]
	v_add_f64 v[6:7], v[8:9], v[6:7]
	v_add_f64 v[10:11], v[10:11], -v[84:85]
	v_add_f64 v[4:5], v[4:5], -v[82:83]
	v_add_f64 v[8:9], v[80:81], v[6:7]
	v_add_f64 v[4:5], v[4:5], v[10:11]
	v_add_f64 v[10:11], v[8:9], -v[80:81]
	v_add_f64 v[6:7], v[6:7], -v[10:11]
	v_add_f64 v[4:5], v[4:5], v[6:7]
	v_add_f64 v[80:81], v[8:9], v[4:5]
	s_mov_b64 s[14:15], 0
	s_mov_b64 s[0:1], 0
	v_mov_b32_e32 v113, v17
                                        ; implicit-def: $vgpr73
.LBB68_12:                              ;   Parent Loop BB68_6 Depth=1
                                        ; =>  This Inner Loop Header: Depth=2
	v_add_u32_e32 v114, 1, v15
	v_pk_mov_b32 v[10:11], v[2:3], v[2:3] op_sel:[0,1]
	v_cmp_eq_u32_e32 vcc, 4, v114
	v_pk_mov_b32 v[8:9], v[0:1], v[0:1] op_sel:[0,1]
	v_mov_b32_e32 v85, v0
	v_mov_b32_e32 v84, v1
	;; [unrolled: 1-line block ×4, first 2 shown]
	s_and_saveexec_b64 s[4:5], vcc
	s_cbranch_execz .LBB68_14
; %bb.13:                               ;   in Loop: Header=BB68_12 Depth=2
	v_add_co_u32_e32 v94, vcc, 1, v94
	v_cndmask_b32_e64 v4, 0, 1, vcc
	v_addc_co_u32_e32 v95, vcc, 0, v95, vcc
	v_cmp_eq_u32_e32 vcc, 0, v95
	v_cndmask_b32_e32 v4, 0, v4, vcc
	v_add_u32_e32 v113, v4, v113
	v_cmp_eq_u32_e32 vcc, 0, v113
	v_cndmask_b32_e32 v4, 0, v4, vcc
	v_add_u32_e32 v72, v4, v72
	v_mad_u64_u32 v[4:5], s[8:9], v94, s33, 0
	v_mad_u64_u32 v[6:7], s[8:9], v113, s11, 0
	v_xor_b32_e32 v5, v5, v71
	v_xor_b32_e32 v7, v7, v70
	v_xor_b32_e32 v5, v72, v5
	v_xor_b32_e32 v7, v95, v7
	v_mad_u64_u32 v[10:11], s[8:9], v5, s11, 0
	v_mad_u64_u32 v[8:9], s[8:9], v7, s33, 0
	v_xor_b32_e32 v5, v96, v11
	v_xor_b32_e32 v5, v5, v6
	v_xor_b32_e32 v6, v97, v9
	v_xor_b32_e32 v6, v6, v4
	v_mad_u64_u32 v[4:5], s[8:9], v5, s33, 0
	v_mad_u64_u32 v[6:7], s[8:9], v6, s11, 0
	v_xor_b32_e32 v5, v99, v5
	v_xor_b32_e32 v7, v98, v7
	v_xor_b32_e32 v5, v5, v8
	v_xor_b32_e32 v7, v7, v10
	v_mad_u64_u32 v[10:11], s[8:9], v5, s11, 0
	v_mad_u64_u32 v[8:9], s[8:9], v7, s33, 0
	v_xor_b32_e32 v5, v101, v11
	v_xor_b32_e32 v5, v5, v6
	v_xor_b32_e32 v6, v102, v9
	v_xor_b32_e32 v6, v6, v4
	v_mad_u64_u32 v[4:5], s[8:9], v5, s33, 0
	v_mad_u64_u32 v[6:7], s[8:9], v6, s11, 0
	v_xor_b32_e32 v5, v105, v5
	v_xor_b32_e32 v7, v104, v7
	v_xor_b32_e32 v5, v5, v8
	v_xor_b32_e32 v7, v7, v10
	v_mad_u64_u32 v[10:11], s[8:9], v5, s11, 0
	v_mad_u64_u32 v[8:9], s[8:9], v7, s33, 0
	v_xor_b32_e32 v5, v106, v11
	v_xor_b32_e32 v5, v5, v6
	v_xor_b32_e32 v6, v107, v9
	v_xor_b32_e32 v6, v6, v4
	v_mad_u64_u32 v[4:5], s[8:9], v5, s33, 0
	v_mad_u64_u32 v[6:7], s[8:9], v6, s11, 0
	v_xor_b32_e32 v5, v109, v5
	v_xor_b32_e32 v7, v108, v7
	v_xor_b32_e32 v5, v5, v8
	v_xor_b32_e32 v7, v7, v10
	v_mad_u64_u32 v[10:11], s[8:9], v5, s11, 0
	v_mad_u64_u32 v[8:9], s[8:9], v7, s33, 0
	v_xor_b32_e32 v5, v110, v11
	v_xor_b32_e32 v5, v5, v6
	v_xor_b32_e32 v6, v111, v9
	v_xor_b32_e32 v6, v6, v4
	v_mad_u64_u32 v[4:5], s[8:9], v5, s33, 0
	v_mad_u64_u32 v[6:7], s[8:9], v6, s11, 0
	v_xor_b32_e32 v7, v100, v7
	v_xor_b32_e32 v5, v112, v5
	v_xor_b32_e32 v7, v7, v10
	v_xor_b32_e32 v5, v5, v8
	v_mad_u64_u32 v[82:83], s[8:9], v7, s33, 0
	v_mad_u64_u32 v[84:85], s[8:9], v5, s11, 0
	v_xor_b32_e32 v5, v85, v6
	v_xor_b32_e32 v4, v83, v4
	v_xor_b32_e32 v8, v103, v5
	v_xor_b32_e32 v10, v93, v4
	v_mov_b32_e32 v114, 0
	v_mov_b32_e32 v9, v84
	;; [unrolled: 1-line block ×5, first 2 shown]
.LBB68_14:                              ;   in Loop: Header=BB68_12 Depth=2
	s_or_b64 exec, exec, s[4:5]
	v_add_u32_e32 v115, 1, v114
	v_pk_mov_b32 v[4:5], v[8:9], v[8:9] op_sel:[0,1]
	v_cmp_eq_u32_e32 vcc, 4, v115
	v_pk_mov_b32 v[6:7], v[10:11], v[10:11] op_sel:[0,1]
	s_and_saveexec_b64 s[4:5], vcc
	s_cbranch_execz .LBB68_16
; %bb.15:                               ;   in Loop: Header=BB68_12 Depth=2
	v_add_co_u32_e32 v94, vcc, 1, v94
	v_cndmask_b32_e64 v4, 0, 1, vcc
	v_addc_co_u32_e32 v95, vcc, 0, v95, vcc
	v_cmp_eq_u32_e32 vcc, 0, v95
	v_cndmask_b32_e32 v4, 0, v4, vcc
	v_add_u32_e32 v113, v4, v113
	v_cmp_eq_u32_e32 vcc, 0, v113
	v_cndmask_b32_e32 v4, 0, v4, vcc
	v_add_u32_e32 v72, v4, v72
	v_mad_u64_u32 v[4:5], s[8:9], v94, s33, 0
	v_mad_u64_u32 v[6:7], s[8:9], v113, s11, 0
	v_xor_b32_e32 v5, v5, v71
	v_xor_b32_e32 v7, v7, v70
	v_xor_b32_e32 v5, v72, v5
	v_xor_b32_e32 v7, v95, v7
	v_mad_u64_u32 v[84:85], s[8:9], v5, s11, 0
	v_mad_u64_u32 v[82:83], s[8:9], v7, s33, 0
	v_xor_b32_e32 v5, v96, v85
	v_xor_b32_e32 v5, v5, v6
	v_xor_b32_e32 v6, v97, v83
	v_xor_b32_e32 v6, v6, v4
	;; [unrolled: 6-line block ×10, first 2 shown]
	v_mov_b32_e32 v115, 0
	v_mov_b32_e32 v5, v84
	;; [unrolled: 1-line block ×5, first 2 shown]
.LBB68_16:                              ;   in Loop: Header=BB68_12 Depth=2
	s_or_b64 exec, exec, s[4:5]
	v_cmp_eq_u32_e32 vcc, 1, v15
	v_cndmask_b32_e32 v0, v0, v1, vcc
	v_cmp_eq_u32_e32 vcc, 2, v15
	v_cndmask_b32_e32 v0, v0, v2, vcc
	;; [unrolled: 2-line block ×6, first 2 shown]
	v_lshrrev_b32_e32 v0, 11, v0
	v_cvt_f64_u32_e32 v[0:1], v0
	v_ldexp_f64 v[0:1], v[0:1], 32
	v_cvt_f64_u32_e32 v[2:3], v2
	v_add_f64 v[0:1], v[0:1], v[2:3]
	v_mov_b32_e32 v2, 0
	v_mov_b32_e32 v3, 0x3ca00000
	v_fmac_f64_e32 v[2:3], 0x3ca00000, v[0:1]
	v_add_f64 v[0:1], -v[2:3], 1.0
	v_div_scale_f64 v[8:9], s[4:5], v[2:3], v[2:3], v[0:1]
	v_rcp_f64_e32 v[10:11], v[8:9]
	v_fma_f64 v[116:117], -v[8:9], v[10:11], 1.0
	v_fmac_f64_e32 v[10:11], v[10:11], v[116:117]
	v_fma_f64 v[116:117], -v[8:9], v[10:11], 1.0
	v_fmac_f64_e32 v[10:11], v[10:11], v[116:117]
	v_div_scale_f64 v[116:117], vcc, v[0:1], v[2:3], v[0:1]
	v_mul_f64 v[118:119], v[116:117], v[10:11]
	v_fma_f64 v[8:9], -v[8:9], v[118:119], v[116:117]
	s_nop 1
	v_div_fmas_f64 v[8:9], v[8:9], v[10:11], v[118:119]
	v_div_fixup_f64 v[0:1], v[8:9], v[2:3], v[0:1]
	v_frexp_mant_f64_e32 v[2:3], v[0:1]
	v_cmp_gt_f64_e32 vcc, s[28:29], v[2:3]
	v_cndmask_b32_e64 v15, v88, 2.0, vcc
	v_frexp_exp_i32_f64_e32 v8, v[0:1]
	v_mul_f64 v[2:3], v[2:3], v[14:15]
	v_subbrev_co_u32_e32 v15, vcc, 0, v8, vcc
	v_add_f64 v[8:9], v[2:3], 1.0
	v_rcp_f64_e32 v[10:11], v[8:9]
	v_add_f64 v[118:119], v[8:9], -1.0
	v_add_f64 v[116:117], v[2:3], -1.0
	v_add_f64 v[2:3], v[2:3], -v[118:119]
	v_fma_f64 v[118:119], -v[8:9], v[10:11], 1.0
	v_fmac_f64_e32 v[10:11], v[118:119], v[10:11]
	v_fma_f64 v[118:119], -v[8:9], v[10:11], 1.0
	v_fmac_f64_e32 v[10:11], v[118:119], v[10:11]
	v_mul_f64 v[118:119], v[116:117], v[10:11]
	v_mul_f64 v[120:121], v[8:9], v[118:119]
	v_fma_f64 v[8:9], v[118:119], v[8:9], -v[120:121]
	v_fmac_f64_e32 v[8:9], v[118:119], v[2:3]
	v_add_f64 v[2:3], v[120:121], v[8:9]
	v_add_f64 v[122:123], v[116:117], -v[2:3]
	v_add_f64 v[120:121], v[2:3], -v[120:121]
	;; [unrolled: 1-line block ×5, first 2 shown]
	v_add_f64 v[2:3], v[8:9], v[2:3]
	v_add_f64 v[2:3], v[122:123], v[2:3]
	v_mul_f64 v[2:3], v[10:11], v[2:3]
	v_add_f64 v[8:9], v[118:119], v[2:3]
	v_add_f64 v[10:11], v[8:9], -v[118:119]
	v_add_f64 v[2:3], v[2:3], -v[10:11]
	v_mul_f64 v[10:11], v[8:9], v[8:9]
	v_pk_mov_b32 v[116:117], v[18:19], v[18:19] op_sel:[0,1]
	v_fmac_f64_e32 v[116:117], s[34:35], v[10:11]
	v_pk_mov_b32 v[118:119], v[20:21], v[20:21] op_sel:[0,1]
	v_fmac_f64_e32 v[118:119], v[10:11], v[116:117]
	;; [unrolled: 2-line block ×6, first 2 shown]
	v_ldexp_f64 v[116:117], v[8:9], 1
	v_mul_f64 v[8:9], v[8:9], v[10:11]
	v_mul_f64 v[8:9], v[8:9], v[118:119]
	v_add_f64 v[10:11], v[116:117], v[8:9]
	v_add_f64 v[116:117], v[10:11], -v[116:117]
	v_ldexp_f64 v[2:3], v[2:3], 1
	v_add_f64 v[8:9], v[8:9], -v[116:117]
	v_add_f64 v[2:3], v[2:3], v[8:9]
	v_add_f64 v[8:9], v[10:11], v[2:3]
	v_add_f64 v[10:11], v[8:9], -v[10:11]
	v_add_f64 v[2:3], v[2:3], -v[10:11]
	v_cvt_f64_i32_e32 v[10:11], v15
	v_mul_f64 v[116:117], v[10:11], s[46:47]
	v_fma_f64 v[118:119], v[10:11], s[46:47], -v[116:117]
	v_fmac_f64_e32 v[118:119], s[48:49], v[10:11]
	v_add_f64 v[10:11], v[116:117], v[118:119]
	v_add_f64 v[116:117], v[10:11], -v[116:117]
	v_add_f64 v[116:117], v[118:119], -v[116:117]
	v_add_f64 v[118:119], v[10:11], v[8:9]
	v_add_f64 v[120:121], v[118:119], -v[10:11]
	v_add_f64 v[122:123], v[118:119], -v[120:121]
	;; [unrolled: 1-line block ×4, first 2 shown]
	v_add_f64 v[8:9], v[8:9], v[10:11]
	v_add_f64 v[10:11], v[116:117], v[2:3]
	v_add_f64 v[120:121], v[10:11], -v[116:117]
	v_add_f64 v[122:123], v[10:11], -v[120:121]
	v_add_f64 v[8:9], v[10:11], v[8:9]
	v_add_f64 v[116:117], v[116:117], -v[122:123]
	v_add_f64 v[2:3], v[2:3], -v[120:121]
	v_add_f64 v[10:11], v[118:119], v[8:9]
	v_add_f64 v[2:3], v[2:3], v[116:117]
	v_add_f64 v[116:117], v[10:11], -v[118:119]
	v_add_f64 v[8:9], v[8:9], -v[116:117]
	v_add_f64 v[2:3], v[2:3], v[8:9]
	v_add_f64 v[2:3], v[10:11], v[2:3]
	v_cmp_class_f64_e64 vcc, v[0:1], s10
	v_cndmask_b32_e32 v2, v2, v0, vcc
	v_cndmask_b32_e32 v3, v3, v1, vcc
	v_cmp_ngt_f64_e32 vcc, 0, v[0:1]
	v_cndmask_b32_e32 v3, v89, v3, vcc
	v_cmp_nge_f64_e32 vcc, 0, v[0:1]
	v_cndmask_b32_e32 v2, 0, v2, vcc
	v_cmp_neq_f64_e32 vcc, 0, v[0:1]
	v_cndmask_b32_e32 v3, v90, v3, vcc
	v_add_f64 v[0:1], v[76:77], -v[2:3]
	v_div_scale_f64 v[2:3], s[4:5], v[74:75], v[74:75], v[0:1]
	v_rcp_f64_e32 v[8:9], v[2:3]
	v_fma_f64 v[10:11], -v[2:3], v[8:9], 1.0
	v_fmac_f64_e32 v[8:9], v[8:9], v[10:11]
	v_fma_f64 v[10:11], -v[2:3], v[8:9], 1.0
	v_fmac_f64_e32 v[8:9], v[8:9], v[10:11]
	v_div_scale_f64 v[10:11], vcc, v[0:1], v[74:75], v[0:1]
	v_mul_f64 v[116:117], v[10:11], v[8:9]
	v_fma_f64 v[2:3], -v[2:3], v[116:117], v[10:11]
	s_nop 1
	v_div_fmas_f64 v[2:3], v[2:3], v[8:9], v[116:117]
	v_div_fixup_f64 v[10:11], v[2:3], v[74:75], v[0:1]
	v_add_f64 v[0:1], v[10:11], 0.5
	v_floor_f64_e32 v[8:9], v[0:1]
	v_cmp_ngt_f64_e32 vcc, 0, v[8:9]
	v_mov_b32_e32 v116, 2
	s_and_saveexec_b64 s[8:9], vcc
	s_cbranch_execz .LBB68_22
; %bb.17:                               ;   in Loop: Header=BB68_12 Depth=2
	v_add_u32_e32 v15, 1, v115
	v_pk_mov_b32 v[0:1], v[4:5], v[4:5] op_sel:[0,1]
	v_cmp_eq_u32_e32 vcc, 4, v15
	v_pk_mov_b32 v[2:3], v[6:7], v[6:7] op_sel:[0,1]
	s_and_saveexec_b64 s[4:5], vcc
	s_cbranch_execz .LBB68_19
; %bb.18:                               ;   in Loop: Header=BB68_12 Depth=2
	v_add_co_u32_e32 v94, vcc, 1, v94
	v_cndmask_b32_e64 v0, 0, 1, vcc
	v_addc_co_u32_e32 v95, vcc, 0, v95, vcc
	v_cmp_eq_u32_e32 vcc, 0, v95
	v_cndmask_b32_e32 v0, 0, v0, vcc
	v_add_u32_e32 v113, v0, v113
	v_cmp_eq_u32_e32 vcc, 0, v113
	v_cndmask_b32_e32 v0, 0, v0, vcc
	v_add_u32_e32 v72, v0, v72
	v_mad_u64_u32 v[0:1], vcc, v94, s33, 0
	v_mad_u64_u32 v[2:3], vcc, v113, s11, 0
	v_xor_b32_e32 v1, v1, v71
	v_xor_b32_e32 v3, v3, v70
	v_xor_b32_e32 v1, v72, v1
	v_xor_b32_e32 v3, v95, v3
	v_mad_u64_u32 v[84:85], vcc, v1, s11, 0
	v_mad_u64_u32 v[82:83], vcc, v3, s33, 0
	v_xor_b32_e32 v1, v96, v85
	v_xor_b32_e32 v1, v1, v2
	v_xor_b32_e32 v2, v97, v83
	v_xor_b32_e32 v2, v2, v0
	;; [unrolled: 6-line block ×10, first 2 shown]
	v_mov_b32_e32 v15, 0
	v_mov_b32_e32 v1, v84
	;; [unrolled: 1-line block ×5, first 2 shown]
.LBB68_19:                              ;   in Loop: Header=BB68_12 Depth=2
	s_or_b64 exec, exec, s[4:5]
	v_add_u32_e32 v114, 1, v15
	v_cmp_eq_u32_e32 vcc, 4, v114
	s_and_saveexec_b64 s[4:5], vcc
	s_cbranch_execz .LBB68_21
; %bb.20:                               ;   in Loop: Header=BB68_12 Depth=2
	v_add_co_u32_e32 v94, vcc, 1, v94
	v_cndmask_b32_e64 v82, 0, 1, vcc
	v_addc_co_u32_e32 v95, vcc, 0, v95, vcc
	v_cmp_eq_u32_e32 vcc, 0, v95
	v_cndmask_b32_e32 v82, 0, v82, vcc
	v_add_u32_e32 v113, v82, v113
	v_cmp_eq_u32_e32 vcc, 0, v113
	v_cndmask_b32_e32 v82, 0, v82, vcc
	v_add_u32_e32 v72, v82, v72
	v_mad_u64_u32 v[82:83], vcc, v94, s33, 0
	v_mad_u64_u32 v[84:85], vcc, v113, s11, 0
	v_xor_b32_e32 v83, v83, v71
	v_xor_b32_e32 v85, v85, v70
	v_xor_b32_e32 v83, v72, v83
	v_xor_b32_e32 v85, v95, v85
	v_mad_u64_u32 v[118:119], vcc, v83, s11, 0
	v_mad_u64_u32 v[116:117], vcc, v85, s33, 0
	v_xor_b32_e32 v83, v96, v119
	v_xor_b32_e32 v83, v83, v84
	v_xor_b32_e32 v84, v97, v117
	v_xor_b32_e32 v84, v84, v82
	;; [unrolled: 6-line block ×9, first 2 shown]
	v_mad_u64_u32 v[82:83], vcc, v82, s33, 0
	v_mad_u64_u32 v[84:85], vcc, v84, s11, 0
	v_xor_b32_e32 v85, v85, v122
	v_xor_b32_e32 v83, v83, v120
	v_mov_b32_e32 v114, 0
	v_xor_b32_e32 v85, v103, v85
	v_xor_b32_e32 v83, v93, v83
.LBB68_21:                              ;   in Loop: Header=BB68_12 Depth=2
	s_or_b64 exec, exec, s[4:5]
	v_cmp_eq_u32_e32 vcc, 1, v115
	v_cndmask_b32_e32 v4, v4, v5, vcc
	v_cmp_eq_u32_e32 vcc, 2, v115
	v_cndmask_b32_e32 v4, v4, v6, vcc
	;; [unrolled: 2-line block ×6, first 2 shown]
	v_lshrrev_b32_e32 v0, 11, v0
	v_cvt_f64_u32_e32 v[0:1], v0
	v_ldexp_f64 v[0:1], v[0:1], 32
	v_cvt_f64_u32_e32 v[2:3], v4
	v_add_f64 v[0:1], v[0:1], v[2:3]
	v_mov_b32_e32 v2, 0
	v_mov_b32_e32 v3, 0x3ca00000
	v_fma_f64 v[4:5], -v[74:75], v[10:11], v[76:77]
	v_fmac_f64_e32 v[2:3], 0x3ca00000, v[0:1]
	v_mul_f64 v[0:1], v[4:5], s[52:53]
	v_rndne_f64_e32 v[0:1], v[0:1]
	s_mov_b32 s54, s46
	v_fma_f64 v[6:7], s[54:55], v[0:1], v[4:5]
	s_mov_b32 s56, s48
	v_fmac_f64_e32 v[6:7], s[56:57], v[0:1]
	v_pk_mov_b32 v[10:11], v[30:31], v[30:31] op_sel:[0,1]
	v_fmac_f64_e32 v[10:11], s[58:59], v[6:7]
	v_pk_mov_b32 v[116:117], v[32:33], v[32:33] op_sel:[0,1]
	;; [unrolled: 2-line block ×9, first 2 shown]
	v_fmac_f64_e32 v[10:11], v[6:7], v[116:117]
	v_fma_f64 v[10:11], v[6:7], v[10:11], 1.0
	v_fma_f64 v[6:7], v[6:7], v[10:11], 1.0
	v_cvt_i32_f64_e32 v0, v[0:1]
	v_ldexp_f64 v[0:1], v[6:7], v0
	v_add_f64 v[0:1], v[0:1], 1.0
	v_cmp_nlt_f64_e32 vcc, s[60:61], v[4:5]
	v_cmp_ngt_f64_e64 s[4:5], s[62:63], v[4:5]
	v_cndmask_b32_e32 v1, v91, v1, vcc
	s_and_b64 vcc, s[4:5], vcc
	v_cndmask_b32_e64 v1, v88, v1, s[4:5]
	v_cndmask_b32_e32 v0, 0, v0, vcc
	v_mul_f64 v[0:1], v[0:1], v[0:1]
	v_div_scale_f64 v[6:7], s[4:5], v[0:1], v[0:1], v[2:3]
	v_rcp_f64_e32 v[10:11], v[6:7]
	s_mov_b32 s45, s29
	v_fma_f64 v[116:117], -v[6:7], v[10:11], 1.0
	v_fmac_f64_e32 v[10:11], v[10:11], v[116:117]
	v_fma_f64 v[116:117], -v[6:7], v[10:11], 1.0
	v_fmac_f64_e32 v[10:11], v[10:11], v[116:117]
	v_div_scale_f64 v[116:117], vcc, v[2:3], v[0:1], v[2:3]
	v_mul_f64 v[118:119], v[116:117], v[10:11]
	v_fma_f64 v[6:7], -v[6:7], v[118:119], v[116:117]
	s_nop 1
	v_div_fmas_f64 v[6:7], v[6:7], v[10:11], v[118:119]
	v_div_fixup_f64 v[2:3], v[6:7], v[0:1], v[2:3]
	v_frexp_mant_f64_e32 v[0:1], v[2:3]
	v_cmp_gt_f64_e32 vcc, s[28:29], v[0:1]
	v_cndmask_b32_e64 v15, v88, 2.0, vcc
	v_frexp_exp_i32_f64_e32 v6, v[2:3]
	v_mul_f64 v[0:1], v[0:1], v[14:15]
	v_subbrev_co_u32_e32 v15, vcc, 0, v6, vcc
	v_add_f64 v[6:7], v[0:1], 1.0
	v_rcp_f64_e32 v[10:11], v[6:7]
	v_add_f64 v[118:119], v[6:7], -1.0
	v_add_f64 v[116:117], v[0:1], -1.0
	v_add_f64 v[0:1], v[0:1], -v[118:119]
	v_fma_f64 v[118:119], -v[6:7], v[10:11], 1.0
	v_fmac_f64_e32 v[10:11], v[118:119], v[10:11]
	v_fma_f64 v[118:119], -v[6:7], v[10:11], 1.0
	v_fmac_f64_e32 v[10:11], v[118:119], v[10:11]
	v_mul_f64 v[118:119], v[116:117], v[10:11]
	v_mul_f64 v[120:121], v[6:7], v[118:119]
	v_fma_f64 v[6:7], v[118:119], v[6:7], -v[120:121]
	v_fmac_f64_e32 v[6:7], v[118:119], v[0:1]
	v_add_f64 v[0:1], v[120:121], v[6:7]
	v_add_f64 v[122:123], v[116:117], -v[0:1]
	v_add_f64 v[120:121], v[0:1], -v[120:121]
	;; [unrolled: 1-line block ×5, first 2 shown]
	v_add_f64 v[0:1], v[6:7], v[0:1]
	v_add_f64 v[0:1], v[122:123], v[0:1]
	v_mul_f64 v[0:1], v[10:11], v[0:1]
	v_add_f64 v[6:7], v[118:119], v[0:1]
	v_add_f64 v[10:11], v[6:7], -v[118:119]
	v_add_f64 v[10:11], v[0:1], -v[10:11]
	v_mul_f64 v[116:117], v[6:7], v[6:7]
	v_pk_mov_b32 v[0:1], s[30:31], s[30:31] op_sel:[0,1]
	v_fma_f64 v[118:119], s[34:35], v[116:117], v[0:1]
	v_fma_f64 v[118:119], v[116:117], v[118:119], s[36:37]
	;; [unrolled: 1-line block ×6, first 2 shown]
	v_ldexp_f64 v[120:121], v[6:7], 1
	v_mul_f64 v[6:7], v[6:7], v[116:117]
	v_mul_f64 v[6:7], v[6:7], v[118:119]
	v_add_f64 v[116:117], v[120:121], v[6:7]
	v_add_f64 v[118:119], v[116:117], -v[120:121]
	v_ldexp_f64 v[10:11], v[10:11], 1
	v_add_f64 v[6:7], v[6:7], -v[118:119]
	v_add_f64 v[6:7], v[10:11], v[6:7]
	v_add_f64 v[10:11], v[116:117], v[6:7]
	v_add_f64 v[116:117], v[10:11], -v[116:117]
	v_add_f64 v[6:7], v[6:7], -v[116:117]
	v_cvt_f64_i32_e32 v[116:117], v15
	v_mul_f64 v[118:119], v[116:117], s[46:47]
	v_fma_f64 v[120:121], v[116:117], s[46:47], -v[118:119]
	v_fmac_f64_e32 v[120:121], s[48:49], v[116:117]
	v_add_f64 v[116:117], v[118:119], v[120:121]
	v_add_f64 v[118:119], v[116:117], -v[118:119]
	v_add_f64 v[118:119], v[120:121], -v[118:119]
	v_add_f64 v[120:121], v[116:117], v[10:11]
	v_add_f64 v[122:123], v[120:121], -v[116:117]
	v_add_f64 v[124:125], v[120:121], -v[122:123]
	;; [unrolled: 1-line block ×4, first 2 shown]
	v_add_f64 v[10:11], v[10:11], v[116:117]
	v_add_f64 v[116:117], v[118:119], v[6:7]
	v_add_f64 v[122:123], v[116:117], -v[118:119]
	v_add_f64 v[124:125], v[116:117], -v[122:123]
	v_add_f64 v[10:11], v[116:117], v[10:11]
	v_add_f64 v[118:119], v[118:119], -v[124:125]
	v_add_f64 v[6:7], v[6:7], -v[122:123]
	v_add_f64 v[116:117], v[120:121], v[10:11]
	v_add_f64 v[6:7], v[6:7], v[118:119]
	v_add_f64 v[118:119], v[116:117], -v[120:121]
	v_add_f64 v[10:11], v[10:11], -v[118:119]
	v_add_f64 v[6:7], v[6:7], v[10:11]
	v_add_f64 v[6:7], v[116:117], v[6:7]
	v_cmp_class_f64_e64 vcc, v[2:3], s10
	v_cndmask_b32_e32 v15, v6, v2, vcc
	v_cndmask_b32_e32 v6, v7, v3, vcc
	v_cmp_neq_f64_e32 vcc, 0, v[2:3]
	v_cndmask_b32_e32 v3, v90, v6, vcc
	v_add_f64 v[6:7], v[8:9], 1.0
	v_add_f64 v[6:7], v[6:7], -1.0
	v_add_f64 v[116:117], v[6:7], s[64:65]
	v_div_scale_f64 v[10:11], s[4:5], v[116:117], v[116:117], s[66:67]
	v_rcp_f64_e32 v[118:119], v[10:11]
	v_cndmask_b32_e32 v2, 0, v15, vcc
	v_add_f64 v[2:3], v[4:5], v[2:3]
	v_fma_f64 v[4:5], v[80:81], v[8:9], v[78:79]
	v_fma_f64 v[120:121], -v[10:11], v[118:119], 1.0
	v_fmac_f64_e32 v[118:119], v[118:119], v[120:121]
	v_fma_f64 v[120:121], -v[10:11], v[118:119], 1.0
	v_fmac_f64_e32 v[118:119], v[118:119], v[120:121]
	v_div_scale_f64 v[120:121], vcc, s[66:67], v[116:117], s[66:67]
	v_mul_f64 v[122:123], v[120:121], v[118:119]
	v_fma_f64 v[120:121], -v[10:11], v[122:123], v[120:121]
	v_add_f64 v[10:11], v[6:7], s[68:69]
	v_div_scale_f64 v[124:125], s[4:5], v[10:11], v[10:11], s[70:71]
	v_rcp_f64_e32 v[126:127], v[124:125]
	v_div_fmas_f64 v[118:119], v[120:121], v[118:119], v[122:123]
	v_div_fixup_f64 v[116:117], v[118:119], v[116:117], s[66:67]
	v_add_f64 v[122:123], v[6:7], s[72:73]
	v_fma_f64 v[118:119], -v[124:125], v[126:127], 1.0
	v_fmac_f64_e32 v[126:127], v[126:127], v[118:119]
	v_fma_f64 v[118:119], -v[124:125], v[126:127], 1.0
	v_fmac_f64_e32 v[126:127], v[126:127], v[118:119]
	v_div_scale_f64 v[118:119], vcc, s[70:71], v[10:11], s[70:71]
	v_mul_f64 v[120:121], v[118:119], v[126:127]
	v_fma_f64 v[118:119], -v[124:125], v[120:121], v[118:119]
	v_div_scale_f64 v[124:125], s[4:5], v[122:123], v[122:123], s[74:75]
	v_rcp_f64_e32 v[128:129], v[124:125]
	v_div_fmas_f64 v[118:119], v[118:119], v[126:127], v[120:121]
	v_add_f64 v[116:117], v[116:117], 0
	v_div_fixup_f64 v[118:119], v[118:119], v[10:11], s[70:71]
	v_add_f64 v[116:117], v[118:119], v[116:117]
	v_fma_f64 v[118:119], -v[124:125], v[128:129], 1.0
	v_fmac_f64_e32 v[128:129], v[128:129], v[118:119]
	v_fma_f64 v[118:119], -v[124:125], v[128:129], 1.0
	v_fmac_f64_e32 v[128:129], v[128:129], v[118:119]
	v_div_scale_f64 v[118:119], vcc, s[74:75], v[122:123], s[74:75]
	v_mul_f64 v[120:121], v[118:119], v[128:129]
	v_fma_f64 v[118:119], -v[124:125], v[120:121], v[118:119]
	v_add_f64 v[124:125], v[6:7], s[76:77]
	v_div_scale_f64 v[126:127], s[4:5], v[124:125], v[124:125], s[78:79]
	v_rcp_f64_e32 v[130:131], v[126:127]
	v_div_fmas_f64 v[118:119], v[118:119], v[128:129], v[120:121]
	v_div_fixup_f64 v[118:119], v[118:119], v[122:123], s[74:75]
	v_add_f64 v[116:117], v[116:117], v[118:119]
	v_fma_f64 v[118:119], -v[126:127], v[130:131], 1.0
	v_fmac_f64_e32 v[130:131], v[130:131], v[118:119]
	v_fma_f64 v[118:119], -v[126:127], v[130:131], 1.0
	v_fmac_f64_e32 v[130:131], v[130:131], v[118:119]
	v_div_scale_f64 v[118:119], vcc, s[78:79], v[124:125], s[78:79]
	v_mul_f64 v[120:121], v[118:119], v[130:131]
	v_add_f64 v[122:123], v[6:7], 4.0
	v_fma_f64 v[118:119], -v[126:127], v[120:121], v[118:119]
	v_div_scale_f64 v[126:127], s[4:5], v[122:123], v[122:123], s[80:81]
	v_rcp_f64_e32 v[128:129], v[126:127]
	v_div_fmas_f64 v[118:119], v[118:119], v[130:131], v[120:121]
	v_div_fixup_f64 v[118:119], v[118:119], v[124:125], s[78:79]
	v_add_f64 v[116:117], v[118:119], v[116:117]
	v_fma_f64 v[118:119], -v[126:127], v[128:129], 1.0
	v_fmac_f64_e32 v[128:129], v[128:129], v[118:119]
	v_fma_f64 v[118:119], -v[126:127], v[128:129], 1.0
	v_fmac_f64_e32 v[128:129], v[128:129], v[118:119]
	v_div_scale_f64 v[118:119], vcc, s[80:81], v[122:123], s[80:81]
	v_mul_f64 v[120:121], v[118:119], v[128:129]
	v_add_f64 v[124:125], v[6:7], s[22:23]
	v_fma_f64 v[118:119], -v[126:127], v[120:121], v[118:119]
	v_div_scale_f64 v[126:127], s[4:5], v[124:125], v[124:125], s[82:83]
	v_rcp_f64_e32 v[130:131], v[126:127]
	v_div_fmas_f64 v[118:119], v[118:119], v[128:129], v[120:121]
	v_div_fixup_f64 v[118:119], v[118:119], v[122:123], s[80:81]
	v_add_f64 v[116:117], v[116:117], v[118:119]
	v_fma_f64 v[118:119], -v[126:127], v[130:131], 1.0
	v_fmac_f64_e32 v[130:131], v[130:131], v[118:119]
	v_fma_f64 v[118:119], -v[126:127], v[130:131], 1.0
	v_fmac_f64_e32 v[130:131], v[130:131], v[118:119]
	v_div_scale_f64 v[118:119], vcc, s[82:83], v[124:125], s[82:83]
	v_mul_f64 v[120:121], v[118:119], v[130:131]
	v_add_f64 v[122:123], v[6:7], 2.0
	v_fma_f64 v[118:119], -v[126:127], v[120:121], v[118:119]
	v_div_scale_f64 v[126:127], s[4:5], v[122:123], v[122:123], s[84:85]
	v_rcp_f64_e32 v[128:129], v[126:127]
	v_div_fmas_f64 v[118:119], v[118:119], v[130:131], v[120:121]
	v_div_fixup_f64 v[118:119], v[118:119], v[124:125], s[82:83]
	v_add_f64 v[116:117], v[118:119], v[116:117]
	v_fma_f64 v[118:119], -v[126:127], v[128:129], 1.0
	v_fmac_f64_e32 v[128:129], v[128:129], v[118:119]
	v_fma_f64 v[118:119], -v[126:127], v[128:129], 1.0
	v_fmac_f64_e32 v[128:129], v[128:129], v[118:119]
	v_div_scale_f64 v[118:119], vcc, s[84:85], v[122:123], s[84:85]
	v_mul_f64 v[120:121], v[118:119], v[128:129]
	v_add_f64 v[124:125], v[6:7], 1.0
	v_fma_f64 v[118:119], -v[126:127], v[120:121], v[118:119]
	v_div_scale_f64 v[126:127], s[4:5], v[124:125], v[124:125], s[86:87]
	v_rcp_f64_e32 v[130:131], v[126:127]
	v_div_fmas_f64 v[118:119], v[118:119], v[128:129], v[120:121]
	v_div_fixup_f64 v[118:119], v[118:119], v[122:123], s[84:85]
	v_add_f64 v[116:117], v[116:117], v[118:119]
	v_fma_f64 v[118:119], -v[126:127], v[130:131], 1.0
	v_fmac_f64_e32 v[130:131], v[130:131], v[118:119]
	v_fma_f64 v[118:119], -v[126:127], v[130:131], 1.0
	v_fmac_f64_e32 v[130:131], v[130:131], v[118:119]
	v_div_scale_f64 v[118:119], vcc, s[86:87], v[124:125], s[86:87]
	v_mul_f64 v[120:121], v[118:119], v[130:131]
	v_fma_f64 v[118:119], -v[126:127], v[120:121], v[118:119]
	v_add_f64 v[10:11], v[10:11], 0.5
	s_nop 0
	v_div_fmas_f64 v[118:119], v[118:119], v[130:131], v[120:121]
	v_div_fixup_f64 v[118:119], v[118:119], v[124:125], s[86:87]
	v_add_f64 v[116:117], v[118:119], v[116:117]
	v_add_f64 v[116:117], v[116:117], s[90:91]
	v_frexp_mant_f64_e32 v[118:119], v[116:117]
	v_cmp_gt_f64_e32 vcc, s[28:29], v[118:119]
	v_cndmask_b32_e64 v15, v88, 2.0, vcc
	v_mul_f64 v[118:119], v[118:119], v[14:15]
	v_add_f64 v[120:121], v[118:119], 1.0
	v_rcp_f64_e32 v[122:123], v[120:121]
	v_add_f64 v[126:127], v[120:121], -1.0
	v_add_f64 v[124:125], v[118:119], -1.0
	v_add_f64 v[118:119], v[118:119], -v[126:127]
	v_fma_f64 v[126:127], -v[120:121], v[122:123], 1.0
	v_fmac_f64_e32 v[122:123], v[126:127], v[122:123]
	v_fma_f64 v[126:127], -v[120:121], v[122:123], 1.0
	v_fmac_f64_e32 v[122:123], v[126:127], v[122:123]
	v_mul_f64 v[126:127], v[124:125], v[122:123]
	v_mul_f64 v[128:129], v[120:121], v[126:127]
	v_fma_f64 v[120:121], v[126:127], v[120:121], -v[128:129]
	v_fmac_f64_e32 v[120:121], v[126:127], v[118:119]
	v_add_f64 v[118:119], v[128:129], v[120:121]
	v_add_f64 v[130:131], v[124:125], -v[118:119]
	v_add_f64 v[128:129], v[118:119], -v[128:129]
	;; [unrolled: 1-line block ×5, first 2 shown]
	v_add_f64 v[118:119], v[120:121], v[118:119]
	v_add_f64 v[118:119], v[130:131], v[118:119]
	v_mul_f64 v[118:119], v[122:123], v[118:119]
	v_add_f64 v[120:121], v[126:127], v[118:119]
	v_add_f64 v[122:123], v[120:121], -v[126:127]
	v_add_f64 v[118:119], v[118:119], -v[122:123]
	v_mul_f64 v[122:123], v[120:121], v[120:121]
	v_fma_f64 v[124:125], s[34:35], v[122:123], v[0:1]
	v_fma_f64 v[124:125], v[122:123], v[124:125], s[36:37]
	v_fma_f64 v[124:125], v[122:123], v[124:125], s[38:39]
	v_fma_f64 v[124:125], v[122:123], v[124:125], s[40:41]
	v_fma_f64 v[124:125], v[122:123], v[124:125], s[42:43]
	v_fma_f64 v[124:125], v[122:123], v[124:125], s[44:45]
	v_ldexp_f64 v[126:127], v[120:121], 1
	v_mul_f64 v[120:121], v[120:121], v[122:123]
	v_mul_f64 v[120:121], v[120:121], v[124:125]
	v_add_f64 v[122:123], v[126:127], v[120:121]
	v_add_f64 v[124:125], v[122:123], -v[126:127]
	v_ldexp_f64 v[118:119], v[118:119], 1
	v_add_f64 v[120:121], v[120:121], -v[124:125]
	v_add_f64 v[118:119], v[118:119], v[120:121]
	v_frexp_exp_i32_f64_e32 v115, v[116:117]
	v_add_f64 v[120:121], v[122:123], v[118:119]
	v_subbrev_co_u32_e32 v15, vcc, 0, v115, vcc
	v_add_f64 v[122:123], v[120:121], -v[122:123]
	v_add_f64 v[118:119], v[118:119], -v[122:123]
	v_cvt_f64_i32_e32 v[122:123], v15
	v_mul_f64 v[124:125], v[122:123], s[46:47]
	v_fma_f64 v[126:127], v[122:123], s[46:47], -v[124:125]
	v_fmac_f64_e32 v[126:127], s[48:49], v[122:123]
	v_add_f64 v[122:123], v[124:125], v[126:127]
	v_add_f64 v[124:125], v[122:123], -v[124:125]
	v_add_f64 v[124:125], v[126:127], -v[124:125]
	v_add_f64 v[126:127], v[122:123], v[120:121]
	v_add_f64 v[128:129], v[126:127], -v[122:123]
	v_add_f64 v[130:131], v[126:127], -v[128:129]
	;; [unrolled: 1-line block ×4, first 2 shown]
	v_add_f64 v[120:121], v[120:121], v[122:123]
	v_add_f64 v[122:123], v[124:125], v[118:119]
	v_add_f64 v[128:129], v[122:123], -v[124:125]
	v_add_f64 v[130:131], v[122:123], -v[128:129]
	v_add_f64 v[120:121], v[122:123], v[120:121]
	v_add_f64 v[124:125], v[124:125], -v[130:131]
	v_add_f64 v[118:119], v[118:119], -v[128:129]
	v_add_f64 v[122:123], v[126:127], v[120:121]
	v_add_f64 v[118:119], v[118:119], v[124:125]
	v_add_f64 v[124:125], v[122:123], -v[126:127]
	v_add_f64 v[120:121], v[120:121], -v[124:125]
	v_add_f64 v[118:119], v[118:119], v[120:121]
	v_add_f64 v[118:119], v[122:123], v[118:119]
	v_cmp_class_f64_e64 vcc, v[116:117], s10
	v_div_scale_f64 v[120:121], s[4:5], s[20:21], s[20:21], v[10:11]
	v_cndmask_b32_e32 v119, v119, v117, vcc
	v_cndmask_b32_e32 v118, v118, v116, vcc
	v_rcp_f64_e32 v[122:123], v[120:121]
	v_add_f64 v[118:119], v[118:119], s[92:93]
	v_add_f64 v[118:119], v[118:119], s[94:95]
	v_cmp_ngt_f64_e32 vcc, 0, v[116:117]
	v_cndmask_b32_e32 v15, v89, v119, vcc
	v_cmp_nge_f64_e32 vcc, 0, v[116:117]
	v_cndmask_b32_e32 v118, 0, v118, vcc
	v_cmp_neq_f64_e32 vcc, 0, v[116:117]
	v_fma_f64 v[116:117], -v[120:121], v[122:123], 1.0
	v_fmac_f64_e32 v[122:123], v[122:123], v[116:117]
	v_fma_f64 v[116:117], -v[120:121], v[122:123], 1.0
	v_cndmask_b32_e32 v119, v90, v15, vcc
	v_fmac_f64_e32 v[122:123], v[122:123], v[116:117]
	v_div_scale_f64 v[116:117], vcc, v[10:11], s[20:21], v[10:11]
	v_mul_f64 v[124:125], v[116:117], v[122:123]
	v_fma_f64 v[116:117], -v[120:121], v[124:125], v[116:117]
	v_add_f64 v[6:7], v[6:7], 0.5
	s_nop 0
	v_div_fmas_f64 v[116:117], v[116:117], v[122:123], v[124:125]
	v_div_fixup_f64 v[10:11], v[116:117], s[20:21], v[10:11]
	v_frexp_mant_f64_e32 v[116:117], v[10:11]
	v_cmp_gt_f64_e32 vcc, s[28:29], v[116:117]
	v_cndmask_b32_e64 v15, v88, 2.0, vcc
	v_mul_f64 v[116:117], v[116:117], v[14:15]
	v_add_f64 v[120:121], v[116:117], 1.0
	v_rcp_f64_e32 v[122:123], v[120:121]
	v_add_f64 v[126:127], v[120:121], -1.0
	v_add_f64 v[124:125], v[116:117], -1.0
	v_add_f64 v[116:117], v[116:117], -v[126:127]
	v_fma_f64 v[126:127], -v[120:121], v[122:123], 1.0
	v_fmac_f64_e32 v[122:123], v[126:127], v[122:123]
	v_fma_f64 v[126:127], -v[120:121], v[122:123], 1.0
	v_fmac_f64_e32 v[122:123], v[126:127], v[122:123]
	v_mul_f64 v[126:127], v[124:125], v[122:123]
	v_mul_f64 v[128:129], v[120:121], v[126:127]
	v_fma_f64 v[120:121], v[126:127], v[120:121], -v[128:129]
	v_fmac_f64_e32 v[120:121], v[126:127], v[116:117]
	v_add_f64 v[116:117], v[128:129], v[120:121]
	v_add_f64 v[130:131], v[124:125], -v[116:117]
	v_add_f64 v[128:129], v[116:117], -v[128:129]
	;; [unrolled: 1-line block ×5, first 2 shown]
	v_add_f64 v[116:117], v[120:121], v[116:117]
	v_add_f64 v[116:117], v[130:131], v[116:117]
	v_mul_f64 v[116:117], v[122:123], v[116:117]
	v_add_f64 v[120:121], v[126:127], v[116:117]
	v_add_f64 v[122:123], v[120:121], -v[126:127]
	v_add_f64 v[116:117], v[116:117], -v[122:123]
	v_mul_f64 v[122:123], v[120:121], v[120:121]
	v_fmac_f64_e32 v[0:1], s[34:35], v[122:123]
	v_fma_f64 v[0:1], v[122:123], v[0:1], s[36:37]
	v_fma_f64 v[0:1], v[122:123], v[0:1], s[38:39]
	;; [unrolled: 1-line block ×5, first 2 shown]
	v_ldexp_f64 v[124:125], v[120:121], 1
	v_mul_f64 v[120:121], v[120:121], v[122:123]
	v_mul_f64 v[0:1], v[120:121], v[0:1]
	v_add_f64 v[120:121], v[124:125], v[0:1]
	v_add_f64 v[122:123], v[120:121], -v[124:125]
	v_ldexp_f64 v[116:117], v[116:117], 1
	v_add_f64 v[0:1], v[0:1], -v[122:123]
	v_add_f64 v[0:1], v[116:117], v[0:1]
	v_frexp_exp_i32_f64_e32 v115, v[10:11]
	v_add_f64 v[116:117], v[120:121], v[0:1]
	v_subbrev_co_u32_e32 v15, vcc, 0, v115, vcc
	v_add_f64 v[120:121], v[116:117], -v[120:121]
	v_add_f64 v[0:1], v[0:1], -v[120:121]
	v_cvt_f64_i32_e32 v[120:121], v15
	v_mul_f64 v[122:123], v[120:121], s[46:47]
	v_fma_f64 v[124:125], v[120:121], s[46:47], -v[122:123]
	v_fmac_f64_e32 v[124:125], s[48:49], v[120:121]
	v_add_f64 v[120:121], v[122:123], v[124:125]
	v_add_f64 v[122:123], v[120:121], -v[122:123]
	v_add_f64 v[122:123], v[124:125], -v[122:123]
	v_add_f64 v[124:125], v[120:121], v[116:117]
	v_add_f64 v[126:127], v[124:125], -v[120:121]
	v_add_f64 v[128:129], v[124:125], -v[126:127]
	v_add_f64 v[120:121], v[120:121], -v[128:129]
	v_add_f64 v[116:117], v[116:117], -v[126:127]
	v_add_f64 v[116:117], v[116:117], v[120:121]
	v_add_f64 v[120:121], v[122:123], v[0:1]
	v_add_f64 v[126:127], v[120:121], -v[122:123]
	v_add_f64 v[128:129], v[120:121], -v[126:127]
	v_add_f64 v[116:117], v[120:121], v[116:117]
	v_add_f64 v[122:123], v[122:123], -v[128:129]
	v_add_f64 v[0:1], v[0:1], -v[126:127]
	v_add_f64 v[120:121], v[124:125], v[116:117]
	v_add_f64 v[0:1], v[0:1], v[122:123]
	v_add_f64 v[122:123], v[120:121], -v[124:125]
	v_add_f64 v[116:117], v[116:117], -v[122:123]
	v_add_f64 v[0:1], v[0:1], v[116:117]
	v_add_f64 v[0:1], v[120:121], v[0:1]
	v_cmp_class_f64_e64 vcc, v[10:11], s10
	v_cndmask_b32_e32 v0, v0, v10, vcc
	v_cndmask_b32_e32 v1, v1, v11, vcc
	v_cmp_ngt_f64_e32 vcc, 0, v[10:11]
	v_cndmask_b32_e32 v1, v89, v1, vcc
	v_cmp_nge_f64_e32 vcc, 0, v[10:11]
	v_cndmask_b32_e32 v0, 0, v0, vcc
	v_cmp_neq_f64_e32 vcc, 0, v[10:11]
	v_cndmask_b32_e32 v1, v90, v1, vcc
	v_fmac_f64_e32 v[118:119], v[6:7], v[0:1]
	v_add_f64 v[0:1], v[4:5], -v[118:119]
	v_cvt_u32_f64_e32 v4, v[8:9]
	v_cmp_le_f64_e32 vcc, v[2:3], v[0:1]
	v_cndmask_b32_e64 v116, 0, 1, vcc
	v_cndmask_b32_e32 v73, v73, v4, vcc
	v_mov_b32_e32 v115, v114
.LBB68_22:                              ;   in Loop: Header=BB68_12 Depth=2
	s_or_b64 exec, exec, s[8:9]
	v_cmp_gt_i32_e32 vcc, 2, v116
	s_or_b64 s[0:1], vcc, s[0:1]
	v_mov_b32_e32 v15, v115
	v_mov_b32_e32 v0, v85
	;; [unrolled: 1-line block ×5, first 2 shown]
	s_andn2_b64 exec, exec, s[0:1]
	s_cbranch_execnz .LBB68_12
; %bb.23:                               ;   in Loop: Header=BB68_12 Depth=2
	s_or_b64 exec, exec, s[0:1]
	v_cmp_ne_u32_e32 vcc, 0, v116
	s_or_b64 s[14:15], vcc, s[14:15]
	s_mov_b64 s[0:1], 0
	v_mov_b32_e32 v15, v115
	v_mov_b32_e32 v0, v85
	;; [unrolled: 1-line block ×5, first 2 shown]
	s_andn2_b64 exec, exec, s[14:15]
	s_cbranch_execnz .LBB68_12
; %bb.24:                               ;   in Loop: Header=BB68_6 Depth=1
	s_or_b64 exec, exec, s[14:15]
	s_mov_b32 s45, s19
                                        ; implicit-def: $vgpr70_vgpr71
                                        ; implicit-def: $vgpr15
                                        ; implicit-def: $vgpr94
                                        ; implicit-def: $vgpr95
                                        ; implicit-def: $vgpr103
                                        ; implicit-def: $vgpr93
                                        ; implicit-def: $vgpr3
                                        ; implicit-def: $vgpr4_vgpr5
                                        ; implicit-def: $vgpr96
                                        ; implicit-def: $vgpr97
                                        ; implicit-def: $vgpr98
                                        ; implicit-def: $vgpr99
                                        ; implicit-def: $vgpr101
                                        ; implicit-def: $vgpr102
                                        ; implicit-def: $vgpr104
                                        ; implicit-def: $vgpr105
                                        ; implicit-def: $vgpr106
                                        ; implicit-def: $vgpr107
                                        ; implicit-def: $vgpr108
                                        ; implicit-def: $vgpr109
                                        ; implicit-def: $vgpr110
                                        ; implicit-def: $vgpr111
                                        ; implicit-def: $vgpr100
                                        ; implicit-def: $vgpr112
.LBB68_25:                              ;   in Loop: Header=BB68_6 Depth=1
	s_andn2_saveexec_b64 s[0:1], s[12:13]
	s_cbranch_execz .LBB68_37
; %bb.26:                               ;   in Loop: Header=BB68_6 Depth=1
	v_add_co_u32_e32 v6, vcc, 1, v94
	v_cndmask_b32_e64 v7, 0, 1, vcc
	v_addc_co_u32_e32 v10, vcc, 0, v95, vcc
	v_cmp_eq_u32_e32 vcc, 0, v10
	v_cndmask_b32_e32 v7, 0, v7, vcc
	v_add_u32_e32 v8, v7, v17
	v_cmp_eq_u32_e32 vcc, 0, v8
	v_cndmask_b32_e32 v11, 0, v7, vcc
	v_mad_u64_u32 v[6:7], s[4:5], v6, s33, 0
	v_mad_u64_u32 v[8:9], s[4:5], v8, s11, 0
	v_xor_b32_e32 v7, v7, v71
	v_xor_b32_e32 v9, v9, v70
	v_xor_b32_e32 v7, v11, v7
	v_xor_b32_e32 v9, v10, v9
	v_mad_u64_u32 v[70:71], s[4:5], v7, s11, 0
	v_mad_u64_u32 v[10:11], s[4:5], v9, s33, 0
	v_xor_b32_e32 v7, v96, v71
	v_xor_b32_e32 v7, v7, v8
	v_xor_b32_e32 v8, v97, v11
	v_xor_b32_e32 v8, v8, v6
	v_mad_u64_u32 v[6:7], s[4:5], v7, s33, 0
	v_mad_u64_u32 v[8:9], s[4:5], v8, s11, 0
	v_xor_b32_e32 v7, v99, v7
	v_xor_b32_e32 v9, v98, v9
	v_xor_b32_e32 v7, v7, v10
	v_xor_b32_e32 v9, v9, v70
	v_mad_u64_u32 v[70:71], s[4:5], v7, s11, 0
	v_mad_u64_u32 v[10:11], s[4:5], v9, s33, 0
	v_xor_b32_e32 v7, v101, v71
	v_xor_b32_e32 v7, v7, v8
	v_xor_b32_e32 v8, v102, v11
	v_xor_b32_e32 v8, v8, v6
	v_mad_u64_u32 v[6:7], s[4:5], v7, s33, 0
	v_mad_u64_u32 v[8:9], s[4:5], v8, s11, 0
	v_xor_b32_e32 v7, v105, v7
	v_xor_b32_e32 v9, v104, v9
	v_xor_b32_e32 v7, v7, v10
	v_xor_b32_e32 v9, v9, v70
	v_mad_u64_u32 v[70:71], s[4:5], v7, s11, 0
	v_mad_u64_u32 v[10:11], s[4:5], v9, s33, 0
	v_xor_b32_e32 v7, v106, v71
	v_xor_b32_e32 v7, v7, v8
	v_xor_b32_e32 v8, v107, v11
	v_xor_b32_e32 v8, v8, v6
	v_mad_u64_u32 v[6:7], s[4:5], v7, s33, 0
	v_mad_u64_u32 v[8:9], s[4:5], v8, s11, 0
	v_xor_b32_e32 v7, v109, v7
	v_xor_b32_e32 v9, v108, v9
	v_xor_b32_e32 v7, v7, v10
	v_xor_b32_e32 v9, v9, v70
	v_mad_u64_u32 v[70:71], s[4:5], v7, s11, 0
	v_mad_u64_u32 v[10:11], s[4:5], v9, s33, 0
	v_xor_b32_e32 v7, v110, v71
	v_xor_b32_e32 v7, v7, v8
	v_xor_b32_e32 v8, v111, v11
	v_xor_b32_e32 v6, v8, v6
	v_mad_u64_u32 v[72:73], s[4:5], v7, s33, 0
	v_mad_u64_u32 v[8:9], s[4:5], v6, s11, 0
	v_xor_b32_e32 v6, v112, v73
	v_xor_b32_e32 v6, v6, v10
	v_mad_u64_u32 v[6:7], s[4:5], v6, s11, 0
	v_xor_b32_e32 v7, v7, v8
	v_xor_b32_e32 v10, v103, v7
	v_cmp_lt_i32_e32 vcc, 1, v15
                                        ; implicit-def: $vgpr8
	s_and_saveexec_b64 s[4:5], vcc
	s_xor_b64 s[4:5], exec, s[4:5]
	s_cbranch_execz .LBB68_32
; %bb.27:                               ;   in Loop: Header=BB68_6 Depth=1
	v_cmp_lt_i32_e32 vcc, 2, v15
                                        ; implicit-def: $vgpr8
	s_and_saveexec_b64 s[8:9], vcc
	s_xor_b64 s[8:9], exec, s[8:9]
; %bb.28:                               ;   in Loop: Header=BB68_6 Depth=1
	v_xor_b32_e32 v0, v100, v9
	v_xor_b32_e32 v0, v0, v70
	v_mul_hi_u32 v0, v0, s33
	v_xor_b32_e32 v0, v0, v72
	v_xor_b32_e32 v8, v93, v0
; %bb.29:                               ;   in Loop: Header=BB68_6 Depth=1
	s_andn2_saveexec_b64 s[8:9], s[8:9]
; %bb.30:                               ;   in Loop: Header=BB68_6 Depth=1
	v_mov_b32_e32 v8, v6
	v_mov_b32_e32 v6, v10
	v_mov_b32_e32 v10, v3
	v_mov_b32_e32 v3, v2
; %bb.31:                               ;   in Loop: Header=BB68_6 Depth=1
	s_or_b64 exec, exec, s[8:9]
                                        ; implicit-def: $vgpr15
.LBB68_32:                              ;   in Loop: Header=BB68_6 Depth=1
	s_andn2_saveexec_b64 s[4:5], s[4:5]
	s_cbranch_execz .LBB68_36
; %bb.33:                               ;   in Loop: Header=BB68_6 Depth=1
	v_cmp_eq_u32_e32 vcc, 1, v15
	v_mov_b32_e32 v8, v3
	v_mov_b32_e32 v6, v2
	;; [unrolled: 1-line block ×3, first 2 shown]
	s_and_saveexec_b64 s[8:9], vcc
; %bb.34:                               ;   in Loop: Header=BB68_6 Depth=1
	v_mov_b32_e32 v8, v10
	v_mov_b32_e32 v6, v3
	;; [unrolled: 1-line block ×4, first 2 shown]
; %bb.35:                               ;   in Loop: Header=BB68_6 Depth=1
	s_or_b64 exec, exec, s[8:9]
	v_mov_b32_e32 v3, v0
	v_mov_b32_e32 v10, v7
.LBB68_36:                              ;   in Loop: Header=BB68_6 Depth=1
	s_or_b64 exec, exec, s[4:5]
	v_mov_b32_e32 v11, v14
	v_lshlrev_b64 v[0:1], 21, v[10:11]
	v_xor_b32_e32 v2, v0, v3
	v_cvt_f64_u32_e32 v[0:1], v1
	v_ldexp_f64 v[0:1], v[0:1], 32
	v_cvt_f64_u32_e32 v[2:3], v2
	v_add_f64 v[0:1], v[0:1], v[2:3]
	v_mov_b32_e32 v2, 0
	v_mov_b32_e32 v3, 0x3ca00000
	v_fmac_f64_e32 v[2:3], 0x3ca00000, v[0:1]
	v_mov_b32_e32 v9, v14
	v_lshlrev_b64 v[0:1], 21, v[8:9]
	v_frexp_mant_f64_e32 v[8:9], v[2:3]
	v_cmp_gt_f64_e32 vcc, s[28:29], v[8:9]
	v_cndmask_b32_e64 v15, v88, 2.0, vcc
	v_frexp_exp_i32_f64_e32 v10, v[2:3]
	v_mul_f64 v[8:9], v[8:9], v[14:15]
	v_subbrev_co_u32_e32 v15, vcc, 0, v10, vcc
	v_add_f64 v[10:11], v[8:9], 1.0
	v_rcp_f64_e32 v[70:71], v[10:11]
	v_add_f64 v[74:75], v[10:11], -1.0
	v_add_f64 v[72:73], v[8:9], -1.0
	v_add_f64 v[8:9], v[8:9], -v[74:75]
	v_fma_f64 v[74:75], -v[10:11], v[70:71], 1.0
	v_fmac_f64_e32 v[70:71], v[74:75], v[70:71]
	v_fma_f64 v[74:75], -v[10:11], v[70:71], 1.0
	v_fmac_f64_e32 v[70:71], v[74:75], v[70:71]
	v_mul_f64 v[74:75], v[72:73], v[70:71]
	v_mul_f64 v[76:77], v[10:11], v[74:75]
	v_fma_f64 v[10:11], v[74:75], v[10:11], -v[76:77]
	v_fmac_f64_e32 v[10:11], v[74:75], v[8:9]
	v_add_f64 v[8:9], v[76:77], v[10:11]
	v_add_f64 v[78:79], v[72:73], -v[8:9]
	v_add_f64 v[76:77], v[8:9], -v[76:77]
	;; [unrolled: 1-line block ×5, first 2 shown]
	v_add_f64 v[8:9], v[10:11], v[8:9]
	v_add_f64 v[8:9], v[78:79], v[8:9]
	v_mul_f64 v[8:9], v[70:71], v[8:9]
	v_add_f64 v[10:11], v[74:75], v[8:9]
	v_add_f64 v[70:71], v[10:11], -v[74:75]
	v_add_f64 v[8:9], v[8:9], -v[70:71]
	v_mul_f64 v[70:71], v[10:11], v[10:11]
	v_pk_mov_b32 v[72:73], v[18:19], v[18:19] op_sel:[0,1]
	v_fmac_f64_e32 v[72:73], s[34:35], v[70:71]
	v_pk_mov_b32 v[74:75], v[20:21], v[20:21] op_sel:[0,1]
	v_fmac_f64_e32 v[74:75], v[70:71], v[72:73]
	;; [unrolled: 2-line block ×6, first 2 shown]
	v_ldexp_f64 v[72:73], v[10:11], 1
	v_mul_f64 v[10:11], v[10:11], v[70:71]
	v_mul_f64 v[10:11], v[10:11], v[74:75]
	v_add_f64 v[70:71], v[72:73], v[10:11]
	v_add_f64 v[72:73], v[70:71], -v[72:73]
	v_ldexp_f64 v[8:9], v[8:9], 1
	v_add_f64 v[10:11], v[10:11], -v[72:73]
	v_add_f64 v[8:9], v[8:9], v[10:11]
	v_add_f64 v[10:11], v[70:71], v[8:9]
	v_add_f64 v[70:71], v[10:11], -v[70:71]
	v_add_f64 v[8:9], v[8:9], -v[70:71]
	v_cvt_f64_i32_e32 v[70:71], v15
	v_mul_f64 v[72:73], v[70:71], s[46:47]
	v_fma_f64 v[74:75], v[70:71], s[46:47], -v[72:73]
	v_fmac_f64_e32 v[74:75], s[48:49], v[70:71]
	v_add_f64 v[70:71], v[72:73], v[74:75]
	v_add_f64 v[72:73], v[70:71], -v[72:73]
	v_add_f64 v[72:73], v[74:75], -v[72:73]
	v_add_f64 v[74:75], v[70:71], v[10:11]
	v_add_f64 v[76:77], v[74:75], -v[70:71]
	v_add_f64 v[78:79], v[74:75], -v[76:77]
	;; [unrolled: 1-line block ×4, first 2 shown]
	v_add_f64 v[10:11], v[10:11], v[70:71]
	v_add_f64 v[70:71], v[72:73], v[8:9]
	v_add_f64 v[76:77], v[70:71], -v[72:73]
	v_add_f64 v[78:79], v[70:71], -v[76:77]
	v_add_f64 v[10:11], v[70:71], v[10:11]
	v_add_f64 v[72:73], v[72:73], -v[78:79]
	v_add_f64 v[8:9], v[8:9], -v[76:77]
	v_add_f64 v[70:71], v[74:75], v[10:11]
	v_add_f64 v[8:9], v[8:9], v[72:73]
	v_add_f64 v[72:73], v[70:71], -v[74:75]
	v_add_f64 v[10:11], v[10:11], -v[72:73]
	s_mov_b32 s12, 0
	v_add_f64 v[8:9], v[8:9], v[10:11]
	s_mov_b32 s13, 0x7ff00000
	v_add_f64 v[8:9], v[70:71], v[8:9]
	v_cmp_eq_f64_e32 vcc, s[12:13], v[2:3]
	v_cndmask_b32_e32 v9, v9, v3, vcc
	v_cndmask_b32_e32 v8, v8, v2, vcc
	v_mul_f64 v[8:9], v[8:9], -2.0
	v_cmp_neq_f64_e32 vcc, 0, v[2:3]
	s_mov_b32 s4, 0
	v_cndmask_b32_e32 v3, v91, v9, vcc
	v_cndmask_b32_e32 v2, 0, v8, vcc
	s_brev_b32 s5, 8
	v_cmp_gt_f64_e32 vcc, s[4:5], v[2:3]
	v_cndmask_b32_e64 v8, 0, 1, vcc
	v_lshlrev_b32_e32 v8, 8, v8
	v_ldexp_f64 v[2:3], v[2:3], v8
	v_xor_b32_e32 v6, v0, v6
	v_cvt_f64_u32_e32 v[0:1], v1
	v_rsq_f64_e32 v[8:9], v[2:3]
	v_ldexp_f64 v[0:1], v[0:1], 32
	v_cvt_f64_u32_e32 v[6:7], v6
	v_add_f64 v[0:1], v[0:1], v[6:7]
	v_mov_b32_e32 v6, 0
	v_mov_b32_e32 v7, 0x3cb00000
	v_fmac_f64_e32 v[6:7], 0x3cb00000, v[0:1]
	v_mul_f64 v[0:1], v[2:3], v[8:9]
	v_mul_f64 v[8:9], v[8:9], 0.5
	v_fma_f64 v[10:11], -v[8:9], v[0:1], 0.5
	v_fmac_f64_e32 v[0:1], v[0:1], v[10:11]
	v_fma_f64 v[70:71], -v[0:1], v[0:1], v[2:3]
	v_fmac_f64_e32 v[8:9], v[8:9], v[10:11]
	v_fmac_f64_e32 v[0:1], v[70:71], v[8:9]
	v_fma_f64 v[10:11], -v[0:1], v[0:1], v[2:3]
	v_fmac_f64_e32 v[0:1], v[10:11], v[8:9]
	v_cndmask_b32_e32 v8, 0, v87, vcc
	v_ldexp_f64 v[0:1], v[0:1], v8
	v_cmp_class_f64_e32 vcc, v[2:3], v86
	v_cndmask_b32_e32 v1, v1, v3, vcc
	v_cndmask_b32_e32 v0, v0, v2, vcc
	v_mul_f64 v[2:3], v[6:7], 0.5
	v_fract_f64_e32 v[8:9], v[2:3]
	v_add_f64 v[8:9], v[8:9], v[8:9]
	v_cmp_neq_f64_e32 vcc, s[12:13], v[2:3]
	v_cndmask_b32_e32 v2, 0, v8, vcc
	v_cndmask_b32_e32 v3, 0, v9, vcc
	v_cmp_lt_f64_e32 vcc, 1.0, v[6:7]
	v_cndmask_b32_e32 v3, v7, v3, vcc
	v_cndmask_b32_e32 v2, v6, v2, vcc
	v_add_f64 v[8:9], v[2:3], v[2:3]
	v_rndne_f64_e32 v[8:9], v[8:9]
	v_fmac_f64_e32 v[2:3], -0.5, v[8:9]
	s_mov_b32 s8, 0xf99eb0bb
	v_cvt_i32_f64_e32 v15, v[8:9]
	v_mul_f64 v[8:9], v[2:3], v[2:3]
	v_pk_mov_b32 v[10:11], v[48:49], v[48:49] op_sel:[0,1]
	s_mov_b32 s9, 0x3f3e357e
	v_fmac_f64_e32 v[10:11], s[8:9], v[8:9]
	v_pk_mov_b32 v[70:71], v[50:51], v[50:51] op_sel:[0,1]
	v_fmac_f64_e32 v[70:71], v[8:9], v[10:11]
	v_pk_mov_b32 v[10:11], v[52:53], v[52:53] op_sel:[0,1]
	;; [unrolled: 2-line block ×4, first 2 shown]
	v_fmac_f64_e32 v[10:11], v[8:9], v[70:71]
	v_mul_f64 v[70:71], v[2:3], v[8:9]
	s_mov_b32 s8, 0x54442d18
	v_mul_f64 v[10:11], v[70:71], v[10:11]
	s_mov_b32 s9, 0x400921fb
	v_fmac_f64_e32 v[10:11], s[8:9], v[2:3]
	s_mov_b32 s8, 0x2e21c33
	v_pk_mov_b32 v[2:3], v[58:59], v[58:59] op_sel:[0,1]
	s_mov_b32 s9, 0xbf1b1673
	v_fmac_f64_e32 v[2:3], s[8:9], v[8:9]
	v_pk_mov_b32 v[70:71], v[60:61], v[60:61] op_sel:[0,1]
	v_fmac_f64_e32 v[70:71], v[8:9], v[2:3]
	v_pk_mov_b32 v[2:3], v[62:63], v[62:63] op_sel:[0,1]
	;; [unrolled: 2-line block ×5, first 2 shown]
	v_fmac_f64_e32 v[70:71], v[8:9], v[2:3]
	v_fma_f64 v[2:3], v[8:9], v[70:71], 1.0
	v_and_b32_e32 v9, 1, v15
	v_lshlrev_b32_e32 v8, 30, v15
	v_cmp_eq_u32_e32 vcc, 0, v9
	v_cndmask_b32_e32 v10, v2, v10, vcc
	v_cndmask_b32_e32 v2, v3, v11, vcc
	v_xor_b32_e32 v3, v8, v7
	v_and_b32_e32 v3, 0x80000000, v3
	v_cmp_gt_f64_e32 vcc, s[4:5], v[4:5]
	v_xor_b32_e32 v11, v2, v3
	v_cndmask_b32_e64 v2, 0, 1, vcc
	v_lshlrev_b32_e32 v2, 8, v2
	v_ldexp_f64 v[2:3], v[4:5], v2
	v_rsq_f64_e32 v[8:9], v[2:3]
	v_cmp_lg_f64_e64 s[4:5], s[12:13], v[6:7]
	v_cndmask_b32_e64 v6, 0, v10, s[4:5]
	v_cndmask_b32_e64 v7, v89, v11, s[4:5]
	v_mul_f64 v[0:1], v[0:1], v[6:7]
	v_mul_f64 v[6:7], v[2:3], v[8:9]
	v_mul_f64 v[8:9], v[8:9], 0.5
	v_fma_f64 v[10:11], -v[8:9], v[6:7], 0.5
	v_fmac_f64_e32 v[6:7], v[6:7], v[10:11]
	v_fma_f64 v[70:71], -v[6:7], v[6:7], v[2:3]
	v_fmac_f64_e32 v[8:9], v[8:9], v[10:11]
	v_fmac_f64_e32 v[6:7], v[70:71], v[8:9]
	v_fma_f64 v[10:11], -v[6:7], v[6:7], v[2:3]
	v_fmac_f64_e32 v[6:7], v[10:11], v[8:9]
	v_cndmask_b32_e32 v8, 0, v87, vcc
	v_ldexp_f64 v[6:7], v[6:7], v8
	v_cmp_class_f64_e32 vcc, v[2:3], v86
	v_cndmask_b32_e32 v3, v7, v3, vcc
	v_cndmask_b32_e32 v2, v6, v2, vcc
	v_fmac_f64_e32 v[4:5], v[2:3], v[0:1]
	v_trunc_f64_e32 v[0:1], v[4:5]
	v_add_f64 v[2:3], v[4:5], -v[0:1]
	v_cmp_ge_f64_e64 vcc, |v[2:3]|, 0.5
	v_cndmask_b32_e32 v2, 0, v88, vcc
	s_brev_b32 s4, -2
	v_bfi_b32 v15, s4, v2, v5
	v_add_f64 v[0:1], v[0:1], v[14:15]
	v_cvt_u32_f64_e32 v73, v[0:1]
.LBB68_37:                              ;   in Loop: Header=BB68_6 Depth=1
	s_or_b64 exec, exec, s[0:1]
                                        ; implicit-def: $vgpr6
                                        ; implicit-def: $vgpr70_vgpr71
                                        ; implicit-def: $vgpr15
                                        ; implicit-def: $vgpr94
                                        ; implicit-def: $vgpr95
                                        ; implicit-def: $vgpr103
                                        ; implicit-def: $vgpr93
                                        ; implicit-def: $vgpr3
                                        ; implicit-def: $vgpr4_vgpr5
                                        ; implicit-def: $vgpr96
                                        ; implicit-def: $vgpr97
                                        ; implicit-def: $vgpr98
                                        ; implicit-def: $vgpr99
                                        ; implicit-def: $vgpr101
                                        ; implicit-def: $vgpr102
                                        ; implicit-def: $vgpr104
                                        ; implicit-def: $vgpr105
                                        ; implicit-def: $vgpr106
                                        ; implicit-def: $vgpr107
                                        ; implicit-def: $vgpr108
                                        ; implicit-def: $vgpr109
                                        ; implicit-def: $vgpr110
                                        ; implicit-def: $vgpr111
                                        ; implicit-def: $vgpr100
                                        ; implicit-def: $vgpr112
.LBB68_38:                              ;   in Loop: Header=BB68_6 Depth=1
	s_andn2_saveexec_b64 s[0:1], s[50:51]
	s_cbranch_execz .LBB68_4
; %bb.39:                               ;   in Loop: Header=BB68_6 Depth=1
	v_readlane_b32 s4, v132, 13
	v_readlane_b32 s5, v132, 14
	s_mov_b32 s4, s52
	v_mul_f64 v[8:9], v[4:5], s[4:5]
	v_rndne_f64_e32 v[10:11], v[8:9]
	s_mov_b32 s54, s46
	v_fma_f64 v[4:5], v[10:11], s[54:55], -v[4:5]
	s_mov_b32 s56, s48
	v_fmac_f64_e32 v[4:5], s[56:57], v[10:11]
	v_pk_mov_b32 v[8:9], v[30:31], v[30:31] op_sel:[0,1]
	v_fmac_f64_e32 v[8:9], s[58:59], v[4:5]
	v_pk_mov_b32 v[72:73], v[32:33], v[32:33] op_sel:[0,1]
	;; [unrolled: 2-line block ×9, first 2 shown]
	v_fmac_f64_e32 v[74:75], v[4:5], v[72:73]
	v_fma_f64 v[72:73], v[4:5], v[74:75], 1.0
	v_fma_f64 v[4:5], v[4:5], v[72:73], 1.0
	v_cvt_i32_f64_e32 v7, v[10:11]
	s_mov_b32 s4, 0x44866000
	s_mov_b32 s9, s5
	v_mov_b32_e32 v8, 0
	v_ldexp_f64 v[4:5], v[4:5], v7
	v_cmp_nlt_f32_e32 vcc, s4, v6
	v_writelane_b32 v132, s8, 13
	v_mov_b32_e32 v9, 0x3ff00000
	v_mov_b32_e32 v76, 0
	v_cndmask_b32_e32 v11, 0, v5, vcc
	v_cndmask_b32_e32 v10, 0, v4, vcc
	s_mov_b32 s12, -1
	s_mov_b64 s[4:5], 0
	v_mov_b32_e32 v77, v17
	v_writelane_b32 v132, s9, 14
	s_branch .LBB68_41
.LBB68_40:                              ;   in Loop: Header=BB68_41 Depth=2
	s_or_b64 exec, exec, s[8:9]
	v_cmp_eq_u32_e32 vcc, 1, v15
	v_cndmask_b32_e32 v0, v0, v1, vcc
	v_cmp_eq_u32_e32 vcc, 2, v15
	v_cndmask_b32_e32 v0, v0, v2, vcc
	;; [unrolled: 2-line block ×6, first 2 shown]
	v_lshrrev_b32_e32 v0, 11, v0
	v_cvt_f64_u32_e32 v[0:1], v0
	v_ldexp_f64 v[0:1], v[0:1], 32
	v_cvt_f64_u32_e32 v[2:3], v2
	v_add_f64 v[0:1], v[0:1], v[2:3]
	v_mov_b32_e32 v2, 0
	v_mov_b32_e32 v3, 0x3ca00000
	v_fmac_f64_e32 v[2:3], 0x3ca00000, v[0:1]
	v_mul_f64 v[8:9], v[8:9], v[2:3]
	v_cmp_ngt_f64_e32 vcc, v[8:9], v[10:11]
	s_add_i32 s12, s12, 1
	s_or_b64 s[4:5], vcc, s[4:5]
	v_mov_b32_e32 v73, s12
	v_mov_b32_e32 v15, v79
	;; [unrolled: 1-line block ×6, first 2 shown]
	s_andn2_b64 exec, exec, s[4:5]
	s_cbranch_execz .LBB68_3
.LBB68_41:                              ;   Parent Loop BB68_6 Depth=1
                                        ; =>  This Inner Loop Header: Depth=2
	v_add_u32_e32 v78, 1, v15
	v_pk_mov_b32 v[6:7], v[2:3], v[2:3] op_sel:[0,1]
	v_cmp_eq_u32_e32 vcc, 4, v78
	v_pk_mov_b32 v[4:5], v[0:1], v[0:1] op_sel:[0,1]
	v_mov_b32_e32 v75, v0
	v_mov_b32_e32 v74, v1
	;; [unrolled: 1-line block ×4, first 2 shown]
	s_and_saveexec_b64 s[8:9], vcc
	s_cbranch_execz .LBB68_43
; %bb.42:                               ;   in Loop: Header=BB68_41 Depth=2
	v_add_co_u32_e32 v94, vcc, 1, v94
	v_cndmask_b32_e64 v4, 0, 1, vcc
	v_addc_co_u32_e32 v95, vcc, 0, v95, vcc
	v_cmp_eq_u32_e32 vcc, 0, v95
	v_cndmask_b32_e32 v4, 0, v4, vcc
	v_add_u32_e32 v77, v4, v77
	v_cmp_eq_u32_e32 vcc, 0, v77
	v_cndmask_b32_e32 v4, 0, v4, vcc
	v_add_u32_e32 v76, v4, v76
	v_mad_u64_u32 v[4:5], s[14:15], v94, s33, 0
	v_mad_u64_u32 v[6:7], s[14:15], v77, s11, 0
	v_xor_b32_e32 v5, v5, v71
	v_xor_b32_e32 v7, v7, v70
	v_xor_b32_e32 v5, v76, v5
	v_xor_b32_e32 v7, v95, v7
	v_mad_u64_u32 v[74:75], s[14:15], v5, s11, 0
	v_mad_u64_u32 v[72:73], s[14:15], v7, s33, 0
	v_xor_b32_e32 v5, v96, v75
	v_xor_b32_e32 v5, v5, v6
	v_xor_b32_e32 v6, v97, v73
	v_xor_b32_e32 v6, v6, v4
	;; [unrolled: 6-line block ×10, first 2 shown]
	v_mov_b32_e32 v78, 0
	v_mov_b32_e32 v5, v74
	;; [unrolled: 1-line block ×5, first 2 shown]
.LBB68_43:                              ;   in Loop: Header=BB68_41 Depth=2
	s_or_b64 exec, exec, s[8:9]
	v_add_u32_e32 v79, 1, v78
	v_cmp_eq_u32_e32 vcc, 4, v79
	s_and_saveexec_b64 s[8:9], vcc
	s_cbranch_execz .LBB68_40
; %bb.44:                               ;   in Loop: Header=BB68_41 Depth=2
	v_add_co_u32_e32 v94, vcc, 1, v94
	v_cndmask_b32_e64 v72, 0, 1, vcc
	v_addc_co_u32_e32 v95, vcc, 0, v95, vcc
	v_cmp_eq_u32_e32 vcc, 0, v95
	v_cndmask_b32_e32 v72, 0, v72, vcc
	v_add_u32_e32 v77, v72, v77
	v_cmp_eq_u32_e32 vcc, 0, v77
	v_cndmask_b32_e32 v72, 0, v72, vcc
	v_add_u32_e32 v76, v72, v76
	v_mad_u64_u32 v[72:73], s[14:15], v94, s33, 0
	v_mad_u64_u32 v[74:75], s[14:15], v77, s11, 0
	v_xor_b32_e32 v73, v73, v71
	v_xor_b32_e32 v75, v75, v70
	v_xor_b32_e32 v73, v76, v73
	v_xor_b32_e32 v75, v95, v75
	v_mad_u64_u32 v[82:83], s[14:15], v73, s11, 0
	v_mad_u64_u32 v[80:81], s[14:15], v75, s33, 0
	v_xor_b32_e32 v73, v96, v83
	v_xor_b32_e32 v73, v73, v74
	v_xor_b32_e32 v74, v97, v81
	v_xor_b32_e32 v74, v74, v72
	;; [unrolled: 6-line block ×9, first 2 shown]
	v_mad_u64_u32 v[72:73], s[14:15], v72, s33, 0
	v_mad_u64_u32 v[74:75], s[14:15], v74, s11, 0
	v_xor_b32_e32 v75, v75, v114
	v_xor_b32_e32 v73, v73, v84
	v_mov_b32_e32 v79, 0
	v_xor_b32_e32 v75, v103, v75
	v_xor_b32_e32 v80, v93, v73
	s_branch .LBB68_40
.LBB68_45:
	s_or_b64 exec, exec, s[6:7]
	s_and_b64 exec, exec, s[88:89]
	s_cbranch_execnz .LBB68_48
.LBB68_46:
	s_endpgm
.LBB68_47:
	s_mov_b64 s[88:89], -1
	s_and_b64 exec, exec, s[88:89]
	s_cbranch_execz .LBB68_46
.LBB68_48:
	s_trap 2
	; divergent unreachable
	s_endpgm
	.section	.rodata,"a",@progbits
	.p2align	6, 0x0
	.amdhsa_kernel _ZN2at4cuda12_GLOBAL__N_121kernelPointwiseApply2IZN12_GLOBAL__N_119poisson_cuda_kernelIfEEvRKNS_10TensorBaseES7_NS_15PhiloxCudaStateEEUlRfRKfE_ffjLi1ELi1ELi1ELi512ELi2EEEvNS0_6detail10TensorInfoIT0_T2_EENSE_IT1_SG_EESG_T_
		.amdhsa_group_segment_fixed_size 0
		.amdhsa_private_segment_fixed_size 0
		.amdhsa_kernarg_size 728
		.amdhsa_user_sgpr_count 6
		.amdhsa_user_sgpr_private_segment_buffer 1
		.amdhsa_user_sgpr_dispatch_ptr 0
		.amdhsa_user_sgpr_queue_ptr 0
		.amdhsa_user_sgpr_kernarg_segment_ptr 1
		.amdhsa_user_sgpr_dispatch_id 0
		.amdhsa_user_sgpr_flat_scratch_init 0
		.amdhsa_user_sgpr_kernarg_preload_length 0
		.amdhsa_user_sgpr_kernarg_preload_offset 0
		.amdhsa_user_sgpr_private_segment_size 0
		.amdhsa_uses_dynamic_stack 0
		.amdhsa_system_sgpr_private_segment_wavefront_offset 0
		.amdhsa_system_sgpr_workgroup_id_x 1
		.amdhsa_system_sgpr_workgroup_id_y 0
		.amdhsa_system_sgpr_workgroup_id_z 0
		.amdhsa_system_sgpr_workgroup_info 0
		.amdhsa_system_vgpr_workitem_id 0
		.amdhsa_next_free_vgpr 133
		.amdhsa_next_free_sgpr 96
		.amdhsa_accum_offset 136
		.amdhsa_reserve_vcc 1
		.amdhsa_reserve_flat_scratch 0
		.amdhsa_float_round_mode_32 0
		.amdhsa_float_round_mode_16_64 0
		.amdhsa_float_denorm_mode_32 3
		.amdhsa_float_denorm_mode_16_64 3
		.amdhsa_dx10_clamp 1
		.amdhsa_ieee_mode 1
		.amdhsa_fp16_overflow 0
		.amdhsa_tg_split 0
		.amdhsa_exception_fp_ieee_invalid_op 0
		.amdhsa_exception_fp_denorm_src 0
		.amdhsa_exception_fp_ieee_div_zero 0
		.amdhsa_exception_fp_ieee_overflow 0
		.amdhsa_exception_fp_ieee_underflow 0
		.amdhsa_exception_fp_ieee_inexact 0
		.amdhsa_exception_int_div_zero 0
	.end_amdhsa_kernel
	.section	.text._ZN2at4cuda12_GLOBAL__N_121kernelPointwiseApply2IZN12_GLOBAL__N_119poisson_cuda_kernelIfEEvRKNS_10TensorBaseES7_NS_15PhiloxCudaStateEEUlRfRKfE_ffjLi1ELi1ELi1ELi512ELi2EEEvNS0_6detail10TensorInfoIT0_T2_EENSE_IT1_SG_EESG_T_,"axG",@progbits,_ZN2at4cuda12_GLOBAL__N_121kernelPointwiseApply2IZN12_GLOBAL__N_119poisson_cuda_kernelIfEEvRKNS_10TensorBaseES7_NS_15PhiloxCudaStateEEUlRfRKfE_ffjLi1ELi1ELi1ELi512ELi2EEEvNS0_6detail10TensorInfoIT0_T2_EENSE_IT1_SG_EESG_T_,comdat
.Lfunc_end68:
	.size	_ZN2at4cuda12_GLOBAL__N_121kernelPointwiseApply2IZN12_GLOBAL__N_119poisson_cuda_kernelIfEEvRKNS_10TensorBaseES7_NS_15PhiloxCudaStateEEUlRfRKfE_ffjLi1ELi1ELi1ELi512ELi2EEEvNS0_6detail10TensorInfoIT0_T2_EENSE_IT1_SG_EESG_T_, .Lfunc_end68-_ZN2at4cuda12_GLOBAL__N_121kernelPointwiseApply2IZN12_GLOBAL__N_119poisson_cuda_kernelIfEEvRKNS_10TensorBaseES7_NS_15PhiloxCudaStateEEUlRfRKfE_ffjLi1ELi1ELi1ELi512ELi2EEEvNS0_6detail10TensorInfoIT0_T2_EENSE_IT1_SG_EESG_T_
                                        ; -- End function
	.section	.AMDGPU.csdata,"",@progbits
; Kernel info:
; codeLenInByte = 13312
; NumSgprs: 100
; NumVgprs: 133
; NumAgprs: 0
; TotalNumVgprs: 133
; ScratchSize: 0
; MemoryBound: 0
; FloatMode: 240
; IeeeMode: 1
; LDSByteSize: 0 bytes/workgroup (compile time only)
; SGPRBlocks: 12
; VGPRBlocks: 16
; NumSGPRsForWavesPerEU: 100
; NumVGPRsForWavesPerEU: 133
; AccumOffset: 136
; Occupancy: 3
; WaveLimiterHint : 1
; COMPUTE_PGM_RSRC2:SCRATCH_EN: 0
; COMPUTE_PGM_RSRC2:USER_SGPR: 6
; COMPUTE_PGM_RSRC2:TRAP_HANDLER: 0
; COMPUTE_PGM_RSRC2:TGID_X_EN: 1
; COMPUTE_PGM_RSRC2:TGID_Y_EN: 0
; COMPUTE_PGM_RSRC2:TGID_Z_EN: 0
; COMPUTE_PGM_RSRC2:TIDIG_COMP_CNT: 0
; COMPUTE_PGM_RSRC3_GFX90A:ACCUM_OFFSET: 33
; COMPUTE_PGM_RSRC3_GFX90A:TG_SPLIT: 0
	.section	.text._ZN2at4cuda12_GLOBAL__N_121kernelPointwiseApply2IZN12_GLOBAL__N_119poisson_cuda_kernelIfEEvRKNS_10TensorBaseES7_NS_15PhiloxCudaStateEEUlRfRKfE_ffjLi1ELi2ELi1ELi512ELi2EEEvNS0_6detail10TensorInfoIT0_T2_EENSE_IT1_SG_EESG_T_,"axG",@progbits,_ZN2at4cuda12_GLOBAL__N_121kernelPointwiseApply2IZN12_GLOBAL__N_119poisson_cuda_kernelIfEEvRKNS_10TensorBaseES7_NS_15PhiloxCudaStateEEUlRfRKfE_ffjLi1ELi2ELi1ELi512ELi2EEEvNS0_6detail10TensorInfoIT0_T2_EENSE_IT1_SG_EESG_T_,comdat
	.globl	_ZN2at4cuda12_GLOBAL__N_121kernelPointwiseApply2IZN12_GLOBAL__N_119poisson_cuda_kernelIfEEvRKNS_10TensorBaseES7_NS_15PhiloxCudaStateEEUlRfRKfE_ffjLi1ELi2ELi1ELi512ELi2EEEvNS0_6detail10TensorInfoIT0_T2_EENSE_IT1_SG_EESG_T_ ; -- Begin function _ZN2at4cuda12_GLOBAL__N_121kernelPointwiseApply2IZN12_GLOBAL__N_119poisson_cuda_kernelIfEEvRKNS_10TensorBaseES7_NS_15PhiloxCudaStateEEUlRfRKfE_ffjLi1ELi2ELi1ELi512ELi2EEEvNS0_6detail10TensorInfoIT0_T2_EENSE_IT1_SG_EESG_T_
	.p2align	8
	.type	_ZN2at4cuda12_GLOBAL__N_121kernelPointwiseApply2IZN12_GLOBAL__N_119poisson_cuda_kernelIfEEvRKNS_10TensorBaseES7_NS_15PhiloxCudaStateEEUlRfRKfE_ffjLi1ELi2ELi1ELi512ELi2EEEvNS0_6detail10TensorInfoIT0_T2_EENSE_IT1_SG_EESG_T_,@function
_ZN2at4cuda12_GLOBAL__N_121kernelPointwiseApply2IZN12_GLOBAL__N_119poisson_cuda_kernelIfEEvRKNS_10TensorBaseES7_NS_15PhiloxCudaStateEEUlRfRKfE_ffjLi1ELi2ELi1ELi512ELi2EEEvNS0_6detail10TensorInfoIT0_T2_EENSE_IT1_SG_EESG_T_: ; @_ZN2at4cuda12_GLOBAL__N_121kernelPointwiseApply2IZN12_GLOBAL__N_119poisson_cuda_kernelIfEEvRKNS_10TensorBaseES7_NS_15PhiloxCudaStateEEUlRfRKfE_ffjLi1ELi2ELi1ELi512ELi2EEEvNS0_6detail10TensorInfoIT0_T2_EENSE_IT1_SG_EESG_T_
; %bb.0:
	s_load_dword s2, s[4:5], 0x1e4
	s_load_dword s33, s[4:5], 0x1b0
	s_add_u32 s0, s4, 0x1d8
	s_addc_u32 s1, s5, 0
	s_waitcnt lgkmcnt(0)
	s_and_b32 s2, s2, 0xffff
	s_mul_i32 s6, s6, s2
	v_add_u32_e32 v17, s6, v0
	v_cmp_gt_u32_e32 vcc, s33, v17
	s_and_saveexec_b64 s[6:7], vcc
	s_cbranch_execz .LBB69_47
; %bb.1:
	s_load_dwordx2 s[6:7], s[4:5], 0x0
	s_load_dwordx4 s[16:19], s[4:5], 0x1b8
                                        ; implicit-def: $vgpr134 : SGPR spill to VGPR lane
                                        ; kill: killed $sgpr0 killed $sgpr1
	s_mov_b32 s9, 0xcd9e8d57
	s_mov_b32 s22, 0
	;; [unrolled: 1-line block ×3, first 2 shown]
	s_waitcnt lgkmcnt(0)
	v_writelane_b32 v134, s6, 0
	v_writelane_b32 v134, s7, 1
	s_load_dword s45, s[4:5], 0x6c
	s_load_dwordx2 s[12:13], s[4:5], 0xd8
	s_load_dword s8, s[4:5], 0xe4
	s_load_dwordx2 s[6:7], s[4:5], 0x144
	s_mov_b32 s30, 0x6b47b09a
	s_mov_b32 s34, 0xbf559e2b
	s_mov_b32 s36, 0xd7f4df2e
	s_waitcnt lgkmcnt(0)
	v_cvt_f32_u32_e32 v0, s8
	v_writelane_b32 v134, s6, 2
	v_writelane_b32 v134, s7, 3
	s_load_dword s3, s[0:1], 0x0
	s_load_dwordx2 s[6:7], s[4:5], 0x1c8
	v_writelane_b32 v134, s16, 4
	v_writelane_b32 v134, s17, 5
	v_writelane_b32 v134, s18, 6
	v_writelane_b32 v134, s19, 7
	v_rcp_iflag_f32_e32 v0, v0
	s_waitcnt lgkmcnt(0)
	v_writelane_b32 v134, s6, 8
	v_writelane_b32 v134, s7, 9
	s_load_dword s6, s[4:5], 0x1d0
	v_mul_f32_e32 v0, 0x4f7ffffe, v0
	s_getpc_b64 s[0:1]
	s_add_u32 s0, s0, .str@rel32@lo+4
	s_addc_u32 s1, s1, .str@rel32@hi+12
	v_cvt_u32_f32_e32 v0, v0
	s_cmp_eq_u64 s[0:1], 0
	s_cselect_b64 s[0:1], -1, 0
	s_waitcnt lgkmcnt(0)
	s_bitcmp1_b32 s6, 0
	v_mad_u64_u32 v[12:13], s[6:7], v17, s9, 0
	s_mul_i32 s2, s3, s2
	v_writelane_b32 v134, s2, 10
	s_cselect_b64 s[2:3], -1, 0
	s_sub_i32 s6, 0, s8
	v_mul_lo_u32 v1, s6, v0
	v_mul_hi_u32 v1, v0, v1
	v_mov_b32_e32 v16, v13
	v_add_u32_e32 v13, v0, v1
	v_cndmask_b32_e64 v0, 0, 1, s[2:3]
	v_cmp_ne_u32_e64 s[2:3], 1, v0
	v_writelane_b32 v134, s2, 11
	v_writelane_b32 v134, s3, 12
	s_mov_b32 s38, 0x16291751
	s_mov_b32 s40, 0x9b27acf1
	;; [unrolled: 1-line block ×7, first 2 shown]
	s_xor_b64 s[60:61], s[0:1], -1
	s_mov_b32 s62, 0
	s_mov_b32 s64, 0
	;; [unrolled: 1-line block ×14, first 2 shown]
	s_movk_i32 s90, 0xf950
	s_mov_b32 s92, 0xc864beb5
	s_mov_b32 s94, 0
	;; [unrolled: 1-line block ×4, first 2 shown]
                                        ; kill: killed $sgpr4 killed $sgpr5
	s_mov_b64 s[4:5], 0
	v_mov_b32_e32 v14, 0
	v_mov_b32_e32 v88, s13
	s_mov_b32 s11, 0xd2511f53
	s_mov_b32 s23, 0x40080000
	;; [unrolled: 1-line block ×12, first 2 shown]
	s_movk_i32 s10, 0x204
	s_mov_b32 s53, 0x3ff71547
	s_mov_b32 s55, 0xbfe62e42
	;; [unrolled: 1-line block ×4, first 2 shown]
	v_mov_b32_e32 v18, 0x6b47b09a
	v_mov_b32_e32 v20, 0xd7f4df2e
	v_mov_b32_e32 v22, 0x16291751
	v_mov_b32_e32 v24, 0x9b27acf1
	v_mov_b32_e32 v26, 0x998ef7b6
	v_mov_b32_e32 v28, 0x55555780
	v_mov_b32_e32 v30, 0xfca7ab0c
	v_mov_b32_e32 v32, 0x623fde64
	v_mov_b32_e32 v34, 0x7c89e6b0
	v_mov_b32_e32 v36, 0x14761f6e
	v_mov_b32_e32 v38, 0x1852b7b0
	v_mov_b32_e32 v40, 0x11122322
	v_mov_b32_e32 v42, 0x555502a1
	v_mov_b32_e32 v44, 0x55555511
	v_mov_b32_e32 v46, 11
	v_mov_b32_e32 v48, 0x6fdffd2b
	v_mov_b32_e32 v50, 0xd5f14825
	v_mov_b32_e32 v52, 0xcdfe9424
	v_mov_b32_e32 v54, 0x67754fff
	v_mov_b32_e32 v56, 0xe625be09
	v_mov_b32_e32 v58, 0xca1d4f33
	v_mov_b32_e32 v60, 0x7294bff9
	v_mov_b32_e32 v62, 0x67b90b37
	v_mov_b32_e32 v64, 0x7e3c325b
	v_mov_b32_e32 v66, 0x81b5a67
	v_mov_b32_e32 v68, 0xc9be45de
	v_mov_b32_e32 v89, 0x260
	v_mov_b32_e32 v90, 0xffffff80
	v_mov_b32_e32 v91, 0x3ff00000
	v_mov_b32_e32 v92, 0x7ff80000
	v_mov_b32_e32 v93, 0xfff00000
	v_mov_b32_e32 v94, 0x7ff00000
	v_mov_b32_e32 v95, v17
	v_mov_b32_e32 v19, 0x3fc38538
	v_mov_b32_e32 v21, 0x3fc7474d
	v_mov_b32_e32 v23, 0x3fcc71c0
	v_mov_b32_e32 v25, 0x3fd24924
	v_mov_b32_e32 v27, 0x3fd99999
	v_mov_b32_e32 v29, 0x3fe55555
	v_mov_b32_e32 v31, 0x3e928af3
	v_mov_b32_e32 v33, 0x3ec71dee
	v_mov_b32_e32 v35, 0x3efa0199
	v_mov_b32_e32 v37, 0x3f2a01a0
	v_mov_b32_e32 v39, 0x3f56c16c
	v_mov_b32_e32 v41, 0x3f811111
	v_mov_b32_e32 v43, 0x3fa55555
	v_mov_b32_e32 v45, 0x3fc55555
	v_mov_b32_e32 v47, 0x3fe00000
	v_mov_b32_e32 v49, 0xbf7e2fe7
	v_mov_b32_e32 v51, 0x3fb50782
	v_mov_b32_e32 v53, 0xbfe32d2c
	v_mov_b32_e32 v55, 0x400466bc
	v_mov_b32_e32 v57, 0xc014abbc
	v_mov_b32_e32 v59, 0x3f5f9c89
	v_mov_b32_e32 v61, 0xbf9a6d1e
	v_mov_b32_e32 v63, 0x3fce1f50
	v_mov_b32_e32 v65, 0xbff55d3c
	v_mov_b32_e32 v67, 0x40103c1f
	v_mov_b32_e32 v69, 0xc013bd3c
	s_mov_b32 s63, 0x40900000
	s_mov_b32 s65, 0xc090cc00
	;; [unrolled: 1-line block ×19, first 2 shown]
	v_writelane_b32 v134, s0, 13
                                        ; implicit-def: $sgpr18_sgpr19
                                        ; implicit-def: $sgpr16_sgpr17
	v_writelane_b32 v134, s1, 14
	s_branch .LBB69_5
.LBB69_2:                               ;   in Loop: Header=BB69_5 Depth=1
	s_or_b64 exec, exec, s[2:3]
	v_readlane_b32 s12, v134, 13
	v_readlane_b32 s13, v134, 14
.LBB69_3:                               ;   in Loop: Header=BB69_5 Depth=1
	s_or_b64 exec, exec, s[0:1]
	v_readlane_b32 s0, v134, 0
	v_lshlrev_b64 v[0:1], 2, v[70:71]
	v_readlane_b32 s1, v134, 1
	v_mov_b32_e32 v2, s1
	v_cvt_f32_u32_e32 v3, v75
	v_add_co_u32_e32 v0, vcc, s0, v0
	v_readlane_b32 s0, v134, 10
	v_addc_co_u32_e32 v1, vcc, v2, v1, vcc
	v_add_u32_e32 v95, s0, v95
	v_cmp_le_u32_e32 vcc, s33, v95
	s_andn2_b64 s[16:17], s[16:17], exec
	s_orn2_b64 s[0:1], vcc, exec
	global_store_dword v[0:1], v3, off
.LBB69_4:                               ;   in Loop: Header=BB69_5 Depth=1
	s_or_b64 exec, exec, s[26:27]
	s_and_b64 s[0:1], exec, s[0:1]
	s_or_b64 s[4:5], s[0:1], s[4:5]
	s_andn2_b64 s[0:1], s[18:19], exec
	s_and_b64 s[2:3], s[16:17], exec
	s_or_b64 s[18:19], s[0:1], s[2:3]
	s_andn2_b64 exec, exec, s[4:5]
	s_cbranch_execz .LBB69_46
.LBB69_5:                               ; =>This Loop Header: Depth=1
                                        ;     Child Loop BB69_13 Depth 2
                                        ;     Child Loop BB69_42 Depth 2
	v_sub_u32_e32 v0, s33, v95
	v_pk_mov_b32 v[70:71], 0, 0
	v_cmp_lt_i32_e32 vcc, 0, v0
	v_pk_mov_b32 v[0:1], v[70:71], v[70:71] op_sel:[0,1]
	s_and_saveexec_b64 s[0:1], vcc
	s_cbranch_execz .LBB69_7
; %bb.6:                                ;   in Loop: Header=BB69_5 Depth=1
	v_mul_hi_u32 v0, v95, v13
	v_mul_lo_u32 v1, v0, s8
	v_sub_u32_e32 v1, v95, v1
	v_add_u32_e32 v2, 1, v0
	v_cmp_le_u32_e32 vcc, s8, v1
	v_cndmask_b32_e32 v0, v0, v2, vcc
	v_subrev_u32_e32 v2, s8, v1
	v_cndmask_b32_e32 v1, v1, v2, vcc
	v_add_u32_e32 v2, 1, v0
	v_cmp_le_u32_e32 vcc, s8, v1
	v_cndmask_b32_e32 v1, v0, v2, vcc
	v_mul_lo_u32 v0, v1, s8
	v_readlane_b32 s2, v134, 2
	v_sub_u32_e32 v0, v95, v0
	v_readlane_b32 s3, v134, 3
	v_mul_lo_u32 v0, v0, s3
	v_mad_u64_u32 v[0:1], s[2:3], v1, s2, v[0:1]
	v_mul_lo_u32 v70, v95, s45
	v_mov_b32_e32 v71, v14
	v_mov_b32_e32 v1, v14
.LBB69_7:                               ;   in Loop: Header=BB69_5 Depth=1
	s_or_b64 exec, exec, s[0:1]
	v_lshlrev_b64 v[0:1], 2, v[0:1]
	v_add_co_u32_e32 v0, vcc, s12, v0
	v_addc_co_u32_e32 v1, vcc, v88, v1, vcc
	global_load_dword v6, v[0:1], off
	s_mov_b64 s[0:1], -1
	s_or_b64 s[16:17], s[16:17], exec
	s_waitcnt vmcnt(0)
	v_cmp_le_f32_e32 vcc, 0, v6
	s_and_b64 s[2:3], s[60:61], vcc
	s_and_saveexec_b64 s[26:27], s[2:3]
	s_cbranch_execz .LBB69_4
; %bb.8:                                ;   in Loop: Header=BB69_5 Depth=1
	v_readlane_b32 s0, v134, 11
	v_readlane_b32 s1, v134, 12
	s_and_b64 vcc, exec, s[0:1]
	v_readlane_b32 s0, v134, 4
	v_readlane_b32 s1, v134, 5
	;; [unrolled: 1-line block ×4, first 2 shown]
	v_pk_mov_b32 v[0:1], s[2:3], s[2:3] op_sel:[0,1]
	v_pk_mov_b32 v[72:73], s[0:1], s[0:1] op_sel:[0,1]
	s_cbranch_vccnz .LBB69_10
; %bb.9:                                ;   in Loop: Header=BB69_5 Depth=1
	v_readlane_b32 s0, v134, 4
	v_readlane_b32 s2, v134, 6
	;; [unrolled: 1-line block ×3, first 2 shown]
	v_pk_mov_b32 v[0:1], s[2:3], s[2:3] op_sel:[0,1]
	v_readlane_b32 s1, v134, 5
	flat_load_dwordx2 v[0:1], v[0:1]
	v_pk_mov_b32 v[2:3], s[0:1], s[0:1] op_sel:[0,1]
	flat_load_dwordx2 v[72:73], v[2:3]
	v_readlane_b32 s0, v134, 8
	v_readlane_b32 s1, v134, 9
	v_mov_b32_e32 v2, s1
	s_waitcnt vmcnt(0) lgkmcnt(0)
	v_add_co_u32_e32 v0, vcc, s0, v0
	v_addc_co_u32_e32 v1, vcc, v1, v2, vcc
.LBB69_10:                              ;   in Loop: Header=BB69_5 Depth=1
	v_alignbit_b32 v97, v1, v0, 2
	v_and_b32_e32 v15, 3, v0
	v_lshrrev_b32_e32 v98, 2, v1
	v_mad_u64_u32 v[0:1], s[0:1], v97, s11, 0
	v_xor_b32_e32 v3, v16, v72
	v_mov_b32_e32 v2, v73
	v_xor_b32_e32 v1, v1, v73
	s_mov_b32 s0, 0xbb67ae85
	v_xor_b32_e32 v3, v3, v98
	v_add_co_u32_e32 v100, vcc, s0, v2
	v_mad_u64_u32 v[4:5], s[0:1], v3, s11, 0
	v_mad_u64_u32 v[8:9], s[0:1], v1, s9, 0
	v_add_co_u32_e32 v99, vcc, 0x9e3779b9, v72
	v_xor_b32_e32 v1, v12, v9
	v_xor_b32_e32 v3, v100, v5
	s_mov_b32 s0, 0x3c6ef372
	v_xor_b32_e32 v1, v1, v99
	v_xor_b32_e32 v3, v3, v0
	v_add_co_u32_e32 v101, vcc, s0, v72
	s_mov_b32 s0, 0x76cf5d0a
	v_add_co_u32_e32 v102, vcc, s0, v2
	v_mad_u64_u32 v[0:1], s[0:1], v1, s11, 0
	v_mad_u64_u32 v[10:11], s[0:1], v3, s9, 0
	v_xor_b32_e32 v3, v101, v11
	v_xor_b32_e32 v1, v102, v1
	s_mov_b32 s0, 0xdaa66d2b
	v_xor_b32_e32 v3, v3, v8
	v_xor_b32_e32 v1, v1, v4
	v_add_co_u32_e32 v104, vcc, s0, v72
	s_mov_b32 s0, 0x32370b8f
	v_add_co_u32_e32 v105, vcc, s0, v2
	v_mad_u64_u32 v[4:5], s[0:1], v3, s11, 0
	v_mad_u64_u32 v[8:9], s[0:1], v1, s9, 0
	v_xor_b32_e32 v1, v104, v9
	v_xor_b32_e32 v3, v105, v5
	s_mov_b32 s0, 0x78dde6e4
	v_xor_b32_e32 v1, v1, v10
	v_xor_b32_e32 v3, v3, v0
	v_add_co_u32_e32 v107, vcc, s0, v72
	s_mov_b32 s0, 0xed9eba14
	v_add_co_u32_e32 v108, vcc, s0, v2
	v_mad_u64_u32 v[0:1], s[0:1], v1, s11, 0
	v_mad_u64_u32 v[10:11], s[0:1], v3, s9, 0
	v_xor_b32_e32 v3, v107, v11
	v_xor_b32_e32 v1, v108, v1
	s_mov_b32 s0, 0x1715609d
	v_xor_b32_e32 v3, v3, v8
	v_xor_b32_e32 v1, v1, v4
	v_add_co_u32_e32 v109, vcc, s0, v72
	s_mov_b32 s0, 0xa9066899
	v_add_co_u32_e32 v110, vcc, s0, v2
	v_mad_u64_u32 v[4:5], s[0:1], v3, s11, 0
	v_mad_u64_u32 v[8:9], s[0:1], v1, s9, 0
	v_xor_b32_e32 v1, v109, v9
	v_xor_b32_e32 v3, v110, v5
	s_mov_b32 s0, 0xb54cda56
	v_xor_b32_e32 v1, v1, v10
	v_xor_b32_e32 v3, v3, v0
	v_add_co_u32_e32 v111, vcc, s0, v72
	s_mov_b32 s0, 0x646e171e
	v_add_co_u32_e32 v112, vcc, s0, v2
	v_mad_u64_u32 v[0:1], s[0:1], v1, s11, 0
	v_mad_u64_u32 v[10:11], s[0:1], v3, s9, 0
	v_xor_b32_e32 v3, v111, v11
	v_xor_b32_e32 v1, v112, v1
	s_mov_b32 s0, 0x5384540f
	v_xor_b32_e32 v3, v3, v8
	v_xor_b32_e32 v1, v1, v4
	v_add_co_u32_e32 v113, vcc, s0, v72
	s_mov_b32 s0, 0x1fd5c5a3
	v_add_co_u32_e32 v114, vcc, s0, v2
	v_mad_u64_u32 v[4:5], s[0:1], v3, s11, 0
	v_mad_u64_u32 v[8:9], s[0:1], v1, s9, 0
	v_xor_b32_e32 v1, v113, v9
	v_xor_b32_e32 v3, v114, v5
	s_mov_b32 s0, 0xf1bbcdc8
	v_xor_b32_e32 v1, v1, v10
	v_xor_b32_e32 v0, v3, v0
	v_add_co_u32_e32 v103, vcc, s0, v72
	s_mov_b32 s0, 0xdb3d7428
	v_add_co_u32_e32 v115, vcc, s0, v2
	v_mad_u64_u32 v[2:3], s[0:1], v1, s11, 0
	v_mad_u64_u32 v[0:1], s[0:1], v0, s9, 0
	v_xor_b32_e32 v1, v103, v1
	v_xor_b32_e32 v3, v115, v3
	;; [unrolled: 1-line block ×4, first 2 shown]
	v_mad_u64_u32 v[4:5], s[0:1], v1, s11, 0
	v_mad_u64_u32 v[8:9], s[0:1], v7, s9, 0
	v_add_u32_e32 v106, 0x8ff34781, v72
	v_add_u32_e32 v96, 0x96a522ad, v73
	v_xor_b32_e32 v0, v9, v0
	v_xor_b32_e32 v2, v5, v2
	s_mov_b32 s0, 0x42800000
	v_mov_b32_e32 v3, v4
	v_mov_b32_e32 v1, v8
	v_xor_b32_e32 v0, v106, v0
	v_xor_b32_e32 v2, v96, v2
	v_cvt_f64_f32_e32 v[4:5], v6
	v_cmp_ngt_f32_e32 vcc, s0, v6
                                        ; implicit-def: $vgpr75
	s_and_saveexec_b64 s[0:1], vcc
	s_xor_b64 s[50:51], exec, s[0:1]
	s_cbranch_execz .LBB69_39
; %bb.11:                               ;   in Loop: Header=BB69_5 Depth=1
	s_mov_b32 s0, 0x457a0000
	v_cmp_ge_f32_e32 vcc, s0, v6
                                        ; implicit-def: $vgpr75
	s_and_saveexec_b64 s[0:1], vcc
	s_xor_b64 s[6:7], exec, s[0:1]
	s_cbranch_execz .LBB69_26
; %bb.12:                               ;   in Loop: Header=BB69_5 Depth=1
	s_mov_b32 s12, 0xae147ae1
	s_mov_b32 s13, 0xc00ae147
	v_div_scale_f64 v[6:7], s[0:1], v[4:5], v[4:5], s[12:13]
	v_rcp_f64_e32 v[8:9], v[6:7]
	s_mov_b32 s0, 0
	v_mul_f64 v[76:77], v[4:5], s[22:23]
	s_brev_b32 s1, 8
	v_cmp_gt_f64_e64 s[2:3], s[0:1], v[76:77]
	v_cndmask_b32_e64 v78, 0, 1, s[2:3]
	v_fma_f64 v[74:75], -v[6:7], v[8:9], 1.0
	v_lshlrev_b32_e32 v78, 8, v78
	v_fmac_f64_e32 v[8:9], v[8:9], v[74:75]
	v_ldexp_f64 v[76:77], v[76:77], v78
	v_fma_f64 v[74:75], -v[6:7], v[8:9], 1.0
	v_rsq_f64_e32 v[78:79], v[76:77]
	v_div_scale_f64 v[10:11], vcc, s[12:13], v[4:5], s[12:13]
	v_fmac_f64_e32 v[8:9], v[8:9], v[74:75]
	v_mul_f64 v[74:75], v[10:11], v[8:9]
	v_fma_f64 v[6:7], -v[6:7], v[74:75], v[10:11]
	s_nop 0
	v_div_fmas_f64 v[6:7], v[6:7], v[8:9], v[74:75]
	v_mul_f64 v[8:9], v[76:77], v[78:79]
	v_mul_f64 v[10:11], v[78:79], 0.5
	v_fma_f64 v[74:75], -v[10:11], v[8:9], 0.5
	v_fmac_f64_e32 v[8:9], v[8:9], v[74:75]
	v_fma_f64 v[78:79], -v[8:9], v[8:9], v[76:77]
	v_fmac_f64_e32 v[10:11], v[10:11], v[74:75]
	v_fmac_f64_e32 v[8:9], v[78:79], v[10:11]
	v_fma_f64 v[74:75], -v[8:9], v[8:9], v[76:77]
	v_fmac_f64_e32 v[8:9], v[74:75], v[10:11]
	v_cndmask_b32_e64 v10, 0, v90, s[2:3]
	v_ldexp_f64 v[8:9], v[8:9], v10
	v_cmp_class_f64_e32 vcc, v[76:77], v89
	s_mov_b32 s2, 0x54442d18
	v_cndmask_b32_e32 v9, v9, v77, vcc
	v_cndmask_b32_e32 v8, v8, v76, vcc
	s_mov_b32 s3, 0x400921fb
	v_div_scale_f64 v[10:11], s[0:1], v[8:9], v[8:9], s[2:3]
	v_rcp_f64_e32 v[76:77], v[10:11]
	s_mov_b32 s0, 0x95810625
	v_div_fixup_f64 v[6:7], v[6:7], v[4:5], s[12:13]
	s_mov_b32 s1, 0x3fe88b43
	v_fma_f64 v[78:79], -v[10:11], v[76:77], 1.0
	v_fmac_f64_e32 v[76:77], v[76:77], v[78:79]
	v_fma_f64 v[78:79], -v[10:11], v[76:77], 1.0
	v_fmac_f64_e32 v[76:77], v[76:77], v[78:79]
	v_div_scale_f64 v[78:79], vcc, s[2:3], v[8:9], s[2:3]
	v_mul_f64 v[80:81], v[78:79], v[76:77]
	v_fma_f64 v[10:11], -v[10:11], v[80:81], v[78:79]
	v_add_f64 v[6:7], v[6:7], s[0:1]
	s_nop 0
	v_div_fmas_f64 v[10:11], v[10:11], v[76:77], v[80:81]
	v_div_fixup_f64 v[76:77], v[10:11], v[8:9], s[2:3]
	v_frexp_mant_f64_e32 v[8:9], v[6:7]
	v_cmp_gt_f64_e32 vcc, s[28:29], v[8:9]
	v_mov_b32_e32 v74, 0
	v_cndmask_b32_e64 v75, v91, 2.0, vcc
	v_frexp_exp_i32_f64_e32 v10, v[6:7]
	v_mul_f64 v[8:9], v[8:9], v[74:75]
	v_subbrev_co_u32_e32 v75, vcc, 0, v10, vcc
	v_add_f64 v[10:11], v[8:9], 1.0
	v_rcp_f64_e32 v[80:81], v[10:11]
	v_add_f64 v[84:85], v[10:11], -1.0
	v_add_f64 v[82:83], v[8:9], -1.0
	v_add_f64 v[8:9], v[8:9], -v[84:85]
	v_fma_f64 v[84:85], -v[10:11], v[80:81], 1.0
	v_fmac_f64_e32 v[80:81], v[84:85], v[80:81]
	v_fma_f64 v[84:85], -v[10:11], v[80:81], 1.0
	v_fmac_f64_e32 v[80:81], v[84:85], v[80:81]
	v_mul_f64 v[84:85], v[82:83], v[80:81]
	v_mul_f64 v[86:87], v[10:11], v[84:85]
	v_fma_f64 v[10:11], v[84:85], v[10:11], -v[86:87]
	v_fmac_f64_e32 v[10:11], v[84:85], v[8:9]
	v_add_f64 v[8:9], v[86:87], v[10:11]
	v_add_f64 v[116:117], v[82:83], -v[8:9]
	v_add_f64 v[86:87], v[8:9], -v[86:87]
	;; [unrolled: 1-line block ×5, first 2 shown]
	v_add_f64 v[8:9], v[10:11], v[8:9]
	v_add_f64 v[8:9], v[116:117], v[8:9]
	v_mul_f64 v[8:9], v[80:81], v[8:9]
	v_add_f64 v[10:11], v[84:85], v[8:9]
	v_add_f64 v[80:81], v[10:11], -v[84:85]
	v_add_f64 v[8:9], v[8:9], -v[80:81]
	v_mul_f64 v[80:81], v[10:11], v[10:11]
	v_pk_mov_b32 v[82:83], s[30:31], s[30:31] op_sel:[0,1]
	v_fma_f64 v[84:85], s[34:35], v[80:81], v[82:83]
	v_fma_f64 v[84:85], v[80:81], v[84:85], s[36:37]
	;; [unrolled: 1-line block ×4, first 2 shown]
	s_mov_b32 s24, s45
	v_fma_f64 v[84:85], v[80:81], v[84:85], s[42:43]
	s_mov_b32 s45, s29
	v_fma_f64 v[84:85], v[80:81], v[84:85], s[44:45]
	v_ldexp_f64 v[86:87], v[10:11], 1
	v_mul_f64 v[10:11], v[10:11], v[80:81]
	v_mul_f64 v[10:11], v[10:11], v[84:85]
	v_add_f64 v[80:81], v[86:87], v[10:11]
	v_add_f64 v[84:85], v[80:81], -v[86:87]
	v_ldexp_f64 v[8:9], v[8:9], 1
	v_add_f64 v[10:11], v[10:11], -v[84:85]
	v_add_f64 v[8:9], v[8:9], v[10:11]
	v_add_f64 v[10:11], v[80:81], v[8:9]
	v_add_f64 v[80:81], v[10:11], -v[80:81]
	v_add_f64 v[8:9], v[8:9], -v[80:81]
	v_cvt_f64_i32_e32 v[80:81], v75
	v_mul_f64 v[84:85], v[80:81], s[46:47]
	v_fma_f64 v[86:87], v[80:81], s[46:47], -v[84:85]
	v_fmac_f64_e32 v[86:87], s[48:49], v[80:81]
	v_add_f64 v[80:81], v[84:85], v[86:87]
	v_add_f64 v[84:85], v[80:81], -v[84:85]
	v_add_f64 v[84:85], v[86:87], -v[84:85]
	v_add_f64 v[86:87], v[80:81], v[10:11]
	v_add_f64 v[116:117], v[86:87], -v[80:81]
	v_add_f64 v[118:119], v[86:87], -v[116:117]
	;; [unrolled: 1-line block ×4, first 2 shown]
	v_add_f64 v[10:11], v[10:11], v[80:81]
	v_add_f64 v[80:81], v[84:85], v[8:9]
	v_add_f64 v[116:117], v[80:81], -v[84:85]
	v_add_f64 v[118:119], v[80:81], -v[116:117]
	v_add_f64 v[10:11], v[80:81], v[10:11]
	v_add_f64 v[84:85], v[84:85], -v[118:119]
	v_add_f64 v[8:9], v[8:9], -v[116:117]
	v_add_f64 v[80:81], v[86:87], v[10:11]
	v_add_f64 v[8:9], v[8:9], v[84:85]
	v_add_f64 v[84:85], v[80:81], -v[86:87]
	v_add_f64 v[10:11], v[10:11], -v[84:85]
	v_add_f64 v[8:9], v[8:9], v[10:11]
	v_add_f64 v[8:9], v[80:81], v[8:9]
	v_cmp_class_f64_e64 vcc, v[6:7], s10
	v_cndmask_b32_e32 v8, v8, v6, vcc
	v_cndmask_b32_e32 v9, v9, v7, vcc
	v_cmp_ngt_f64_e32 vcc, 0, v[6:7]
	v_cndmask_b32_e32 v9, v92, v9, vcc
	v_cmp_nge_f64_e32 vcc, 0, v[6:7]
	v_cndmask_b32_e32 v8, 0, v8, vcc
	v_cmp_neq_f64_e32 vcc, 0, v[6:7]
	v_cndmask_b32_e32 v9, v93, v9, vcc
	v_add_f64 v[6:7], v[8:9], -v[4:5]
	v_frexp_mant_f64_e32 v[8:9], v[76:77]
	v_cmp_gt_f64_e32 vcc, s[28:29], v[8:9]
	v_cndmask_b32_e64 v75, v91, 2.0, vcc
	v_frexp_exp_i32_f64_e32 v10, v[76:77]
	v_mul_f64 v[8:9], v[8:9], v[74:75]
	v_subbrev_co_u32_e32 v75, vcc, 0, v10, vcc
	v_add_f64 v[10:11], v[8:9], 1.0
	v_rcp_f64_e32 v[80:81], v[10:11]
	v_add_f64 v[86:87], v[10:11], -1.0
	v_add_f64 v[84:85], v[8:9], -1.0
	v_add_f64 v[8:9], v[8:9], -v[86:87]
	v_fma_f64 v[86:87], -v[10:11], v[80:81], 1.0
	v_fmac_f64_e32 v[80:81], v[86:87], v[80:81]
	v_fma_f64 v[86:87], -v[10:11], v[80:81], 1.0
	v_fmac_f64_e32 v[80:81], v[86:87], v[80:81]
	v_mul_f64 v[86:87], v[84:85], v[80:81]
	v_mul_f64 v[116:117], v[10:11], v[86:87]
	v_fma_f64 v[10:11], v[86:87], v[10:11], -v[116:117]
	v_fmac_f64_e32 v[10:11], v[86:87], v[8:9]
	v_add_f64 v[8:9], v[116:117], v[10:11]
	v_add_f64 v[118:119], v[84:85], -v[8:9]
	v_add_f64 v[116:117], v[8:9], -v[116:117]
	;; [unrolled: 1-line block ×5, first 2 shown]
	v_add_f64 v[8:9], v[10:11], v[8:9]
	v_add_f64 v[8:9], v[118:119], v[8:9]
	v_mul_f64 v[8:9], v[80:81], v[8:9]
	v_add_f64 v[10:11], v[86:87], v[8:9]
	v_add_f64 v[80:81], v[10:11], -v[86:87]
	v_add_f64 v[8:9], v[8:9], -v[80:81]
	v_mul_f64 v[80:81], v[10:11], v[10:11]
	v_fma_f64 v[84:85], s[34:35], v[80:81], v[82:83]
	v_fma_f64 v[84:85], v[80:81], v[84:85], s[36:37]
	;; [unrolled: 1-line block ×6, first 2 shown]
	v_ldexp_f64 v[86:87], v[10:11], 1
	v_mul_f64 v[10:11], v[10:11], v[80:81]
	v_mul_f64 v[10:11], v[10:11], v[84:85]
	v_add_f64 v[80:81], v[86:87], v[10:11]
	v_add_f64 v[84:85], v[80:81], -v[86:87]
	v_ldexp_f64 v[8:9], v[8:9], 1
	v_add_f64 v[10:11], v[10:11], -v[84:85]
	v_add_f64 v[8:9], v[8:9], v[10:11]
	v_add_f64 v[10:11], v[80:81], v[8:9]
	v_add_f64 v[80:81], v[10:11], -v[80:81]
	v_add_f64 v[8:9], v[8:9], -v[80:81]
	v_cvt_f64_i32_e32 v[80:81], v75
	v_mul_f64 v[84:85], v[80:81], s[46:47]
	v_fma_f64 v[86:87], v[80:81], s[46:47], -v[84:85]
	v_fmac_f64_e32 v[86:87], s[48:49], v[80:81]
	v_add_f64 v[80:81], v[84:85], v[86:87]
	v_add_f64 v[84:85], v[80:81], -v[84:85]
	v_add_f64 v[84:85], v[86:87], -v[84:85]
	v_add_f64 v[86:87], v[80:81], v[10:11]
	v_add_f64 v[116:117], v[86:87], -v[80:81]
	v_add_f64 v[118:119], v[86:87], -v[116:117]
	;; [unrolled: 1-line block ×4, first 2 shown]
	v_add_f64 v[10:11], v[10:11], v[80:81]
	v_add_f64 v[80:81], v[84:85], v[8:9]
	v_add_f64 v[116:117], v[80:81], -v[84:85]
	v_add_f64 v[118:119], v[80:81], -v[116:117]
	v_add_f64 v[10:11], v[80:81], v[10:11]
	v_add_f64 v[84:85], v[84:85], -v[118:119]
	v_add_f64 v[8:9], v[8:9], -v[116:117]
	v_add_f64 v[80:81], v[86:87], v[10:11]
	v_add_f64 v[8:9], v[8:9], v[84:85]
	v_add_f64 v[84:85], v[80:81], -v[86:87]
	v_add_f64 v[10:11], v[10:11], -v[84:85]
	s_mov_b32 s0, 0
	v_add_f64 v[8:9], v[8:9], v[10:11]
	s_mov_b32 s1, 0x7ff00000
	v_add_f64 v[8:9], v[80:81], v[8:9]
	v_cmp_eq_f64_e32 vcc, s[0:1], v[76:77]
	v_cndmask_b32_e32 v8, v8, v76, vcc
	v_cndmask_b32_e32 v9, v9, v77, vcc
	v_cmp_neq_f64_e32 vcc, 0, v[76:77]
	v_cndmask_b32_e32 v9, v93, v9, vcc
	v_cndmask_b32_e32 v8, 0, v8, vcc
	v_mul_f64 v[78:79], v[76:77], v[4:5]
	v_add_f64 v[80:81], v[6:7], -v[8:9]
	v_frexp_exp_i32_f64_e32 v6, v[4:5]
	v_frexp_mant_f64_e32 v[4:5], v[4:5]
	v_cmp_gt_f64_e32 vcc, s[28:29], v[4:5]
	v_cndmask_b32_e64 v75, v91, 2.0, vcc
	v_mul_f64 v[4:5], v[4:5], v[74:75]
	v_subbrev_co_u32_e32 v75, vcc, 0, v6, vcc
	v_add_f64 v[6:7], v[4:5], 1.0
	v_rcp_f64_e32 v[8:9], v[6:7]
	v_add_f64 v[84:85], v[6:7], -1.0
	v_add_f64 v[10:11], v[4:5], -1.0
	v_add_f64 v[4:5], v[4:5], -v[84:85]
	v_fma_f64 v[84:85], -v[6:7], v[8:9], 1.0
	v_fmac_f64_e32 v[8:9], v[84:85], v[8:9]
	v_fma_f64 v[84:85], -v[6:7], v[8:9], 1.0
	v_fmac_f64_e32 v[8:9], v[84:85], v[8:9]
	v_mul_f64 v[84:85], v[10:11], v[8:9]
	v_mul_f64 v[86:87], v[6:7], v[84:85]
	v_fma_f64 v[6:7], v[84:85], v[6:7], -v[86:87]
	v_fmac_f64_e32 v[6:7], v[84:85], v[4:5]
	v_add_f64 v[4:5], v[86:87], v[6:7]
	v_add_f64 v[116:117], v[10:11], -v[4:5]
	v_add_f64 v[86:87], v[4:5], -v[86:87]
	;; [unrolled: 1-line block ×5, first 2 shown]
	v_add_f64 v[4:5], v[6:7], v[4:5]
	v_add_f64 v[4:5], v[116:117], v[4:5]
	v_mul_f64 v[4:5], v[8:9], v[4:5]
	v_add_f64 v[6:7], v[84:85], v[4:5]
	v_add_f64 v[8:9], v[6:7], -v[84:85]
	v_add_f64 v[4:5], v[4:5], -v[8:9]
	v_mul_f64 v[8:9], v[6:7], v[6:7]
	v_fmac_f64_e32 v[82:83], s[34:35], v[8:9]
	v_fma_f64 v[10:11], v[8:9], v[82:83], s[36:37]
	v_fma_f64 v[10:11], v[8:9], v[10:11], s[38:39]
	;; [unrolled: 1-line block ×5, first 2 shown]
	v_ldexp_f64 v[82:83], v[6:7], 1
	v_mul_f64 v[6:7], v[6:7], v[8:9]
	v_mul_f64 v[6:7], v[6:7], v[10:11]
	v_add_f64 v[8:9], v[82:83], v[6:7]
	v_add_f64 v[10:11], v[8:9], -v[82:83]
	v_ldexp_f64 v[4:5], v[4:5], 1
	v_add_f64 v[6:7], v[6:7], -v[10:11]
	v_add_f64 v[4:5], v[4:5], v[6:7]
	v_add_f64 v[6:7], v[8:9], v[4:5]
	v_add_f64 v[8:9], v[6:7], -v[8:9]
	v_add_f64 v[4:5], v[4:5], -v[8:9]
	v_cvt_f64_i32_e32 v[8:9], v75
	v_mul_f64 v[10:11], v[8:9], s[46:47]
	v_fma_f64 v[82:83], v[8:9], s[46:47], -v[10:11]
	v_fmac_f64_e32 v[82:83], s[48:49], v[8:9]
	v_add_f64 v[8:9], v[10:11], v[82:83]
	v_add_f64 v[10:11], v[8:9], -v[10:11]
	v_add_f64 v[10:11], v[82:83], -v[10:11]
	v_add_f64 v[82:83], v[8:9], v[6:7]
	v_add_f64 v[84:85], v[82:83], -v[8:9]
	v_add_f64 v[86:87], v[82:83], -v[84:85]
	;; [unrolled: 1-line block ×4, first 2 shown]
	v_add_f64 v[6:7], v[6:7], v[8:9]
	v_add_f64 v[8:9], v[10:11], v[4:5]
	v_add_f64 v[84:85], v[8:9], -v[10:11]
	v_add_f64 v[86:87], v[8:9], -v[84:85]
	v_add_f64 v[6:7], v[8:9], v[6:7]
	v_add_f64 v[10:11], v[10:11], -v[86:87]
	v_add_f64 v[4:5], v[4:5], -v[84:85]
	v_add_f64 v[8:9], v[82:83], v[6:7]
	v_add_f64 v[4:5], v[4:5], v[10:11]
	v_add_f64 v[10:11], v[8:9], -v[82:83]
	v_add_f64 v[6:7], v[6:7], -v[10:11]
	v_add_f64 v[4:5], v[4:5], v[6:7]
	v_add_f64 v[82:83], v[8:9], v[4:5]
	s_mov_b64 s[14:15], 0
	s_mov_b64 s[12:13], 0
	v_mov_b32_e32 v116, v17
                                        ; implicit-def: $vgpr75
.LBB69_13:                              ;   Parent Loop BB69_5 Depth=1
                                        ; =>  This Inner Loop Header: Depth=2
	v_add_u32_e32 v117, 1, v15
	v_pk_mov_b32 v[10:11], v[2:3], v[2:3] op_sel:[0,1]
	v_cmp_eq_u32_e32 vcc, 4, v117
	v_pk_mov_b32 v[8:9], v[0:1], v[0:1] op_sel:[0,1]
	v_mov_b32_e32 v87, v0
	v_mov_b32_e32 v86, v1
	;; [unrolled: 1-line block ×4, first 2 shown]
	s_and_saveexec_b64 s[0:1], vcc
	s_cbranch_execz .LBB69_15
; %bb.14:                               ;   in Loop: Header=BB69_13 Depth=2
	v_add_co_u32_e32 v97, vcc, 1, v97
	v_cndmask_b32_e64 v4, 0, 1, vcc
	v_addc_co_u32_e32 v98, vcc, 0, v98, vcc
	v_cmp_eq_u32_e32 vcc, 0, v98
	v_cndmask_b32_e32 v4, 0, v4, vcc
	v_add_u32_e32 v116, v4, v116
	v_cmp_eq_u32_e32 vcc, 0, v116
	v_cndmask_b32_e32 v4, 0, v4, vcc
	v_add_u32_e32 v74, v4, v74
	v_mad_u64_u32 v[4:5], s[2:3], v97, s11, 0
	v_mad_u64_u32 v[6:7], s[2:3], v116, s9, 0
	v_xor_b32_e32 v5, v5, v73
	v_xor_b32_e32 v7, v7, v72
	v_xor_b32_e32 v5, v74, v5
	v_xor_b32_e32 v7, v98, v7
	v_mad_u64_u32 v[10:11], s[2:3], v5, s9, 0
	v_mad_u64_u32 v[8:9], s[2:3], v7, s11, 0
	v_xor_b32_e32 v5, v99, v11
	v_xor_b32_e32 v5, v5, v6
	v_xor_b32_e32 v6, v100, v9
	v_xor_b32_e32 v6, v6, v4
	;; [unrolled: 6-line block ×10, first 2 shown]
	v_mov_b32_e32 v117, 0
	v_mov_b32_e32 v9, v86
	;; [unrolled: 1-line block ×5, first 2 shown]
.LBB69_15:                              ;   in Loop: Header=BB69_13 Depth=2
	s_or_b64 exec, exec, s[0:1]
	v_add_u32_e32 v118, 1, v117
	v_pk_mov_b32 v[4:5], v[8:9], v[8:9] op_sel:[0,1]
	v_cmp_eq_u32_e32 vcc, 4, v118
	v_pk_mov_b32 v[6:7], v[10:11], v[10:11] op_sel:[0,1]
	s_and_saveexec_b64 s[0:1], vcc
	s_cbranch_execz .LBB69_17
; %bb.16:                               ;   in Loop: Header=BB69_13 Depth=2
	v_add_co_u32_e32 v97, vcc, 1, v97
	v_cndmask_b32_e64 v4, 0, 1, vcc
	v_addc_co_u32_e32 v98, vcc, 0, v98, vcc
	v_cmp_eq_u32_e32 vcc, 0, v98
	v_cndmask_b32_e32 v4, 0, v4, vcc
	v_add_u32_e32 v116, v4, v116
	v_cmp_eq_u32_e32 vcc, 0, v116
	v_cndmask_b32_e32 v4, 0, v4, vcc
	v_add_u32_e32 v74, v4, v74
	v_mad_u64_u32 v[4:5], s[2:3], v97, s11, 0
	v_mad_u64_u32 v[6:7], s[2:3], v116, s9, 0
	v_xor_b32_e32 v5, v5, v73
	v_xor_b32_e32 v7, v7, v72
	v_xor_b32_e32 v5, v74, v5
	v_xor_b32_e32 v7, v98, v7
	v_mad_u64_u32 v[86:87], s[2:3], v5, s9, 0
	v_mad_u64_u32 v[84:85], s[2:3], v7, s11, 0
	v_xor_b32_e32 v5, v99, v87
	v_xor_b32_e32 v5, v5, v6
	v_xor_b32_e32 v6, v100, v85
	v_xor_b32_e32 v6, v6, v4
	;; [unrolled: 6-line block ×10, first 2 shown]
	v_mov_b32_e32 v118, 0
	v_mov_b32_e32 v5, v86
	;; [unrolled: 1-line block ×5, first 2 shown]
.LBB69_17:                              ;   in Loop: Header=BB69_13 Depth=2
	s_or_b64 exec, exec, s[0:1]
	v_cmp_eq_u32_e32 vcc, 1, v15
	v_cndmask_b32_e32 v0, v0, v1, vcc
	v_cmp_eq_u32_e32 vcc, 2, v15
	v_cndmask_b32_e32 v0, v0, v2, vcc
	;; [unrolled: 2-line block ×6, first 2 shown]
	v_lshrrev_b32_e32 v0, 11, v0
	v_cvt_f64_u32_e32 v[0:1], v0
	v_ldexp_f64 v[0:1], v[0:1], 32
	v_cvt_f64_u32_e32 v[2:3], v2
	v_add_f64 v[0:1], v[0:1], v[2:3]
	v_mov_b32_e32 v2, 0
	v_mov_b32_e32 v3, 0x3ca00000
	v_fmac_f64_e32 v[2:3], 0x3ca00000, v[0:1]
	v_add_f64 v[0:1], -v[2:3], 1.0
	v_div_scale_f64 v[8:9], s[0:1], v[2:3], v[2:3], v[0:1]
	v_rcp_f64_e32 v[10:11], v[8:9]
	v_mov_b32_e32 v119, 2
	v_fma_f64 v[120:121], -v[8:9], v[10:11], 1.0
	v_fmac_f64_e32 v[10:11], v[10:11], v[120:121]
	v_fma_f64 v[120:121], -v[8:9], v[10:11], 1.0
	v_fmac_f64_e32 v[10:11], v[10:11], v[120:121]
	v_div_scale_f64 v[120:121], vcc, v[0:1], v[2:3], v[0:1]
	v_mul_f64 v[122:123], v[120:121], v[10:11]
	v_fma_f64 v[8:9], -v[8:9], v[122:123], v[120:121]
	s_nop 1
	v_div_fmas_f64 v[8:9], v[8:9], v[10:11], v[122:123]
	v_div_fixup_f64 v[0:1], v[8:9], v[2:3], v[0:1]
	v_frexp_mant_f64_e32 v[2:3], v[0:1]
	v_cmp_gt_f64_e32 vcc, s[28:29], v[2:3]
	v_cndmask_b32_e64 v15, v91, 2.0, vcc
	v_frexp_exp_i32_f64_e32 v8, v[0:1]
	v_mul_f64 v[2:3], v[2:3], v[14:15]
	v_subbrev_co_u32_e32 v15, vcc, 0, v8, vcc
	v_add_f64 v[8:9], v[2:3], 1.0
	v_rcp_f64_e32 v[10:11], v[8:9]
	v_add_f64 v[122:123], v[8:9], -1.0
	v_add_f64 v[120:121], v[2:3], -1.0
	v_add_f64 v[2:3], v[2:3], -v[122:123]
	v_fma_f64 v[122:123], -v[8:9], v[10:11], 1.0
	v_fmac_f64_e32 v[10:11], v[122:123], v[10:11]
	v_fma_f64 v[122:123], -v[8:9], v[10:11], 1.0
	v_fmac_f64_e32 v[10:11], v[122:123], v[10:11]
	v_mul_f64 v[122:123], v[120:121], v[10:11]
	v_mul_f64 v[124:125], v[8:9], v[122:123]
	v_fma_f64 v[8:9], v[122:123], v[8:9], -v[124:125]
	v_fmac_f64_e32 v[8:9], v[122:123], v[2:3]
	v_add_f64 v[2:3], v[124:125], v[8:9]
	v_add_f64 v[126:127], v[120:121], -v[2:3]
	v_add_f64 v[124:125], v[2:3], -v[124:125]
	;; [unrolled: 1-line block ×5, first 2 shown]
	v_add_f64 v[2:3], v[8:9], v[2:3]
	v_add_f64 v[2:3], v[126:127], v[2:3]
	v_mul_f64 v[2:3], v[10:11], v[2:3]
	v_add_f64 v[8:9], v[122:123], v[2:3]
	v_add_f64 v[10:11], v[8:9], -v[122:123]
	v_add_f64 v[2:3], v[2:3], -v[10:11]
	v_mul_f64 v[10:11], v[8:9], v[8:9]
	v_pk_mov_b32 v[120:121], v[18:19], v[18:19] op_sel:[0,1]
	v_fmac_f64_e32 v[120:121], s[34:35], v[10:11]
	v_pk_mov_b32 v[122:123], v[20:21], v[20:21] op_sel:[0,1]
	v_fmac_f64_e32 v[122:123], v[10:11], v[120:121]
	;; [unrolled: 2-line block ×6, first 2 shown]
	v_ldexp_f64 v[120:121], v[8:9], 1
	v_mul_f64 v[8:9], v[8:9], v[10:11]
	v_mul_f64 v[8:9], v[8:9], v[122:123]
	v_add_f64 v[10:11], v[120:121], v[8:9]
	v_add_f64 v[120:121], v[10:11], -v[120:121]
	v_ldexp_f64 v[2:3], v[2:3], 1
	v_add_f64 v[8:9], v[8:9], -v[120:121]
	v_add_f64 v[2:3], v[2:3], v[8:9]
	v_add_f64 v[8:9], v[10:11], v[2:3]
	v_add_f64 v[10:11], v[8:9], -v[10:11]
	v_add_f64 v[2:3], v[2:3], -v[10:11]
	v_cvt_f64_i32_e32 v[10:11], v15
	v_mul_f64 v[120:121], v[10:11], s[46:47]
	v_fma_f64 v[122:123], v[10:11], s[46:47], -v[120:121]
	v_fmac_f64_e32 v[122:123], s[48:49], v[10:11]
	v_add_f64 v[10:11], v[120:121], v[122:123]
	v_add_f64 v[120:121], v[10:11], -v[120:121]
	v_add_f64 v[120:121], v[122:123], -v[120:121]
	v_add_f64 v[122:123], v[10:11], v[8:9]
	v_add_f64 v[124:125], v[122:123], -v[10:11]
	v_add_f64 v[126:127], v[122:123], -v[124:125]
	;; [unrolled: 1-line block ×4, first 2 shown]
	v_add_f64 v[8:9], v[8:9], v[10:11]
	v_add_f64 v[10:11], v[120:121], v[2:3]
	v_add_f64 v[124:125], v[10:11], -v[120:121]
	v_add_f64 v[126:127], v[10:11], -v[124:125]
	v_add_f64 v[8:9], v[10:11], v[8:9]
	v_add_f64 v[120:121], v[120:121], -v[126:127]
	v_add_f64 v[2:3], v[2:3], -v[124:125]
	v_add_f64 v[10:11], v[122:123], v[8:9]
	v_add_f64 v[2:3], v[2:3], v[120:121]
	v_add_f64 v[120:121], v[10:11], -v[122:123]
	v_add_f64 v[8:9], v[8:9], -v[120:121]
	v_add_f64 v[2:3], v[2:3], v[8:9]
	v_add_f64 v[2:3], v[10:11], v[2:3]
	v_cmp_class_f64_e64 vcc, v[0:1], s10
	v_cndmask_b32_e32 v2, v2, v0, vcc
	v_cndmask_b32_e32 v3, v3, v1, vcc
	v_cmp_ngt_f64_e32 vcc, 0, v[0:1]
	v_cndmask_b32_e32 v3, v92, v3, vcc
	v_cmp_nge_f64_e32 vcc, 0, v[0:1]
	v_cndmask_b32_e32 v2, 0, v2, vcc
	v_cmp_neq_f64_e32 vcc, 0, v[0:1]
	v_cndmask_b32_e32 v3, v93, v3, vcc
	v_add_f64 v[0:1], v[78:79], -v[2:3]
	v_div_scale_f64 v[2:3], s[0:1], v[76:77], v[76:77], v[0:1]
	v_rcp_f64_e32 v[8:9], v[2:3]
	v_fma_f64 v[10:11], -v[2:3], v[8:9], 1.0
	v_fmac_f64_e32 v[8:9], v[8:9], v[10:11]
	v_fma_f64 v[10:11], -v[2:3], v[8:9], 1.0
	v_fmac_f64_e32 v[8:9], v[8:9], v[10:11]
	v_div_scale_f64 v[10:11], vcc, v[0:1], v[76:77], v[0:1]
	v_mul_f64 v[120:121], v[10:11], v[8:9]
	v_fma_f64 v[2:3], -v[2:3], v[120:121], v[10:11]
	s_nop 1
	v_div_fmas_f64 v[2:3], v[2:3], v[8:9], v[120:121]
	v_div_fixup_f64 v[10:11], v[2:3], v[76:77], v[0:1]
	v_add_f64 v[0:1], v[10:11], 0.5
	v_floor_f64_e32 v[8:9], v[0:1]
	v_cmp_ngt_f64_e32 vcc, 0, v[8:9]
	s_and_saveexec_b64 s[0:1], vcc
	s_cbranch_execz .LBB69_23
; %bb.18:                               ;   in Loop: Header=BB69_13 Depth=2
	v_add_u32_e32 v15, 1, v118
	v_pk_mov_b32 v[0:1], v[4:5], v[4:5] op_sel:[0,1]
	v_cmp_eq_u32_e32 vcc, 4, v15
	v_pk_mov_b32 v[2:3], v[6:7], v[6:7] op_sel:[0,1]
	s_and_saveexec_b64 s[2:3], vcc
	s_cbranch_execz .LBB69_20
; %bb.19:                               ;   in Loop: Header=BB69_13 Depth=2
	v_add_co_u32_e32 v97, vcc, 1, v97
	v_cndmask_b32_e64 v0, 0, 1, vcc
	v_addc_co_u32_e32 v98, vcc, 0, v98, vcc
	v_cmp_eq_u32_e32 vcc, 0, v98
	v_cndmask_b32_e32 v0, 0, v0, vcc
	v_add_u32_e32 v116, v0, v116
	v_cmp_eq_u32_e32 vcc, 0, v116
	v_cndmask_b32_e32 v0, 0, v0, vcc
	v_add_u32_e32 v74, v0, v74
	v_mad_u64_u32 v[0:1], vcc, v97, s11, 0
	v_mad_u64_u32 v[2:3], vcc, v116, s9, 0
	v_xor_b32_e32 v1, v1, v73
	v_xor_b32_e32 v3, v3, v72
	v_xor_b32_e32 v1, v74, v1
	v_xor_b32_e32 v3, v98, v3
	v_mad_u64_u32 v[86:87], vcc, v1, s9, 0
	v_mad_u64_u32 v[84:85], vcc, v3, s11, 0
	v_xor_b32_e32 v1, v99, v87
	v_xor_b32_e32 v1, v1, v2
	v_xor_b32_e32 v2, v100, v85
	v_xor_b32_e32 v2, v2, v0
	;; [unrolled: 6-line block ×10, first 2 shown]
	v_mov_b32_e32 v15, 0
	v_mov_b32_e32 v1, v86
	;; [unrolled: 1-line block ×5, first 2 shown]
.LBB69_20:                              ;   in Loop: Header=BB69_13 Depth=2
	s_or_b64 exec, exec, s[2:3]
	v_add_u32_e32 v117, 1, v15
	v_cmp_eq_u32_e32 vcc, 4, v117
	s_and_saveexec_b64 s[2:3], vcc
	s_cbranch_execz .LBB69_22
; %bb.21:                               ;   in Loop: Header=BB69_13 Depth=2
	v_add_co_u32_e32 v97, vcc, 1, v97
	v_cndmask_b32_e64 v84, 0, 1, vcc
	v_addc_co_u32_e32 v98, vcc, 0, v98, vcc
	v_cmp_eq_u32_e32 vcc, 0, v98
	v_cndmask_b32_e32 v84, 0, v84, vcc
	v_add_u32_e32 v116, v84, v116
	v_cmp_eq_u32_e32 vcc, 0, v116
	v_cndmask_b32_e32 v84, 0, v84, vcc
	v_add_u32_e32 v74, v84, v74
	v_mad_u64_u32 v[84:85], vcc, v97, s11, 0
	v_mad_u64_u32 v[86:87], vcc, v116, s9, 0
	v_xor_b32_e32 v85, v85, v73
	v_xor_b32_e32 v87, v87, v72
	v_xor_b32_e32 v85, v74, v85
	v_xor_b32_e32 v87, v98, v87
	v_mad_u64_u32 v[122:123], vcc, v85, s9, 0
	v_mad_u64_u32 v[120:121], vcc, v87, s11, 0
	v_xor_b32_e32 v85, v99, v123
	v_xor_b32_e32 v85, v85, v86
	v_xor_b32_e32 v86, v100, v121
	v_xor_b32_e32 v86, v86, v84
	v_mad_u64_u32 v[84:85], vcc, v85, s11, 0
	v_mad_u64_u32 v[86:87], vcc, v86, s9, 0
	v_xor_b32_e32 v85, v102, v85
	v_xor_b32_e32 v87, v101, v87
	v_xor_b32_e32 v85, v85, v120
	v_xor_b32_e32 v87, v87, v122
	v_mad_u64_u32 v[122:123], vcc, v85, s9, 0
	v_mad_u64_u32 v[120:121], vcc, v87, s11, 0
	v_xor_b32_e32 v85, v104, v123
	v_xor_b32_e32 v85, v85, v86
	v_xor_b32_e32 v86, v105, v121
	v_xor_b32_e32 v86, v86, v84
	v_mad_u64_u32 v[84:85], vcc, v85, s11, 0
	v_mad_u64_u32 v[86:87], vcc, v86, s9, 0
	v_xor_b32_e32 v85, v108, v85
	v_xor_b32_e32 v87, v107, v87
	v_xor_b32_e32 v85, v85, v120
	v_xor_b32_e32 v87, v87, v122
	v_mad_u64_u32 v[122:123], vcc, v85, s9, 0
	v_mad_u64_u32 v[120:121], vcc, v87, s11, 0
	v_xor_b32_e32 v85, v109, v123
	v_xor_b32_e32 v85, v85, v86
	v_xor_b32_e32 v86, v110, v121
	v_xor_b32_e32 v86, v86, v84
	v_mad_u64_u32 v[84:85], vcc, v85, s11, 0
	v_mad_u64_u32 v[86:87], vcc, v86, s9, 0
	v_xor_b32_e32 v85, v112, v85
	v_xor_b32_e32 v87, v111, v87
	v_xor_b32_e32 v85, v85, v120
	v_xor_b32_e32 v87, v87, v122
	v_mad_u64_u32 v[122:123], vcc, v85, s9, 0
	v_mad_u64_u32 v[120:121], vcc, v87, s11, 0
	v_xor_b32_e32 v85, v113, v123
	v_xor_b32_e32 v85, v85, v86
	v_xor_b32_e32 v86, v114, v121
	v_xor_b32_e32 v84, v86, v84
	v_mad_u64_u32 v[124:125], vcc, v85, s11, 0
	v_mad_u64_u32 v[126:127], vcc, v84, s9, 0
	v_xor_b32_e32 v84, v103, v127
	v_xor_b32_e32 v85, v115, v125
	v_xor_b32_e32 v84, v84, v122
	v_xor_b32_e32 v86, v85, v120
	v_mad_u64_u32 v[84:85], vcc, v84, s11, 0
	v_mad_u64_u32 v[86:87], vcc, v86, s9, 0
	v_xor_b32_e32 v87, v87, v126
	v_xor_b32_e32 v85, v85, v124
	v_mov_b32_e32 v117, 0
	v_xor_b32_e32 v87, v106, v87
	v_xor_b32_e32 v85, v96, v85
.LBB69_22:                              ;   in Loop: Header=BB69_13 Depth=2
	s_or_b64 exec, exec, s[2:3]
	v_cmp_eq_u32_e32 vcc, 1, v118
	v_cndmask_b32_e32 v4, v4, v5, vcc
	v_cmp_eq_u32_e32 vcc, 2, v118
	v_cndmask_b32_e32 v4, v4, v6, vcc
	;; [unrolled: 2-line block ×6, first 2 shown]
	v_lshrrev_b32_e32 v0, 11, v0
	v_cvt_f64_u32_e32 v[0:1], v0
	v_ldexp_f64 v[0:1], v[0:1], 32
	v_cvt_f64_u32_e32 v[2:3], v4
	v_add_f64 v[0:1], v[0:1], v[2:3]
	v_mov_b32_e32 v2, 0
	v_mov_b32_e32 v3, 0x3ca00000
	v_fma_f64 v[4:5], -v[76:77], v[10:11], v[78:79]
	v_fmac_f64_e32 v[2:3], 0x3ca00000, v[0:1]
	v_mul_f64 v[0:1], v[4:5], s[52:53]
	v_rndne_f64_e32 v[0:1], v[0:1]
	s_mov_b32 s54, s46
	v_fma_f64 v[6:7], s[54:55], v[0:1], v[4:5]
	s_mov_b32 s56, s48
	v_fmac_f64_e32 v[6:7], s[56:57], v[0:1]
	v_pk_mov_b32 v[10:11], v[30:31], v[30:31] op_sel:[0,1]
	v_fmac_f64_e32 v[10:11], s[58:59], v[6:7]
	v_pk_mov_b32 v[118:119], v[32:33], v[32:33] op_sel:[0,1]
	;; [unrolled: 2-line block ×9, first 2 shown]
	v_fmac_f64_e32 v[10:11], v[6:7], v[118:119]
	v_fma_f64 v[10:11], v[6:7], v[10:11], 1.0
	v_fma_f64 v[6:7], v[6:7], v[10:11], 1.0
	v_cvt_i32_f64_e32 v0, v[0:1]
	v_ldexp_f64 v[0:1], v[6:7], v0
	v_add_f64 v[0:1], v[0:1], 1.0
	v_cmp_nlt_f64_e32 vcc, s[62:63], v[4:5]
	v_cmp_ngt_f64_e64 s[2:3], s[64:65], v[4:5]
	v_cndmask_b32_e32 v1, v94, v1, vcc
	s_and_b64 vcc, s[2:3], vcc
	v_cndmask_b32_e64 v1, v91, v1, s[2:3]
	v_cndmask_b32_e32 v0, 0, v0, vcc
	v_mul_f64 v[0:1], v[0:1], v[0:1]
	v_div_scale_f64 v[6:7], s[2:3], v[0:1], v[0:1], v[2:3]
	v_rcp_f64_e32 v[10:11], v[6:7]
	s_mov_b32 s45, s29
	v_fma_f64 v[118:119], -v[6:7], v[10:11], 1.0
	v_fmac_f64_e32 v[10:11], v[10:11], v[118:119]
	v_fma_f64 v[118:119], -v[6:7], v[10:11], 1.0
	v_fmac_f64_e32 v[10:11], v[10:11], v[118:119]
	v_div_scale_f64 v[118:119], vcc, v[2:3], v[0:1], v[2:3]
	v_mul_f64 v[120:121], v[118:119], v[10:11]
	v_fma_f64 v[6:7], -v[6:7], v[120:121], v[118:119]
	s_nop 1
	v_div_fmas_f64 v[6:7], v[6:7], v[10:11], v[120:121]
	v_div_fixup_f64 v[2:3], v[6:7], v[0:1], v[2:3]
	v_frexp_mant_f64_e32 v[0:1], v[2:3]
	v_cmp_gt_f64_e32 vcc, s[28:29], v[0:1]
	v_cndmask_b32_e64 v15, v91, 2.0, vcc
	v_frexp_exp_i32_f64_e32 v6, v[2:3]
	v_mul_f64 v[0:1], v[0:1], v[14:15]
	v_subbrev_co_u32_e32 v15, vcc, 0, v6, vcc
	v_add_f64 v[6:7], v[0:1], 1.0
	v_rcp_f64_e32 v[10:11], v[6:7]
	v_add_f64 v[120:121], v[6:7], -1.0
	v_add_f64 v[118:119], v[0:1], -1.0
	v_add_f64 v[0:1], v[0:1], -v[120:121]
	v_fma_f64 v[120:121], -v[6:7], v[10:11], 1.0
	v_fmac_f64_e32 v[10:11], v[120:121], v[10:11]
	v_fma_f64 v[120:121], -v[6:7], v[10:11], 1.0
	v_fmac_f64_e32 v[10:11], v[120:121], v[10:11]
	v_mul_f64 v[120:121], v[118:119], v[10:11]
	v_mul_f64 v[122:123], v[6:7], v[120:121]
	v_fma_f64 v[6:7], v[120:121], v[6:7], -v[122:123]
	v_fmac_f64_e32 v[6:7], v[120:121], v[0:1]
	v_add_f64 v[0:1], v[122:123], v[6:7]
	v_add_f64 v[124:125], v[118:119], -v[0:1]
	v_add_f64 v[122:123], v[0:1], -v[122:123]
	;; [unrolled: 1-line block ×5, first 2 shown]
	v_add_f64 v[0:1], v[6:7], v[0:1]
	v_add_f64 v[0:1], v[124:125], v[0:1]
	v_mul_f64 v[0:1], v[10:11], v[0:1]
	v_add_f64 v[6:7], v[120:121], v[0:1]
	v_add_f64 v[10:11], v[6:7], -v[120:121]
	v_add_f64 v[10:11], v[0:1], -v[10:11]
	v_mul_f64 v[118:119], v[6:7], v[6:7]
	v_pk_mov_b32 v[0:1], s[30:31], s[30:31] op_sel:[0,1]
	v_fma_f64 v[120:121], s[34:35], v[118:119], v[0:1]
	v_fma_f64 v[120:121], v[118:119], v[120:121], s[36:37]
	;; [unrolled: 1-line block ×6, first 2 shown]
	v_ldexp_f64 v[122:123], v[6:7], 1
	v_mul_f64 v[6:7], v[6:7], v[118:119]
	v_mul_f64 v[6:7], v[6:7], v[120:121]
	v_add_f64 v[118:119], v[122:123], v[6:7]
	v_add_f64 v[120:121], v[118:119], -v[122:123]
	v_ldexp_f64 v[10:11], v[10:11], 1
	v_add_f64 v[6:7], v[6:7], -v[120:121]
	v_add_f64 v[6:7], v[10:11], v[6:7]
	v_add_f64 v[10:11], v[118:119], v[6:7]
	v_add_f64 v[118:119], v[10:11], -v[118:119]
	v_add_f64 v[6:7], v[6:7], -v[118:119]
	v_cvt_f64_i32_e32 v[118:119], v15
	v_mul_f64 v[120:121], v[118:119], s[46:47]
	v_fma_f64 v[122:123], v[118:119], s[46:47], -v[120:121]
	v_fmac_f64_e32 v[122:123], s[48:49], v[118:119]
	v_add_f64 v[118:119], v[120:121], v[122:123]
	v_add_f64 v[120:121], v[118:119], -v[120:121]
	v_add_f64 v[120:121], v[122:123], -v[120:121]
	v_add_f64 v[122:123], v[118:119], v[10:11]
	v_add_f64 v[124:125], v[122:123], -v[118:119]
	v_add_f64 v[126:127], v[122:123], -v[124:125]
	;; [unrolled: 1-line block ×4, first 2 shown]
	v_add_f64 v[10:11], v[10:11], v[118:119]
	v_add_f64 v[118:119], v[120:121], v[6:7]
	v_add_f64 v[124:125], v[118:119], -v[120:121]
	v_add_f64 v[126:127], v[118:119], -v[124:125]
	v_add_f64 v[10:11], v[118:119], v[10:11]
	v_add_f64 v[120:121], v[120:121], -v[126:127]
	v_add_f64 v[6:7], v[6:7], -v[124:125]
	v_add_f64 v[118:119], v[122:123], v[10:11]
	v_add_f64 v[6:7], v[6:7], v[120:121]
	v_add_f64 v[120:121], v[118:119], -v[122:123]
	v_add_f64 v[10:11], v[10:11], -v[120:121]
	v_add_f64 v[6:7], v[6:7], v[10:11]
	v_add_f64 v[6:7], v[118:119], v[6:7]
	v_cmp_class_f64_e64 vcc, v[2:3], s10
	v_cndmask_b32_e32 v15, v6, v2, vcc
	v_cndmask_b32_e32 v6, v7, v3, vcc
	v_cmp_neq_f64_e32 vcc, 0, v[2:3]
	v_cndmask_b32_e32 v3, v93, v6, vcc
	v_add_f64 v[6:7], v[8:9], 1.0
	v_add_f64 v[6:7], v[6:7], -1.0
	v_add_f64 v[118:119], v[6:7], s[66:67]
	v_div_scale_f64 v[10:11], s[2:3], v[118:119], v[118:119], s[68:69]
	v_rcp_f64_e32 v[120:121], v[10:11]
	v_cndmask_b32_e32 v2, 0, v15, vcc
	v_add_f64 v[2:3], v[4:5], v[2:3]
	v_fma_f64 v[4:5], v[82:83], v[8:9], v[80:81]
	v_fma_f64 v[122:123], -v[10:11], v[120:121], 1.0
	v_fmac_f64_e32 v[120:121], v[120:121], v[122:123]
	v_fma_f64 v[122:123], -v[10:11], v[120:121], 1.0
	v_fmac_f64_e32 v[120:121], v[120:121], v[122:123]
	v_div_scale_f64 v[122:123], vcc, s[68:69], v[118:119], s[68:69]
	v_mul_f64 v[124:125], v[122:123], v[120:121]
	v_fma_f64 v[122:123], -v[10:11], v[124:125], v[122:123]
	v_add_f64 v[10:11], v[6:7], s[70:71]
	v_div_scale_f64 v[126:127], s[2:3], v[10:11], v[10:11], s[72:73]
	v_rcp_f64_e32 v[128:129], v[126:127]
	v_div_fmas_f64 v[120:121], v[122:123], v[120:121], v[124:125]
	v_div_fixup_f64 v[118:119], v[120:121], v[118:119], s[68:69]
	v_add_f64 v[124:125], v[6:7], s[74:75]
	v_fma_f64 v[120:121], -v[126:127], v[128:129], 1.0
	v_fmac_f64_e32 v[128:129], v[128:129], v[120:121]
	v_fma_f64 v[120:121], -v[126:127], v[128:129], 1.0
	v_fmac_f64_e32 v[128:129], v[128:129], v[120:121]
	v_div_scale_f64 v[120:121], vcc, s[72:73], v[10:11], s[72:73]
	v_mul_f64 v[122:123], v[120:121], v[128:129]
	v_fma_f64 v[120:121], -v[126:127], v[122:123], v[120:121]
	v_div_scale_f64 v[126:127], s[2:3], v[124:125], v[124:125], s[76:77]
	v_rcp_f64_e32 v[130:131], v[126:127]
	v_div_fmas_f64 v[120:121], v[120:121], v[128:129], v[122:123]
	v_add_f64 v[118:119], v[118:119], 0
	v_div_fixup_f64 v[120:121], v[120:121], v[10:11], s[72:73]
	v_add_f64 v[118:119], v[120:121], v[118:119]
	v_fma_f64 v[120:121], -v[126:127], v[130:131], 1.0
	v_fmac_f64_e32 v[130:131], v[130:131], v[120:121]
	v_fma_f64 v[120:121], -v[126:127], v[130:131], 1.0
	v_fmac_f64_e32 v[130:131], v[130:131], v[120:121]
	v_div_scale_f64 v[120:121], vcc, s[76:77], v[124:125], s[76:77]
	v_mul_f64 v[122:123], v[120:121], v[130:131]
	v_fma_f64 v[120:121], -v[126:127], v[122:123], v[120:121]
	v_add_f64 v[126:127], v[6:7], s[78:79]
	v_div_scale_f64 v[128:129], s[2:3], v[126:127], v[126:127], s[80:81]
	v_rcp_f64_e32 v[132:133], v[128:129]
	v_div_fmas_f64 v[120:121], v[120:121], v[130:131], v[122:123]
	v_div_fixup_f64 v[120:121], v[120:121], v[124:125], s[76:77]
	v_add_f64 v[118:119], v[118:119], v[120:121]
	v_fma_f64 v[120:121], -v[128:129], v[132:133], 1.0
	v_fmac_f64_e32 v[132:133], v[132:133], v[120:121]
	v_fma_f64 v[120:121], -v[128:129], v[132:133], 1.0
	v_fmac_f64_e32 v[132:133], v[132:133], v[120:121]
	v_div_scale_f64 v[120:121], vcc, s[80:81], v[126:127], s[80:81]
	v_mul_f64 v[122:123], v[120:121], v[132:133]
	v_add_f64 v[124:125], v[6:7], 4.0
	v_fma_f64 v[120:121], -v[128:129], v[122:123], v[120:121]
	v_div_scale_f64 v[128:129], s[2:3], v[124:125], v[124:125], s[82:83]
	v_rcp_f64_e32 v[130:131], v[128:129]
	v_div_fmas_f64 v[120:121], v[120:121], v[132:133], v[122:123]
	v_div_fixup_f64 v[120:121], v[120:121], v[126:127], s[80:81]
	v_add_f64 v[118:119], v[120:121], v[118:119]
	v_fma_f64 v[120:121], -v[128:129], v[130:131], 1.0
	v_fmac_f64_e32 v[130:131], v[130:131], v[120:121]
	v_fma_f64 v[120:121], -v[128:129], v[130:131], 1.0
	v_fmac_f64_e32 v[130:131], v[130:131], v[120:121]
	v_div_scale_f64 v[120:121], vcc, s[82:83], v[124:125], s[82:83]
	v_mul_f64 v[122:123], v[120:121], v[130:131]
	v_add_f64 v[126:127], v[6:7], s[22:23]
	v_fma_f64 v[120:121], -v[128:129], v[122:123], v[120:121]
	v_div_scale_f64 v[128:129], s[2:3], v[126:127], v[126:127], s[84:85]
	v_rcp_f64_e32 v[132:133], v[128:129]
	v_div_fmas_f64 v[120:121], v[120:121], v[130:131], v[122:123]
	v_div_fixup_f64 v[120:121], v[120:121], v[124:125], s[82:83]
	v_add_f64 v[118:119], v[118:119], v[120:121]
	v_fma_f64 v[120:121], -v[128:129], v[132:133], 1.0
	v_fmac_f64_e32 v[132:133], v[132:133], v[120:121]
	v_fma_f64 v[120:121], -v[128:129], v[132:133], 1.0
	v_fmac_f64_e32 v[132:133], v[132:133], v[120:121]
	v_div_scale_f64 v[120:121], vcc, s[84:85], v[126:127], s[84:85]
	v_mul_f64 v[122:123], v[120:121], v[132:133]
	v_add_f64 v[124:125], v[6:7], 2.0
	v_fma_f64 v[120:121], -v[128:129], v[122:123], v[120:121]
	v_div_scale_f64 v[128:129], s[2:3], v[124:125], v[124:125], s[86:87]
	v_rcp_f64_e32 v[130:131], v[128:129]
	v_div_fmas_f64 v[120:121], v[120:121], v[132:133], v[122:123]
	v_div_fixup_f64 v[120:121], v[120:121], v[126:127], s[84:85]
	v_add_f64 v[118:119], v[120:121], v[118:119]
	v_fma_f64 v[120:121], -v[128:129], v[130:131], 1.0
	v_fmac_f64_e32 v[130:131], v[130:131], v[120:121]
	v_fma_f64 v[120:121], -v[128:129], v[130:131], 1.0
	v_fmac_f64_e32 v[130:131], v[130:131], v[120:121]
	v_div_scale_f64 v[120:121], vcc, s[86:87], v[124:125], s[86:87]
	v_mul_f64 v[122:123], v[120:121], v[130:131]
	v_add_f64 v[126:127], v[6:7], 1.0
	v_fma_f64 v[120:121], -v[128:129], v[122:123], v[120:121]
	v_div_scale_f64 v[128:129], s[2:3], v[126:127], v[126:127], s[88:89]
	v_rcp_f64_e32 v[132:133], v[128:129]
	v_div_fmas_f64 v[120:121], v[120:121], v[130:131], v[122:123]
	v_div_fixup_f64 v[120:121], v[120:121], v[124:125], s[86:87]
	v_add_f64 v[118:119], v[118:119], v[120:121]
	v_fma_f64 v[120:121], -v[128:129], v[132:133], 1.0
	v_fmac_f64_e32 v[132:133], v[132:133], v[120:121]
	v_fma_f64 v[120:121], -v[128:129], v[132:133], 1.0
	v_fmac_f64_e32 v[132:133], v[132:133], v[120:121]
	v_div_scale_f64 v[120:121], vcc, s[88:89], v[126:127], s[88:89]
	v_mul_f64 v[122:123], v[120:121], v[132:133]
	v_fma_f64 v[120:121], -v[128:129], v[122:123], v[120:121]
	v_add_f64 v[10:11], v[10:11], 0.5
	s_nop 0
	v_div_fmas_f64 v[120:121], v[120:121], v[132:133], v[122:123]
	v_div_fixup_f64 v[120:121], v[120:121], v[126:127], s[88:89]
	v_add_f64 v[118:119], v[120:121], v[118:119]
	v_add_f64 v[118:119], v[118:119], s[90:91]
	v_frexp_mant_f64_e32 v[120:121], v[118:119]
	v_cmp_gt_f64_e32 vcc, s[28:29], v[120:121]
	v_cndmask_b32_e64 v15, v91, 2.0, vcc
	v_frexp_exp_i32_f64_e32 v122, v[118:119]
	v_mul_f64 v[120:121], v[120:121], v[14:15]
	v_subbrev_co_u32_e32 v15, vcc, 0, v122, vcc
	v_add_f64 v[122:123], v[120:121], 1.0
	v_rcp_f64_e32 v[124:125], v[122:123]
	v_add_f64 v[128:129], v[122:123], -1.0
	v_add_f64 v[126:127], v[120:121], -1.0
	v_add_f64 v[120:121], v[120:121], -v[128:129]
	v_fma_f64 v[128:129], -v[122:123], v[124:125], 1.0
	v_fmac_f64_e32 v[124:125], v[128:129], v[124:125]
	v_fma_f64 v[128:129], -v[122:123], v[124:125], 1.0
	v_fmac_f64_e32 v[124:125], v[128:129], v[124:125]
	v_mul_f64 v[128:129], v[126:127], v[124:125]
	v_mul_f64 v[130:131], v[122:123], v[128:129]
	v_fma_f64 v[122:123], v[128:129], v[122:123], -v[130:131]
	v_fmac_f64_e32 v[122:123], v[128:129], v[120:121]
	v_add_f64 v[120:121], v[130:131], v[122:123]
	v_add_f64 v[132:133], v[126:127], -v[120:121]
	v_add_f64 v[130:131], v[120:121], -v[130:131]
	;; [unrolled: 1-line block ×5, first 2 shown]
	v_add_f64 v[120:121], v[122:123], v[120:121]
	v_add_f64 v[120:121], v[132:133], v[120:121]
	v_mul_f64 v[120:121], v[124:125], v[120:121]
	v_add_f64 v[122:123], v[128:129], v[120:121]
	v_add_f64 v[124:125], v[122:123], -v[128:129]
	v_add_f64 v[120:121], v[120:121], -v[124:125]
	v_mul_f64 v[124:125], v[122:123], v[122:123]
	v_fma_f64 v[126:127], s[34:35], v[124:125], v[0:1]
	v_fma_f64 v[126:127], v[124:125], v[126:127], s[36:37]
	;; [unrolled: 1-line block ×6, first 2 shown]
	v_ldexp_f64 v[128:129], v[122:123], 1
	v_mul_f64 v[122:123], v[122:123], v[124:125]
	v_mul_f64 v[122:123], v[122:123], v[126:127]
	v_add_f64 v[124:125], v[128:129], v[122:123]
	v_add_f64 v[126:127], v[124:125], -v[128:129]
	v_ldexp_f64 v[120:121], v[120:121], 1
	v_add_f64 v[122:123], v[122:123], -v[126:127]
	v_add_f64 v[120:121], v[120:121], v[122:123]
	v_add_f64 v[122:123], v[124:125], v[120:121]
	v_add_f64 v[124:125], v[122:123], -v[124:125]
	v_add_f64 v[120:121], v[120:121], -v[124:125]
	v_cvt_f64_i32_e32 v[124:125], v15
	v_mul_f64 v[126:127], v[124:125], s[46:47]
	v_fma_f64 v[128:129], v[124:125], s[46:47], -v[126:127]
	v_fmac_f64_e32 v[128:129], s[48:49], v[124:125]
	v_add_f64 v[124:125], v[126:127], v[128:129]
	v_add_f64 v[126:127], v[124:125], -v[126:127]
	v_add_f64 v[126:127], v[128:129], -v[126:127]
	v_add_f64 v[128:129], v[124:125], v[122:123]
	v_add_f64 v[130:131], v[128:129], -v[124:125]
	v_add_f64 v[132:133], v[128:129], -v[130:131]
	;; [unrolled: 1-line block ×4, first 2 shown]
	v_add_f64 v[122:123], v[122:123], v[124:125]
	v_add_f64 v[124:125], v[126:127], v[120:121]
	v_add_f64 v[130:131], v[124:125], -v[126:127]
	v_add_f64 v[132:133], v[124:125], -v[130:131]
	v_add_f64 v[122:123], v[124:125], v[122:123]
	v_add_f64 v[126:127], v[126:127], -v[132:133]
	v_add_f64 v[120:121], v[120:121], -v[130:131]
	v_add_f64 v[124:125], v[128:129], v[122:123]
	v_add_f64 v[120:121], v[120:121], v[126:127]
	v_add_f64 v[126:127], v[124:125], -v[128:129]
	v_add_f64 v[122:123], v[122:123], -v[126:127]
	v_add_f64 v[120:121], v[120:121], v[122:123]
	v_add_f64 v[120:121], v[124:125], v[120:121]
	v_cmp_class_f64_e64 vcc, v[118:119], s10
	v_div_scale_f64 v[122:123], s[2:3], s[20:21], s[20:21], v[10:11]
	v_cndmask_b32_e32 v121, v121, v119, vcc
	v_cndmask_b32_e32 v120, v120, v118, vcc
	v_rcp_f64_e32 v[124:125], v[122:123]
	v_add_f64 v[120:121], v[120:121], s[92:93]
	v_add_f64 v[120:121], v[120:121], s[94:95]
	v_cmp_ngt_f64_e32 vcc, 0, v[118:119]
	v_cndmask_b32_e32 v15, v92, v121, vcc
	v_cmp_nge_f64_e32 vcc, 0, v[118:119]
	v_cndmask_b32_e32 v120, 0, v120, vcc
	v_cmp_neq_f64_e32 vcc, 0, v[118:119]
	v_fma_f64 v[118:119], -v[122:123], v[124:125], 1.0
	v_fmac_f64_e32 v[124:125], v[124:125], v[118:119]
	v_fma_f64 v[118:119], -v[122:123], v[124:125], 1.0
	v_cndmask_b32_e32 v121, v93, v15, vcc
	v_fmac_f64_e32 v[124:125], v[124:125], v[118:119]
	v_div_scale_f64 v[118:119], vcc, v[10:11], s[20:21], v[10:11]
	v_mul_f64 v[126:127], v[118:119], v[124:125]
	v_fma_f64 v[118:119], -v[122:123], v[126:127], v[118:119]
	v_add_f64 v[6:7], v[6:7], 0.5
	s_nop 0
	v_div_fmas_f64 v[118:119], v[118:119], v[124:125], v[126:127]
	v_div_fixup_f64 v[10:11], v[118:119], s[20:21], v[10:11]
	v_frexp_mant_f64_e32 v[118:119], v[10:11]
	v_cmp_gt_f64_e32 vcc, s[28:29], v[118:119]
	v_cndmask_b32_e64 v15, v91, 2.0, vcc
	v_frexp_exp_i32_f64_e32 v122, v[10:11]
	v_mul_f64 v[118:119], v[118:119], v[14:15]
	v_subbrev_co_u32_e32 v15, vcc, 0, v122, vcc
	v_add_f64 v[122:123], v[118:119], 1.0
	v_rcp_f64_e32 v[124:125], v[122:123]
	v_add_f64 v[128:129], v[122:123], -1.0
	v_add_f64 v[126:127], v[118:119], -1.0
	v_add_f64 v[118:119], v[118:119], -v[128:129]
	v_fma_f64 v[128:129], -v[122:123], v[124:125], 1.0
	v_fmac_f64_e32 v[124:125], v[128:129], v[124:125]
	v_fma_f64 v[128:129], -v[122:123], v[124:125], 1.0
	v_fmac_f64_e32 v[124:125], v[128:129], v[124:125]
	v_mul_f64 v[128:129], v[126:127], v[124:125]
	v_mul_f64 v[130:131], v[122:123], v[128:129]
	v_fma_f64 v[122:123], v[128:129], v[122:123], -v[130:131]
	v_fmac_f64_e32 v[122:123], v[128:129], v[118:119]
	v_add_f64 v[118:119], v[130:131], v[122:123]
	v_add_f64 v[132:133], v[126:127], -v[118:119]
	v_add_f64 v[130:131], v[118:119], -v[130:131]
	;; [unrolled: 1-line block ×5, first 2 shown]
	v_add_f64 v[118:119], v[122:123], v[118:119]
	v_add_f64 v[118:119], v[132:133], v[118:119]
	v_mul_f64 v[118:119], v[124:125], v[118:119]
	v_add_f64 v[122:123], v[128:129], v[118:119]
	v_add_f64 v[124:125], v[122:123], -v[128:129]
	v_add_f64 v[118:119], v[118:119], -v[124:125]
	v_mul_f64 v[124:125], v[122:123], v[122:123]
	v_fmac_f64_e32 v[0:1], s[34:35], v[124:125]
	v_fma_f64 v[0:1], v[124:125], v[0:1], s[36:37]
	v_fma_f64 v[0:1], v[124:125], v[0:1], s[38:39]
	;; [unrolled: 1-line block ×5, first 2 shown]
	v_ldexp_f64 v[126:127], v[122:123], 1
	v_mul_f64 v[122:123], v[122:123], v[124:125]
	v_mul_f64 v[0:1], v[122:123], v[0:1]
	v_add_f64 v[122:123], v[126:127], v[0:1]
	v_add_f64 v[124:125], v[122:123], -v[126:127]
	v_ldexp_f64 v[118:119], v[118:119], 1
	v_add_f64 v[0:1], v[0:1], -v[124:125]
	v_add_f64 v[0:1], v[118:119], v[0:1]
	v_add_f64 v[118:119], v[122:123], v[0:1]
	v_add_f64 v[122:123], v[118:119], -v[122:123]
	v_add_f64 v[0:1], v[0:1], -v[122:123]
	v_cvt_f64_i32_e32 v[122:123], v15
	v_mul_f64 v[124:125], v[122:123], s[46:47]
	v_fma_f64 v[126:127], v[122:123], s[46:47], -v[124:125]
	v_fmac_f64_e32 v[126:127], s[48:49], v[122:123]
	v_add_f64 v[122:123], v[124:125], v[126:127]
	v_add_f64 v[124:125], v[122:123], -v[124:125]
	v_add_f64 v[124:125], v[126:127], -v[124:125]
	v_add_f64 v[126:127], v[122:123], v[118:119]
	v_add_f64 v[128:129], v[126:127], -v[122:123]
	v_add_f64 v[130:131], v[126:127], -v[128:129]
	;; [unrolled: 1-line block ×4, first 2 shown]
	v_add_f64 v[118:119], v[118:119], v[122:123]
	v_add_f64 v[122:123], v[124:125], v[0:1]
	v_add_f64 v[128:129], v[122:123], -v[124:125]
	v_add_f64 v[130:131], v[122:123], -v[128:129]
	v_add_f64 v[118:119], v[122:123], v[118:119]
	v_add_f64 v[124:125], v[124:125], -v[130:131]
	v_add_f64 v[0:1], v[0:1], -v[128:129]
	v_add_f64 v[122:123], v[126:127], v[118:119]
	v_add_f64 v[0:1], v[0:1], v[124:125]
	v_add_f64 v[124:125], v[122:123], -v[126:127]
	v_add_f64 v[118:119], v[118:119], -v[124:125]
	v_add_f64 v[0:1], v[0:1], v[118:119]
	v_add_f64 v[0:1], v[122:123], v[0:1]
	v_cmp_class_f64_e64 vcc, v[10:11], s10
	v_cndmask_b32_e32 v0, v0, v10, vcc
	v_cndmask_b32_e32 v1, v1, v11, vcc
	v_cmp_ngt_f64_e32 vcc, 0, v[10:11]
	v_cndmask_b32_e32 v1, v92, v1, vcc
	v_cmp_nge_f64_e32 vcc, 0, v[10:11]
	v_cndmask_b32_e32 v0, 0, v0, vcc
	v_cmp_neq_f64_e32 vcc, 0, v[10:11]
	v_cndmask_b32_e32 v1, v93, v1, vcc
	v_fmac_f64_e32 v[120:121], v[6:7], v[0:1]
	v_add_f64 v[0:1], v[4:5], -v[120:121]
	v_cvt_u32_f64_e32 v4, v[8:9]
	v_cmp_le_f64_e32 vcc, v[2:3], v[0:1]
	v_cndmask_b32_e64 v119, 0, 1, vcc
	v_cndmask_b32_e32 v75, v75, v4, vcc
	v_mov_b32_e32 v118, v117
.LBB69_23:                              ;   in Loop: Header=BB69_13 Depth=2
	s_or_b64 exec, exec, s[0:1]
	v_cmp_gt_i32_e32 vcc, 2, v119
	s_or_b64 s[12:13], vcc, s[12:13]
	v_mov_b32_e32 v15, v118
	v_mov_b32_e32 v0, v87
	;; [unrolled: 1-line block ×5, first 2 shown]
	s_andn2_b64 exec, exec, s[12:13]
	s_cbranch_execnz .LBB69_13
; %bb.24:                               ;   in Loop: Header=BB69_13 Depth=2
	s_or_b64 exec, exec, s[12:13]
	v_cmp_ne_u32_e32 vcc, 0, v119
	s_or_b64 s[14:15], vcc, s[14:15]
	s_mov_b64 s[12:13], 0
	v_mov_b32_e32 v15, v118
	v_mov_b32_e32 v0, v87
	;; [unrolled: 1-line block ×5, first 2 shown]
	s_andn2_b64 exec, exec, s[14:15]
	s_cbranch_execnz .LBB69_13
; %bb.25:                               ;   in Loop: Header=BB69_5 Depth=1
	s_or_b64 exec, exec, s[14:15]
	s_mov_b32 s45, s24
	v_readlane_b32 s12, v134, 13
                                        ; implicit-def: $vgpr72_vgpr73
                                        ; implicit-def: $vgpr15
                                        ; implicit-def: $vgpr97
                                        ; implicit-def: $vgpr98
                                        ; implicit-def: $vgpr106
                                        ; implicit-def: $vgpr96
                                        ; implicit-def: $vgpr3
                                        ; implicit-def: $vgpr4_vgpr5
                                        ; implicit-def: $vgpr99
                                        ; implicit-def: $vgpr100
                                        ; implicit-def: $vgpr101
                                        ; implicit-def: $vgpr102
                                        ; implicit-def: $vgpr104
                                        ; implicit-def: $vgpr105
                                        ; implicit-def: $vgpr107
                                        ; implicit-def: $vgpr108
                                        ; implicit-def: $vgpr109
                                        ; implicit-def: $vgpr110
                                        ; implicit-def: $vgpr111
                                        ; implicit-def: $vgpr112
                                        ; implicit-def: $vgpr113
                                        ; implicit-def: $vgpr114
                                        ; implicit-def: $vgpr103
                                        ; implicit-def: $vgpr115
	v_readlane_b32 s13, v134, 14
.LBB69_26:                              ;   in Loop: Header=BB69_5 Depth=1
	s_andn2_saveexec_b64 s[0:1], s[6:7]
	s_cbranch_execz .LBB69_38
; %bb.27:                               ;   in Loop: Header=BB69_5 Depth=1
	v_add_co_u32_e32 v6, vcc, 1, v97
	v_cndmask_b32_e64 v7, 0, 1, vcc
	v_addc_co_u32_e32 v10, vcc, 0, v98, vcc
	v_cmp_eq_u32_e32 vcc, 0, v10
	v_cndmask_b32_e32 v7, 0, v7, vcc
	v_add_u32_e32 v8, v7, v17
	v_cmp_eq_u32_e32 vcc, 0, v8
	v_cndmask_b32_e32 v11, 0, v7, vcc
	v_mad_u64_u32 v[6:7], s[2:3], v6, s11, 0
	v_mad_u64_u32 v[8:9], s[2:3], v8, s9, 0
	v_xor_b32_e32 v7, v7, v73
	v_xor_b32_e32 v9, v9, v72
	v_xor_b32_e32 v7, v11, v7
	v_xor_b32_e32 v9, v10, v9
	v_mad_u64_u32 v[72:73], s[2:3], v7, s9, 0
	v_mad_u64_u32 v[10:11], s[2:3], v9, s11, 0
	v_xor_b32_e32 v7, v99, v73
	v_xor_b32_e32 v7, v7, v8
	v_xor_b32_e32 v8, v100, v11
	v_xor_b32_e32 v8, v8, v6
	;; [unrolled: 6-line block ×8, first 2 shown]
	v_mad_u64_u32 v[74:75], s[2:3], v7, s11, 0
	v_mad_u64_u32 v[8:9], s[2:3], v6, s9, 0
	v_xor_b32_e32 v6, v115, v75
	v_xor_b32_e32 v6, v6, v10
	v_mad_u64_u32 v[6:7], s[2:3], v6, s9, 0
	v_xor_b32_e32 v7, v7, v8
	v_xor_b32_e32 v10, v106, v7
	v_cmp_lt_i32_e32 vcc, 1, v15
                                        ; implicit-def: $vgpr8
	s_and_saveexec_b64 s[2:3], vcc
	s_xor_b64 s[2:3], exec, s[2:3]
	s_cbranch_execz .LBB69_33
; %bb.28:                               ;   in Loop: Header=BB69_5 Depth=1
	v_cmp_lt_i32_e32 vcc, 2, v15
                                        ; implicit-def: $vgpr8
	s_and_saveexec_b64 s[6:7], vcc
	s_xor_b64 s[6:7], exec, s[6:7]
; %bb.29:                               ;   in Loop: Header=BB69_5 Depth=1
	v_xor_b32_e32 v0, v103, v9
	v_xor_b32_e32 v0, v0, v72
	v_mul_hi_u32 v0, v0, s11
	v_xor_b32_e32 v0, v0, v74
	v_xor_b32_e32 v8, v96, v0
; %bb.30:                               ;   in Loop: Header=BB69_5 Depth=1
	s_andn2_saveexec_b64 s[6:7], s[6:7]
; %bb.31:                               ;   in Loop: Header=BB69_5 Depth=1
	v_mov_b32_e32 v8, v6
	v_mov_b32_e32 v6, v10
	;; [unrolled: 1-line block ×4, first 2 shown]
; %bb.32:                               ;   in Loop: Header=BB69_5 Depth=1
	s_or_b64 exec, exec, s[6:7]
	v_readlane_b32 s12, v134, 13
                                        ; implicit-def: $vgpr15
	v_readlane_b32 s13, v134, 14
.LBB69_33:                              ;   in Loop: Header=BB69_5 Depth=1
	s_andn2_saveexec_b64 s[2:3], s[2:3]
	s_cbranch_execz .LBB69_37
; %bb.34:                               ;   in Loop: Header=BB69_5 Depth=1
	v_cmp_eq_u32_e32 vcc, 1, v15
	v_mov_b32_e32 v8, v3
	v_mov_b32_e32 v6, v2
	;; [unrolled: 1-line block ×3, first 2 shown]
	s_and_saveexec_b64 s[6:7], vcc
; %bb.35:                               ;   in Loop: Header=BB69_5 Depth=1
	v_mov_b32_e32 v8, v10
	v_mov_b32_e32 v6, v3
	;; [unrolled: 1-line block ×4, first 2 shown]
; %bb.36:                               ;   in Loop: Header=BB69_5 Depth=1
	s_or_b64 exec, exec, s[6:7]
	v_mov_b32_e32 v3, v0
	v_mov_b32_e32 v10, v7
	v_readlane_b32 s12, v134, 13
	v_readlane_b32 s13, v134, 14
.LBB69_37:                              ;   in Loop: Header=BB69_5 Depth=1
	s_or_b64 exec, exec, s[2:3]
	v_mov_b32_e32 v11, v14
	v_lshlrev_b64 v[0:1], 21, v[10:11]
	v_xor_b32_e32 v2, v0, v3
	v_cvt_f64_u32_e32 v[0:1], v1
	v_ldexp_f64 v[0:1], v[0:1], 32
	v_cvt_f64_u32_e32 v[2:3], v2
	v_add_f64 v[0:1], v[0:1], v[2:3]
	v_mov_b32_e32 v2, 0
	v_mov_b32_e32 v3, 0x3ca00000
	v_fmac_f64_e32 v[2:3], 0x3ca00000, v[0:1]
	v_mov_b32_e32 v9, v14
	v_lshlrev_b64 v[0:1], 21, v[8:9]
	v_frexp_mant_f64_e32 v[8:9], v[2:3]
	v_cmp_gt_f64_e32 vcc, s[28:29], v[8:9]
	v_cndmask_b32_e64 v15, v91, 2.0, vcc
	v_frexp_exp_i32_f64_e32 v10, v[2:3]
	v_mul_f64 v[8:9], v[8:9], v[14:15]
	v_subbrev_co_u32_e32 v15, vcc, 0, v10, vcc
	v_add_f64 v[10:11], v[8:9], 1.0
	v_rcp_f64_e32 v[72:73], v[10:11]
	v_add_f64 v[76:77], v[10:11], -1.0
	v_add_f64 v[74:75], v[8:9], -1.0
	v_add_f64 v[8:9], v[8:9], -v[76:77]
	v_fma_f64 v[76:77], -v[10:11], v[72:73], 1.0
	v_fmac_f64_e32 v[72:73], v[76:77], v[72:73]
	v_fma_f64 v[76:77], -v[10:11], v[72:73], 1.0
	v_fmac_f64_e32 v[72:73], v[76:77], v[72:73]
	v_mul_f64 v[76:77], v[74:75], v[72:73]
	v_mul_f64 v[78:79], v[10:11], v[76:77]
	v_fma_f64 v[10:11], v[76:77], v[10:11], -v[78:79]
	v_fmac_f64_e32 v[10:11], v[76:77], v[8:9]
	v_add_f64 v[8:9], v[78:79], v[10:11]
	v_add_f64 v[80:81], v[74:75], -v[8:9]
	v_add_f64 v[78:79], v[8:9], -v[78:79]
	;; [unrolled: 1-line block ×5, first 2 shown]
	v_add_f64 v[8:9], v[10:11], v[8:9]
	v_add_f64 v[8:9], v[80:81], v[8:9]
	v_mul_f64 v[8:9], v[72:73], v[8:9]
	v_add_f64 v[10:11], v[76:77], v[8:9]
	v_add_f64 v[72:73], v[10:11], -v[76:77]
	v_add_f64 v[8:9], v[8:9], -v[72:73]
	v_mul_f64 v[72:73], v[10:11], v[10:11]
	v_pk_mov_b32 v[74:75], v[18:19], v[18:19] op_sel:[0,1]
	v_fmac_f64_e32 v[74:75], s[34:35], v[72:73]
	v_pk_mov_b32 v[76:77], v[20:21], v[20:21] op_sel:[0,1]
	v_fmac_f64_e32 v[76:77], v[72:73], v[74:75]
	;; [unrolled: 2-line block ×6, first 2 shown]
	v_ldexp_f64 v[74:75], v[10:11], 1
	v_mul_f64 v[10:11], v[10:11], v[72:73]
	v_mul_f64 v[10:11], v[10:11], v[76:77]
	v_add_f64 v[72:73], v[74:75], v[10:11]
	v_add_f64 v[74:75], v[72:73], -v[74:75]
	v_ldexp_f64 v[8:9], v[8:9], 1
	v_add_f64 v[10:11], v[10:11], -v[74:75]
	v_add_f64 v[8:9], v[8:9], v[10:11]
	v_add_f64 v[10:11], v[72:73], v[8:9]
	v_add_f64 v[72:73], v[10:11], -v[72:73]
	v_add_f64 v[8:9], v[8:9], -v[72:73]
	v_cvt_f64_i32_e32 v[72:73], v15
	v_mul_f64 v[74:75], v[72:73], s[46:47]
	v_fma_f64 v[76:77], v[72:73], s[46:47], -v[74:75]
	v_fmac_f64_e32 v[76:77], s[48:49], v[72:73]
	v_add_f64 v[72:73], v[74:75], v[76:77]
	v_add_f64 v[74:75], v[72:73], -v[74:75]
	v_add_f64 v[74:75], v[76:77], -v[74:75]
	v_add_f64 v[76:77], v[72:73], v[10:11]
	v_add_f64 v[78:79], v[76:77], -v[72:73]
	v_add_f64 v[80:81], v[76:77], -v[78:79]
	;; [unrolled: 1-line block ×4, first 2 shown]
	v_add_f64 v[10:11], v[10:11], v[72:73]
	v_add_f64 v[72:73], v[74:75], v[8:9]
	v_add_f64 v[78:79], v[72:73], -v[74:75]
	v_add_f64 v[80:81], v[72:73], -v[78:79]
	v_add_f64 v[10:11], v[72:73], v[10:11]
	v_add_f64 v[74:75], v[74:75], -v[80:81]
	v_add_f64 v[8:9], v[8:9], -v[78:79]
	v_add_f64 v[72:73], v[76:77], v[10:11]
	v_add_f64 v[8:9], v[8:9], v[74:75]
	v_add_f64 v[74:75], v[72:73], -v[76:77]
	v_add_f64 v[10:11], v[10:11], -v[74:75]
	s_mov_b32 s14, 0
	v_add_f64 v[8:9], v[8:9], v[10:11]
	s_mov_b32 s15, 0x7ff00000
	v_add_f64 v[8:9], v[72:73], v[8:9]
	v_cmp_eq_f64_e32 vcc, s[14:15], v[2:3]
	v_cndmask_b32_e32 v9, v9, v3, vcc
	v_cndmask_b32_e32 v8, v8, v2, vcc
	v_mul_f64 v[8:9], v[8:9], -2.0
	v_cmp_neq_f64_e32 vcc, 0, v[2:3]
	s_mov_b32 s2, 0
	v_cndmask_b32_e32 v3, v94, v9, vcc
	v_cndmask_b32_e32 v2, 0, v8, vcc
	s_brev_b32 s3, 8
	v_cmp_gt_f64_e32 vcc, s[2:3], v[2:3]
	v_cndmask_b32_e64 v8, 0, 1, vcc
	v_lshlrev_b32_e32 v8, 8, v8
	v_ldexp_f64 v[2:3], v[2:3], v8
	v_xor_b32_e32 v6, v0, v6
	v_cvt_f64_u32_e32 v[0:1], v1
	v_rsq_f64_e32 v[8:9], v[2:3]
	v_ldexp_f64 v[0:1], v[0:1], 32
	v_cvt_f64_u32_e32 v[6:7], v6
	v_add_f64 v[0:1], v[0:1], v[6:7]
	v_mov_b32_e32 v6, 0
	v_mov_b32_e32 v7, 0x3cb00000
	v_fmac_f64_e32 v[6:7], 0x3cb00000, v[0:1]
	v_mul_f64 v[0:1], v[2:3], v[8:9]
	v_mul_f64 v[8:9], v[8:9], 0.5
	v_fma_f64 v[10:11], -v[8:9], v[0:1], 0.5
	v_fmac_f64_e32 v[0:1], v[0:1], v[10:11]
	v_fma_f64 v[72:73], -v[0:1], v[0:1], v[2:3]
	v_fmac_f64_e32 v[8:9], v[8:9], v[10:11]
	v_fmac_f64_e32 v[0:1], v[72:73], v[8:9]
	v_fma_f64 v[10:11], -v[0:1], v[0:1], v[2:3]
	v_fmac_f64_e32 v[0:1], v[10:11], v[8:9]
	v_cndmask_b32_e32 v8, 0, v90, vcc
	v_ldexp_f64 v[0:1], v[0:1], v8
	v_cmp_class_f64_e32 vcc, v[2:3], v89
	v_cndmask_b32_e32 v1, v1, v3, vcc
	v_cndmask_b32_e32 v0, v0, v2, vcc
	v_mul_f64 v[2:3], v[6:7], 0.5
	v_fract_f64_e32 v[8:9], v[2:3]
	v_add_f64 v[8:9], v[8:9], v[8:9]
	v_cmp_neq_f64_e32 vcc, s[14:15], v[2:3]
	v_cndmask_b32_e32 v2, 0, v8, vcc
	v_cndmask_b32_e32 v3, 0, v9, vcc
	v_cmp_lt_f64_e32 vcc, 1.0, v[6:7]
	v_cndmask_b32_e32 v3, v7, v3, vcc
	v_cndmask_b32_e32 v2, v6, v2, vcc
	v_add_f64 v[8:9], v[2:3], v[2:3]
	v_rndne_f64_e32 v[8:9], v[8:9]
	v_fmac_f64_e32 v[2:3], -0.5, v[8:9]
	s_mov_b32 s6, 0xf99eb0bb
	v_cvt_i32_f64_e32 v15, v[8:9]
	v_mul_f64 v[8:9], v[2:3], v[2:3]
	v_pk_mov_b32 v[10:11], v[48:49], v[48:49] op_sel:[0,1]
	s_mov_b32 s7, 0x3f3e357e
	v_fmac_f64_e32 v[10:11], s[6:7], v[8:9]
	v_pk_mov_b32 v[72:73], v[50:51], v[50:51] op_sel:[0,1]
	v_fmac_f64_e32 v[72:73], v[8:9], v[10:11]
	v_pk_mov_b32 v[10:11], v[52:53], v[52:53] op_sel:[0,1]
	;; [unrolled: 2-line block ×4, first 2 shown]
	v_fmac_f64_e32 v[10:11], v[8:9], v[72:73]
	v_mul_f64 v[72:73], v[2:3], v[8:9]
	s_mov_b32 s6, 0x54442d18
	v_mul_f64 v[10:11], v[72:73], v[10:11]
	s_mov_b32 s7, 0x400921fb
	v_fmac_f64_e32 v[10:11], s[6:7], v[2:3]
	s_mov_b32 s6, 0x2e21c33
	v_pk_mov_b32 v[2:3], v[58:59], v[58:59] op_sel:[0,1]
	s_mov_b32 s7, 0xbf1b1673
	v_fmac_f64_e32 v[2:3], s[6:7], v[8:9]
	v_pk_mov_b32 v[72:73], v[60:61], v[60:61] op_sel:[0,1]
	v_fmac_f64_e32 v[72:73], v[8:9], v[2:3]
	v_pk_mov_b32 v[2:3], v[62:63], v[62:63] op_sel:[0,1]
	;; [unrolled: 2-line block ×5, first 2 shown]
	v_fmac_f64_e32 v[72:73], v[8:9], v[2:3]
	v_fma_f64 v[2:3], v[8:9], v[72:73], 1.0
	v_and_b32_e32 v9, 1, v15
	v_lshlrev_b32_e32 v8, 30, v15
	v_cmp_eq_u32_e32 vcc, 0, v9
	v_cndmask_b32_e32 v10, v2, v10, vcc
	v_cndmask_b32_e32 v2, v3, v11, vcc
	v_xor_b32_e32 v3, v8, v7
	v_and_b32_e32 v3, 0x80000000, v3
	v_cmp_gt_f64_e32 vcc, s[2:3], v[4:5]
	v_xor_b32_e32 v11, v2, v3
	v_cndmask_b32_e64 v2, 0, 1, vcc
	v_lshlrev_b32_e32 v2, 8, v2
	v_ldexp_f64 v[2:3], v[4:5], v2
	v_rsq_f64_e32 v[8:9], v[2:3]
	v_cmp_lg_f64_e64 s[2:3], s[14:15], v[6:7]
	v_cndmask_b32_e64 v6, 0, v10, s[2:3]
	v_cndmask_b32_e64 v7, v92, v11, s[2:3]
	v_mul_f64 v[0:1], v[0:1], v[6:7]
	v_mul_f64 v[6:7], v[2:3], v[8:9]
	v_mul_f64 v[8:9], v[8:9], 0.5
	v_fma_f64 v[10:11], -v[8:9], v[6:7], 0.5
	v_fmac_f64_e32 v[6:7], v[6:7], v[10:11]
	v_fma_f64 v[72:73], -v[6:7], v[6:7], v[2:3]
	v_fmac_f64_e32 v[8:9], v[8:9], v[10:11]
	v_fmac_f64_e32 v[6:7], v[72:73], v[8:9]
	v_fma_f64 v[10:11], -v[6:7], v[6:7], v[2:3]
	v_fmac_f64_e32 v[6:7], v[10:11], v[8:9]
	v_cndmask_b32_e32 v8, 0, v90, vcc
	v_ldexp_f64 v[6:7], v[6:7], v8
	v_cmp_class_f64_e32 vcc, v[2:3], v89
	v_cndmask_b32_e32 v3, v7, v3, vcc
	v_cndmask_b32_e32 v2, v6, v2, vcc
	v_fmac_f64_e32 v[4:5], v[2:3], v[0:1]
	v_trunc_f64_e32 v[0:1], v[4:5]
	v_add_f64 v[2:3], v[4:5], -v[0:1]
	v_cmp_ge_f64_e64 vcc, |v[2:3]|, 0.5
	v_cndmask_b32_e32 v2, 0, v91, vcc
	s_brev_b32 s2, -2
	v_bfi_b32 v15, s2, v2, v5
	v_add_f64 v[0:1], v[0:1], v[14:15]
	v_cvt_u32_f64_e32 v75, v[0:1]
.LBB69_38:                              ;   in Loop: Header=BB69_5 Depth=1
	s_or_b64 exec, exec, s[0:1]
                                        ; implicit-def: $vgpr6
                                        ; implicit-def: $vgpr72_vgpr73
                                        ; implicit-def: $vgpr15
                                        ; implicit-def: $vgpr97
                                        ; implicit-def: $vgpr98
                                        ; implicit-def: $vgpr106
                                        ; implicit-def: $vgpr96
                                        ; implicit-def: $vgpr3
                                        ; implicit-def: $vgpr4_vgpr5
                                        ; implicit-def: $vgpr99
                                        ; implicit-def: $vgpr100
                                        ; implicit-def: $vgpr101
                                        ; implicit-def: $vgpr102
                                        ; implicit-def: $vgpr104
                                        ; implicit-def: $vgpr105
                                        ; implicit-def: $vgpr107
                                        ; implicit-def: $vgpr108
                                        ; implicit-def: $vgpr109
                                        ; implicit-def: $vgpr110
                                        ; implicit-def: $vgpr111
                                        ; implicit-def: $vgpr112
                                        ; implicit-def: $vgpr113
                                        ; implicit-def: $vgpr114
                                        ; implicit-def: $vgpr103
                                        ; implicit-def: $vgpr115
.LBB69_39:                              ;   in Loop: Header=BB69_5 Depth=1
	s_andn2_saveexec_b64 s[0:1], s[50:51]
	s_cbranch_execz .LBB69_3
; %bb.40:                               ;   in Loop: Header=BB69_5 Depth=1
	s_mov_b32 s24, s52
	v_mul_f64 v[8:9], v[4:5], s[24:25]
	v_rndne_f64_e32 v[10:11], v[8:9]
	s_mov_b32 s54, s46
	v_fma_f64 v[4:5], v[10:11], s[54:55], -v[4:5]
	s_mov_b32 s56, s48
	v_fmac_f64_e32 v[4:5], s[56:57], v[10:11]
	v_pk_mov_b32 v[8:9], v[30:31], v[30:31] op_sel:[0,1]
	v_fmac_f64_e32 v[8:9], s[58:59], v[4:5]
	v_pk_mov_b32 v[74:75], v[32:33], v[32:33] op_sel:[0,1]
	;; [unrolled: 2-line block ×9, first 2 shown]
	v_fmac_f64_e32 v[76:77], v[4:5], v[74:75]
	v_fma_f64 v[74:75], v[4:5], v[76:77], 1.0
	s_mov_b32 s2, 0xc4800000
	v_fma_f64 v[4:5], v[4:5], v[74:75], 1.0
	v_cvt_i32_f64_e32 v7, v[10:11]
	v_cmp_ngt_f32_e32 vcc, s2, v6
	s_mov_b32 s2, 0x44866000
	v_ldexp_f64 v[4:5], v[4:5], v7
	v_cmp_nlt_f32_e64 s[2:3], s2, v6
	v_mov_b32_e32 v8, 0
	v_cndmask_b32_e32 v5, v94, v5, vcc
	s_and_b64 vcc, s[2:3], vcc
	v_mov_b32_e32 v9, 0x3ff00000
	v_mov_b32_e32 v78, 0
	v_cndmask_b32_e64 v11, 0, v5, s[2:3]
	v_cndmask_b32_e32 v10, 0, v4, vcc
	s_mov_b32 s12, -1
	s_mov_b64 s[2:3], 0
	v_mov_b32_e32 v79, v17
	s_branch .LBB69_42
.LBB69_41:                              ;   in Loop: Header=BB69_42 Depth=2
	s_or_b64 exec, exec, s[6:7]
	v_cmp_eq_u32_e32 vcc, 1, v15
	v_cndmask_b32_e32 v0, v0, v1, vcc
	v_cmp_eq_u32_e32 vcc, 2, v15
	v_cndmask_b32_e32 v0, v0, v2, vcc
	v_cmp_eq_u32_e32 vcc, 3, v15
	v_cndmask_b32_e32 v2, v0, v3, vcc
	v_cmp_eq_u32_e32 vcc, 1, v80
	v_cndmask_b32_e32 v0, v4, v5, vcc
	v_cmp_eq_u32_e32 vcc, 2, v80
	v_cndmask_b32_e32 v0, v0, v6, vcc
	v_cmp_eq_u32_e32 vcc, 3, v80
	v_cndmask_b32_e32 v0, v0, v7, vcc
	v_lshrrev_b32_e32 v0, 11, v0
	v_cvt_f64_u32_e32 v[0:1], v0
	v_ldexp_f64 v[0:1], v[0:1], 32
	v_cvt_f64_u32_e32 v[2:3], v2
	v_add_f64 v[0:1], v[0:1], v[2:3]
	v_mov_b32_e32 v2, 0
	v_mov_b32_e32 v3, 0x3ca00000
	v_fmac_f64_e32 v[2:3], 0x3ca00000, v[0:1]
	v_mul_f64 v[8:9], v[8:9], v[2:3]
	v_cmp_ngt_f64_e32 vcc, v[8:9], v[10:11]
	s_add_i32 s12, s12, 1
	s_or_b64 s[2:3], vcc, s[2:3]
	v_mov_b32_e32 v75, s12
	v_mov_b32_e32 v15, v81
	v_mov_b32_e32 v0, v77
	v_mov_b32_e32 v1, v76
	v_mov_b32_e32 v2, v82
	v_mov_b32_e32 v3, v74
	s_andn2_b64 exec, exec, s[2:3]
	s_cbranch_execz .LBB69_2
.LBB69_42:                              ;   Parent Loop BB69_5 Depth=1
                                        ; =>  This Inner Loop Header: Depth=2
	v_add_u32_e32 v80, 1, v15
	v_pk_mov_b32 v[6:7], v[2:3], v[2:3] op_sel:[0,1]
	v_cmp_eq_u32_e32 vcc, 4, v80
	v_pk_mov_b32 v[4:5], v[0:1], v[0:1] op_sel:[0,1]
	v_mov_b32_e32 v77, v0
	v_mov_b32_e32 v76, v1
	v_mov_b32_e32 v82, v2
	v_mov_b32_e32 v74, v3
	s_and_saveexec_b64 s[6:7], vcc
	s_cbranch_execz .LBB69_44
; %bb.43:                               ;   in Loop: Header=BB69_42 Depth=2
	v_add_co_u32_e32 v97, vcc, 1, v97
	v_cndmask_b32_e64 v4, 0, 1, vcc
	v_addc_co_u32_e32 v98, vcc, 0, v98, vcc
	v_cmp_eq_u32_e32 vcc, 0, v98
	v_cndmask_b32_e32 v4, 0, v4, vcc
	v_add_u32_e32 v79, v4, v79
	v_cmp_eq_u32_e32 vcc, 0, v79
	v_cndmask_b32_e32 v4, 0, v4, vcc
	v_add_u32_e32 v78, v4, v78
	v_mad_u64_u32 v[4:5], s[14:15], v97, s11, 0
	v_mad_u64_u32 v[6:7], s[14:15], v79, s9, 0
	v_xor_b32_e32 v5, v5, v73
	v_xor_b32_e32 v7, v7, v72
	v_xor_b32_e32 v5, v78, v5
	v_xor_b32_e32 v7, v98, v7
	v_mad_u64_u32 v[76:77], s[14:15], v5, s9, 0
	v_mad_u64_u32 v[74:75], s[14:15], v7, s11, 0
	v_xor_b32_e32 v5, v99, v77
	v_xor_b32_e32 v5, v5, v6
	v_xor_b32_e32 v6, v100, v75
	v_xor_b32_e32 v6, v6, v4
	;; [unrolled: 6-line block ×10, first 2 shown]
	v_mov_b32_e32 v80, 0
	v_mov_b32_e32 v5, v76
	;; [unrolled: 1-line block ×5, first 2 shown]
.LBB69_44:                              ;   in Loop: Header=BB69_42 Depth=2
	s_or_b64 exec, exec, s[6:7]
	v_add_u32_e32 v81, 1, v80
	v_cmp_eq_u32_e32 vcc, 4, v81
	s_and_saveexec_b64 s[6:7], vcc
	s_cbranch_execz .LBB69_41
; %bb.45:                               ;   in Loop: Header=BB69_42 Depth=2
	v_add_co_u32_e32 v97, vcc, 1, v97
	v_cndmask_b32_e64 v74, 0, 1, vcc
	v_addc_co_u32_e32 v98, vcc, 0, v98, vcc
	v_cmp_eq_u32_e32 vcc, 0, v98
	v_cndmask_b32_e32 v74, 0, v74, vcc
	v_add_u32_e32 v79, v74, v79
	v_cmp_eq_u32_e32 vcc, 0, v79
	v_cndmask_b32_e32 v74, 0, v74, vcc
	v_add_u32_e32 v78, v74, v78
	v_mad_u64_u32 v[74:75], s[14:15], v97, s11, 0
	v_mad_u64_u32 v[76:77], s[14:15], v79, s9, 0
	v_xor_b32_e32 v75, v75, v73
	v_xor_b32_e32 v77, v77, v72
	v_xor_b32_e32 v75, v78, v75
	v_xor_b32_e32 v77, v98, v77
	v_mad_u64_u32 v[84:85], s[14:15], v75, s9, 0
	v_mad_u64_u32 v[82:83], s[14:15], v77, s11, 0
	v_xor_b32_e32 v75, v99, v85
	v_xor_b32_e32 v75, v75, v76
	v_xor_b32_e32 v76, v100, v83
	v_xor_b32_e32 v76, v76, v74
	;; [unrolled: 6-line block ×9, first 2 shown]
	v_mad_u64_u32 v[74:75], s[14:15], v74, s11, 0
	v_mad_u64_u32 v[76:77], s[14:15], v76, s9, 0
	v_xor_b32_e32 v77, v77, v116
	v_xor_b32_e32 v75, v75, v86
	v_mov_b32_e32 v81, 0
	v_xor_b32_e32 v77, v106, v77
	v_xor_b32_e32 v82, v96, v75
	s_branch .LBB69_41
.LBB69_46:
	s_or_b64 exec, exec, s[4:5]
	s_and_saveexec_b64 s[0:1], s[18:19]
	s_xor_b64 s[0:1], exec, s[0:1]
	s_cbranch_execnz .LBB69_48
.LBB69_47:
	s_endpgm
.LBB69_48:
	s_trap 2
	; divergent unreachable
	s_endpgm
	.section	.rodata,"a",@progbits
	.p2align	6, 0x0
	.amdhsa_kernel _ZN2at4cuda12_GLOBAL__N_121kernelPointwiseApply2IZN12_GLOBAL__N_119poisson_cuda_kernelIfEEvRKNS_10TensorBaseES7_NS_15PhiloxCudaStateEEUlRfRKfE_ffjLi1ELi2ELi1ELi512ELi2EEEvNS0_6detail10TensorInfoIT0_T2_EENSE_IT1_SG_EESG_T_
		.amdhsa_group_segment_fixed_size 0
		.amdhsa_private_segment_fixed_size 0
		.amdhsa_kernarg_size 728
		.amdhsa_user_sgpr_count 6
		.amdhsa_user_sgpr_private_segment_buffer 1
		.amdhsa_user_sgpr_dispatch_ptr 0
		.amdhsa_user_sgpr_queue_ptr 0
		.amdhsa_user_sgpr_kernarg_segment_ptr 1
		.amdhsa_user_sgpr_dispatch_id 0
		.amdhsa_user_sgpr_flat_scratch_init 0
		.amdhsa_user_sgpr_kernarg_preload_length 0
		.amdhsa_user_sgpr_kernarg_preload_offset 0
		.amdhsa_user_sgpr_private_segment_size 0
		.amdhsa_uses_dynamic_stack 0
		.amdhsa_system_sgpr_private_segment_wavefront_offset 0
		.amdhsa_system_sgpr_workgroup_id_x 1
		.amdhsa_system_sgpr_workgroup_id_y 0
		.amdhsa_system_sgpr_workgroup_id_z 0
		.amdhsa_system_sgpr_workgroup_info 0
		.amdhsa_system_vgpr_workitem_id 0
		.amdhsa_next_free_vgpr 135
		.amdhsa_next_free_sgpr 96
		.amdhsa_accum_offset 136
		.amdhsa_reserve_vcc 1
		.amdhsa_reserve_flat_scratch 0
		.amdhsa_float_round_mode_32 0
		.amdhsa_float_round_mode_16_64 0
		.amdhsa_float_denorm_mode_32 3
		.amdhsa_float_denorm_mode_16_64 3
		.amdhsa_dx10_clamp 1
		.amdhsa_ieee_mode 1
		.amdhsa_fp16_overflow 0
		.amdhsa_tg_split 0
		.amdhsa_exception_fp_ieee_invalid_op 0
		.amdhsa_exception_fp_denorm_src 0
		.amdhsa_exception_fp_ieee_div_zero 0
		.amdhsa_exception_fp_ieee_overflow 0
		.amdhsa_exception_fp_ieee_underflow 0
		.amdhsa_exception_fp_ieee_inexact 0
		.amdhsa_exception_int_div_zero 0
	.end_amdhsa_kernel
	.section	.text._ZN2at4cuda12_GLOBAL__N_121kernelPointwiseApply2IZN12_GLOBAL__N_119poisson_cuda_kernelIfEEvRKNS_10TensorBaseES7_NS_15PhiloxCudaStateEEUlRfRKfE_ffjLi1ELi2ELi1ELi512ELi2EEEvNS0_6detail10TensorInfoIT0_T2_EENSE_IT1_SG_EESG_T_,"axG",@progbits,_ZN2at4cuda12_GLOBAL__N_121kernelPointwiseApply2IZN12_GLOBAL__N_119poisson_cuda_kernelIfEEvRKNS_10TensorBaseES7_NS_15PhiloxCudaStateEEUlRfRKfE_ffjLi1ELi2ELi1ELi512ELi2EEEvNS0_6detail10TensorInfoIT0_T2_EENSE_IT1_SG_EESG_T_,comdat
.Lfunc_end69:
	.size	_ZN2at4cuda12_GLOBAL__N_121kernelPointwiseApply2IZN12_GLOBAL__N_119poisson_cuda_kernelIfEEvRKNS_10TensorBaseES7_NS_15PhiloxCudaStateEEUlRfRKfE_ffjLi1ELi2ELi1ELi512ELi2EEEvNS0_6detail10TensorInfoIT0_T2_EENSE_IT1_SG_EESG_T_, .Lfunc_end69-_ZN2at4cuda12_GLOBAL__N_121kernelPointwiseApply2IZN12_GLOBAL__N_119poisson_cuda_kernelIfEEvRKNS_10TensorBaseES7_NS_15PhiloxCudaStateEEUlRfRKfE_ffjLi1ELi2ELi1ELi512ELi2EEEvNS0_6detail10TensorInfoIT0_T2_EENSE_IT1_SG_EESG_T_
                                        ; -- End function
	.section	.AMDGPU.csdata,"",@progbits
; Kernel info:
; codeLenInByte = 13488
; NumSgprs: 100
; NumVgprs: 135
; NumAgprs: 0
; TotalNumVgprs: 135
; ScratchSize: 0
; MemoryBound: 0
; FloatMode: 240
; IeeeMode: 1
; LDSByteSize: 0 bytes/workgroup (compile time only)
; SGPRBlocks: 12
; VGPRBlocks: 16
; NumSGPRsForWavesPerEU: 100
; NumVGPRsForWavesPerEU: 135
; AccumOffset: 136
; Occupancy: 3
; WaveLimiterHint : 1
; COMPUTE_PGM_RSRC2:SCRATCH_EN: 0
; COMPUTE_PGM_RSRC2:USER_SGPR: 6
; COMPUTE_PGM_RSRC2:TRAP_HANDLER: 0
; COMPUTE_PGM_RSRC2:TGID_X_EN: 1
; COMPUTE_PGM_RSRC2:TGID_Y_EN: 0
; COMPUTE_PGM_RSRC2:TGID_Z_EN: 0
; COMPUTE_PGM_RSRC2:TIDIG_COMP_CNT: 0
; COMPUTE_PGM_RSRC3_GFX90A:ACCUM_OFFSET: 33
; COMPUTE_PGM_RSRC3_GFX90A:TG_SPLIT: 0
	.section	.text._ZN2at4cuda12_GLOBAL__N_121kernelPointwiseApply2IZN12_GLOBAL__N_119poisson_cuda_kernelIfEEvRKNS_10TensorBaseES7_NS_15PhiloxCudaStateEEUlRfRKfE_ffjLi1ELin1ELi1ELi512ELi2EEEvNS0_6detail10TensorInfoIT0_T2_EENSE_IT1_SG_EESG_T_,"axG",@progbits,_ZN2at4cuda12_GLOBAL__N_121kernelPointwiseApply2IZN12_GLOBAL__N_119poisson_cuda_kernelIfEEvRKNS_10TensorBaseES7_NS_15PhiloxCudaStateEEUlRfRKfE_ffjLi1ELin1ELi1ELi512ELi2EEEvNS0_6detail10TensorInfoIT0_T2_EENSE_IT1_SG_EESG_T_,comdat
	.globl	_ZN2at4cuda12_GLOBAL__N_121kernelPointwiseApply2IZN12_GLOBAL__N_119poisson_cuda_kernelIfEEvRKNS_10TensorBaseES7_NS_15PhiloxCudaStateEEUlRfRKfE_ffjLi1ELin1ELi1ELi512ELi2EEEvNS0_6detail10TensorInfoIT0_T2_EENSE_IT1_SG_EESG_T_ ; -- Begin function _ZN2at4cuda12_GLOBAL__N_121kernelPointwiseApply2IZN12_GLOBAL__N_119poisson_cuda_kernelIfEEvRKNS_10TensorBaseES7_NS_15PhiloxCudaStateEEUlRfRKfE_ffjLi1ELin1ELi1ELi512ELi2EEEvNS0_6detail10TensorInfoIT0_T2_EENSE_IT1_SG_EESG_T_
	.p2align	8
	.type	_ZN2at4cuda12_GLOBAL__N_121kernelPointwiseApply2IZN12_GLOBAL__N_119poisson_cuda_kernelIfEEvRKNS_10TensorBaseES7_NS_15PhiloxCudaStateEEUlRfRKfE_ffjLi1ELin1ELi1ELi512ELi2EEEvNS0_6detail10TensorInfoIT0_T2_EENSE_IT1_SG_EESG_T_,@function
_ZN2at4cuda12_GLOBAL__N_121kernelPointwiseApply2IZN12_GLOBAL__N_119poisson_cuda_kernelIfEEvRKNS_10TensorBaseES7_NS_15PhiloxCudaStateEEUlRfRKfE_ffjLi1ELin1ELi1ELi512ELi2EEEvNS0_6detail10TensorInfoIT0_T2_EENSE_IT1_SG_EESG_T_: ; @_ZN2at4cuda12_GLOBAL__N_121kernelPointwiseApply2IZN12_GLOBAL__N_119poisson_cuda_kernelIfEEvRKNS_10TensorBaseES7_NS_15PhiloxCudaStateEEUlRfRKfE_ffjLi1ELin1ELi1ELi512ELi2EEEvNS0_6detail10TensorInfoIT0_T2_EENSE_IT1_SG_EESG_T_
; %bb.0:
	s_load_dword s2, s[4:5], 0x1e4
	s_load_dword s33, s[4:5], 0x1b0
	s_add_u32 s0, s4, 0x1d8
	s_addc_u32 s1, s5, 0
	s_waitcnt lgkmcnt(0)
	s_and_b32 s2, s2, 0xffff
	s_mul_i32 s6, s6, s2
	v_add_u32_e32 v17, s6, v0
	v_cmp_gt_u32_e32 vcc, s33, v17
	s_and_saveexec_b64 s[6:7], vcc
	s_cbranch_execz .LBB70_50
; %bb.1:
	s_load_dwordx4 s[16:19], s[4:5], 0x1b8
                                        ; implicit-def: $vgpr134 : SGPR spill to VGPR lane
	s_load_dword s8, s[4:5], 0x1d0
                                        ; kill: killed $sgpr0 killed $sgpr1
	s_add_u32 s9, s4, 0xd8
	s_addc_u32 s12, s5, 0
	s_mov_b32 s24, 0
	s_waitcnt lgkmcnt(0)
	v_writelane_b32 v134, s16, 0
	v_writelane_b32 v134, s17, 1
	;; [unrolled: 1-line block ×4, first 2 shown]
	s_load_dword s3, s[4:5], 0x1a8
	s_load_dwordx2 s[16:17], s[4:5], 0x0
	s_load_dword s6, s[4:5], 0x6c
	s_mov_b32 s30, 0x55555555
	s_mov_b32 s34, 0x6b47b09a
	s_waitcnt lgkmcnt(0)
	s_cmp_gt_i32 s3, 1
	s_load_dwordx2 s[64:65], s[4:5], 0xd8
	v_writelane_b32 v134, s6, 4
	s_load_dword s13, s[0:1], 0x0
	s_load_dwordx2 s[6:7], s[4:5], 0x1c8
	s_mov_b32 s36, 0xbf559e2b
	s_load_dword s0, s[4:5], 0x144
	s_mov_b32 s38, 0xd7f4df2e
	s_mov_b32 s40, 0x16291751
	s_waitcnt lgkmcnt(0)
	v_writelane_b32 v134, s6, 5
	v_writelane_b32 v134, s7, 6
	;; [unrolled: 1-line block ×3, first 2 shown]
	s_cselect_b64 s[6:7], -1, 0
	s_getpc_b64 s[0:1]
	s_add_u32 s0, s0, .str@rel32@lo+4
	s_addc_u32 s1, s1, .str@rel32@hi+12
	s_cmp_eq_u64 s[0:1], 0
	s_cselect_b64 s[0:1], -1, 0
	s_bitcmp1_b32 s8, 0
	s_cselect_b64 s[10:11], -1, 0
	v_writelane_b32 v134, s10, 8
	s_mov_b32 s8, 0xcd9e8d57
	v_writelane_b32 v134, s11, 9
	v_mad_u64_u32 v[12:13], s[10:11], v17, s8, 0
	s_mul_i32 s10, s13, s2
	s_add_i32 s2, s3, 1
	v_writelane_b32 v134, s2, 10
	s_add_i32 s2, s3, -1
	s_mov_b32 s3, 0
	s_lshl_b64 s[2:3], s[2:3], 2
	s_add_u32 s2, s2, s9
	s_addc_u32 s3, s3, s12
	s_add_u32 s2, s2, 8
	s_addc_u32 s3, s3, 0
	v_writelane_b32 v134, s2, 11
	v_writelane_b32 v134, s3, 12
	s_xor_b64 s[0:1], s[0:1], -1
	v_cndmask_b32_e64 v0, 0, 1, s[6:7]
	v_writelane_b32 v134, s0, 13
	v_writelane_b32 v134, s1, 14
	v_cmp_ne_u32_e64 s[0:1], 1, v0
	v_writelane_b32 v134, s0, 15
	s_mov_b32 s42, 0x9b27acf1
	s_mov_b32 s44, 0x998ef7b6
	;; [unrolled: 1-line block ×7, first 2 shown]
	v_writelane_b32 v134, s1, 16
	s_mov_b32 s66, 0
	s_mov_b32 s68, 0
	;; [unrolled: 1-line block ×13, first 2 shown]
	s_movk_i32 s92, 0xf950
	s_mov_b32 s94, 0xc864beb5
	s_mov_b32 s22, 0
	;; [unrolled: 1-line block ×3, first 2 shown]
                                        ; kill: killed $sgpr4 killed $sgpr5
	s_mov_b64 s[4:5], 0
	v_mov_b32_e32 v14, 0
	v_mov_b32_e32 v16, v13
	s_mov_b32 s11, 0xd2511f53
	s_mov_b32 s25, 0x40080000
	;; [unrolled: 1-line block ×12, first 2 shown]
	s_movk_i32 s9, 0x204
	s_mov_b32 s55, 0x3ff71547
	s_mov_b32 s57, 0xbfe62e42
	;; [unrolled: 1-line block ×5, first 2 shown]
	v_mov_b32_e32 v18, 0x6b47b09a
	v_mov_b32_e32 v20, 0xd7f4df2e
	;; [unrolled: 1-line block ×27, first 2 shown]
	s_mov_b32 s65, s10
	v_mov_b32_e32 v88, 0x260
	v_mov_b32_e32 v89, 0xffffff80
	;; [unrolled: 1-line block ×33, first 2 shown]
	s_mov_b32 s10, 0xdb3d7428
	s_mov_b32 s67, 0xc090cc00
	s_mov_b32 s69, 0x40200000
	s_mov_b32 s71, 0x3e843550
	s_mov_b32 s73, 0x401c0000
	s_mov_b32 s75, 0x3ee4f051
	s_mov_b32 s77, 0x40180000
	s_mov_b32 s79, 0xbfc1bcb2
	s_mov_b32 s81, 0x40140000
	s_mov_b32 s83, 0x402903c2
	s_mov_b32 s85, 0xc06613ae
	s_mov_b32 s87, 0x40881a96
	s_mov_b32 s89, 0xc093ac8e
	s_mov_b32 s91, 0x40852429
	s_mov_b32 s93, 0x3fefffff
	s_mov_b32 s95, 0x3fed67f1
	s_mov_b32 s23, 0xc01c0000
	s_mov_b32 s21, 0x4005bf0a
	s_mov_b32 s13, 0xbff71547
	v_writelane_b32 v134, s16, 17
                                        ; implicit-def: $sgpr26_sgpr27
                                        ; implicit-def: $sgpr28_sgpr29
	v_writelane_b32 v134, s17, 18
	s_branch .LBB70_5
.LBB70_2:                               ;   in Loop: Header=BB70_5 Depth=1
	s_or_b64 exec, exec, s[2:3]
.LBB70_3:                               ;   in Loop: Header=BB70_5 Depth=1
	s_or_b64 exec, exec, s[0:1]
	v_lshlrev_b64 v[0:1], 2, v[70:71]
	v_mov_b32_e32 v2, s17
	v_cvt_f32_u32_e32 v3, v75
	v_add_co_u32_e32 v0, vcc, s16, v0
	v_addc_co_u32_e32 v1, vcc, v2, v1, vcc
	v_add_u32_e32 v94, s65, v94
	v_cmp_le_u32_e32 vcc, s33, v94
	s_andn2_b64 s[28:29], s[28:29], exec
	s_orn2_b64 s[0:1], vcc, exec
	global_store_dword v[0:1], v3, off
.LBB70_4:                               ;   in Loop: Header=BB70_5 Depth=1
	s_or_b64 exec, exec, s[52:53]
	s_and_b64 s[0:1], exec, s[0:1]
	s_or_b64 s[4:5], s[0:1], s[4:5]
	s_andn2_b64 s[0:1], s[26:27], exec
	s_and_b64 s[2:3], s[28:29], exec
	s_or_b64 s[26:27], s[0:1], s[2:3]
	s_andn2_b64 exec, exec, s[4:5]
	s_cbranch_execz .LBB70_49
.LBB70_5:                               ; =>This Loop Header: Depth=1
                                        ;     Child Loop BB70_8 Depth 2
                                        ;     Child Loop BB70_16 Depth 2
	;; [unrolled: 1-line block ×3, first 2 shown]
	v_sub_u32_e32 v0, s33, v94
	v_cmp_lt_i32_e32 vcc, 0, v0
	v_pk_mov_b32 v[0:1], 0, 0
	v_pk_mov_b32 v[70:71], v[0:1], v[0:1] op_sel:[0,1]
	s_and_saveexec_b64 s[0:1], vcc
	s_cbranch_execz .LBB70_10
; %bb.6:                                ;   in Loop: Header=BB70_5 Depth=1
	v_readlane_b32 s2, v134, 15
	v_readlane_b32 s3, v134, 16
	s_and_b64 vcc, exec, s[2:3]
	v_mov_b32_e32 v0, 0
	v_mov_b32_e32 v2, v94
	s_cbranch_vccnz .LBB70_9
; %bb.7:                                ;   in Loop: Header=BB70_5 Depth=1
	v_readlane_b32 s2, v134, 11
	v_mov_b32_e32 v0, 0
	v_readlane_b32 s3, v134, 12
	v_readlane_b32 s6, v134, 10
	v_mov_b32_e32 v2, v94
.LBB70_8:                               ;   Parent Loop BB70_5 Depth=1
                                        ; =>  This Inner Loop Header: Depth=2
	s_load_dword s7, s[2:3], 0x0
	s_load_dword s12, s[2:3], 0x64
	v_mov_b32_e32 v1, v2
	s_add_i32 s6, s6, -1
	s_waitcnt lgkmcnt(0)
	v_cvt_f32_u32_e32 v2, s7
	s_sub_i32 s14, 0, s7
	s_add_u32 s2, s2, -4
	s_addc_u32 s3, s3, -1
	v_rcp_iflag_f32_e32 v2, v2
	s_cmp_gt_u32 s6, 2
	v_mul_f32_e32 v2, 0x4f7ffffe, v2
	v_cvt_u32_f32_e32 v2, v2
	v_mul_lo_u32 v3, s14, v2
	v_mul_hi_u32 v3, v2, v3
	v_add_u32_e32 v2, v2, v3
	v_mul_hi_u32 v2, v1, v2
	v_mul_lo_u32 v3, v2, s7
	v_sub_u32_e32 v3, v1, v3
	v_add_u32_e32 v4, 1, v2
	v_subrev_u32_e32 v5, s7, v3
	v_cmp_le_u32_e32 vcc, s7, v3
	v_cndmask_b32_e32 v2, v2, v4, vcc
	v_cndmask_b32_e32 v3, v3, v5, vcc
	v_add_u32_e32 v4, 1, v2
	v_cmp_le_u32_e32 vcc, s7, v3
	v_cndmask_b32_e32 v2, v2, v4, vcc
	v_mul_lo_u32 v3, v2, s7
	v_sub_u32_e32 v1, v1, v3
	v_mad_u64_u32 v[0:1], s[14:15], s12, v1, v[0:1]
	s_cbranch_scc1 .LBB70_8
.LBB70_9:                               ;   in Loop: Header=BB70_5 Depth=1
	v_readlane_b32 s2, v134, 4
	v_mul_lo_u32 v70, v94, s2
	v_readlane_b32 s2, v134, 7
	v_mad_u64_u32 v[0:1], s[2:3], s2, v2, v[0:1]
	v_mov_b32_e32 v71, v14
	v_mov_b32_e32 v1, v14
.LBB70_10:                              ;   in Loop: Header=BB70_5 Depth=1
	s_or_b64 exec, exec, s[0:1]
	v_lshlrev_b64 v[0:1], 2, v[0:1]
	v_add_co_u32_e32 v0, vcc, s64, v0
	v_addc_co_u32_e32 v1, vcc, v13, v1, vcc
	global_load_dword v6, v[0:1], off
	v_readlane_b32 s2, v134, 13
	v_readlane_b32 s3, v134, 14
	s_mov_b64 s[0:1], -1
	s_or_b64 s[28:29], s[28:29], exec
	s_waitcnt vmcnt(0)
	v_cmp_le_f32_e32 vcc, 0, v6
	s_and_b64 s[2:3], s[2:3], vcc
	s_and_saveexec_b64 s[52:53], s[2:3]
	s_cbranch_execz .LBB70_4
; %bb.11:                               ;   in Loop: Header=BB70_5 Depth=1
	v_readlane_b32 s0, v134, 8
	v_readlane_b32 s1, v134, 9
	s_andn2_b64 vcc, exec, s[0:1]
	v_readlane_b32 s0, v134, 0
	v_readlane_b32 s1, v134, 1
	;; [unrolled: 1-line block ×4, first 2 shown]
	v_pk_mov_b32 v[0:1], s[2:3], s[2:3] op_sel:[0,1]
	v_pk_mov_b32 v[72:73], s[0:1], s[0:1] op_sel:[0,1]
	s_cbranch_vccnz .LBB70_13
; %bb.12:                               ;   in Loop: Header=BB70_5 Depth=1
	v_readlane_b32 s0, v134, 0
	v_readlane_b32 s2, v134, 2
	;; [unrolled: 1-line block ×3, first 2 shown]
	v_pk_mov_b32 v[0:1], s[2:3], s[2:3] op_sel:[0,1]
	v_readlane_b32 s1, v134, 1
	flat_load_dwordx2 v[0:1], v[0:1]
	v_pk_mov_b32 v[2:3], s[0:1], s[0:1] op_sel:[0,1]
	flat_load_dwordx2 v[72:73], v[2:3]
	v_readlane_b32 s0, v134, 5
	v_readlane_b32 s1, v134, 6
	v_mov_b32_e32 v2, s1
	s_waitcnt vmcnt(0) lgkmcnt(0)
	v_add_co_u32_e32 v0, vcc, s0, v0
	v_addc_co_u32_e32 v1, vcc, v1, v2, vcc
.LBB70_13:                              ;   in Loop: Header=BB70_5 Depth=1
	v_alignbit_b32 v96, v1, v0, 2
	v_and_b32_e32 v15, 3, v0
	v_lshrrev_b32_e32 v97, 2, v1
	v_mad_u64_u32 v[0:1], s[0:1], v96, s11, 0
	v_xor_b32_e32 v3, v16, v72
	v_mov_b32_e32 v2, v73
	v_xor_b32_e32 v1, v1, v73
	s_mov_b32 s0, 0xbb67ae85
	v_xor_b32_e32 v3, v3, v97
	v_add_co_u32_e32 v99, vcc, s0, v2
	v_mad_u64_u32 v[4:5], s[0:1], v3, s11, 0
	v_mad_u64_u32 v[8:9], s[0:1], v1, s8, 0
	v_add_co_u32_e32 v98, vcc, 0x9e3779b9, v72
	v_xor_b32_e32 v1, v12, v9
	v_xor_b32_e32 v3, v99, v5
	s_mov_b32 s0, 0x3c6ef372
	v_xor_b32_e32 v1, v1, v98
	v_xor_b32_e32 v3, v3, v0
	v_add_co_u32_e32 v100, vcc, s0, v72
	s_mov_b32 s0, 0x76cf5d0a
	v_add_co_u32_e32 v101, vcc, s0, v2
	v_mad_u64_u32 v[0:1], s[0:1], v1, s11, 0
	v_mad_u64_u32 v[10:11], s[0:1], v3, s8, 0
	v_xor_b32_e32 v3, v100, v11
	v_xor_b32_e32 v1, v101, v1
	s_mov_b32 s0, 0xdaa66d2b
	v_xor_b32_e32 v3, v3, v8
	v_xor_b32_e32 v1, v1, v4
	v_add_co_u32_e32 v103, vcc, s0, v72
	s_mov_b32 s0, 0x32370b8f
	v_add_co_u32_e32 v105, vcc, s0, v2
	v_mad_u64_u32 v[4:5], s[0:1], v3, s11, 0
	v_mad_u64_u32 v[8:9], s[0:1], v1, s8, 0
	;; [unrolled: 10-line block ×6, first 2 shown]
	v_xor_b32_e32 v1, v112, v9
	v_xor_b32_e32 v3, v113, v5
	;; [unrolled: 1-line block ×4, first 2 shown]
	s_mov_b32 s0, 0xf1bbcdc8
	v_add_co_u32_e32 v102, vcc, s0, v72
	v_add_co_u32_e32 v114, vcc, s10, v2
	v_mad_u64_u32 v[2:3], s[0:1], v1, s11, 0
	v_mad_u64_u32 v[0:1], s[0:1], v0, s8, 0
	v_xor_b32_e32 v1, v102, v1
	v_xor_b32_e32 v3, v114, v3
	;; [unrolled: 1-line block ×4, first 2 shown]
	v_mad_u64_u32 v[4:5], s[0:1], v1, s11, 0
	v_mad_u64_u32 v[8:9], s[0:1], v7, s8, 0
	v_add_u32_e32 v104, 0x8ff34781, v72
	v_add_u32_e32 v95, 0x96a522ad, v73
	v_xor_b32_e32 v0, v9, v0
	v_xor_b32_e32 v2, v5, v2
	s_mov_b32 s0, 0x42800000
	v_mov_b32_e32 v3, v4
	v_mov_b32_e32 v1, v8
	v_xor_b32_e32 v0, v104, v0
	v_xor_b32_e32 v2, v95, v2
	v_cvt_f64_f32_e32 v[4:5], v6
	v_cmp_ngt_f32_e32 vcc, s0, v6
                                        ; implicit-def: $vgpr75
	s_and_saveexec_b64 s[0:1], vcc
	s_xor_b64 s[18:19], exec, s[0:1]
	s_cbranch_execz .LBB70_42
; %bb.14:                               ;   in Loop: Header=BB70_5 Depth=1
	s_mov_b32 s0, 0x457a0000
	v_cmp_ge_f32_e32 vcc, s0, v6
                                        ; implicit-def: $vgpr75
	s_and_saveexec_b64 s[0:1], vcc
	s_xor_b64 s[6:7], exec, s[0:1]
	s_cbranch_execz .LBB70_29
; %bb.15:                               ;   in Loop: Header=BB70_5 Depth=1
	s_mov_b32 s14, 0xae147ae1
	s_mov_b32 s15, 0xc00ae147
	v_div_scale_f64 v[6:7], s[0:1], v[4:5], v[4:5], s[14:15]
	v_rcp_f64_e32 v[8:9], v[6:7]
	s_mov_b32 s0, 0
	v_mul_f64 v[76:77], v[4:5], s[24:25]
	s_brev_b32 s1, 8
	v_cmp_gt_f64_e64 s[2:3], s[0:1], v[76:77]
	v_cndmask_b32_e64 v78, 0, 1, s[2:3]
	v_fma_f64 v[74:75], -v[6:7], v[8:9], 1.0
	v_lshlrev_b32_e32 v78, 8, v78
	v_fmac_f64_e32 v[8:9], v[8:9], v[74:75]
	v_ldexp_f64 v[76:77], v[76:77], v78
	v_fma_f64 v[74:75], -v[6:7], v[8:9], 1.0
	v_rsq_f64_e32 v[78:79], v[76:77]
	v_div_scale_f64 v[10:11], vcc, s[14:15], v[4:5], s[14:15]
	v_fmac_f64_e32 v[8:9], v[8:9], v[74:75]
	v_mul_f64 v[74:75], v[10:11], v[8:9]
	v_fma_f64 v[6:7], -v[6:7], v[74:75], v[10:11]
	s_nop 0
	v_div_fmas_f64 v[6:7], v[6:7], v[8:9], v[74:75]
	v_mul_f64 v[8:9], v[76:77], v[78:79]
	v_mul_f64 v[10:11], v[78:79], 0.5
	v_fma_f64 v[74:75], -v[10:11], v[8:9], 0.5
	v_fmac_f64_e32 v[8:9], v[8:9], v[74:75]
	v_fma_f64 v[78:79], -v[8:9], v[8:9], v[76:77]
	v_fmac_f64_e32 v[10:11], v[10:11], v[74:75]
	v_fmac_f64_e32 v[8:9], v[78:79], v[10:11]
	v_fma_f64 v[74:75], -v[8:9], v[8:9], v[76:77]
	v_fmac_f64_e32 v[8:9], v[74:75], v[10:11]
	v_cndmask_b32_e64 v10, 0, v89, s[2:3]
	v_ldexp_f64 v[8:9], v[8:9], v10
	v_cmp_class_f64_e32 vcc, v[76:77], v88
	s_mov_b32 s2, 0x54442d18
	v_cndmask_b32_e32 v9, v9, v77, vcc
	v_cndmask_b32_e32 v8, v8, v76, vcc
	s_mov_b32 s3, 0x400921fb
	v_div_scale_f64 v[10:11], s[0:1], v[8:9], v[8:9], s[2:3]
	v_rcp_f64_e32 v[76:77], v[10:11]
	s_mov_b32 s0, 0x95810625
	v_div_fixup_f64 v[6:7], v[6:7], v[4:5], s[14:15]
	s_mov_b32 s1, 0x3fe88b43
	v_fma_f64 v[78:79], -v[10:11], v[76:77], 1.0
	v_fmac_f64_e32 v[76:77], v[76:77], v[78:79]
	v_fma_f64 v[78:79], -v[10:11], v[76:77], 1.0
	v_fmac_f64_e32 v[76:77], v[76:77], v[78:79]
	v_div_scale_f64 v[78:79], vcc, s[2:3], v[8:9], s[2:3]
	v_mul_f64 v[80:81], v[78:79], v[76:77]
	v_fma_f64 v[10:11], -v[10:11], v[80:81], v[78:79]
	v_add_f64 v[6:7], v[6:7], s[0:1]
	s_nop 0
	v_div_fmas_f64 v[10:11], v[10:11], v[76:77], v[80:81]
	v_div_fixup_f64 v[76:77], v[10:11], v[8:9], s[2:3]
	v_frexp_mant_f64_e32 v[8:9], v[6:7]
	v_cmp_gt_f64_e32 vcc, s[30:31], v[8:9]
	v_mov_b32_e32 v74, 0
	v_cndmask_b32_e64 v75, v90, 2.0, vcc
	v_frexp_exp_i32_f64_e32 v10, v[6:7]
	v_mul_f64 v[8:9], v[8:9], v[74:75]
	v_subbrev_co_u32_e32 v75, vcc, 0, v10, vcc
	v_add_f64 v[10:11], v[8:9], 1.0
	v_rcp_f64_e32 v[80:81], v[10:11]
	v_add_f64 v[84:85], v[10:11], -1.0
	v_add_f64 v[82:83], v[8:9], -1.0
	v_add_f64 v[8:9], v[8:9], -v[84:85]
	v_fma_f64 v[84:85], -v[10:11], v[80:81], 1.0
	v_fmac_f64_e32 v[80:81], v[84:85], v[80:81]
	v_fma_f64 v[84:85], -v[10:11], v[80:81], 1.0
	v_fmac_f64_e32 v[80:81], v[84:85], v[80:81]
	v_mul_f64 v[84:85], v[82:83], v[80:81]
	v_mul_f64 v[86:87], v[10:11], v[84:85]
	v_fma_f64 v[10:11], v[84:85], v[10:11], -v[86:87]
	v_fmac_f64_e32 v[10:11], v[84:85], v[8:9]
	v_add_f64 v[8:9], v[86:87], v[10:11]
	v_add_f64 v[116:117], v[82:83], -v[8:9]
	v_add_f64 v[86:87], v[8:9], -v[86:87]
	;; [unrolled: 1-line block ×5, first 2 shown]
	v_add_f64 v[8:9], v[10:11], v[8:9]
	v_add_f64 v[8:9], v[116:117], v[8:9]
	v_mul_f64 v[8:9], v[80:81], v[8:9]
	v_add_f64 v[10:11], v[84:85], v[8:9]
	v_add_f64 v[80:81], v[10:11], -v[84:85]
	v_add_f64 v[8:9], v[8:9], -v[80:81]
	v_mul_f64 v[80:81], v[10:11], v[10:11]
	v_pk_mov_b32 v[82:83], s[34:35], s[34:35] op_sel:[0,1]
	v_fma_f64 v[84:85], s[36:37], v[80:81], v[82:83]
	v_fma_f64 v[84:85], v[80:81], v[84:85], s[38:39]
	;; [unrolled: 1-line block ×5, first 2 shown]
	s_mov_b32 s47, s31
	v_fma_f64 v[84:85], v[80:81], v[84:85], s[46:47]
	v_ldexp_f64 v[86:87], v[10:11], 1
	v_mul_f64 v[10:11], v[10:11], v[80:81]
	v_mul_f64 v[10:11], v[10:11], v[84:85]
	v_add_f64 v[80:81], v[86:87], v[10:11]
	v_add_f64 v[84:85], v[80:81], -v[86:87]
	v_ldexp_f64 v[8:9], v[8:9], 1
	v_add_f64 v[10:11], v[10:11], -v[84:85]
	v_add_f64 v[8:9], v[8:9], v[10:11]
	v_add_f64 v[10:11], v[80:81], v[8:9]
	v_add_f64 v[80:81], v[10:11], -v[80:81]
	v_add_f64 v[8:9], v[8:9], -v[80:81]
	v_cvt_f64_i32_e32 v[80:81], v75
	v_mul_f64 v[84:85], v[80:81], s[48:49]
	v_fma_f64 v[86:87], v[80:81], s[48:49], -v[84:85]
	v_fmac_f64_e32 v[86:87], s[50:51], v[80:81]
	v_add_f64 v[80:81], v[84:85], v[86:87]
	v_add_f64 v[84:85], v[80:81], -v[84:85]
	v_add_f64 v[84:85], v[86:87], -v[84:85]
	v_add_f64 v[86:87], v[80:81], v[10:11]
	v_add_f64 v[116:117], v[86:87], -v[80:81]
	v_add_f64 v[118:119], v[86:87], -v[116:117]
	;; [unrolled: 1-line block ×4, first 2 shown]
	v_add_f64 v[10:11], v[10:11], v[80:81]
	v_add_f64 v[80:81], v[84:85], v[8:9]
	v_add_f64 v[116:117], v[80:81], -v[84:85]
	v_add_f64 v[118:119], v[80:81], -v[116:117]
	v_add_f64 v[10:11], v[80:81], v[10:11]
	v_add_f64 v[84:85], v[84:85], -v[118:119]
	v_add_f64 v[8:9], v[8:9], -v[116:117]
	v_add_f64 v[80:81], v[86:87], v[10:11]
	v_add_f64 v[8:9], v[8:9], v[84:85]
	v_add_f64 v[84:85], v[80:81], -v[86:87]
	v_add_f64 v[10:11], v[10:11], -v[84:85]
	v_add_f64 v[8:9], v[8:9], v[10:11]
	v_add_f64 v[8:9], v[80:81], v[8:9]
	v_cmp_class_f64_e64 vcc, v[6:7], s9
	v_cndmask_b32_e32 v8, v8, v6, vcc
	v_cndmask_b32_e32 v9, v9, v7, vcc
	v_cmp_ngt_f64_e32 vcc, 0, v[6:7]
	v_cndmask_b32_e32 v9, v91, v9, vcc
	v_cmp_nge_f64_e32 vcc, 0, v[6:7]
	v_cndmask_b32_e32 v8, 0, v8, vcc
	v_cmp_neq_f64_e32 vcc, 0, v[6:7]
	v_cndmask_b32_e32 v9, v92, v9, vcc
	v_add_f64 v[6:7], v[8:9], -v[4:5]
	v_frexp_mant_f64_e32 v[8:9], v[76:77]
	v_cmp_gt_f64_e32 vcc, s[30:31], v[8:9]
	v_cndmask_b32_e64 v75, v90, 2.0, vcc
	v_frexp_exp_i32_f64_e32 v10, v[76:77]
	v_mul_f64 v[8:9], v[8:9], v[74:75]
	v_subbrev_co_u32_e32 v75, vcc, 0, v10, vcc
	v_add_f64 v[10:11], v[8:9], 1.0
	v_rcp_f64_e32 v[80:81], v[10:11]
	v_add_f64 v[86:87], v[10:11], -1.0
	v_add_f64 v[84:85], v[8:9], -1.0
	v_add_f64 v[8:9], v[8:9], -v[86:87]
	v_fma_f64 v[86:87], -v[10:11], v[80:81], 1.0
	v_fmac_f64_e32 v[80:81], v[86:87], v[80:81]
	v_fma_f64 v[86:87], -v[10:11], v[80:81], 1.0
	v_fmac_f64_e32 v[80:81], v[86:87], v[80:81]
	v_mul_f64 v[86:87], v[84:85], v[80:81]
	v_mul_f64 v[116:117], v[10:11], v[86:87]
	v_fma_f64 v[10:11], v[86:87], v[10:11], -v[116:117]
	v_fmac_f64_e32 v[10:11], v[86:87], v[8:9]
	v_add_f64 v[8:9], v[116:117], v[10:11]
	v_add_f64 v[118:119], v[84:85], -v[8:9]
	v_add_f64 v[116:117], v[8:9], -v[116:117]
	;; [unrolled: 1-line block ×5, first 2 shown]
	v_add_f64 v[8:9], v[10:11], v[8:9]
	v_add_f64 v[8:9], v[118:119], v[8:9]
	v_mul_f64 v[8:9], v[80:81], v[8:9]
	v_add_f64 v[10:11], v[86:87], v[8:9]
	v_add_f64 v[80:81], v[10:11], -v[86:87]
	v_add_f64 v[8:9], v[8:9], -v[80:81]
	v_mul_f64 v[80:81], v[10:11], v[10:11]
	v_fma_f64 v[84:85], s[36:37], v[80:81], v[82:83]
	v_fma_f64 v[84:85], v[80:81], v[84:85], s[38:39]
	;; [unrolled: 1-line block ×6, first 2 shown]
	v_ldexp_f64 v[86:87], v[10:11], 1
	v_mul_f64 v[10:11], v[10:11], v[80:81]
	v_mul_f64 v[10:11], v[10:11], v[84:85]
	v_add_f64 v[80:81], v[86:87], v[10:11]
	v_add_f64 v[84:85], v[80:81], -v[86:87]
	v_ldexp_f64 v[8:9], v[8:9], 1
	v_add_f64 v[10:11], v[10:11], -v[84:85]
	v_add_f64 v[8:9], v[8:9], v[10:11]
	v_add_f64 v[10:11], v[80:81], v[8:9]
	v_add_f64 v[80:81], v[10:11], -v[80:81]
	v_add_f64 v[8:9], v[8:9], -v[80:81]
	v_cvt_f64_i32_e32 v[80:81], v75
	v_mul_f64 v[84:85], v[80:81], s[48:49]
	v_fma_f64 v[86:87], v[80:81], s[48:49], -v[84:85]
	v_fmac_f64_e32 v[86:87], s[50:51], v[80:81]
	v_add_f64 v[80:81], v[84:85], v[86:87]
	v_add_f64 v[84:85], v[80:81], -v[84:85]
	v_add_f64 v[84:85], v[86:87], -v[84:85]
	v_add_f64 v[86:87], v[80:81], v[10:11]
	v_add_f64 v[116:117], v[86:87], -v[80:81]
	v_add_f64 v[118:119], v[86:87], -v[116:117]
	;; [unrolled: 1-line block ×4, first 2 shown]
	v_add_f64 v[10:11], v[10:11], v[80:81]
	v_add_f64 v[80:81], v[84:85], v[8:9]
	v_add_f64 v[116:117], v[80:81], -v[84:85]
	v_add_f64 v[118:119], v[80:81], -v[116:117]
	v_add_f64 v[10:11], v[80:81], v[10:11]
	v_add_f64 v[84:85], v[84:85], -v[118:119]
	v_add_f64 v[8:9], v[8:9], -v[116:117]
	v_add_f64 v[80:81], v[86:87], v[10:11]
	v_add_f64 v[8:9], v[8:9], v[84:85]
	v_add_f64 v[84:85], v[80:81], -v[86:87]
	v_add_f64 v[10:11], v[10:11], -v[84:85]
	s_mov_b32 s0, 0
	v_add_f64 v[8:9], v[8:9], v[10:11]
	s_mov_b32 s1, 0x7ff00000
	v_add_f64 v[8:9], v[80:81], v[8:9]
	v_cmp_eq_f64_e32 vcc, s[0:1], v[76:77]
	v_cndmask_b32_e32 v8, v8, v76, vcc
	v_cndmask_b32_e32 v9, v9, v77, vcc
	v_cmp_neq_f64_e32 vcc, 0, v[76:77]
	v_cndmask_b32_e32 v9, v92, v9, vcc
	v_cndmask_b32_e32 v8, 0, v8, vcc
	v_mul_f64 v[78:79], v[76:77], v[4:5]
	v_add_f64 v[80:81], v[6:7], -v[8:9]
	v_frexp_exp_i32_f64_e32 v6, v[4:5]
	v_frexp_mant_f64_e32 v[4:5], v[4:5]
	v_cmp_gt_f64_e32 vcc, s[30:31], v[4:5]
	v_cndmask_b32_e64 v75, v90, 2.0, vcc
	v_mul_f64 v[4:5], v[4:5], v[74:75]
	v_subbrev_co_u32_e32 v75, vcc, 0, v6, vcc
	v_add_f64 v[6:7], v[4:5], 1.0
	v_rcp_f64_e32 v[8:9], v[6:7]
	v_add_f64 v[84:85], v[6:7], -1.0
	v_add_f64 v[10:11], v[4:5], -1.0
	v_add_f64 v[4:5], v[4:5], -v[84:85]
	v_fma_f64 v[84:85], -v[6:7], v[8:9], 1.0
	v_fmac_f64_e32 v[8:9], v[84:85], v[8:9]
	v_fma_f64 v[84:85], -v[6:7], v[8:9], 1.0
	v_fmac_f64_e32 v[8:9], v[84:85], v[8:9]
	v_mul_f64 v[84:85], v[10:11], v[8:9]
	v_mul_f64 v[86:87], v[6:7], v[84:85]
	v_fma_f64 v[6:7], v[84:85], v[6:7], -v[86:87]
	v_fmac_f64_e32 v[6:7], v[84:85], v[4:5]
	v_add_f64 v[4:5], v[86:87], v[6:7]
	v_add_f64 v[116:117], v[10:11], -v[4:5]
	v_add_f64 v[86:87], v[4:5], -v[86:87]
	;; [unrolled: 1-line block ×5, first 2 shown]
	v_add_f64 v[4:5], v[6:7], v[4:5]
	v_add_f64 v[4:5], v[116:117], v[4:5]
	v_mul_f64 v[4:5], v[8:9], v[4:5]
	v_add_f64 v[6:7], v[84:85], v[4:5]
	v_add_f64 v[8:9], v[6:7], -v[84:85]
	v_add_f64 v[4:5], v[4:5], -v[8:9]
	v_mul_f64 v[8:9], v[6:7], v[6:7]
	v_fmac_f64_e32 v[82:83], s[36:37], v[8:9]
	v_fma_f64 v[10:11], v[8:9], v[82:83], s[38:39]
	v_fma_f64 v[10:11], v[8:9], v[10:11], s[40:41]
	;; [unrolled: 1-line block ×5, first 2 shown]
	v_ldexp_f64 v[82:83], v[6:7], 1
	v_mul_f64 v[6:7], v[6:7], v[8:9]
	v_mul_f64 v[6:7], v[6:7], v[10:11]
	v_add_f64 v[8:9], v[82:83], v[6:7]
	v_add_f64 v[10:11], v[8:9], -v[82:83]
	v_ldexp_f64 v[4:5], v[4:5], 1
	v_add_f64 v[6:7], v[6:7], -v[10:11]
	v_add_f64 v[4:5], v[4:5], v[6:7]
	v_add_f64 v[6:7], v[8:9], v[4:5]
	v_add_f64 v[8:9], v[6:7], -v[8:9]
	v_add_f64 v[4:5], v[4:5], -v[8:9]
	v_cvt_f64_i32_e32 v[8:9], v75
	v_mul_f64 v[10:11], v[8:9], s[48:49]
	v_fma_f64 v[82:83], v[8:9], s[48:49], -v[10:11]
	v_fmac_f64_e32 v[82:83], s[50:51], v[8:9]
	v_add_f64 v[8:9], v[10:11], v[82:83]
	v_add_f64 v[10:11], v[8:9], -v[10:11]
	v_add_f64 v[10:11], v[82:83], -v[10:11]
	v_add_f64 v[82:83], v[8:9], v[6:7]
	v_add_f64 v[84:85], v[82:83], -v[8:9]
	v_add_f64 v[86:87], v[82:83], -v[84:85]
	;; [unrolled: 1-line block ×4, first 2 shown]
	v_add_f64 v[6:7], v[6:7], v[8:9]
	v_add_f64 v[8:9], v[10:11], v[4:5]
	v_add_f64 v[84:85], v[8:9], -v[10:11]
	v_add_f64 v[86:87], v[8:9], -v[84:85]
	v_add_f64 v[6:7], v[8:9], v[6:7]
	v_add_f64 v[10:11], v[10:11], -v[86:87]
	v_add_f64 v[4:5], v[4:5], -v[84:85]
	v_add_f64 v[8:9], v[82:83], v[6:7]
	v_add_f64 v[4:5], v[4:5], v[10:11]
	v_add_f64 v[10:11], v[8:9], -v[82:83]
	v_add_f64 v[6:7], v[6:7], -v[10:11]
	v_add_f64 v[4:5], v[4:5], v[6:7]
	v_add_f64 v[82:83], v[8:9], v[4:5]
	s_mov_b64 s[14:15], 0
	s_mov_b64 s[16:17], 0
	v_mov_b32_e32 v115, v17
                                        ; implicit-def: $vgpr75
.LBB70_16:                              ;   Parent Loop BB70_5 Depth=1
                                        ; =>  This Inner Loop Header: Depth=2
	v_add_u32_e32 v116, 1, v15
	v_pk_mov_b32 v[10:11], v[2:3], v[2:3] op_sel:[0,1]
	v_cmp_eq_u32_e32 vcc, 4, v116
	v_pk_mov_b32 v[8:9], v[0:1], v[0:1] op_sel:[0,1]
	v_mov_b32_e32 v87, v0
	v_mov_b32_e32 v86, v1
	;; [unrolled: 1-line block ×4, first 2 shown]
	s_and_saveexec_b64 s[0:1], vcc
	s_cbranch_execz .LBB70_18
; %bb.17:                               ;   in Loop: Header=BB70_16 Depth=2
	v_add_co_u32_e32 v96, vcc, 1, v96
	v_cndmask_b32_e64 v4, 0, 1, vcc
	v_addc_co_u32_e32 v97, vcc, 0, v97, vcc
	v_cmp_eq_u32_e32 vcc, 0, v97
	v_cndmask_b32_e32 v4, 0, v4, vcc
	v_add_u32_e32 v115, v4, v115
	v_cmp_eq_u32_e32 vcc, 0, v115
	v_cndmask_b32_e32 v4, 0, v4, vcc
	v_add_u32_e32 v74, v4, v74
	v_mad_u64_u32 v[4:5], s[2:3], v96, s11, 0
	v_mad_u64_u32 v[6:7], s[2:3], v115, s8, 0
	v_xor_b32_e32 v5, v5, v73
	v_xor_b32_e32 v7, v7, v72
	v_xor_b32_e32 v5, v74, v5
	v_xor_b32_e32 v7, v97, v7
	v_mad_u64_u32 v[10:11], s[2:3], v5, s8, 0
	v_mad_u64_u32 v[8:9], s[2:3], v7, s11, 0
	v_xor_b32_e32 v5, v98, v11
	v_xor_b32_e32 v5, v5, v6
	v_xor_b32_e32 v6, v99, v9
	v_xor_b32_e32 v6, v6, v4
	;; [unrolled: 6-line block ×10, first 2 shown]
	v_mov_b32_e32 v116, 0
	v_mov_b32_e32 v9, v86
	v_mov_b32_e32 v11, v84
	v_mov_b32_e32 v87, v8
	v_mov_b32_e32 v85, v10
.LBB70_18:                              ;   in Loop: Header=BB70_16 Depth=2
	s_or_b64 exec, exec, s[0:1]
	v_add_u32_e32 v117, 1, v116
	v_pk_mov_b32 v[4:5], v[8:9], v[8:9] op_sel:[0,1]
	v_cmp_eq_u32_e32 vcc, 4, v117
	v_pk_mov_b32 v[6:7], v[10:11], v[10:11] op_sel:[0,1]
	s_and_saveexec_b64 s[0:1], vcc
	s_cbranch_execz .LBB70_20
; %bb.19:                               ;   in Loop: Header=BB70_16 Depth=2
	v_add_co_u32_e32 v96, vcc, 1, v96
	v_cndmask_b32_e64 v4, 0, 1, vcc
	v_addc_co_u32_e32 v97, vcc, 0, v97, vcc
	v_cmp_eq_u32_e32 vcc, 0, v97
	v_cndmask_b32_e32 v4, 0, v4, vcc
	v_add_u32_e32 v115, v4, v115
	v_cmp_eq_u32_e32 vcc, 0, v115
	v_cndmask_b32_e32 v4, 0, v4, vcc
	v_add_u32_e32 v74, v4, v74
	v_mad_u64_u32 v[4:5], s[2:3], v96, s11, 0
	v_mad_u64_u32 v[6:7], s[2:3], v115, s8, 0
	v_xor_b32_e32 v5, v5, v73
	v_xor_b32_e32 v7, v7, v72
	v_xor_b32_e32 v5, v74, v5
	v_xor_b32_e32 v7, v97, v7
	v_mad_u64_u32 v[86:87], s[2:3], v5, s8, 0
	v_mad_u64_u32 v[84:85], s[2:3], v7, s11, 0
	v_xor_b32_e32 v5, v98, v87
	v_xor_b32_e32 v5, v5, v6
	v_xor_b32_e32 v6, v99, v85
	v_xor_b32_e32 v6, v6, v4
	;; [unrolled: 6-line block ×10, first 2 shown]
	v_mov_b32_e32 v117, 0
	v_mov_b32_e32 v5, v86
	;; [unrolled: 1-line block ×5, first 2 shown]
.LBB70_20:                              ;   in Loop: Header=BB70_16 Depth=2
	s_or_b64 exec, exec, s[0:1]
	v_cmp_eq_u32_e32 vcc, 1, v15
	v_cndmask_b32_e32 v0, v0, v1, vcc
	v_cmp_eq_u32_e32 vcc, 2, v15
	v_cndmask_b32_e32 v0, v0, v2, vcc
	v_cmp_eq_u32_e32 vcc, 3, v15
	v_cndmask_b32_e32 v2, v0, v3, vcc
	v_cmp_eq_u32_e32 vcc, 1, v116
	v_cndmask_b32_e32 v0, v8, v9, vcc
	v_cmp_eq_u32_e32 vcc, 2, v116
	v_cndmask_b32_e32 v0, v0, v10, vcc
	v_cmp_eq_u32_e32 vcc, 3, v116
	v_cndmask_b32_e32 v0, v0, v11, vcc
	v_lshrrev_b32_e32 v0, 11, v0
	v_cvt_f64_u32_e32 v[0:1], v0
	v_ldexp_f64 v[0:1], v[0:1], 32
	v_cvt_f64_u32_e32 v[2:3], v2
	v_add_f64 v[0:1], v[0:1], v[2:3]
	v_mov_b32_e32 v2, 0
	v_mov_b32_e32 v3, 0x3ca00000
	v_fmac_f64_e32 v[2:3], 0x3ca00000, v[0:1]
	v_add_f64 v[0:1], -v[2:3], 1.0
	v_div_scale_f64 v[8:9], s[0:1], v[2:3], v[2:3], v[0:1]
	v_rcp_f64_e32 v[10:11], v[8:9]
	v_fma_f64 v[118:119], -v[8:9], v[10:11], 1.0
	v_fmac_f64_e32 v[10:11], v[10:11], v[118:119]
	v_fma_f64 v[118:119], -v[8:9], v[10:11], 1.0
	v_fmac_f64_e32 v[10:11], v[10:11], v[118:119]
	v_div_scale_f64 v[118:119], vcc, v[0:1], v[2:3], v[0:1]
	v_mul_f64 v[120:121], v[118:119], v[10:11]
	v_fma_f64 v[8:9], -v[8:9], v[120:121], v[118:119]
	s_nop 1
	v_div_fmas_f64 v[8:9], v[8:9], v[10:11], v[120:121]
	v_div_fixup_f64 v[0:1], v[8:9], v[2:3], v[0:1]
	v_frexp_mant_f64_e32 v[2:3], v[0:1]
	v_cmp_gt_f64_e32 vcc, s[30:31], v[2:3]
	v_cndmask_b32_e64 v15, v90, 2.0, vcc
	v_frexp_exp_i32_f64_e32 v8, v[0:1]
	v_mul_f64 v[2:3], v[2:3], v[14:15]
	v_subbrev_co_u32_e32 v15, vcc, 0, v8, vcc
	v_add_f64 v[8:9], v[2:3], 1.0
	v_rcp_f64_e32 v[10:11], v[8:9]
	v_add_f64 v[120:121], v[8:9], -1.0
	v_add_f64 v[118:119], v[2:3], -1.0
	v_add_f64 v[2:3], v[2:3], -v[120:121]
	v_fma_f64 v[120:121], -v[8:9], v[10:11], 1.0
	v_fmac_f64_e32 v[10:11], v[120:121], v[10:11]
	v_fma_f64 v[120:121], -v[8:9], v[10:11], 1.0
	v_fmac_f64_e32 v[10:11], v[120:121], v[10:11]
	v_mul_f64 v[120:121], v[118:119], v[10:11]
	v_mul_f64 v[122:123], v[8:9], v[120:121]
	v_fma_f64 v[8:9], v[120:121], v[8:9], -v[122:123]
	v_fmac_f64_e32 v[8:9], v[120:121], v[2:3]
	v_add_f64 v[2:3], v[122:123], v[8:9]
	v_add_f64 v[124:125], v[118:119], -v[2:3]
	v_add_f64 v[122:123], v[2:3], -v[122:123]
	;; [unrolled: 1-line block ×5, first 2 shown]
	v_add_f64 v[2:3], v[8:9], v[2:3]
	v_add_f64 v[2:3], v[124:125], v[2:3]
	v_mul_f64 v[2:3], v[10:11], v[2:3]
	v_add_f64 v[8:9], v[120:121], v[2:3]
	v_add_f64 v[10:11], v[8:9], -v[120:121]
	v_add_f64 v[2:3], v[2:3], -v[10:11]
	v_mul_f64 v[10:11], v[8:9], v[8:9]
	v_pk_mov_b32 v[118:119], v[18:19], v[18:19] op_sel:[0,1]
	v_fmac_f64_e32 v[118:119], s[36:37], v[10:11]
	v_pk_mov_b32 v[120:121], v[20:21], v[20:21] op_sel:[0,1]
	v_fmac_f64_e32 v[120:121], v[10:11], v[118:119]
	;; [unrolled: 2-line block ×6, first 2 shown]
	v_ldexp_f64 v[118:119], v[8:9], 1
	v_mul_f64 v[8:9], v[8:9], v[10:11]
	v_mul_f64 v[8:9], v[8:9], v[120:121]
	v_add_f64 v[10:11], v[118:119], v[8:9]
	v_add_f64 v[118:119], v[10:11], -v[118:119]
	v_ldexp_f64 v[2:3], v[2:3], 1
	v_add_f64 v[8:9], v[8:9], -v[118:119]
	v_add_f64 v[2:3], v[2:3], v[8:9]
	v_add_f64 v[8:9], v[10:11], v[2:3]
	v_add_f64 v[10:11], v[8:9], -v[10:11]
	v_add_f64 v[2:3], v[2:3], -v[10:11]
	v_cvt_f64_i32_e32 v[10:11], v15
	v_mul_f64 v[118:119], v[10:11], s[48:49]
	v_fma_f64 v[120:121], v[10:11], s[48:49], -v[118:119]
	v_fmac_f64_e32 v[120:121], s[50:51], v[10:11]
	v_add_f64 v[10:11], v[118:119], v[120:121]
	v_add_f64 v[118:119], v[10:11], -v[118:119]
	v_add_f64 v[118:119], v[120:121], -v[118:119]
	v_add_f64 v[120:121], v[10:11], v[8:9]
	v_add_f64 v[122:123], v[120:121], -v[10:11]
	v_add_f64 v[124:125], v[120:121], -v[122:123]
	;; [unrolled: 1-line block ×4, first 2 shown]
	v_add_f64 v[8:9], v[8:9], v[10:11]
	v_add_f64 v[10:11], v[118:119], v[2:3]
	v_add_f64 v[122:123], v[10:11], -v[118:119]
	v_add_f64 v[124:125], v[10:11], -v[122:123]
	v_add_f64 v[8:9], v[10:11], v[8:9]
	v_add_f64 v[118:119], v[118:119], -v[124:125]
	v_add_f64 v[2:3], v[2:3], -v[122:123]
	v_add_f64 v[10:11], v[120:121], v[8:9]
	v_add_f64 v[2:3], v[2:3], v[118:119]
	v_add_f64 v[118:119], v[10:11], -v[120:121]
	v_add_f64 v[8:9], v[8:9], -v[118:119]
	v_add_f64 v[2:3], v[2:3], v[8:9]
	v_add_f64 v[2:3], v[10:11], v[2:3]
	v_cmp_class_f64_e64 vcc, v[0:1], s9
	v_cndmask_b32_e32 v2, v2, v0, vcc
	v_cndmask_b32_e32 v3, v3, v1, vcc
	v_cmp_ngt_f64_e32 vcc, 0, v[0:1]
	v_cndmask_b32_e32 v3, v91, v3, vcc
	v_cmp_nge_f64_e32 vcc, 0, v[0:1]
	v_cndmask_b32_e32 v2, 0, v2, vcc
	v_cmp_neq_f64_e32 vcc, 0, v[0:1]
	v_cndmask_b32_e32 v3, v92, v3, vcc
	v_add_f64 v[0:1], v[78:79], -v[2:3]
	v_div_scale_f64 v[2:3], s[0:1], v[76:77], v[76:77], v[0:1]
	v_rcp_f64_e32 v[8:9], v[2:3]
	v_fma_f64 v[10:11], -v[2:3], v[8:9], 1.0
	v_fmac_f64_e32 v[8:9], v[8:9], v[10:11]
	v_fma_f64 v[10:11], -v[2:3], v[8:9], 1.0
	v_fmac_f64_e32 v[8:9], v[8:9], v[10:11]
	v_div_scale_f64 v[10:11], vcc, v[0:1], v[76:77], v[0:1]
	v_mul_f64 v[118:119], v[10:11], v[8:9]
	v_fma_f64 v[2:3], -v[2:3], v[118:119], v[10:11]
	s_nop 1
	v_div_fmas_f64 v[2:3], v[2:3], v[8:9], v[118:119]
	v_div_fixup_f64 v[10:11], v[2:3], v[76:77], v[0:1]
	v_add_f64 v[0:1], v[10:11], 0.5
	v_floor_f64_e32 v[8:9], v[0:1]
	v_cmp_ngt_f64_e32 vcc, 0, v[8:9]
	v_mov_b32_e32 v118, 2
	s_and_saveexec_b64 s[0:1], vcc
	s_cbranch_execz .LBB70_26
; %bb.21:                               ;   in Loop: Header=BB70_16 Depth=2
	v_add_u32_e32 v15, 1, v117
	v_pk_mov_b32 v[0:1], v[4:5], v[4:5] op_sel:[0,1]
	v_cmp_eq_u32_e32 vcc, 4, v15
	v_pk_mov_b32 v[2:3], v[6:7], v[6:7] op_sel:[0,1]
	s_and_saveexec_b64 s[2:3], vcc
	s_cbranch_execz .LBB70_23
; %bb.22:                               ;   in Loop: Header=BB70_16 Depth=2
	v_add_co_u32_e32 v96, vcc, 1, v96
	v_cndmask_b32_e64 v0, 0, 1, vcc
	v_addc_co_u32_e32 v97, vcc, 0, v97, vcc
	v_cmp_eq_u32_e32 vcc, 0, v97
	v_cndmask_b32_e32 v0, 0, v0, vcc
	v_add_u32_e32 v115, v0, v115
	v_cmp_eq_u32_e32 vcc, 0, v115
	v_cndmask_b32_e32 v0, 0, v0, vcc
	v_add_u32_e32 v74, v0, v74
	v_mad_u64_u32 v[0:1], vcc, v96, s11, 0
	v_mad_u64_u32 v[2:3], vcc, v115, s8, 0
	v_xor_b32_e32 v1, v1, v73
	v_xor_b32_e32 v3, v3, v72
	v_xor_b32_e32 v1, v74, v1
	v_xor_b32_e32 v3, v97, v3
	v_mad_u64_u32 v[86:87], vcc, v1, s8, 0
	v_mad_u64_u32 v[84:85], vcc, v3, s11, 0
	v_xor_b32_e32 v1, v98, v87
	v_xor_b32_e32 v1, v1, v2
	v_xor_b32_e32 v2, v99, v85
	v_xor_b32_e32 v2, v2, v0
	;; [unrolled: 6-line block ×10, first 2 shown]
	v_mov_b32_e32 v15, 0
	v_mov_b32_e32 v1, v86
	;; [unrolled: 1-line block ×5, first 2 shown]
.LBB70_23:                              ;   in Loop: Header=BB70_16 Depth=2
	s_or_b64 exec, exec, s[2:3]
	v_add_u32_e32 v116, 1, v15
	v_cmp_eq_u32_e32 vcc, 4, v116
	s_and_saveexec_b64 s[2:3], vcc
	s_cbranch_execz .LBB70_25
; %bb.24:                               ;   in Loop: Header=BB70_16 Depth=2
	v_add_co_u32_e32 v96, vcc, 1, v96
	v_cndmask_b32_e64 v84, 0, 1, vcc
	v_addc_co_u32_e32 v97, vcc, 0, v97, vcc
	v_cmp_eq_u32_e32 vcc, 0, v97
	v_cndmask_b32_e32 v84, 0, v84, vcc
	v_add_u32_e32 v115, v84, v115
	v_cmp_eq_u32_e32 vcc, 0, v115
	v_cndmask_b32_e32 v84, 0, v84, vcc
	v_add_u32_e32 v74, v84, v74
	v_mad_u64_u32 v[84:85], vcc, v96, s11, 0
	v_mad_u64_u32 v[86:87], vcc, v115, s8, 0
	v_xor_b32_e32 v85, v85, v73
	v_xor_b32_e32 v87, v87, v72
	v_xor_b32_e32 v85, v74, v85
	v_xor_b32_e32 v87, v97, v87
	v_mad_u64_u32 v[120:121], vcc, v85, s8, 0
	v_mad_u64_u32 v[118:119], vcc, v87, s11, 0
	v_xor_b32_e32 v85, v98, v121
	v_xor_b32_e32 v85, v85, v86
	v_xor_b32_e32 v86, v99, v119
	v_xor_b32_e32 v86, v86, v84
	;; [unrolled: 6-line block ×9, first 2 shown]
	v_mad_u64_u32 v[84:85], vcc, v84, s11, 0
	v_mad_u64_u32 v[86:87], vcc, v86, s8, 0
	v_xor_b32_e32 v87, v87, v124
	v_xor_b32_e32 v85, v85, v122
	v_mov_b32_e32 v116, 0
	v_xor_b32_e32 v87, v104, v87
	v_xor_b32_e32 v85, v95, v85
.LBB70_25:                              ;   in Loop: Header=BB70_16 Depth=2
	s_or_b64 exec, exec, s[2:3]
	v_cmp_eq_u32_e32 vcc, 1, v117
	v_cndmask_b32_e32 v4, v4, v5, vcc
	v_cmp_eq_u32_e32 vcc, 2, v117
	v_cndmask_b32_e32 v4, v4, v6, vcc
	;; [unrolled: 2-line block ×6, first 2 shown]
	v_lshrrev_b32_e32 v0, 11, v0
	v_cvt_f64_u32_e32 v[0:1], v0
	v_ldexp_f64 v[0:1], v[0:1], 32
	v_cvt_f64_u32_e32 v[2:3], v4
	v_add_f64 v[0:1], v[0:1], v[2:3]
	v_mov_b32_e32 v2, 0
	v_mov_b32_e32 v3, 0x3ca00000
	v_fma_f64 v[4:5], -v[76:77], v[10:11], v[78:79]
	v_fmac_f64_e32 v[2:3], 0x3ca00000, v[0:1]
	v_mul_f64 v[0:1], v[4:5], s[54:55]
	v_rndne_f64_e32 v[0:1], v[0:1]
	s_mov_b32 s56, s48
	v_fma_f64 v[6:7], s[56:57], v[0:1], v[4:5]
	s_mov_b32 s58, s50
	v_fmac_f64_e32 v[6:7], s[58:59], v[0:1]
	v_pk_mov_b32 v[10:11], v[30:31], v[30:31] op_sel:[0,1]
	v_fmac_f64_e32 v[10:11], s[60:61], v[6:7]
	v_pk_mov_b32 v[118:119], v[32:33], v[32:33] op_sel:[0,1]
	;; [unrolled: 2-line block ×9, first 2 shown]
	v_fmac_f64_e32 v[10:11], v[6:7], v[118:119]
	v_fma_f64 v[10:11], v[6:7], v[10:11], 1.0
	v_fma_f64 v[6:7], v[6:7], v[10:11], 1.0
	v_cvt_i32_f64_e32 v0, v[0:1]
	v_ldexp_f64 v[0:1], v[6:7], v0
	v_add_f64 v[0:1], v[0:1], 1.0
	v_cmp_nlt_f64_e32 vcc, s[62:63], v[4:5]
	v_cmp_ngt_f64_e64 s[2:3], s[66:67], v[4:5]
	v_cndmask_b32_e32 v1, v93, v1, vcc
	s_and_b64 vcc, s[2:3], vcc
	v_cndmask_b32_e64 v1, v90, v1, s[2:3]
	v_cndmask_b32_e32 v0, 0, v0, vcc
	v_mul_f64 v[0:1], v[0:1], v[0:1]
	v_div_scale_f64 v[6:7], s[2:3], v[0:1], v[0:1], v[2:3]
	v_rcp_f64_e32 v[10:11], v[6:7]
	s_mov_b32 s47, s31
	v_fma_f64 v[118:119], -v[6:7], v[10:11], 1.0
	v_fmac_f64_e32 v[10:11], v[10:11], v[118:119]
	v_fma_f64 v[118:119], -v[6:7], v[10:11], 1.0
	v_fmac_f64_e32 v[10:11], v[10:11], v[118:119]
	v_div_scale_f64 v[118:119], vcc, v[2:3], v[0:1], v[2:3]
	v_mul_f64 v[120:121], v[118:119], v[10:11]
	v_fma_f64 v[6:7], -v[6:7], v[120:121], v[118:119]
	s_nop 1
	v_div_fmas_f64 v[6:7], v[6:7], v[10:11], v[120:121]
	v_div_fixup_f64 v[2:3], v[6:7], v[0:1], v[2:3]
	v_frexp_mant_f64_e32 v[0:1], v[2:3]
	v_cmp_gt_f64_e32 vcc, s[30:31], v[0:1]
	v_cndmask_b32_e64 v15, v90, 2.0, vcc
	v_frexp_exp_i32_f64_e32 v6, v[2:3]
	v_mul_f64 v[0:1], v[0:1], v[14:15]
	v_subbrev_co_u32_e32 v15, vcc, 0, v6, vcc
	v_add_f64 v[6:7], v[0:1], 1.0
	v_rcp_f64_e32 v[10:11], v[6:7]
	v_add_f64 v[120:121], v[6:7], -1.0
	v_add_f64 v[118:119], v[0:1], -1.0
	v_add_f64 v[0:1], v[0:1], -v[120:121]
	v_fma_f64 v[120:121], -v[6:7], v[10:11], 1.0
	v_fmac_f64_e32 v[10:11], v[120:121], v[10:11]
	v_fma_f64 v[120:121], -v[6:7], v[10:11], 1.0
	v_fmac_f64_e32 v[10:11], v[120:121], v[10:11]
	v_mul_f64 v[120:121], v[118:119], v[10:11]
	v_mul_f64 v[122:123], v[6:7], v[120:121]
	v_fma_f64 v[6:7], v[120:121], v[6:7], -v[122:123]
	v_fmac_f64_e32 v[6:7], v[120:121], v[0:1]
	v_add_f64 v[0:1], v[122:123], v[6:7]
	v_add_f64 v[124:125], v[118:119], -v[0:1]
	v_add_f64 v[122:123], v[0:1], -v[122:123]
	v_add_f64 v[118:119], v[118:119], -v[124:125]
	v_add_f64 v[0:1], v[118:119], -v[0:1]
	v_add_f64 v[6:7], v[122:123], -v[6:7]
	v_add_f64 v[0:1], v[6:7], v[0:1]
	v_add_f64 v[0:1], v[124:125], v[0:1]
	v_mul_f64 v[0:1], v[10:11], v[0:1]
	v_add_f64 v[6:7], v[120:121], v[0:1]
	v_add_f64 v[10:11], v[6:7], -v[120:121]
	v_add_f64 v[10:11], v[0:1], -v[10:11]
	v_mul_f64 v[118:119], v[6:7], v[6:7]
	v_pk_mov_b32 v[0:1], s[34:35], s[34:35] op_sel:[0,1]
	v_fma_f64 v[120:121], s[36:37], v[118:119], v[0:1]
	v_fma_f64 v[120:121], v[118:119], v[120:121], s[38:39]
	;; [unrolled: 1-line block ×6, first 2 shown]
	v_ldexp_f64 v[122:123], v[6:7], 1
	v_mul_f64 v[6:7], v[6:7], v[118:119]
	v_mul_f64 v[6:7], v[6:7], v[120:121]
	v_add_f64 v[118:119], v[122:123], v[6:7]
	v_add_f64 v[120:121], v[118:119], -v[122:123]
	v_ldexp_f64 v[10:11], v[10:11], 1
	v_add_f64 v[6:7], v[6:7], -v[120:121]
	v_add_f64 v[6:7], v[10:11], v[6:7]
	v_add_f64 v[10:11], v[118:119], v[6:7]
	v_add_f64 v[118:119], v[10:11], -v[118:119]
	v_add_f64 v[6:7], v[6:7], -v[118:119]
	v_cvt_f64_i32_e32 v[118:119], v15
	v_mul_f64 v[120:121], v[118:119], s[48:49]
	v_fma_f64 v[122:123], v[118:119], s[48:49], -v[120:121]
	v_fmac_f64_e32 v[122:123], s[50:51], v[118:119]
	v_add_f64 v[118:119], v[120:121], v[122:123]
	v_add_f64 v[120:121], v[118:119], -v[120:121]
	v_add_f64 v[120:121], v[122:123], -v[120:121]
	v_add_f64 v[122:123], v[118:119], v[10:11]
	v_add_f64 v[124:125], v[122:123], -v[118:119]
	v_add_f64 v[126:127], v[122:123], -v[124:125]
	v_add_f64 v[118:119], v[118:119], -v[126:127]
	v_add_f64 v[10:11], v[10:11], -v[124:125]
	v_add_f64 v[10:11], v[10:11], v[118:119]
	v_add_f64 v[118:119], v[120:121], v[6:7]
	v_add_f64 v[124:125], v[118:119], -v[120:121]
	v_add_f64 v[126:127], v[118:119], -v[124:125]
	v_add_f64 v[10:11], v[118:119], v[10:11]
	v_add_f64 v[120:121], v[120:121], -v[126:127]
	v_add_f64 v[6:7], v[6:7], -v[124:125]
	v_add_f64 v[118:119], v[122:123], v[10:11]
	v_add_f64 v[6:7], v[6:7], v[120:121]
	v_add_f64 v[120:121], v[118:119], -v[122:123]
	v_add_f64 v[10:11], v[10:11], -v[120:121]
	v_add_f64 v[6:7], v[6:7], v[10:11]
	v_add_f64 v[6:7], v[118:119], v[6:7]
	v_cmp_class_f64_e64 vcc, v[2:3], s9
	v_cndmask_b32_e32 v15, v6, v2, vcc
	v_cndmask_b32_e32 v6, v7, v3, vcc
	v_cmp_neq_f64_e32 vcc, 0, v[2:3]
	v_cndmask_b32_e32 v3, v92, v6, vcc
	v_add_f64 v[6:7], v[8:9], 1.0
	v_add_f64 v[6:7], v[6:7], -1.0
	v_add_f64 v[118:119], v[6:7], s[68:69]
	v_div_scale_f64 v[10:11], s[2:3], v[118:119], v[118:119], s[70:71]
	v_rcp_f64_e32 v[120:121], v[10:11]
	v_cndmask_b32_e32 v2, 0, v15, vcc
	v_add_f64 v[2:3], v[4:5], v[2:3]
	v_fma_f64 v[4:5], v[82:83], v[8:9], v[80:81]
	v_fma_f64 v[122:123], -v[10:11], v[120:121], 1.0
	v_fmac_f64_e32 v[120:121], v[120:121], v[122:123]
	v_fma_f64 v[122:123], -v[10:11], v[120:121], 1.0
	v_fmac_f64_e32 v[120:121], v[120:121], v[122:123]
	v_div_scale_f64 v[122:123], vcc, s[70:71], v[118:119], s[70:71]
	v_mul_f64 v[124:125], v[122:123], v[120:121]
	v_fma_f64 v[122:123], -v[10:11], v[124:125], v[122:123]
	v_add_f64 v[10:11], v[6:7], s[72:73]
	v_div_scale_f64 v[126:127], s[2:3], v[10:11], v[10:11], s[74:75]
	v_rcp_f64_e32 v[128:129], v[126:127]
	v_div_fmas_f64 v[120:121], v[122:123], v[120:121], v[124:125]
	v_div_fixup_f64 v[118:119], v[120:121], v[118:119], s[70:71]
	v_add_f64 v[124:125], v[6:7], s[76:77]
	v_fma_f64 v[120:121], -v[126:127], v[128:129], 1.0
	v_fmac_f64_e32 v[128:129], v[128:129], v[120:121]
	v_fma_f64 v[120:121], -v[126:127], v[128:129], 1.0
	v_fmac_f64_e32 v[128:129], v[128:129], v[120:121]
	v_div_scale_f64 v[120:121], vcc, s[74:75], v[10:11], s[74:75]
	v_mul_f64 v[122:123], v[120:121], v[128:129]
	v_fma_f64 v[120:121], -v[126:127], v[122:123], v[120:121]
	v_div_scale_f64 v[126:127], s[2:3], v[124:125], v[124:125], s[78:79]
	v_rcp_f64_e32 v[130:131], v[126:127]
	v_div_fmas_f64 v[120:121], v[120:121], v[128:129], v[122:123]
	v_add_f64 v[118:119], v[118:119], 0
	v_div_fixup_f64 v[120:121], v[120:121], v[10:11], s[74:75]
	v_add_f64 v[118:119], v[120:121], v[118:119]
	v_fma_f64 v[120:121], -v[126:127], v[130:131], 1.0
	v_fmac_f64_e32 v[130:131], v[130:131], v[120:121]
	v_fma_f64 v[120:121], -v[126:127], v[130:131], 1.0
	v_fmac_f64_e32 v[130:131], v[130:131], v[120:121]
	v_div_scale_f64 v[120:121], vcc, s[78:79], v[124:125], s[78:79]
	v_mul_f64 v[122:123], v[120:121], v[130:131]
	v_fma_f64 v[120:121], -v[126:127], v[122:123], v[120:121]
	v_add_f64 v[126:127], v[6:7], s[80:81]
	v_div_scale_f64 v[128:129], s[2:3], v[126:127], v[126:127], s[82:83]
	v_rcp_f64_e32 v[132:133], v[128:129]
	v_div_fmas_f64 v[120:121], v[120:121], v[130:131], v[122:123]
	v_div_fixup_f64 v[120:121], v[120:121], v[124:125], s[78:79]
	v_add_f64 v[118:119], v[118:119], v[120:121]
	v_fma_f64 v[120:121], -v[128:129], v[132:133], 1.0
	v_fmac_f64_e32 v[132:133], v[132:133], v[120:121]
	v_fma_f64 v[120:121], -v[128:129], v[132:133], 1.0
	v_fmac_f64_e32 v[132:133], v[132:133], v[120:121]
	v_div_scale_f64 v[120:121], vcc, s[82:83], v[126:127], s[82:83]
	v_mul_f64 v[122:123], v[120:121], v[132:133]
	v_add_f64 v[124:125], v[6:7], 4.0
	v_fma_f64 v[120:121], -v[128:129], v[122:123], v[120:121]
	v_div_scale_f64 v[128:129], s[2:3], v[124:125], v[124:125], s[84:85]
	v_rcp_f64_e32 v[130:131], v[128:129]
	v_div_fmas_f64 v[120:121], v[120:121], v[132:133], v[122:123]
	v_div_fixup_f64 v[120:121], v[120:121], v[126:127], s[82:83]
	v_add_f64 v[118:119], v[120:121], v[118:119]
	v_fma_f64 v[120:121], -v[128:129], v[130:131], 1.0
	v_fmac_f64_e32 v[130:131], v[130:131], v[120:121]
	v_fma_f64 v[120:121], -v[128:129], v[130:131], 1.0
	v_fmac_f64_e32 v[130:131], v[130:131], v[120:121]
	v_div_scale_f64 v[120:121], vcc, s[84:85], v[124:125], s[84:85]
	v_mul_f64 v[122:123], v[120:121], v[130:131]
	v_add_f64 v[126:127], v[6:7], s[24:25]
	v_fma_f64 v[120:121], -v[128:129], v[122:123], v[120:121]
	v_div_scale_f64 v[128:129], s[2:3], v[126:127], v[126:127], s[86:87]
	v_rcp_f64_e32 v[132:133], v[128:129]
	v_div_fmas_f64 v[120:121], v[120:121], v[130:131], v[122:123]
	v_div_fixup_f64 v[120:121], v[120:121], v[124:125], s[84:85]
	v_add_f64 v[118:119], v[118:119], v[120:121]
	v_fma_f64 v[120:121], -v[128:129], v[132:133], 1.0
	v_fmac_f64_e32 v[132:133], v[132:133], v[120:121]
	v_fma_f64 v[120:121], -v[128:129], v[132:133], 1.0
	v_fmac_f64_e32 v[132:133], v[132:133], v[120:121]
	v_div_scale_f64 v[120:121], vcc, s[86:87], v[126:127], s[86:87]
	v_mul_f64 v[122:123], v[120:121], v[132:133]
	v_add_f64 v[124:125], v[6:7], 2.0
	v_fma_f64 v[120:121], -v[128:129], v[122:123], v[120:121]
	v_div_scale_f64 v[128:129], s[2:3], v[124:125], v[124:125], s[88:89]
	v_rcp_f64_e32 v[130:131], v[128:129]
	v_div_fmas_f64 v[120:121], v[120:121], v[132:133], v[122:123]
	v_div_fixup_f64 v[120:121], v[120:121], v[126:127], s[86:87]
	v_add_f64 v[118:119], v[120:121], v[118:119]
	v_fma_f64 v[120:121], -v[128:129], v[130:131], 1.0
	v_fmac_f64_e32 v[130:131], v[130:131], v[120:121]
	v_fma_f64 v[120:121], -v[128:129], v[130:131], 1.0
	v_fmac_f64_e32 v[130:131], v[130:131], v[120:121]
	v_div_scale_f64 v[120:121], vcc, s[88:89], v[124:125], s[88:89]
	v_mul_f64 v[122:123], v[120:121], v[130:131]
	v_add_f64 v[126:127], v[6:7], 1.0
	v_fma_f64 v[120:121], -v[128:129], v[122:123], v[120:121]
	v_div_scale_f64 v[128:129], s[2:3], v[126:127], v[126:127], s[90:91]
	v_rcp_f64_e32 v[132:133], v[128:129]
	v_div_fmas_f64 v[120:121], v[120:121], v[130:131], v[122:123]
	v_div_fixup_f64 v[120:121], v[120:121], v[124:125], s[88:89]
	v_add_f64 v[118:119], v[118:119], v[120:121]
	v_fma_f64 v[120:121], -v[128:129], v[132:133], 1.0
	v_fmac_f64_e32 v[132:133], v[132:133], v[120:121]
	v_fma_f64 v[120:121], -v[128:129], v[132:133], 1.0
	v_fmac_f64_e32 v[132:133], v[132:133], v[120:121]
	v_div_scale_f64 v[120:121], vcc, s[90:91], v[126:127], s[90:91]
	v_mul_f64 v[122:123], v[120:121], v[132:133]
	v_fma_f64 v[120:121], -v[128:129], v[122:123], v[120:121]
	v_add_f64 v[10:11], v[10:11], 0.5
	s_nop 0
	v_div_fmas_f64 v[120:121], v[120:121], v[132:133], v[122:123]
	v_div_fixup_f64 v[120:121], v[120:121], v[126:127], s[90:91]
	v_add_f64 v[118:119], v[120:121], v[118:119]
	v_add_f64 v[118:119], v[118:119], s[92:93]
	v_frexp_mant_f64_e32 v[120:121], v[118:119]
	v_cmp_gt_f64_e32 vcc, s[30:31], v[120:121]
	v_cndmask_b32_e64 v15, v90, 2.0, vcc
	v_mul_f64 v[120:121], v[120:121], v[14:15]
	v_add_f64 v[122:123], v[120:121], 1.0
	v_rcp_f64_e32 v[124:125], v[122:123]
	v_add_f64 v[128:129], v[122:123], -1.0
	v_add_f64 v[126:127], v[120:121], -1.0
	v_add_f64 v[120:121], v[120:121], -v[128:129]
	v_fma_f64 v[128:129], -v[122:123], v[124:125], 1.0
	v_fmac_f64_e32 v[124:125], v[128:129], v[124:125]
	v_fma_f64 v[128:129], -v[122:123], v[124:125], 1.0
	v_fmac_f64_e32 v[124:125], v[128:129], v[124:125]
	v_mul_f64 v[128:129], v[126:127], v[124:125]
	v_mul_f64 v[130:131], v[122:123], v[128:129]
	v_fma_f64 v[122:123], v[128:129], v[122:123], -v[130:131]
	v_fmac_f64_e32 v[122:123], v[128:129], v[120:121]
	v_add_f64 v[120:121], v[130:131], v[122:123]
	v_add_f64 v[132:133], v[126:127], -v[120:121]
	v_add_f64 v[130:131], v[120:121], -v[130:131]
	;; [unrolled: 1-line block ×5, first 2 shown]
	v_add_f64 v[120:121], v[122:123], v[120:121]
	v_add_f64 v[120:121], v[132:133], v[120:121]
	v_mul_f64 v[120:121], v[124:125], v[120:121]
	v_add_f64 v[122:123], v[128:129], v[120:121]
	v_add_f64 v[124:125], v[122:123], -v[128:129]
	v_add_f64 v[120:121], v[120:121], -v[124:125]
	v_mul_f64 v[124:125], v[122:123], v[122:123]
	v_fma_f64 v[126:127], s[36:37], v[124:125], v[0:1]
	v_fma_f64 v[126:127], v[124:125], v[126:127], s[38:39]
	;; [unrolled: 1-line block ×6, first 2 shown]
	v_ldexp_f64 v[128:129], v[122:123], 1
	v_mul_f64 v[122:123], v[122:123], v[124:125]
	v_mul_f64 v[122:123], v[122:123], v[126:127]
	v_add_f64 v[124:125], v[128:129], v[122:123]
	v_add_f64 v[126:127], v[124:125], -v[128:129]
	v_ldexp_f64 v[120:121], v[120:121], 1
	v_add_f64 v[122:123], v[122:123], -v[126:127]
	v_add_f64 v[120:121], v[120:121], v[122:123]
	v_frexp_exp_i32_f64_e32 v117, v[118:119]
	v_add_f64 v[122:123], v[124:125], v[120:121]
	v_subbrev_co_u32_e32 v15, vcc, 0, v117, vcc
	v_add_f64 v[124:125], v[122:123], -v[124:125]
	v_add_f64 v[120:121], v[120:121], -v[124:125]
	v_cvt_f64_i32_e32 v[124:125], v15
	v_mul_f64 v[126:127], v[124:125], s[48:49]
	v_fma_f64 v[128:129], v[124:125], s[48:49], -v[126:127]
	v_fmac_f64_e32 v[128:129], s[50:51], v[124:125]
	v_add_f64 v[124:125], v[126:127], v[128:129]
	v_add_f64 v[126:127], v[124:125], -v[126:127]
	v_add_f64 v[126:127], v[128:129], -v[126:127]
	v_add_f64 v[128:129], v[124:125], v[122:123]
	v_add_f64 v[130:131], v[128:129], -v[124:125]
	v_add_f64 v[132:133], v[128:129], -v[130:131]
	;; [unrolled: 1-line block ×4, first 2 shown]
	v_add_f64 v[122:123], v[122:123], v[124:125]
	v_add_f64 v[124:125], v[126:127], v[120:121]
	v_add_f64 v[130:131], v[124:125], -v[126:127]
	v_add_f64 v[132:133], v[124:125], -v[130:131]
	v_add_f64 v[122:123], v[124:125], v[122:123]
	v_add_f64 v[126:127], v[126:127], -v[132:133]
	v_add_f64 v[120:121], v[120:121], -v[130:131]
	v_add_f64 v[124:125], v[128:129], v[122:123]
	v_add_f64 v[120:121], v[120:121], v[126:127]
	v_add_f64 v[126:127], v[124:125], -v[128:129]
	v_add_f64 v[122:123], v[122:123], -v[126:127]
	v_add_f64 v[120:121], v[120:121], v[122:123]
	v_add_f64 v[120:121], v[124:125], v[120:121]
	v_cmp_class_f64_e64 vcc, v[118:119], s9
	v_div_scale_f64 v[122:123], s[2:3], s[20:21], s[20:21], v[10:11]
	v_cndmask_b32_e32 v121, v121, v119, vcc
	v_cndmask_b32_e32 v120, v120, v118, vcc
	v_rcp_f64_e32 v[124:125], v[122:123]
	v_add_f64 v[120:121], v[120:121], s[94:95]
	v_add_f64 v[120:121], v[120:121], s[22:23]
	v_cmp_ngt_f64_e32 vcc, 0, v[118:119]
	v_cndmask_b32_e32 v15, v91, v121, vcc
	v_cmp_nge_f64_e32 vcc, 0, v[118:119]
	v_cndmask_b32_e32 v120, 0, v120, vcc
	v_cmp_neq_f64_e32 vcc, 0, v[118:119]
	v_fma_f64 v[118:119], -v[122:123], v[124:125], 1.0
	v_fmac_f64_e32 v[124:125], v[124:125], v[118:119]
	v_fma_f64 v[118:119], -v[122:123], v[124:125], 1.0
	v_cndmask_b32_e32 v121, v92, v15, vcc
	v_fmac_f64_e32 v[124:125], v[124:125], v[118:119]
	v_div_scale_f64 v[118:119], vcc, v[10:11], s[20:21], v[10:11]
	v_mul_f64 v[126:127], v[118:119], v[124:125]
	v_fma_f64 v[118:119], -v[122:123], v[126:127], v[118:119]
	v_add_f64 v[6:7], v[6:7], 0.5
	s_nop 0
	v_div_fmas_f64 v[118:119], v[118:119], v[124:125], v[126:127]
	v_div_fixup_f64 v[10:11], v[118:119], s[20:21], v[10:11]
	v_frexp_mant_f64_e32 v[118:119], v[10:11]
	v_cmp_gt_f64_e32 vcc, s[30:31], v[118:119]
	v_cndmask_b32_e64 v15, v90, 2.0, vcc
	v_mul_f64 v[118:119], v[118:119], v[14:15]
	v_add_f64 v[122:123], v[118:119], 1.0
	v_rcp_f64_e32 v[124:125], v[122:123]
	v_add_f64 v[128:129], v[122:123], -1.0
	v_add_f64 v[126:127], v[118:119], -1.0
	v_add_f64 v[118:119], v[118:119], -v[128:129]
	v_fma_f64 v[128:129], -v[122:123], v[124:125], 1.0
	v_fmac_f64_e32 v[124:125], v[128:129], v[124:125]
	v_fma_f64 v[128:129], -v[122:123], v[124:125], 1.0
	v_fmac_f64_e32 v[124:125], v[128:129], v[124:125]
	v_mul_f64 v[128:129], v[126:127], v[124:125]
	v_mul_f64 v[130:131], v[122:123], v[128:129]
	v_fma_f64 v[122:123], v[128:129], v[122:123], -v[130:131]
	v_fmac_f64_e32 v[122:123], v[128:129], v[118:119]
	v_add_f64 v[118:119], v[130:131], v[122:123]
	v_add_f64 v[132:133], v[126:127], -v[118:119]
	v_add_f64 v[130:131], v[118:119], -v[130:131]
	;; [unrolled: 1-line block ×5, first 2 shown]
	v_add_f64 v[118:119], v[122:123], v[118:119]
	v_add_f64 v[118:119], v[132:133], v[118:119]
	v_mul_f64 v[118:119], v[124:125], v[118:119]
	v_add_f64 v[122:123], v[128:129], v[118:119]
	v_add_f64 v[124:125], v[122:123], -v[128:129]
	v_add_f64 v[118:119], v[118:119], -v[124:125]
	v_mul_f64 v[124:125], v[122:123], v[122:123]
	v_fmac_f64_e32 v[0:1], s[36:37], v[124:125]
	v_fma_f64 v[0:1], v[124:125], v[0:1], s[38:39]
	v_fma_f64 v[0:1], v[124:125], v[0:1], s[40:41]
	;; [unrolled: 1-line block ×5, first 2 shown]
	v_ldexp_f64 v[126:127], v[122:123], 1
	v_mul_f64 v[122:123], v[122:123], v[124:125]
	v_mul_f64 v[0:1], v[122:123], v[0:1]
	v_add_f64 v[122:123], v[126:127], v[0:1]
	v_add_f64 v[124:125], v[122:123], -v[126:127]
	v_ldexp_f64 v[118:119], v[118:119], 1
	v_add_f64 v[0:1], v[0:1], -v[124:125]
	v_add_f64 v[0:1], v[118:119], v[0:1]
	v_frexp_exp_i32_f64_e32 v117, v[10:11]
	v_add_f64 v[118:119], v[122:123], v[0:1]
	v_subbrev_co_u32_e32 v15, vcc, 0, v117, vcc
	v_add_f64 v[122:123], v[118:119], -v[122:123]
	v_add_f64 v[0:1], v[0:1], -v[122:123]
	v_cvt_f64_i32_e32 v[122:123], v15
	v_mul_f64 v[124:125], v[122:123], s[48:49]
	v_fma_f64 v[126:127], v[122:123], s[48:49], -v[124:125]
	v_fmac_f64_e32 v[126:127], s[50:51], v[122:123]
	v_add_f64 v[122:123], v[124:125], v[126:127]
	v_add_f64 v[124:125], v[122:123], -v[124:125]
	v_add_f64 v[124:125], v[126:127], -v[124:125]
	v_add_f64 v[126:127], v[122:123], v[118:119]
	v_add_f64 v[128:129], v[126:127], -v[122:123]
	v_add_f64 v[130:131], v[126:127], -v[128:129]
	;; [unrolled: 1-line block ×4, first 2 shown]
	v_add_f64 v[118:119], v[118:119], v[122:123]
	v_add_f64 v[122:123], v[124:125], v[0:1]
	v_add_f64 v[128:129], v[122:123], -v[124:125]
	v_add_f64 v[130:131], v[122:123], -v[128:129]
	v_add_f64 v[118:119], v[122:123], v[118:119]
	v_add_f64 v[124:125], v[124:125], -v[130:131]
	v_add_f64 v[0:1], v[0:1], -v[128:129]
	v_add_f64 v[122:123], v[126:127], v[118:119]
	v_add_f64 v[0:1], v[0:1], v[124:125]
	v_add_f64 v[124:125], v[122:123], -v[126:127]
	v_add_f64 v[118:119], v[118:119], -v[124:125]
	v_add_f64 v[0:1], v[0:1], v[118:119]
	v_add_f64 v[0:1], v[122:123], v[0:1]
	v_cmp_class_f64_e64 vcc, v[10:11], s9
	v_cndmask_b32_e32 v0, v0, v10, vcc
	v_cndmask_b32_e32 v1, v1, v11, vcc
	v_cmp_ngt_f64_e32 vcc, 0, v[10:11]
	v_cndmask_b32_e32 v1, v91, v1, vcc
	v_cmp_nge_f64_e32 vcc, 0, v[10:11]
	v_cndmask_b32_e32 v0, 0, v0, vcc
	v_cmp_neq_f64_e32 vcc, 0, v[10:11]
	v_cndmask_b32_e32 v1, v92, v1, vcc
	v_fmac_f64_e32 v[120:121], v[6:7], v[0:1]
	v_add_f64 v[0:1], v[4:5], -v[120:121]
	v_cvt_u32_f64_e32 v4, v[8:9]
	v_cmp_le_f64_e32 vcc, v[2:3], v[0:1]
	v_cndmask_b32_e64 v118, 0, 1, vcc
	v_cndmask_b32_e32 v75, v75, v4, vcc
	v_mov_b32_e32 v117, v116
.LBB70_26:                              ;   in Loop: Header=BB70_16 Depth=2
	s_or_b64 exec, exec, s[0:1]
	v_cmp_gt_i32_e32 vcc, 2, v118
	s_or_b64 s[16:17], vcc, s[16:17]
	v_mov_b32_e32 v15, v117
	v_mov_b32_e32 v0, v87
	;; [unrolled: 1-line block ×5, first 2 shown]
	s_andn2_b64 exec, exec, s[16:17]
	s_cbranch_execnz .LBB70_16
; %bb.27:                               ;   in Loop: Header=BB70_16 Depth=2
	s_or_b64 exec, exec, s[16:17]
	v_cmp_ne_u32_e32 vcc, 0, v118
	s_or_b64 s[14:15], vcc, s[14:15]
	s_mov_b64 s[16:17], 0
	v_mov_b32_e32 v15, v117
	v_mov_b32_e32 v0, v87
	;; [unrolled: 1-line block ×5, first 2 shown]
	s_andn2_b64 exec, exec, s[14:15]
	s_cbranch_execnz .LBB70_16
; %bb.28:                               ;   in Loop: Header=BB70_5 Depth=1
	s_or_b64 exec, exec, s[14:15]
	v_readlane_b32 s16, v134, 17
	v_readlane_b32 s17, v134, 18
                                        ; implicit-def: $vgpr72_vgpr73
                                        ; implicit-def: $vgpr15
                                        ; implicit-def: $vgpr96
                                        ; implicit-def: $vgpr97
                                        ; implicit-def: $vgpr104
                                        ; implicit-def: $vgpr95
                                        ; implicit-def: $vgpr3
                                        ; implicit-def: $vgpr4_vgpr5
                                        ; implicit-def: $vgpr98
                                        ; implicit-def: $vgpr99
                                        ; implicit-def: $vgpr100
                                        ; implicit-def: $vgpr101
                                        ; implicit-def: $vgpr103
                                        ; implicit-def: $vgpr105
                                        ; implicit-def: $vgpr106
                                        ; implicit-def: $vgpr107
                                        ; implicit-def: $vgpr108
                                        ; implicit-def: $vgpr109
                                        ; implicit-def: $vgpr110
                                        ; implicit-def: $vgpr111
                                        ; implicit-def: $vgpr112
                                        ; implicit-def: $vgpr113
                                        ; implicit-def: $vgpr102
                                        ; implicit-def: $vgpr114
.LBB70_29:                              ;   in Loop: Header=BB70_5 Depth=1
	s_andn2_saveexec_b64 s[0:1], s[6:7]
	s_cbranch_execz .LBB70_41
; %bb.30:                               ;   in Loop: Header=BB70_5 Depth=1
	v_add_co_u32_e32 v6, vcc, 1, v96
	v_cndmask_b32_e64 v7, 0, 1, vcc
	v_addc_co_u32_e32 v10, vcc, 0, v97, vcc
	v_cmp_eq_u32_e32 vcc, 0, v10
	v_cndmask_b32_e32 v7, 0, v7, vcc
	v_add_u32_e32 v8, v7, v17
	v_cmp_eq_u32_e32 vcc, 0, v8
	v_cndmask_b32_e32 v11, 0, v7, vcc
	v_mad_u64_u32 v[6:7], s[2:3], v6, s11, 0
	v_mad_u64_u32 v[8:9], s[2:3], v8, s8, 0
	v_xor_b32_e32 v7, v7, v73
	v_xor_b32_e32 v9, v9, v72
	v_xor_b32_e32 v7, v11, v7
	v_xor_b32_e32 v9, v10, v9
	v_mad_u64_u32 v[72:73], s[2:3], v7, s8, 0
	v_mad_u64_u32 v[10:11], s[2:3], v9, s11, 0
	v_xor_b32_e32 v7, v98, v73
	v_xor_b32_e32 v7, v7, v8
	v_xor_b32_e32 v8, v99, v11
	v_xor_b32_e32 v8, v8, v6
	;; [unrolled: 6-line block ×8, first 2 shown]
	v_mad_u64_u32 v[74:75], s[2:3], v7, s11, 0
	v_mad_u64_u32 v[8:9], s[2:3], v6, s8, 0
	v_xor_b32_e32 v6, v114, v75
	v_xor_b32_e32 v6, v6, v10
	v_mad_u64_u32 v[6:7], s[2:3], v6, s8, 0
	v_xor_b32_e32 v7, v7, v8
	v_xor_b32_e32 v10, v104, v7
	v_cmp_lt_i32_e32 vcc, 1, v15
                                        ; implicit-def: $vgpr8
	s_and_saveexec_b64 s[2:3], vcc
	s_xor_b64 s[2:3], exec, s[2:3]
	s_cbranch_execz .LBB70_36
; %bb.31:                               ;   in Loop: Header=BB70_5 Depth=1
	v_cmp_lt_i32_e32 vcc, 2, v15
                                        ; implicit-def: $vgpr8
	s_and_saveexec_b64 s[6:7], vcc
	s_xor_b64 s[6:7], exec, s[6:7]
; %bb.32:                               ;   in Loop: Header=BB70_5 Depth=1
	v_xor_b32_e32 v0, v102, v9
	v_xor_b32_e32 v0, v0, v72
	v_mul_hi_u32 v0, v0, s11
	v_xor_b32_e32 v0, v0, v74
	v_xor_b32_e32 v8, v95, v0
; %bb.33:                               ;   in Loop: Header=BB70_5 Depth=1
	s_andn2_saveexec_b64 s[6:7], s[6:7]
; %bb.34:                               ;   in Loop: Header=BB70_5 Depth=1
	v_mov_b32_e32 v8, v6
	v_mov_b32_e32 v6, v10
	;; [unrolled: 1-line block ×4, first 2 shown]
; %bb.35:                               ;   in Loop: Header=BB70_5 Depth=1
	s_or_b64 exec, exec, s[6:7]
                                        ; implicit-def: $vgpr15
.LBB70_36:                              ;   in Loop: Header=BB70_5 Depth=1
	s_andn2_saveexec_b64 s[2:3], s[2:3]
	s_cbranch_execz .LBB70_40
; %bb.37:                               ;   in Loop: Header=BB70_5 Depth=1
	v_cmp_eq_u32_e32 vcc, 1, v15
	v_mov_b32_e32 v8, v3
	v_mov_b32_e32 v6, v2
	;; [unrolled: 1-line block ×3, first 2 shown]
	s_and_saveexec_b64 s[6:7], vcc
; %bb.38:                               ;   in Loop: Header=BB70_5 Depth=1
	v_mov_b32_e32 v8, v10
	v_mov_b32_e32 v6, v3
	;; [unrolled: 1-line block ×4, first 2 shown]
; %bb.39:                               ;   in Loop: Header=BB70_5 Depth=1
	s_or_b64 exec, exec, s[6:7]
	v_mov_b32_e32 v3, v0
	v_mov_b32_e32 v10, v7
.LBB70_40:                              ;   in Loop: Header=BB70_5 Depth=1
	s_or_b64 exec, exec, s[2:3]
	v_mov_b32_e32 v11, v14
	v_lshlrev_b64 v[0:1], 21, v[10:11]
	v_xor_b32_e32 v2, v0, v3
	v_cvt_f64_u32_e32 v[0:1], v1
	v_ldexp_f64 v[0:1], v[0:1], 32
	v_cvt_f64_u32_e32 v[2:3], v2
	v_add_f64 v[0:1], v[0:1], v[2:3]
	v_mov_b32_e32 v2, 0
	v_mov_b32_e32 v3, 0x3ca00000
	v_fmac_f64_e32 v[2:3], 0x3ca00000, v[0:1]
	v_mov_b32_e32 v9, v14
	v_lshlrev_b64 v[0:1], 21, v[8:9]
	v_frexp_mant_f64_e32 v[8:9], v[2:3]
	v_cmp_gt_f64_e32 vcc, s[30:31], v[8:9]
	v_cndmask_b32_e64 v15, v90, 2.0, vcc
	v_frexp_exp_i32_f64_e32 v10, v[2:3]
	v_mul_f64 v[8:9], v[8:9], v[14:15]
	v_subbrev_co_u32_e32 v15, vcc, 0, v10, vcc
	v_add_f64 v[10:11], v[8:9], 1.0
	v_rcp_f64_e32 v[72:73], v[10:11]
	v_add_f64 v[76:77], v[10:11], -1.0
	v_add_f64 v[74:75], v[8:9], -1.0
	v_add_f64 v[8:9], v[8:9], -v[76:77]
	v_fma_f64 v[76:77], -v[10:11], v[72:73], 1.0
	v_fmac_f64_e32 v[72:73], v[76:77], v[72:73]
	v_fma_f64 v[76:77], -v[10:11], v[72:73], 1.0
	v_fmac_f64_e32 v[72:73], v[76:77], v[72:73]
	v_mul_f64 v[76:77], v[74:75], v[72:73]
	v_mul_f64 v[78:79], v[10:11], v[76:77]
	v_fma_f64 v[10:11], v[76:77], v[10:11], -v[78:79]
	v_fmac_f64_e32 v[10:11], v[76:77], v[8:9]
	v_add_f64 v[8:9], v[78:79], v[10:11]
	v_add_f64 v[80:81], v[74:75], -v[8:9]
	v_add_f64 v[78:79], v[8:9], -v[78:79]
	;; [unrolled: 1-line block ×5, first 2 shown]
	v_add_f64 v[8:9], v[10:11], v[8:9]
	v_add_f64 v[8:9], v[80:81], v[8:9]
	v_mul_f64 v[8:9], v[72:73], v[8:9]
	v_add_f64 v[10:11], v[76:77], v[8:9]
	v_add_f64 v[72:73], v[10:11], -v[76:77]
	v_add_f64 v[8:9], v[8:9], -v[72:73]
	v_mul_f64 v[72:73], v[10:11], v[10:11]
	v_pk_mov_b32 v[74:75], v[18:19], v[18:19] op_sel:[0,1]
	v_fmac_f64_e32 v[74:75], s[36:37], v[72:73]
	v_pk_mov_b32 v[76:77], v[20:21], v[20:21] op_sel:[0,1]
	v_fmac_f64_e32 v[76:77], v[72:73], v[74:75]
	v_pk_mov_b32 v[74:75], v[22:23], v[22:23] op_sel:[0,1]
	v_fmac_f64_e32 v[74:75], v[72:73], v[76:77]
	v_pk_mov_b32 v[76:77], v[24:25], v[24:25] op_sel:[0,1]
	v_fmac_f64_e32 v[76:77], v[72:73], v[74:75]
	v_pk_mov_b32 v[74:75], v[26:27], v[26:27] op_sel:[0,1]
	v_fmac_f64_e32 v[74:75], v[72:73], v[76:77]
	v_pk_mov_b32 v[76:77], v[28:29], v[28:29] op_sel:[0,1]
	v_fmac_f64_e32 v[76:77], v[72:73], v[74:75]
	v_ldexp_f64 v[74:75], v[10:11], 1
	v_mul_f64 v[10:11], v[10:11], v[72:73]
	v_mul_f64 v[10:11], v[10:11], v[76:77]
	v_add_f64 v[72:73], v[74:75], v[10:11]
	v_add_f64 v[74:75], v[72:73], -v[74:75]
	v_ldexp_f64 v[8:9], v[8:9], 1
	v_add_f64 v[10:11], v[10:11], -v[74:75]
	v_add_f64 v[8:9], v[8:9], v[10:11]
	v_add_f64 v[10:11], v[72:73], v[8:9]
	v_add_f64 v[72:73], v[10:11], -v[72:73]
	v_add_f64 v[8:9], v[8:9], -v[72:73]
	v_cvt_f64_i32_e32 v[72:73], v15
	v_mul_f64 v[74:75], v[72:73], s[48:49]
	v_fma_f64 v[76:77], v[72:73], s[48:49], -v[74:75]
	v_fmac_f64_e32 v[76:77], s[50:51], v[72:73]
	v_add_f64 v[72:73], v[74:75], v[76:77]
	v_add_f64 v[74:75], v[72:73], -v[74:75]
	v_add_f64 v[74:75], v[76:77], -v[74:75]
	v_add_f64 v[76:77], v[72:73], v[10:11]
	v_add_f64 v[78:79], v[76:77], -v[72:73]
	v_add_f64 v[80:81], v[76:77], -v[78:79]
	;; [unrolled: 1-line block ×4, first 2 shown]
	v_add_f64 v[10:11], v[10:11], v[72:73]
	v_add_f64 v[72:73], v[74:75], v[8:9]
	v_add_f64 v[78:79], v[72:73], -v[74:75]
	v_add_f64 v[80:81], v[72:73], -v[78:79]
	v_add_f64 v[10:11], v[72:73], v[10:11]
	v_add_f64 v[74:75], v[74:75], -v[80:81]
	v_add_f64 v[8:9], v[8:9], -v[78:79]
	v_add_f64 v[72:73], v[76:77], v[10:11]
	v_add_f64 v[8:9], v[8:9], v[74:75]
	v_add_f64 v[74:75], v[72:73], -v[76:77]
	v_add_f64 v[10:11], v[10:11], -v[74:75]
	s_mov_b32 s14, 0
	v_add_f64 v[8:9], v[8:9], v[10:11]
	s_mov_b32 s15, 0x7ff00000
	v_add_f64 v[8:9], v[72:73], v[8:9]
	v_cmp_eq_f64_e32 vcc, s[14:15], v[2:3]
	v_cndmask_b32_e32 v9, v9, v3, vcc
	v_cndmask_b32_e32 v8, v8, v2, vcc
	v_mul_f64 v[8:9], v[8:9], -2.0
	v_cmp_neq_f64_e32 vcc, 0, v[2:3]
	s_mov_b32 s2, 0
	v_cndmask_b32_e32 v3, v93, v9, vcc
	v_cndmask_b32_e32 v2, 0, v8, vcc
	s_brev_b32 s3, 8
	v_cmp_gt_f64_e32 vcc, s[2:3], v[2:3]
	v_cndmask_b32_e64 v8, 0, 1, vcc
	v_lshlrev_b32_e32 v8, 8, v8
	v_ldexp_f64 v[2:3], v[2:3], v8
	v_xor_b32_e32 v6, v0, v6
	v_cvt_f64_u32_e32 v[0:1], v1
	v_rsq_f64_e32 v[8:9], v[2:3]
	v_ldexp_f64 v[0:1], v[0:1], 32
	v_cvt_f64_u32_e32 v[6:7], v6
	v_add_f64 v[0:1], v[0:1], v[6:7]
	v_mov_b32_e32 v6, 0
	v_mov_b32_e32 v7, 0x3cb00000
	v_fmac_f64_e32 v[6:7], 0x3cb00000, v[0:1]
	v_mul_f64 v[0:1], v[2:3], v[8:9]
	v_mul_f64 v[8:9], v[8:9], 0.5
	v_fma_f64 v[10:11], -v[8:9], v[0:1], 0.5
	v_fmac_f64_e32 v[0:1], v[0:1], v[10:11]
	v_fma_f64 v[72:73], -v[0:1], v[0:1], v[2:3]
	v_fmac_f64_e32 v[8:9], v[8:9], v[10:11]
	v_fmac_f64_e32 v[0:1], v[72:73], v[8:9]
	v_fma_f64 v[10:11], -v[0:1], v[0:1], v[2:3]
	v_fmac_f64_e32 v[0:1], v[10:11], v[8:9]
	v_cndmask_b32_e32 v8, 0, v89, vcc
	v_ldexp_f64 v[0:1], v[0:1], v8
	v_cmp_class_f64_e32 vcc, v[2:3], v88
	v_cndmask_b32_e32 v1, v1, v3, vcc
	v_cndmask_b32_e32 v0, v0, v2, vcc
	v_mul_f64 v[2:3], v[6:7], 0.5
	v_fract_f64_e32 v[8:9], v[2:3]
	v_add_f64 v[8:9], v[8:9], v[8:9]
	v_cmp_neq_f64_e32 vcc, s[14:15], v[2:3]
	v_cndmask_b32_e32 v2, 0, v8, vcc
	v_cndmask_b32_e32 v3, 0, v9, vcc
	v_cmp_lt_f64_e32 vcc, 1.0, v[6:7]
	v_cndmask_b32_e32 v3, v7, v3, vcc
	v_cndmask_b32_e32 v2, v6, v2, vcc
	v_add_f64 v[8:9], v[2:3], v[2:3]
	v_rndne_f64_e32 v[8:9], v[8:9]
	v_fmac_f64_e32 v[2:3], -0.5, v[8:9]
	s_mov_b32 s6, 0xf99eb0bb
	v_cvt_i32_f64_e32 v15, v[8:9]
	v_mul_f64 v[8:9], v[2:3], v[2:3]
	v_pk_mov_b32 v[10:11], v[48:49], v[48:49] op_sel:[0,1]
	s_mov_b32 s7, 0x3f3e357e
	v_fmac_f64_e32 v[10:11], s[6:7], v[8:9]
	v_pk_mov_b32 v[72:73], v[50:51], v[50:51] op_sel:[0,1]
	v_fmac_f64_e32 v[72:73], v[8:9], v[10:11]
	v_pk_mov_b32 v[10:11], v[52:53], v[52:53] op_sel:[0,1]
	;; [unrolled: 2-line block ×4, first 2 shown]
	v_fmac_f64_e32 v[10:11], v[8:9], v[72:73]
	v_mul_f64 v[72:73], v[2:3], v[8:9]
	s_mov_b32 s6, 0x54442d18
	v_mul_f64 v[10:11], v[72:73], v[10:11]
	s_mov_b32 s7, 0x400921fb
	v_fmac_f64_e32 v[10:11], s[6:7], v[2:3]
	s_mov_b32 s6, 0x2e21c33
	v_pk_mov_b32 v[2:3], v[58:59], v[58:59] op_sel:[0,1]
	s_mov_b32 s7, 0xbf1b1673
	v_fmac_f64_e32 v[2:3], s[6:7], v[8:9]
	v_pk_mov_b32 v[72:73], v[60:61], v[60:61] op_sel:[0,1]
	v_fmac_f64_e32 v[72:73], v[8:9], v[2:3]
	v_pk_mov_b32 v[2:3], v[62:63], v[62:63] op_sel:[0,1]
	;; [unrolled: 2-line block ×5, first 2 shown]
	v_fmac_f64_e32 v[72:73], v[8:9], v[2:3]
	v_fma_f64 v[2:3], v[8:9], v[72:73], 1.0
	v_and_b32_e32 v9, 1, v15
	v_lshlrev_b32_e32 v8, 30, v15
	v_cmp_eq_u32_e32 vcc, 0, v9
	v_cndmask_b32_e32 v10, v2, v10, vcc
	v_cndmask_b32_e32 v2, v3, v11, vcc
	v_xor_b32_e32 v3, v8, v7
	v_and_b32_e32 v3, 0x80000000, v3
	v_cmp_gt_f64_e32 vcc, s[2:3], v[4:5]
	v_xor_b32_e32 v11, v2, v3
	v_cndmask_b32_e64 v2, 0, 1, vcc
	v_lshlrev_b32_e32 v2, 8, v2
	v_ldexp_f64 v[2:3], v[4:5], v2
	v_rsq_f64_e32 v[8:9], v[2:3]
	v_cmp_lg_f64_e64 s[2:3], s[14:15], v[6:7]
	v_cndmask_b32_e64 v6, 0, v10, s[2:3]
	v_cndmask_b32_e64 v7, v91, v11, s[2:3]
	v_mul_f64 v[0:1], v[0:1], v[6:7]
	v_mul_f64 v[6:7], v[2:3], v[8:9]
	v_mul_f64 v[8:9], v[8:9], 0.5
	v_fma_f64 v[10:11], -v[8:9], v[6:7], 0.5
	v_fmac_f64_e32 v[6:7], v[6:7], v[10:11]
	v_fma_f64 v[72:73], -v[6:7], v[6:7], v[2:3]
	v_fmac_f64_e32 v[8:9], v[8:9], v[10:11]
	v_fmac_f64_e32 v[6:7], v[72:73], v[8:9]
	v_fma_f64 v[10:11], -v[6:7], v[6:7], v[2:3]
	v_fmac_f64_e32 v[6:7], v[10:11], v[8:9]
	v_cndmask_b32_e32 v8, 0, v89, vcc
	v_ldexp_f64 v[6:7], v[6:7], v8
	v_cmp_class_f64_e32 vcc, v[2:3], v88
	v_cndmask_b32_e32 v3, v7, v3, vcc
	v_cndmask_b32_e32 v2, v6, v2, vcc
	v_fmac_f64_e32 v[4:5], v[2:3], v[0:1]
	v_trunc_f64_e32 v[0:1], v[4:5]
	v_add_f64 v[2:3], v[4:5], -v[0:1]
	v_cmp_ge_f64_e64 vcc, |v[2:3]|, 0.5
	v_cndmask_b32_e32 v2, 0, v90, vcc
	s_brev_b32 s2, -2
	v_bfi_b32 v15, s2, v2, v5
	v_add_f64 v[0:1], v[0:1], v[14:15]
	v_cvt_u32_f64_e32 v75, v[0:1]
.LBB70_41:                              ;   in Loop: Header=BB70_5 Depth=1
	s_or_b64 exec, exec, s[0:1]
                                        ; implicit-def: $vgpr6
                                        ; implicit-def: $vgpr72_vgpr73
                                        ; implicit-def: $vgpr15
                                        ; implicit-def: $vgpr96
                                        ; implicit-def: $vgpr97
                                        ; implicit-def: $vgpr104
                                        ; implicit-def: $vgpr95
                                        ; implicit-def: $vgpr3
                                        ; implicit-def: $vgpr4_vgpr5
                                        ; implicit-def: $vgpr98
                                        ; implicit-def: $vgpr99
                                        ; implicit-def: $vgpr100
                                        ; implicit-def: $vgpr101
                                        ; implicit-def: $vgpr103
                                        ; implicit-def: $vgpr105
                                        ; implicit-def: $vgpr106
                                        ; implicit-def: $vgpr107
                                        ; implicit-def: $vgpr108
                                        ; implicit-def: $vgpr109
                                        ; implicit-def: $vgpr110
                                        ; implicit-def: $vgpr111
                                        ; implicit-def: $vgpr112
                                        ; implicit-def: $vgpr113
                                        ; implicit-def: $vgpr102
                                        ; implicit-def: $vgpr114
.LBB70_42:                              ;   in Loop: Header=BB70_5 Depth=1
	s_andn2_saveexec_b64 s[0:1], s[18:19]
	s_cbranch_execz .LBB70_3
; %bb.43:                               ;   in Loop: Header=BB70_5 Depth=1
	s_mov_b32 s12, s54
	v_mul_f64 v[8:9], v[4:5], s[12:13]
	v_rndne_f64_e32 v[10:11], v[8:9]
	s_mov_b32 s56, s48
	v_fma_f64 v[4:5], v[10:11], s[56:57], -v[4:5]
	s_mov_b32 s58, s50
	v_fmac_f64_e32 v[4:5], s[58:59], v[10:11]
	v_pk_mov_b32 v[8:9], v[30:31], v[30:31] op_sel:[0,1]
	v_fmac_f64_e32 v[8:9], s[60:61], v[4:5]
	v_pk_mov_b32 v[74:75], v[32:33], v[32:33] op_sel:[0,1]
	;; [unrolled: 2-line block ×9, first 2 shown]
	v_fmac_f64_e32 v[76:77], v[4:5], v[74:75]
	v_fma_f64 v[74:75], v[4:5], v[76:77], 1.0
	s_mov_b32 s2, 0xc4800000
	v_fma_f64 v[4:5], v[4:5], v[74:75], 1.0
	v_cvt_i32_f64_e32 v7, v[10:11]
	v_cmp_ngt_f32_e32 vcc, s2, v6
	s_mov_b32 s2, 0x44866000
	v_ldexp_f64 v[4:5], v[4:5], v7
	v_cmp_nlt_f32_e64 s[2:3], s2, v6
	v_mov_b32_e32 v8, 0
	v_cndmask_b32_e32 v5, v93, v5, vcc
	s_and_b64 vcc, s[2:3], vcc
	v_mov_b32_e32 v9, 0x3ff00000
	v_mov_b32_e32 v78, 0
	v_cndmask_b32_e64 v11, 0, v5, s[2:3]
	v_cndmask_b32_e32 v10, 0, v4, vcc
	s_mov_b32 s12, -1
	s_mov_b64 s[2:3], 0
	v_mov_b32_e32 v79, v17
	s_branch .LBB70_45
.LBB70_44:                              ;   in Loop: Header=BB70_45 Depth=2
	s_or_b64 exec, exec, s[6:7]
	v_cmp_eq_u32_e32 vcc, 1, v15
	v_cndmask_b32_e32 v0, v0, v1, vcc
	v_cmp_eq_u32_e32 vcc, 2, v15
	v_cndmask_b32_e32 v0, v0, v2, vcc
	;; [unrolled: 2-line block ×6, first 2 shown]
	v_lshrrev_b32_e32 v0, 11, v0
	v_cvt_f64_u32_e32 v[0:1], v0
	v_ldexp_f64 v[0:1], v[0:1], 32
	v_cvt_f64_u32_e32 v[2:3], v2
	v_add_f64 v[0:1], v[0:1], v[2:3]
	v_mov_b32_e32 v2, 0
	v_mov_b32_e32 v3, 0x3ca00000
	v_fmac_f64_e32 v[2:3], 0x3ca00000, v[0:1]
	v_mul_f64 v[8:9], v[8:9], v[2:3]
	v_cmp_ngt_f64_e32 vcc, v[8:9], v[10:11]
	s_add_i32 s12, s12, 1
	s_or_b64 s[2:3], vcc, s[2:3]
	v_mov_b32_e32 v75, s12
	v_mov_b32_e32 v15, v81
	;; [unrolled: 1-line block ×6, first 2 shown]
	s_andn2_b64 exec, exec, s[2:3]
	s_cbranch_execz .LBB70_2
.LBB70_45:                              ;   Parent Loop BB70_5 Depth=1
                                        ; =>  This Inner Loop Header: Depth=2
	v_add_u32_e32 v80, 1, v15
	v_pk_mov_b32 v[6:7], v[2:3], v[2:3] op_sel:[0,1]
	v_cmp_eq_u32_e32 vcc, 4, v80
	v_pk_mov_b32 v[4:5], v[0:1], v[0:1] op_sel:[0,1]
	v_mov_b32_e32 v77, v0
	v_mov_b32_e32 v76, v1
	;; [unrolled: 1-line block ×4, first 2 shown]
	s_and_saveexec_b64 s[6:7], vcc
	s_cbranch_execz .LBB70_47
; %bb.46:                               ;   in Loop: Header=BB70_45 Depth=2
	v_add_co_u32_e32 v96, vcc, 1, v96
	v_cndmask_b32_e64 v4, 0, 1, vcc
	v_addc_co_u32_e32 v97, vcc, 0, v97, vcc
	v_cmp_eq_u32_e32 vcc, 0, v97
	v_cndmask_b32_e32 v4, 0, v4, vcc
	v_add_u32_e32 v79, v4, v79
	v_cmp_eq_u32_e32 vcc, 0, v79
	v_cndmask_b32_e32 v4, 0, v4, vcc
	v_add_u32_e32 v78, v4, v78
	v_mad_u64_u32 v[4:5], s[14:15], v96, s11, 0
	v_mad_u64_u32 v[6:7], s[14:15], v79, s8, 0
	v_xor_b32_e32 v5, v5, v73
	v_xor_b32_e32 v7, v7, v72
	v_xor_b32_e32 v5, v78, v5
	v_xor_b32_e32 v7, v97, v7
	v_mad_u64_u32 v[76:77], s[14:15], v5, s8, 0
	v_mad_u64_u32 v[74:75], s[14:15], v7, s11, 0
	v_xor_b32_e32 v5, v98, v77
	v_xor_b32_e32 v5, v5, v6
	v_xor_b32_e32 v6, v99, v75
	v_xor_b32_e32 v6, v6, v4
	;; [unrolled: 6-line block ×10, first 2 shown]
	v_mov_b32_e32 v80, 0
	v_mov_b32_e32 v5, v76
	v_mov_b32_e32 v7, v74
	v_mov_b32_e32 v77, v4
	v_mov_b32_e32 v82, v6
.LBB70_47:                              ;   in Loop: Header=BB70_45 Depth=2
	s_or_b64 exec, exec, s[6:7]
	v_add_u32_e32 v81, 1, v80
	v_cmp_eq_u32_e32 vcc, 4, v81
	s_and_saveexec_b64 s[6:7], vcc
	s_cbranch_execz .LBB70_44
; %bb.48:                               ;   in Loop: Header=BB70_45 Depth=2
	v_add_co_u32_e32 v96, vcc, 1, v96
	v_cndmask_b32_e64 v74, 0, 1, vcc
	v_addc_co_u32_e32 v97, vcc, 0, v97, vcc
	v_cmp_eq_u32_e32 vcc, 0, v97
	v_cndmask_b32_e32 v74, 0, v74, vcc
	v_add_u32_e32 v79, v74, v79
	v_cmp_eq_u32_e32 vcc, 0, v79
	v_cndmask_b32_e32 v74, 0, v74, vcc
	v_add_u32_e32 v78, v74, v78
	v_mad_u64_u32 v[74:75], s[14:15], v96, s11, 0
	v_mad_u64_u32 v[76:77], s[14:15], v79, s8, 0
	v_xor_b32_e32 v75, v75, v73
	v_xor_b32_e32 v77, v77, v72
	v_xor_b32_e32 v75, v78, v75
	v_xor_b32_e32 v77, v97, v77
	v_mad_u64_u32 v[84:85], s[14:15], v75, s8, 0
	v_mad_u64_u32 v[82:83], s[14:15], v77, s11, 0
	v_xor_b32_e32 v75, v98, v85
	v_xor_b32_e32 v75, v75, v76
	v_xor_b32_e32 v76, v99, v83
	v_xor_b32_e32 v76, v76, v74
	;; [unrolled: 6-line block ×9, first 2 shown]
	v_mad_u64_u32 v[74:75], s[14:15], v74, s11, 0
	v_mad_u64_u32 v[76:77], s[14:15], v76, s8, 0
	v_xor_b32_e32 v77, v77, v116
	v_xor_b32_e32 v75, v75, v86
	v_mov_b32_e32 v81, 0
	v_xor_b32_e32 v77, v104, v77
	v_xor_b32_e32 v82, v95, v75
	s_branch .LBB70_44
.LBB70_49:
	s_or_b64 exec, exec, s[4:5]
	s_and_saveexec_b64 s[0:1], s[26:27]
	s_xor_b64 s[0:1], exec, s[0:1]
	s_cbranch_execnz .LBB70_51
.LBB70_50:
	s_endpgm
.LBB70_51:
	s_trap 2
	; divergent unreachable
	s_endpgm
	.section	.rodata,"a",@progbits
	.p2align	6, 0x0
	.amdhsa_kernel _ZN2at4cuda12_GLOBAL__N_121kernelPointwiseApply2IZN12_GLOBAL__N_119poisson_cuda_kernelIfEEvRKNS_10TensorBaseES7_NS_15PhiloxCudaStateEEUlRfRKfE_ffjLi1ELin1ELi1ELi512ELi2EEEvNS0_6detail10TensorInfoIT0_T2_EENSE_IT1_SG_EESG_T_
		.amdhsa_group_segment_fixed_size 0
		.amdhsa_private_segment_fixed_size 0
		.amdhsa_kernarg_size 728
		.amdhsa_user_sgpr_count 6
		.amdhsa_user_sgpr_private_segment_buffer 1
		.amdhsa_user_sgpr_dispatch_ptr 0
		.amdhsa_user_sgpr_queue_ptr 0
		.amdhsa_user_sgpr_kernarg_segment_ptr 1
		.amdhsa_user_sgpr_dispatch_id 0
		.amdhsa_user_sgpr_flat_scratch_init 0
		.amdhsa_user_sgpr_kernarg_preload_length 0
		.amdhsa_user_sgpr_kernarg_preload_offset 0
		.amdhsa_user_sgpr_private_segment_size 0
		.amdhsa_uses_dynamic_stack 0
		.amdhsa_system_sgpr_private_segment_wavefront_offset 0
		.amdhsa_system_sgpr_workgroup_id_x 1
		.amdhsa_system_sgpr_workgroup_id_y 0
		.amdhsa_system_sgpr_workgroup_id_z 0
		.amdhsa_system_sgpr_workgroup_info 0
		.amdhsa_system_vgpr_workitem_id 0
		.amdhsa_next_free_vgpr 135
		.amdhsa_next_free_sgpr 96
		.amdhsa_accum_offset 136
		.amdhsa_reserve_vcc 1
		.amdhsa_reserve_flat_scratch 0
		.amdhsa_float_round_mode_32 0
		.amdhsa_float_round_mode_16_64 0
		.amdhsa_float_denorm_mode_32 3
		.amdhsa_float_denorm_mode_16_64 3
		.amdhsa_dx10_clamp 1
		.amdhsa_ieee_mode 1
		.amdhsa_fp16_overflow 0
		.amdhsa_tg_split 0
		.amdhsa_exception_fp_ieee_invalid_op 0
		.amdhsa_exception_fp_denorm_src 0
		.amdhsa_exception_fp_ieee_div_zero 0
		.amdhsa_exception_fp_ieee_overflow 0
		.amdhsa_exception_fp_ieee_underflow 0
		.amdhsa_exception_fp_ieee_inexact 0
		.amdhsa_exception_int_div_zero 0
	.end_amdhsa_kernel
	.section	.text._ZN2at4cuda12_GLOBAL__N_121kernelPointwiseApply2IZN12_GLOBAL__N_119poisson_cuda_kernelIfEEvRKNS_10TensorBaseES7_NS_15PhiloxCudaStateEEUlRfRKfE_ffjLi1ELin1ELi1ELi512ELi2EEEvNS0_6detail10TensorInfoIT0_T2_EENSE_IT1_SG_EESG_T_,"axG",@progbits,_ZN2at4cuda12_GLOBAL__N_121kernelPointwiseApply2IZN12_GLOBAL__N_119poisson_cuda_kernelIfEEvRKNS_10TensorBaseES7_NS_15PhiloxCudaStateEEUlRfRKfE_ffjLi1ELin1ELi1ELi512ELi2EEEvNS0_6detail10TensorInfoIT0_T2_EENSE_IT1_SG_EESG_T_,comdat
.Lfunc_end70:
	.size	_ZN2at4cuda12_GLOBAL__N_121kernelPointwiseApply2IZN12_GLOBAL__N_119poisson_cuda_kernelIfEEvRKNS_10TensorBaseES7_NS_15PhiloxCudaStateEEUlRfRKfE_ffjLi1ELin1ELi1ELi512ELi2EEEvNS0_6detail10TensorInfoIT0_T2_EENSE_IT1_SG_EESG_T_, .Lfunc_end70-_ZN2at4cuda12_GLOBAL__N_121kernelPointwiseApply2IZN12_GLOBAL__N_119poisson_cuda_kernelIfEEvRKNS_10TensorBaseES7_NS_15PhiloxCudaStateEEUlRfRKfE_ffjLi1ELin1ELi1ELi512ELi2EEEvNS0_6detail10TensorInfoIT0_T2_EENSE_IT1_SG_EESG_T_
                                        ; -- End function
	.section	.AMDGPU.csdata,"",@progbits
; Kernel info:
; codeLenInByte = 13612
; NumSgprs: 100
; NumVgprs: 135
; NumAgprs: 0
; TotalNumVgprs: 135
; ScratchSize: 0
; MemoryBound: 0
; FloatMode: 240
; IeeeMode: 1
; LDSByteSize: 0 bytes/workgroup (compile time only)
; SGPRBlocks: 12
; VGPRBlocks: 16
; NumSGPRsForWavesPerEU: 100
; NumVGPRsForWavesPerEU: 135
; AccumOffset: 136
; Occupancy: 3
; WaveLimiterHint : 1
; COMPUTE_PGM_RSRC2:SCRATCH_EN: 0
; COMPUTE_PGM_RSRC2:USER_SGPR: 6
; COMPUTE_PGM_RSRC2:TRAP_HANDLER: 0
; COMPUTE_PGM_RSRC2:TGID_X_EN: 1
; COMPUTE_PGM_RSRC2:TGID_Y_EN: 0
; COMPUTE_PGM_RSRC2:TGID_Z_EN: 0
; COMPUTE_PGM_RSRC2:TIDIG_COMP_CNT: 0
; COMPUTE_PGM_RSRC3_GFX90A:ACCUM_OFFSET: 33
; COMPUTE_PGM_RSRC3_GFX90A:TG_SPLIT: 0
	.section	.text._ZN2at4cuda12_GLOBAL__N_121kernelPointwiseApply2IZN12_GLOBAL__N_119poisson_cuda_kernelIfEEvRKNS_10TensorBaseES7_NS_15PhiloxCudaStateEEUlRfRKfE_ffjLi2ELi1ELi1ELi512ELi2EEEvNS0_6detail10TensorInfoIT0_T2_EENSE_IT1_SG_EESG_T_,"axG",@progbits,_ZN2at4cuda12_GLOBAL__N_121kernelPointwiseApply2IZN12_GLOBAL__N_119poisson_cuda_kernelIfEEvRKNS_10TensorBaseES7_NS_15PhiloxCudaStateEEUlRfRKfE_ffjLi2ELi1ELi1ELi512ELi2EEEvNS0_6detail10TensorInfoIT0_T2_EENSE_IT1_SG_EESG_T_,comdat
	.globl	_ZN2at4cuda12_GLOBAL__N_121kernelPointwiseApply2IZN12_GLOBAL__N_119poisson_cuda_kernelIfEEvRKNS_10TensorBaseES7_NS_15PhiloxCudaStateEEUlRfRKfE_ffjLi2ELi1ELi1ELi512ELi2EEEvNS0_6detail10TensorInfoIT0_T2_EENSE_IT1_SG_EESG_T_ ; -- Begin function _ZN2at4cuda12_GLOBAL__N_121kernelPointwiseApply2IZN12_GLOBAL__N_119poisson_cuda_kernelIfEEvRKNS_10TensorBaseES7_NS_15PhiloxCudaStateEEUlRfRKfE_ffjLi2ELi1ELi1ELi512ELi2EEEvNS0_6detail10TensorInfoIT0_T2_EENSE_IT1_SG_EESG_T_
	.p2align	8
	.type	_ZN2at4cuda12_GLOBAL__N_121kernelPointwiseApply2IZN12_GLOBAL__N_119poisson_cuda_kernelIfEEvRKNS_10TensorBaseES7_NS_15PhiloxCudaStateEEUlRfRKfE_ffjLi2ELi1ELi1ELi512ELi2EEEvNS0_6detail10TensorInfoIT0_T2_EENSE_IT1_SG_EESG_T_,@function
_ZN2at4cuda12_GLOBAL__N_121kernelPointwiseApply2IZN12_GLOBAL__N_119poisson_cuda_kernelIfEEvRKNS_10TensorBaseES7_NS_15PhiloxCudaStateEEUlRfRKfE_ffjLi2ELi1ELi1ELi512ELi2EEEvNS0_6detail10TensorInfoIT0_T2_EENSE_IT1_SG_EESG_T_: ; @_ZN2at4cuda12_GLOBAL__N_121kernelPointwiseApply2IZN12_GLOBAL__N_119poisson_cuda_kernelIfEEvRKNS_10TensorBaseES7_NS_15PhiloxCudaStateEEUlRfRKfE_ffjLi2ELi1ELi1ELi512ELi2EEEvNS0_6detail10TensorInfoIT0_T2_EENSE_IT1_SG_EESG_T_
; %bb.0:
	s_load_dword s2, s[4:5], 0x1e4
	s_load_dword s33, s[4:5], 0x1b0
	s_add_u32 s0, s4, 0x1d8
	s_addc_u32 s1, s5, 0
	s_waitcnt lgkmcnt(0)
	s_and_b32 s2, s2, 0xffff
	s_mul_i32 s6, s6, s2
	v_add_u32_e32 v17, s6, v0
	v_cmp_gt_u32_e32 vcc, s33, v17
	s_and_saveexec_b64 s[6:7], vcc
	s_cbranch_execz .LBB71_47
; %bb.1:
	s_load_dwordx2 s[6:7], s[4:5], 0x0
                                        ; implicit-def: $vgpr134 : SGPR spill to VGPR lane
                                        ; kill: killed $sgpr0 killed $sgpr1
	s_mov_b32 s10, 0xcd9e8d57
	s_mov_b32 s22, 0
	;; [unrolled: 1-line block ×4, first 2 shown]
	s_waitcnt lgkmcnt(0)
	v_writelane_b32 v134, s6, 0
	v_writelane_b32 v134, s7, 1
	s_load_dword s8, s[4:5], 0xc
	s_load_dwordx2 s[6:7], s[4:5], 0x6c
	s_load_dwordx2 s[24:25], s[4:5], 0xd8
	s_load_dword s9, s[4:5], 0x144
	s_load_dwordx4 s[12:15], s[4:5], 0x1b8
	s_mov_b32 s34, 0xbf559e2b
	s_mov_b32 s36, 0xd7f4df2e
	s_waitcnt lgkmcnt(0)
	v_cvt_f32_u32_e32 v0, s8
	v_writelane_b32 v134, s6, 2
	v_writelane_b32 v134, s7, 3
	s_load_dword s3, s[0:1], 0x0
	s_load_dwordx2 s[6:7], s[4:5], 0x1c8
	v_writelane_b32 v134, s12, 4
	v_writelane_b32 v134, s13, 5
	;; [unrolled: 1-line block ×4, first 2 shown]
	v_rcp_iflag_f32_e32 v0, v0
	s_waitcnt lgkmcnt(0)
	v_writelane_b32 v134, s6, 8
	v_writelane_b32 v134, s7, 9
	s_load_dword s6, s[4:5], 0x1d0
	v_mul_f32_e32 v0, 0x4f7ffffe, v0
	s_getpc_b64 s[0:1]
	s_add_u32 s0, s0, .str@rel32@lo+4
	s_addc_u32 s1, s1, .str@rel32@hi+12
	v_cvt_u32_f32_e32 v0, v0
	s_cmp_eq_u64 s[0:1], 0
	s_cselect_b64 s[0:1], -1, 0
	s_waitcnt lgkmcnt(0)
	s_bitcmp1_b32 s6, 0
	v_mad_u64_u32 v[12:13], s[6:7], v17, s10, 0
	s_mul_i32 s45, s3, s2
	s_cselect_b64 s[2:3], -1, 0
	s_sub_i32 s6, 0, s8
	v_mul_lo_u32 v1, s6, v0
	v_mul_hi_u32 v1, v0, v1
	v_mov_b32_e32 v16, v13
	v_add_u32_e32 v13, v0, v1
	v_cndmask_b32_e64 v0, 0, 1, s[2:3]
	v_cmp_ne_u32_e64 s[2:3], 1, v0
	v_writelane_b32 v134, s2, 10
	v_writelane_b32 v134, s3, 11
	s_xor_b64 s[60:61], s[0:1], -1
	s_mov_b32 s1, 0xbff71547
	s_mov_b32 s38, 0x16291751
	s_mov_b32 s40, 0x9b27acf1
	s_mov_b32 s42, 0x998ef7b6
	s_mov_b32 s46, 0xfefa39ef
	s_mov_b32 s48, 0x3b39803f
	s_mov_b32 s52, 0x652b82fe
	s_mov_b32 s58, 0x6a5dcb37
	s_mov_b32 s62, 0
	s_mov_b32 s64, 0
	s_mov_b32 s66, 0
	s_mov_b32 s68, 0x8f3faeef
	s_mov_b32 s70, 0
	s_mov_b32 s72, 0x4e4e324f
	s_mov_b32 s74, 0
	s_mov_b32 s76, 0x992b2855
	s_mov_b32 s78, 0
	s_mov_b32 s80, 0x7f8b9c81
	s_mov_b32 s82, 0x51a32f5d
	s_mov_b32 s84, 0x61d3b4d8
	s_mov_b32 s86, 0x8ed4171b
	s_mov_b32 s88, 0xb6c30b05
	s_movk_i32 s90, 0xf950
	s_mov_b32 s92, 0xc864beb5
	s_mov_b32 s94, 0
	;; [unrolled: 1-line block ×3, first 2 shown]
	v_writelane_b32 v134, s0, 12
                                        ; kill: killed $sgpr4 killed $sgpr5
	s_mov_b64 s[4:5], 0
	v_mov_b32_e32 v14, 0
	v_mov_b32_e32 v88, s25
	s_mov_b32 s25, s9
	s_mov_b32 s11, 0xd2511f53
	;; [unrolled: 1-line block ×13, first 2 shown]
	s_movk_i32 s9, 0x204
	s_mov_b32 s53, 0x3ff71547
	s_mov_b32 s55, 0xbfe62e42
	;; [unrolled: 1-line block ×4, first 2 shown]
	v_mov_b32_e32 v18, 0x6b47b09a
	v_mov_b32_e32 v20, 0xd7f4df2e
	v_mov_b32_e32 v22, 0x16291751
	v_mov_b32_e32 v24, 0x9b27acf1
	v_mov_b32_e32 v26, 0x998ef7b6
	v_mov_b32_e32 v28, 0x55555780
	v_mov_b32_e32 v30, 0xfca7ab0c
	v_mov_b32_e32 v32, 0x623fde64
	v_mov_b32_e32 v34, 0x7c89e6b0
	v_mov_b32_e32 v36, 0x14761f6e
	v_mov_b32_e32 v38, 0x1852b7b0
	v_mov_b32_e32 v40, 0x11122322
	v_mov_b32_e32 v42, 0x555502a1
	v_mov_b32_e32 v44, 0x55555511
	v_mov_b32_e32 v46, 11
	v_mov_b32_e32 v48, 0x6fdffd2b
	v_mov_b32_e32 v50, 0xd5f14825
	v_mov_b32_e32 v52, 0xcdfe9424
	v_mov_b32_e32 v54, 0x67754fff
	v_mov_b32_e32 v56, 0xe625be09
	v_mov_b32_e32 v58, 0xca1d4f33
	v_mov_b32_e32 v60, 0x7294bff9
	v_mov_b32_e32 v62, 0x67b90b37
	v_mov_b32_e32 v64, 0x7e3c325b
	v_mov_b32_e32 v66, 0x81b5a67
	v_mov_b32_e32 v68, 0xc9be45de
	v_mov_b32_e32 v89, 0x260
	v_mov_b32_e32 v90, 0xffffff80
	v_mov_b32_e32 v91, 0x3ff00000
	v_mov_b32_e32 v92, 0x7ff80000
	v_mov_b32_e32 v93, 0xfff00000
	v_mov_b32_e32 v94, 0x7ff00000
	v_mov_b32_e32 v95, v17
	v_mov_b32_e32 v19, 0x3fc38538
	v_mov_b32_e32 v21, 0x3fc7474d
	v_mov_b32_e32 v23, 0x3fcc71c0
	v_mov_b32_e32 v25, 0x3fd24924
	v_mov_b32_e32 v27, 0x3fd99999
	v_mov_b32_e32 v29, 0x3fe55555
	v_mov_b32_e32 v31, 0x3e928af3
	v_mov_b32_e32 v33, 0x3ec71dee
	v_mov_b32_e32 v35, 0x3efa0199
	v_mov_b32_e32 v37, 0x3f2a01a0
	v_mov_b32_e32 v39, 0x3f56c16c
	v_mov_b32_e32 v41, 0x3f811111
	v_mov_b32_e32 v43, 0x3fa55555
	v_mov_b32_e32 v45, 0x3fc55555
	v_mov_b32_e32 v47, 0x3fe00000
	v_mov_b32_e32 v49, 0xbf7e2fe7
	v_mov_b32_e32 v51, 0x3fb50782
	v_mov_b32_e32 v53, 0xbfe32d2c
	v_mov_b32_e32 v55, 0x400466bc
	v_mov_b32_e32 v57, 0xc014abbc
	v_mov_b32_e32 v59, 0x3f5f9c89
	v_mov_b32_e32 v61, 0xbf9a6d1e
	v_mov_b32_e32 v63, 0x3fce1f50
	v_mov_b32_e32 v65, 0xbff55d3c
	v_mov_b32_e32 v67, 0x40103c1f
	v_mov_b32_e32 v69, 0xc013bd3c
	s_mov_b32 s63, 0x40900000
	s_mov_b32 s65, 0xc090cc00
	;; [unrolled: 1-line block ×18, first 2 shown]
	v_writelane_b32 v134, s1, 13
                                        ; implicit-def: $sgpr18_sgpr19
                                        ; implicit-def: $sgpr16_sgpr17
	v_writelane_b32 v134, s45, 14
	s_branch .LBB71_5
.LBB71_2:                               ;   in Loop: Header=BB71_5 Depth=1
	s_or_b64 exec, exec, s[2:3]
.LBB71_3:                               ;   in Loop: Header=BB71_5 Depth=1
	s_or_b64 exec, exec, s[0:1]
	v_readlane_b32 s0, v134, 0
	v_lshlrev_b64 v[0:1], 2, v[70:71]
	v_readlane_b32 s1, v134, 1
	v_mov_b32_e32 v2, s1
	v_cvt_f32_u32_e32 v3, v75
	v_add_co_u32_e32 v0, vcc, s0, v0
	v_addc_co_u32_e32 v1, vcc, v2, v1, vcc
	v_add_u32_e32 v95, s45, v95
	v_cmp_le_u32_e32 vcc, s33, v95
	s_andn2_b64 s[16:17], s[16:17], exec
	s_orn2_b64 s[0:1], vcc, exec
	global_store_dword v[0:1], v3, off
.LBB71_4:                               ;   in Loop: Header=BB71_5 Depth=1
	s_or_b64 exec, exec, s[26:27]
	s_and_b64 s[0:1], exec, s[0:1]
	s_or_b64 s[4:5], s[0:1], s[4:5]
	s_andn2_b64 s[0:1], s[18:19], exec
	s_and_b64 s[2:3], s[16:17], exec
	s_or_b64 s[18:19], s[0:1], s[2:3]
	s_andn2_b64 exec, exec, s[4:5]
	s_cbranch_execz .LBB71_46
.LBB71_5:                               ; =>This Loop Header: Depth=1
                                        ;     Child Loop BB71_13 Depth 2
                                        ;     Child Loop BB71_42 Depth 2
	v_sub_u32_e32 v0, s33, v95
	v_cmp_lt_i32_e32 vcc, 0, v0
	v_pk_mov_b32 v[70:71], 0, 0
	s_and_saveexec_b64 s[0:1], vcc
	s_cbranch_execz .LBB71_7
; %bb.6:                                ;   in Loop: Header=BB71_5 Depth=1
	v_mul_hi_u32 v0, v95, v13
	v_mul_lo_u32 v1, v0, s8
	v_sub_u32_e32 v1, v95, v1
	v_add_u32_e32 v2, 1, v0
	v_cmp_le_u32_e64 s[2:3], s8, v1
	v_cndmask_b32_e64 v0, v0, v2, s[2:3]
	v_subrev_u32_e32 v2, s8, v1
	v_cndmask_b32_e64 v1, v1, v2, s[2:3]
	v_add_u32_e32 v2, 1, v0
	v_cmp_le_u32_e64 s[2:3], s8, v1
	v_cndmask_b32_e64 v1, v0, v2, s[2:3]
	v_mul_lo_u32 v0, v1, s8
	v_readlane_b32 s2, v134, 2
	v_sub_u32_e32 v0, v95, v0
	v_readlane_b32 s3, v134, 3
	v_mul_lo_u32 v0, v0, s3
	v_mad_u64_u32 v[70:71], s[2:3], v1, s2, v[0:1]
	v_mov_b32_e32 v71, v14
.LBB71_7:                               ;   in Loop: Header=BB71_5 Depth=1
	s_or_b64 exec, exec, s[0:1]
	v_mul_lo_u32 v0, v95, s25
	v_cndmask_b32_e32 v0, 0, v0, vcc
	v_mov_b32_e32 v1, v14
	v_lshlrev_b64 v[0:1], 2, v[0:1]
	v_add_co_u32_e32 v0, vcc, s24, v0
	v_addc_co_u32_e32 v1, vcc, v88, v1, vcc
	global_load_dword v6, v[0:1], off
	s_mov_b64 s[0:1], -1
	s_or_b64 s[16:17], s[16:17], exec
	s_waitcnt vmcnt(0)
	v_cmp_le_f32_e32 vcc, 0, v6
	s_and_b64 s[2:3], s[60:61], vcc
	s_and_saveexec_b64 s[26:27], s[2:3]
	s_cbranch_execz .LBB71_4
; %bb.8:                                ;   in Loop: Header=BB71_5 Depth=1
	v_readlane_b32 s0, v134, 10
	v_readlane_b32 s1, v134, 11
	s_and_b64 vcc, exec, s[0:1]
	v_readlane_b32 s0, v134, 4
	v_readlane_b32 s1, v134, 5
	;; [unrolled: 1-line block ×4, first 2 shown]
	v_pk_mov_b32 v[0:1], s[2:3], s[2:3] op_sel:[0,1]
	v_pk_mov_b32 v[72:73], s[0:1], s[0:1] op_sel:[0,1]
	s_cbranch_vccnz .LBB71_10
; %bb.9:                                ;   in Loop: Header=BB71_5 Depth=1
	v_readlane_b32 s0, v134, 4
	v_readlane_b32 s2, v134, 6
	;; [unrolled: 1-line block ×3, first 2 shown]
	v_pk_mov_b32 v[0:1], s[2:3], s[2:3] op_sel:[0,1]
	v_readlane_b32 s1, v134, 5
	flat_load_dwordx2 v[0:1], v[0:1]
	v_pk_mov_b32 v[2:3], s[0:1], s[0:1] op_sel:[0,1]
	flat_load_dwordx2 v[72:73], v[2:3]
	v_readlane_b32 s0, v134, 8
	v_readlane_b32 s1, v134, 9
	v_mov_b32_e32 v2, s1
	s_waitcnt vmcnt(0) lgkmcnt(0)
	v_add_co_u32_e32 v0, vcc, s0, v0
	v_addc_co_u32_e32 v1, vcc, v1, v2, vcc
.LBB71_10:                              ;   in Loop: Header=BB71_5 Depth=1
	v_alignbit_b32 v97, v1, v0, 2
	v_and_b32_e32 v15, 3, v0
	v_lshrrev_b32_e32 v98, 2, v1
	v_mad_u64_u32 v[0:1], s[0:1], v97, s11, 0
	v_xor_b32_e32 v3, v16, v72
	v_mov_b32_e32 v2, v73
	v_xor_b32_e32 v1, v1, v73
	s_mov_b32 s0, 0xbb67ae85
	v_xor_b32_e32 v3, v3, v98
	v_add_co_u32_e32 v100, vcc, s0, v2
	v_mad_u64_u32 v[4:5], s[0:1], v3, s11, 0
	v_mad_u64_u32 v[8:9], s[0:1], v1, s10, 0
	v_add_co_u32_e32 v99, vcc, 0x9e3779b9, v72
	v_xor_b32_e32 v1, v12, v9
	v_xor_b32_e32 v3, v100, v5
	s_mov_b32 s0, 0x3c6ef372
	v_xor_b32_e32 v1, v1, v99
	v_xor_b32_e32 v3, v3, v0
	v_add_co_u32_e32 v101, vcc, s0, v72
	s_mov_b32 s0, 0x76cf5d0a
	v_add_co_u32_e32 v102, vcc, s0, v2
	v_mad_u64_u32 v[0:1], s[0:1], v1, s11, 0
	v_mad_u64_u32 v[10:11], s[0:1], v3, s10, 0
	v_xor_b32_e32 v3, v101, v11
	v_xor_b32_e32 v1, v102, v1
	s_mov_b32 s0, 0xdaa66d2b
	v_xor_b32_e32 v3, v3, v8
	v_xor_b32_e32 v1, v1, v4
	v_add_co_u32_e32 v104, vcc, s0, v72
	s_mov_b32 s0, 0x32370b8f
	v_add_co_u32_e32 v105, vcc, s0, v2
	v_mad_u64_u32 v[4:5], s[0:1], v3, s11, 0
	v_mad_u64_u32 v[8:9], s[0:1], v1, s10, 0
	;; [unrolled: 10-line block ×7, first 2 shown]
	v_xor_b32_e32 v1, v103, v1
	v_xor_b32_e32 v3, v115, v3
	;; [unrolled: 1-line block ×4, first 2 shown]
	v_mad_u64_u32 v[4:5], s[0:1], v1, s11, 0
	v_mad_u64_u32 v[8:9], s[0:1], v7, s10, 0
	v_add_u32_e32 v106, 0x8ff34781, v72
	v_add_u32_e32 v96, 0x96a522ad, v73
	v_xor_b32_e32 v0, v9, v0
	v_xor_b32_e32 v2, v5, v2
	s_mov_b32 s0, 0x42800000
	v_mov_b32_e32 v3, v4
	v_mov_b32_e32 v1, v8
	v_xor_b32_e32 v0, v106, v0
	v_xor_b32_e32 v2, v96, v2
	v_cvt_f64_f32_e32 v[4:5], v6
	v_cmp_ngt_f32_e32 vcc, s0, v6
                                        ; implicit-def: $vgpr75
	s_and_saveexec_b64 s[0:1], vcc
	s_xor_b64 s[50:51], exec, s[0:1]
	s_cbranch_execz .LBB71_39
; %bb.11:                               ;   in Loop: Header=BB71_5 Depth=1
	s_mov_b32 s0, 0x457a0000
	v_cmp_ge_f32_e32 vcc, s0, v6
                                        ; implicit-def: $vgpr75
	s_and_saveexec_b64 s[0:1], vcc
	s_xor_b64 s[6:7], exec, s[0:1]
	s_cbranch_execz .LBB71_26
; %bb.12:                               ;   in Loop: Header=BB71_5 Depth=1
	s_mov_b32 s12, 0xae147ae1
	s_mov_b32 s13, 0xc00ae147
	v_div_scale_f64 v[6:7], s[0:1], v[4:5], v[4:5], s[12:13]
	v_rcp_f64_e32 v[8:9], v[6:7]
	s_mov_b32 s0, 0
	v_mul_f64 v[76:77], v[4:5], s[22:23]
	s_brev_b32 s1, 8
	v_cmp_gt_f64_e64 s[2:3], s[0:1], v[76:77]
	v_cndmask_b32_e64 v78, 0, 1, s[2:3]
	v_fma_f64 v[74:75], -v[6:7], v[8:9], 1.0
	v_lshlrev_b32_e32 v78, 8, v78
	v_fmac_f64_e32 v[8:9], v[8:9], v[74:75]
	v_ldexp_f64 v[76:77], v[76:77], v78
	v_fma_f64 v[74:75], -v[6:7], v[8:9], 1.0
	v_rsq_f64_e32 v[78:79], v[76:77]
	v_div_scale_f64 v[10:11], vcc, s[12:13], v[4:5], s[12:13]
	v_fmac_f64_e32 v[8:9], v[8:9], v[74:75]
	v_mul_f64 v[74:75], v[10:11], v[8:9]
	v_fma_f64 v[6:7], -v[6:7], v[74:75], v[10:11]
	s_nop 0
	v_div_fmas_f64 v[6:7], v[6:7], v[8:9], v[74:75]
	v_mul_f64 v[8:9], v[76:77], v[78:79]
	v_mul_f64 v[10:11], v[78:79], 0.5
	v_fma_f64 v[74:75], -v[10:11], v[8:9], 0.5
	v_fmac_f64_e32 v[8:9], v[8:9], v[74:75]
	v_fma_f64 v[78:79], -v[8:9], v[8:9], v[76:77]
	v_fmac_f64_e32 v[10:11], v[10:11], v[74:75]
	v_fmac_f64_e32 v[8:9], v[78:79], v[10:11]
	v_fma_f64 v[74:75], -v[8:9], v[8:9], v[76:77]
	v_fmac_f64_e32 v[8:9], v[74:75], v[10:11]
	v_cndmask_b32_e64 v10, 0, v90, s[2:3]
	v_ldexp_f64 v[8:9], v[8:9], v10
	v_cmp_class_f64_e32 vcc, v[76:77], v89
	s_mov_b32 s2, 0x54442d18
	v_cndmask_b32_e32 v9, v9, v77, vcc
	v_cndmask_b32_e32 v8, v8, v76, vcc
	s_mov_b32 s3, 0x400921fb
	v_div_scale_f64 v[10:11], s[0:1], v[8:9], v[8:9], s[2:3]
	v_rcp_f64_e32 v[76:77], v[10:11]
	s_mov_b32 s0, 0x95810625
	v_div_fixup_f64 v[6:7], v[6:7], v[4:5], s[12:13]
	s_mov_b32 s1, 0x3fe88b43
	v_fma_f64 v[78:79], -v[10:11], v[76:77], 1.0
	v_fmac_f64_e32 v[76:77], v[76:77], v[78:79]
	v_fma_f64 v[78:79], -v[10:11], v[76:77], 1.0
	v_fmac_f64_e32 v[76:77], v[76:77], v[78:79]
	v_div_scale_f64 v[78:79], vcc, s[2:3], v[8:9], s[2:3]
	v_mul_f64 v[80:81], v[78:79], v[76:77]
	v_fma_f64 v[10:11], -v[10:11], v[80:81], v[78:79]
	v_add_f64 v[6:7], v[6:7], s[0:1]
	s_nop 0
	v_div_fmas_f64 v[10:11], v[10:11], v[76:77], v[80:81]
	v_div_fixup_f64 v[76:77], v[10:11], v[8:9], s[2:3]
	v_frexp_mant_f64_e32 v[8:9], v[6:7]
	v_cmp_gt_f64_e32 vcc, s[28:29], v[8:9]
	v_mov_b32_e32 v74, 0
	v_cndmask_b32_e64 v75, v91, 2.0, vcc
	v_frexp_exp_i32_f64_e32 v10, v[6:7]
	v_mul_f64 v[8:9], v[8:9], v[74:75]
	v_subbrev_co_u32_e32 v75, vcc, 0, v10, vcc
	v_add_f64 v[10:11], v[8:9], 1.0
	v_rcp_f64_e32 v[80:81], v[10:11]
	v_add_f64 v[84:85], v[10:11], -1.0
	v_add_f64 v[82:83], v[8:9], -1.0
	v_add_f64 v[8:9], v[8:9], -v[84:85]
	v_fma_f64 v[84:85], -v[10:11], v[80:81], 1.0
	v_fmac_f64_e32 v[80:81], v[84:85], v[80:81]
	v_fma_f64 v[84:85], -v[10:11], v[80:81], 1.0
	v_fmac_f64_e32 v[80:81], v[84:85], v[80:81]
	v_mul_f64 v[84:85], v[82:83], v[80:81]
	v_mul_f64 v[86:87], v[10:11], v[84:85]
	v_fma_f64 v[10:11], v[84:85], v[10:11], -v[86:87]
	v_fmac_f64_e32 v[10:11], v[84:85], v[8:9]
	v_add_f64 v[8:9], v[86:87], v[10:11]
	v_add_f64 v[116:117], v[82:83], -v[8:9]
	v_add_f64 v[86:87], v[8:9], -v[86:87]
	v_add_f64 v[82:83], v[82:83], -v[116:117]
	v_add_f64 v[8:9], v[82:83], -v[8:9]
	v_add_f64 v[10:11], v[86:87], -v[10:11]
	v_add_f64 v[8:9], v[10:11], v[8:9]
	v_add_f64 v[8:9], v[116:117], v[8:9]
	v_mul_f64 v[8:9], v[80:81], v[8:9]
	v_add_f64 v[10:11], v[84:85], v[8:9]
	v_add_f64 v[80:81], v[10:11], -v[84:85]
	v_add_f64 v[8:9], v[8:9], -v[80:81]
	v_mul_f64 v[80:81], v[10:11], v[10:11]
	v_pk_mov_b32 v[82:83], s[30:31], s[30:31] op_sel:[0,1]
	v_fma_f64 v[84:85], s[34:35], v[80:81], v[82:83]
	v_fma_f64 v[84:85], v[80:81], v[84:85], s[36:37]
	;; [unrolled: 1-line block ×5, first 2 shown]
	s_mov_b32 s45, s29
	v_fma_f64 v[84:85], v[80:81], v[84:85], s[44:45]
	v_ldexp_f64 v[86:87], v[10:11], 1
	v_mul_f64 v[10:11], v[10:11], v[80:81]
	v_mul_f64 v[10:11], v[10:11], v[84:85]
	v_add_f64 v[80:81], v[86:87], v[10:11]
	v_add_f64 v[84:85], v[80:81], -v[86:87]
	v_ldexp_f64 v[8:9], v[8:9], 1
	v_add_f64 v[10:11], v[10:11], -v[84:85]
	v_add_f64 v[8:9], v[8:9], v[10:11]
	v_add_f64 v[10:11], v[80:81], v[8:9]
	v_add_f64 v[80:81], v[10:11], -v[80:81]
	v_add_f64 v[8:9], v[8:9], -v[80:81]
	v_cvt_f64_i32_e32 v[80:81], v75
	v_mul_f64 v[84:85], v[80:81], s[46:47]
	v_fma_f64 v[86:87], v[80:81], s[46:47], -v[84:85]
	v_fmac_f64_e32 v[86:87], s[48:49], v[80:81]
	v_add_f64 v[80:81], v[84:85], v[86:87]
	v_add_f64 v[84:85], v[80:81], -v[84:85]
	v_add_f64 v[84:85], v[86:87], -v[84:85]
	v_add_f64 v[86:87], v[80:81], v[10:11]
	v_add_f64 v[116:117], v[86:87], -v[80:81]
	v_add_f64 v[118:119], v[86:87], -v[116:117]
	;; [unrolled: 1-line block ×4, first 2 shown]
	v_add_f64 v[10:11], v[10:11], v[80:81]
	v_add_f64 v[80:81], v[84:85], v[8:9]
	v_add_f64 v[116:117], v[80:81], -v[84:85]
	v_add_f64 v[118:119], v[80:81], -v[116:117]
	v_add_f64 v[10:11], v[80:81], v[10:11]
	v_add_f64 v[84:85], v[84:85], -v[118:119]
	v_add_f64 v[8:9], v[8:9], -v[116:117]
	v_add_f64 v[80:81], v[86:87], v[10:11]
	v_add_f64 v[8:9], v[8:9], v[84:85]
	v_add_f64 v[84:85], v[80:81], -v[86:87]
	v_add_f64 v[10:11], v[10:11], -v[84:85]
	v_add_f64 v[8:9], v[8:9], v[10:11]
	v_add_f64 v[8:9], v[80:81], v[8:9]
	v_cmp_class_f64_e64 vcc, v[6:7], s9
	v_cndmask_b32_e32 v8, v8, v6, vcc
	v_cndmask_b32_e32 v9, v9, v7, vcc
	v_cmp_ngt_f64_e32 vcc, 0, v[6:7]
	v_cndmask_b32_e32 v9, v92, v9, vcc
	v_cmp_nge_f64_e32 vcc, 0, v[6:7]
	v_cndmask_b32_e32 v8, 0, v8, vcc
	v_cmp_neq_f64_e32 vcc, 0, v[6:7]
	v_cndmask_b32_e32 v9, v93, v9, vcc
	v_add_f64 v[6:7], v[8:9], -v[4:5]
	v_frexp_mant_f64_e32 v[8:9], v[76:77]
	v_cmp_gt_f64_e32 vcc, s[28:29], v[8:9]
	v_cndmask_b32_e64 v75, v91, 2.0, vcc
	v_frexp_exp_i32_f64_e32 v10, v[76:77]
	v_mul_f64 v[8:9], v[8:9], v[74:75]
	v_subbrev_co_u32_e32 v75, vcc, 0, v10, vcc
	v_add_f64 v[10:11], v[8:9], 1.0
	v_rcp_f64_e32 v[80:81], v[10:11]
	v_add_f64 v[86:87], v[10:11], -1.0
	v_add_f64 v[84:85], v[8:9], -1.0
	v_add_f64 v[8:9], v[8:9], -v[86:87]
	v_fma_f64 v[86:87], -v[10:11], v[80:81], 1.0
	v_fmac_f64_e32 v[80:81], v[86:87], v[80:81]
	v_fma_f64 v[86:87], -v[10:11], v[80:81], 1.0
	v_fmac_f64_e32 v[80:81], v[86:87], v[80:81]
	v_mul_f64 v[86:87], v[84:85], v[80:81]
	v_mul_f64 v[116:117], v[10:11], v[86:87]
	v_fma_f64 v[10:11], v[86:87], v[10:11], -v[116:117]
	v_fmac_f64_e32 v[10:11], v[86:87], v[8:9]
	v_add_f64 v[8:9], v[116:117], v[10:11]
	v_add_f64 v[118:119], v[84:85], -v[8:9]
	v_add_f64 v[116:117], v[8:9], -v[116:117]
	;; [unrolled: 1-line block ×5, first 2 shown]
	v_add_f64 v[8:9], v[10:11], v[8:9]
	v_add_f64 v[8:9], v[118:119], v[8:9]
	v_mul_f64 v[8:9], v[80:81], v[8:9]
	v_add_f64 v[10:11], v[86:87], v[8:9]
	v_add_f64 v[80:81], v[10:11], -v[86:87]
	v_add_f64 v[8:9], v[8:9], -v[80:81]
	v_mul_f64 v[80:81], v[10:11], v[10:11]
	v_fma_f64 v[84:85], s[34:35], v[80:81], v[82:83]
	v_fma_f64 v[84:85], v[80:81], v[84:85], s[36:37]
	;; [unrolled: 1-line block ×6, first 2 shown]
	v_ldexp_f64 v[86:87], v[10:11], 1
	v_mul_f64 v[10:11], v[10:11], v[80:81]
	v_mul_f64 v[10:11], v[10:11], v[84:85]
	v_add_f64 v[80:81], v[86:87], v[10:11]
	v_add_f64 v[84:85], v[80:81], -v[86:87]
	v_ldexp_f64 v[8:9], v[8:9], 1
	v_add_f64 v[10:11], v[10:11], -v[84:85]
	v_add_f64 v[8:9], v[8:9], v[10:11]
	v_add_f64 v[10:11], v[80:81], v[8:9]
	v_add_f64 v[80:81], v[10:11], -v[80:81]
	v_add_f64 v[8:9], v[8:9], -v[80:81]
	v_cvt_f64_i32_e32 v[80:81], v75
	v_mul_f64 v[84:85], v[80:81], s[46:47]
	v_fma_f64 v[86:87], v[80:81], s[46:47], -v[84:85]
	v_fmac_f64_e32 v[86:87], s[48:49], v[80:81]
	v_add_f64 v[80:81], v[84:85], v[86:87]
	v_add_f64 v[84:85], v[80:81], -v[84:85]
	v_add_f64 v[84:85], v[86:87], -v[84:85]
	v_add_f64 v[86:87], v[80:81], v[10:11]
	v_add_f64 v[116:117], v[86:87], -v[80:81]
	v_add_f64 v[118:119], v[86:87], -v[116:117]
	;; [unrolled: 1-line block ×4, first 2 shown]
	v_add_f64 v[10:11], v[10:11], v[80:81]
	v_add_f64 v[80:81], v[84:85], v[8:9]
	v_add_f64 v[116:117], v[80:81], -v[84:85]
	v_add_f64 v[118:119], v[80:81], -v[116:117]
	v_add_f64 v[10:11], v[80:81], v[10:11]
	v_add_f64 v[84:85], v[84:85], -v[118:119]
	v_add_f64 v[8:9], v[8:9], -v[116:117]
	v_add_f64 v[80:81], v[86:87], v[10:11]
	v_add_f64 v[8:9], v[8:9], v[84:85]
	v_add_f64 v[84:85], v[80:81], -v[86:87]
	v_add_f64 v[10:11], v[10:11], -v[84:85]
	s_mov_b32 s0, 0
	v_add_f64 v[8:9], v[8:9], v[10:11]
	s_mov_b32 s1, 0x7ff00000
	v_add_f64 v[8:9], v[80:81], v[8:9]
	v_cmp_eq_f64_e32 vcc, s[0:1], v[76:77]
	v_cndmask_b32_e32 v8, v8, v76, vcc
	v_cndmask_b32_e32 v9, v9, v77, vcc
	v_cmp_neq_f64_e32 vcc, 0, v[76:77]
	v_cndmask_b32_e32 v9, v93, v9, vcc
	v_cndmask_b32_e32 v8, 0, v8, vcc
	v_mul_f64 v[78:79], v[76:77], v[4:5]
	v_add_f64 v[80:81], v[6:7], -v[8:9]
	v_frexp_exp_i32_f64_e32 v6, v[4:5]
	v_frexp_mant_f64_e32 v[4:5], v[4:5]
	v_cmp_gt_f64_e32 vcc, s[28:29], v[4:5]
	v_cndmask_b32_e64 v75, v91, 2.0, vcc
	v_mul_f64 v[4:5], v[4:5], v[74:75]
	v_subbrev_co_u32_e32 v75, vcc, 0, v6, vcc
	v_add_f64 v[6:7], v[4:5], 1.0
	v_rcp_f64_e32 v[8:9], v[6:7]
	v_add_f64 v[84:85], v[6:7], -1.0
	v_add_f64 v[10:11], v[4:5], -1.0
	v_add_f64 v[4:5], v[4:5], -v[84:85]
	v_fma_f64 v[84:85], -v[6:7], v[8:9], 1.0
	v_fmac_f64_e32 v[8:9], v[84:85], v[8:9]
	v_fma_f64 v[84:85], -v[6:7], v[8:9], 1.0
	v_fmac_f64_e32 v[8:9], v[84:85], v[8:9]
	v_mul_f64 v[84:85], v[10:11], v[8:9]
	v_mul_f64 v[86:87], v[6:7], v[84:85]
	v_fma_f64 v[6:7], v[84:85], v[6:7], -v[86:87]
	v_fmac_f64_e32 v[6:7], v[84:85], v[4:5]
	v_add_f64 v[4:5], v[86:87], v[6:7]
	v_add_f64 v[116:117], v[10:11], -v[4:5]
	v_add_f64 v[86:87], v[4:5], -v[86:87]
	;; [unrolled: 1-line block ×5, first 2 shown]
	v_add_f64 v[4:5], v[6:7], v[4:5]
	v_add_f64 v[4:5], v[116:117], v[4:5]
	v_mul_f64 v[4:5], v[8:9], v[4:5]
	v_add_f64 v[6:7], v[84:85], v[4:5]
	v_add_f64 v[8:9], v[6:7], -v[84:85]
	v_add_f64 v[4:5], v[4:5], -v[8:9]
	v_mul_f64 v[8:9], v[6:7], v[6:7]
	v_fmac_f64_e32 v[82:83], s[34:35], v[8:9]
	v_fma_f64 v[10:11], v[8:9], v[82:83], s[36:37]
	v_fma_f64 v[10:11], v[8:9], v[10:11], s[38:39]
	;; [unrolled: 1-line block ×5, first 2 shown]
	v_ldexp_f64 v[82:83], v[6:7], 1
	v_mul_f64 v[6:7], v[6:7], v[8:9]
	v_mul_f64 v[6:7], v[6:7], v[10:11]
	v_add_f64 v[8:9], v[82:83], v[6:7]
	v_add_f64 v[10:11], v[8:9], -v[82:83]
	v_ldexp_f64 v[4:5], v[4:5], 1
	v_add_f64 v[6:7], v[6:7], -v[10:11]
	v_add_f64 v[4:5], v[4:5], v[6:7]
	v_add_f64 v[6:7], v[8:9], v[4:5]
	v_add_f64 v[8:9], v[6:7], -v[8:9]
	v_add_f64 v[4:5], v[4:5], -v[8:9]
	v_cvt_f64_i32_e32 v[8:9], v75
	v_mul_f64 v[10:11], v[8:9], s[46:47]
	v_fma_f64 v[82:83], v[8:9], s[46:47], -v[10:11]
	v_fmac_f64_e32 v[82:83], s[48:49], v[8:9]
	v_add_f64 v[8:9], v[10:11], v[82:83]
	v_add_f64 v[10:11], v[8:9], -v[10:11]
	v_add_f64 v[10:11], v[82:83], -v[10:11]
	v_add_f64 v[82:83], v[8:9], v[6:7]
	v_add_f64 v[84:85], v[82:83], -v[8:9]
	v_add_f64 v[86:87], v[82:83], -v[84:85]
	;; [unrolled: 1-line block ×4, first 2 shown]
	v_add_f64 v[6:7], v[6:7], v[8:9]
	v_add_f64 v[8:9], v[10:11], v[4:5]
	v_add_f64 v[84:85], v[8:9], -v[10:11]
	v_add_f64 v[86:87], v[8:9], -v[84:85]
	v_add_f64 v[6:7], v[8:9], v[6:7]
	v_add_f64 v[10:11], v[10:11], -v[86:87]
	v_add_f64 v[4:5], v[4:5], -v[84:85]
	v_add_f64 v[8:9], v[82:83], v[6:7]
	v_add_f64 v[4:5], v[4:5], v[10:11]
	v_add_f64 v[10:11], v[8:9], -v[82:83]
	v_add_f64 v[6:7], v[6:7], -v[10:11]
	v_add_f64 v[4:5], v[4:5], v[6:7]
	v_add_f64 v[82:83], v[8:9], v[4:5]
	s_mov_b64 s[12:13], 0
	s_mov_b64 s[14:15], 0
	v_mov_b32_e32 v116, v17
                                        ; implicit-def: $vgpr75
.LBB71_13:                              ;   Parent Loop BB71_5 Depth=1
                                        ; =>  This Inner Loop Header: Depth=2
	v_add_u32_e32 v117, 1, v15
	v_pk_mov_b32 v[10:11], v[2:3], v[2:3] op_sel:[0,1]
	v_cmp_eq_u32_e32 vcc, 4, v117
	v_pk_mov_b32 v[8:9], v[0:1], v[0:1] op_sel:[0,1]
	v_mov_b32_e32 v87, v0
	v_mov_b32_e32 v86, v1
	;; [unrolled: 1-line block ×4, first 2 shown]
	s_and_saveexec_b64 s[0:1], vcc
	s_cbranch_execz .LBB71_15
; %bb.14:                               ;   in Loop: Header=BB71_13 Depth=2
	v_add_co_u32_e32 v97, vcc, 1, v97
	v_cndmask_b32_e64 v4, 0, 1, vcc
	v_addc_co_u32_e32 v98, vcc, 0, v98, vcc
	v_cmp_eq_u32_e32 vcc, 0, v98
	v_cndmask_b32_e32 v4, 0, v4, vcc
	v_add_u32_e32 v116, v4, v116
	v_cmp_eq_u32_e32 vcc, 0, v116
	v_cndmask_b32_e32 v4, 0, v4, vcc
	v_add_u32_e32 v74, v4, v74
	v_mad_u64_u32 v[4:5], s[2:3], v97, s11, 0
	v_mad_u64_u32 v[6:7], s[2:3], v116, s10, 0
	v_xor_b32_e32 v5, v5, v73
	v_xor_b32_e32 v7, v7, v72
	v_xor_b32_e32 v5, v74, v5
	v_xor_b32_e32 v7, v98, v7
	v_mad_u64_u32 v[10:11], s[2:3], v5, s10, 0
	v_mad_u64_u32 v[8:9], s[2:3], v7, s11, 0
	v_xor_b32_e32 v5, v99, v11
	v_xor_b32_e32 v5, v5, v6
	v_xor_b32_e32 v6, v100, v9
	v_xor_b32_e32 v6, v6, v4
	;; [unrolled: 6-line block ×10, first 2 shown]
	v_mov_b32_e32 v117, 0
	v_mov_b32_e32 v9, v86
	;; [unrolled: 1-line block ×5, first 2 shown]
.LBB71_15:                              ;   in Loop: Header=BB71_13 Depth=2
	s_or_b64 exec, exec, s[0:1]
	v_add_u32_e32 v118, 1, v117
	v_pk_mov_b32 v[4:5], v[8:9], v[8:9] op_sel:[0,1]
	v_cmp_eq_u32_e32 vcc, 4, v118
	v_pk_mov_b32 v[6:7], v[10:11], v[10:11] op_sel:[0,1]
	s_and_saveexec_b64 s[0:1], vcc
	s_cbranch_execz .LBB71_17
; %bb.16:                               ;   in Loop: Header=BB71_13 Depth=2
	v_add_co_u32_e32 v97, vcc, 1, v97
	v_cndmask_b32_e64 v4, 0, 1, vcc
	v_addc_co_u32_e32 v98, vcc, 0, v98, vcc
	v_cmp_eq_u32_e32 vcc, 0, v98
	v_cndmask_b32_e32 v4, 0, v4, vcc
	v_add_u32_e32 v116, v4, v116
	v_cmp_eq_u32_e32 vcc, 0, v116
	v_cndmask_b32_e32 v4, 0, v4, vcc
	v_add_u32_e32 v74, v4, v74
	v_mad_u64_u32 v[4:5], s[2:3], v97, s11, 0
	v_mad_u64_u32 v[6:7], s[2:3], v116, s10, 0
	v_xor_b32_e32 v5, v5, v73
	v_xor_b32_e32 v7, v7, v72
	v_xor_b32_e32 v5, v74, v5
	v_xor_b32_e32 v7, v98, v7
	v_mad_u64_u32 v[86:87], s[2:3], v5, s10, 0
	v_mad_u64_u32 v[84:85], s[2:3], v7, s11, 0
	v_xor_b32_e32 v5, v99, v87
	v_xor_b32_e32 v5, v5, v6
	v_xor_b32_e32 v6, v100, v85
	v_xor_b32_e32 v6, v6, v4
	;; [unrolled: 6-line block ×10, first 2 shown]
	v_mov_b32_e32 v118, 0
	v_mov_b32_e32 v5, v86
	;; [unrolled: 1-line block ×5, first 2 shown]
.LBB71_17:                              ;   in Loop: Header=BB71_13 Depth=2
	s_or_b64 exec, exec, s[0:1]
	v_cmp_eq_u32_e32 vcc, 1, v15
	v_cndmask_b32_e32 v0, v0, v1, vcc
	v_cmp_eq_u32_e32 vcc, 2, v15
	v_cndmask_b32_e32 v0, v0, v2, vcc
	;; [unrolled: 2-line block ×6, first 2 shown]
	v_lshrrev_b32_e32 v0, 11, v0
	v_cvt_f64_u32_e32 v[0:1], v0
	v_ldexp_f64 v[0:1], v[0:1], 32
	v_cvt_f64_u32_e32 v[2:3], v2
	v_add_f64 v[0:1], v[0:1], v[2:3]
	v_mov_b32_e32 v2, 0
	v_mov_b32_e32 v3, 0x3ca00000
	v_fmac_f64_e32 v[2:3], 0x3ca00000, v[0:1]
	v_add_f64 v[0:1], -v[2:3], 1.0
	v_div_scale_f64 v[8:9], s[0:1], v[2:3], v[2:3], v[0:1]
	v_rcp_f64_e32 v[10:11], v[8:9]
	v_mov_b32_e32 v119, 2
	v_fma_f64 v[120:121], -v[8:9], v[10:11], 1.0
	v_fmac_f64_e32 v[10:11], v[10:11], v[120:121]
	v_fma_f64 v[120:121], -v[8:9], v[10:11], 1.0
	v_fmac_f64_e32 v[10:11], v[10:11], v[120:121]
	v_div_scale_f64 v[120:121], vcc, v[0:1], v[2:3], v[0:1]
	v_mul_f64 v[122:123], v[120:121], v[10:11]
	v_fma_f64 v[8:9], -v[8:9], v[122:123], v[120:121]
	s_nop 1
	v_div_fmas_f64 v[8:9], v[8:9], v[10:11], v[122:123]
	v_div_fixup_f64 v[0:1], v[8:9], v[2:3], v[0:1]
	v_frexp_mant_f64_e32 v[2:3], v[0:1]
	v_cmp_gt_f64_e32 vcc, s[28:29], v[2:3]
	v_cndmask_b32_e64 v15, v91, 2.0, vcc
	v_frexp_exp_i32_f64_e32 v8, v[0:1]
	v_mul_f64 v[2:3], v[2:3], v[14:15]
	v_subbrev_co_u32_e32 v15, vcc, 0, v8, vcc
	v_add_f64 v[8:9], v[2:3], 1.0
	v_rcp_f64_e32 v[10:11], v[8:9]
	v_add_f64 v[122:123], v[8:9], -1.0
	v_add_f64 v[120:121], v[2:3], -1.0
	v_add_f64 v[2:3], v[2:3], -v[122:123]
	v_fma_f64 v[122:123], -v[8:9], v[10:11], 1.0
	v_fmac_f64_e32 v[10:11], v[122:123], v[10:11]
	v_fma_f64 v[122:123], -v[8:9], v[10:11], 1.0
	v_fmac_f64_e32 v[10:11], v[122:123], v[10:11]
	v_mul_f64 v[122:123], v[120:121], v[10:11]
	v_mul_f64 v[124:125], v[8:9], v[122:123]
	v_fma_f64 v[8:9], v[122:123], v[8:9], -v[124:125]
	v_fmac_f64_e32 v[8:9], v[122:123], v[2:3]
	v_add_f64 v[2:3], v[124:125], v[8:9]
	v_add_f64 v[126:127], v[120:121], -v[2:3]
	v_add_f64 v[124:125], v[2:3], -v[124:125]
	;; [unrolled: 1-line block ×5, first 2 shown]
	v_add_f64 v[2:3], v[8:9], v[2:3]
	v_add_f64 v[2:3], v[126:127], v[2:3]
	v_mul_f64 v[2:3], v[10:11], v[2:3]
	v_add_f64 v[8:9], v[122:123], v[2:3]
	v_add_f64 v[10:11], v[8:9], -v[122:123]
	v_add_f64 v[2:3], v[2:3], -v[10:11]
	v_mul_f64 v[10:11], v[8:9], v[8:9]
	v_pk_mov_b32 v[120:121], v[18:19], v[18:19] op_sel:[0,1]
	v_fmac_f64_e32 v[120:121], s[34:35], v[10:11]
	v_pk_mov_b32 v[122:123], v[20:21], v[20:21] op_sel:[0,1]
	v_fmac_f64_e32 v[122:123], v[10:11], v[120:121]
	;; [unrolled: 2-line block ×6, first 2 shown]
	v_ldexp_f64 v[120:121], v[8:9], 1
	v_mul_f64 v[8:9], v[8:9], v[10:11]
	v_mul_f64 v[8:9], v[8:9], v[122:123]
	v_add_f64 v[10:11], v[120:121], v[8:9]
	v_add_f64 v[120:121], v[10:11], -v[120:121]
	v_ldexp_f64 v[2:3], v[2:3], 1
	v_add_f64 v[8:9], v[8:9], -v[120:121]
	v_add_f64 v[2:3], v[2:3], v[8:9]
	v_add_f64 v[8:9], v[10:11], v[2:3]
	v_add_f64 v[10:11], v[8:9], -v[10:11]
	v_add_f64 v[2:3], v[2:3], -v[10:11]
	v_cvt_f64_i32_e32 v[10:11], v15
	v_mul_f64 v[120:121], v[10:11], s[46:47]
	v_fma_f64 v[122:123], v[10:11], s[46:47], -v[120:121]
	v_fmac_f64_e32 v[122:123], s[48:49], v[10:11]
	v_add_f64 v[10:11], v[120:121], v[122:123]
	v_add_f64 v[120:121], v[10:11], -v[120:121]
	v_add_f64 v[120:121], v[122:123], -v[120:121]
	v_add_f64 v[122:123], v[10:11], v[8:9]
	v_add_f64 v[124:125], v[122:123], -v[10:11]
	v_add_f64 v[126:127], v[122:123], -v[124:125]
	;; [unrolled: 1-line block ×4, first 2 shown]
	v_add_f64 v[8:9], v[8:9], v[10:11]
	v_add_f64 v[10:11], v[120:121], v[2:3]
	v_add_f64 v[124:125], v[10:11], -v[120:121]
	v_add_f64 v[126:127], v[10:11], -v[124:125]
	v_add_f64 v[8:9], v[10:11], v[8:9]
	v_add_f64 v[120:121], v[120:121], -v[126:127]
	v_add_f64 v[2:3], v[2:3], -v[124:125]
	v_add_f64 v[10:11], v[122:123], v[8:9]
	v_add_f64 v[2:3], v[2:3], v[120:121]
	v_add_f64 v[120:121], v[10:11], -v[122:123]
	v_add_f64 v[8:9], v[8:9], -v[120:121]
	v_add_f64 v[2:3], v[2:3], v[8:9]
	v_add_f64 v[2:3], v[10:11], v[2:3]
	v_cmp_class_f64_e64 vcc, v[0:1], s9
	v_cndmask_b32_e32 v2, v2, v0, vcc
	v_cndmask_b32_e32 v3, v3, v1, vcc
	v_cmp_ngt_f64_e32 vcc, 0, v[0:1]
	v_cndmask_b32_e32 v3, v92, v3, vcc
	v_cmp_nge_f64_e32 vcc, 0, v[0:1]
	v_cndmask_b32_e32 v2, 0, v2, vcc
	v_cmp_neq_f64_e32 vcc, 0, v[0:1]
	v_cndmask_b32_e32 v3, v93, v3, vcc
	v_add_f64 v[0:1], v[78:79], -v[2:3]
	v_div_scale_f64 v[2:3], s[0:1], v[76:77], v[76:77], v[0:1]
	v_rcp_f64_e32 v[8:9], v[2:3]
	v_fma_f64 v[10:11], -v[2:3], v[8:9], 1.0
	v_fmac_f64_e32 v[8:9], v[8:9], v[10:11]
	v_fma_f64 v[10:11], -v[2:3], v[8:9], 1.0
	v_fmac_f64_e32 v[8:9], v[8:9], v[10:11]
	v_div_scale_f64 v[10:11], vcc, v[0:1], v[76:77], v[0:1]
	v_mul_f64 v[120:121], v[10:11], v[8:9]
	v_fma_f64 v[2:3], -v[2:3], v[120:121], v[10:11]
	s_nop 1
	v_div_fmas_f64 v[2:3], v[2:3], v[8:9], v[120:121]
	v_div_fixup_f64 v[10:11], v[2:3], v[76:77], v[0:1]
	v_add_f64 v[0:1], v[10:11], 0.5
	v_floor_f64_e32 v[8:9], v[0:1]
	v_cmp_ngt_f64_e32 vcc, 0, v[8:9]
	s_and_saveexec_b64 s[0:1], vcc
	s_cbranch_execz .LBB71_23
; %bb.18:                               ;   in Loop: Header=BB71_13 Depth=2
	v_add_u32_e32 v15, 1, v118
	v_pk_mov_b32 v[0:1], v[4:5], v[4:5] op_sel:[0,1]
	v_cmp_eq_u32_e32 vcc, 4, v15
	v_pk_mov_b32 v[2:3], v[6:7], v[6:7] op_sel:[0,1]
	s_and_saveexec_b64 s[2:3], vcc
	s_cbranch_execz .LBB71_20
; %bb.19:                               ;   in Loop: Header=BB71_13 Depth=2
	v_add_co_u32_e32 v97, vcc, 1, v97
	v_cndmask_b32_e64 v0, 0, 1, vcc
	v_addc_co_u32_e32 v98, vcc, 0, v98, vcc
	v_cmp_eq_u32_e32 vcc, 0, v98
	v_cndmask_b32_e32 v0, 0, v0, vcc
	v_add_u32_e32 v116, v0, v116
	v_cmp_eq_u32_e32 vcc, 0, v116
	v_cndmask_b32_e32 v0, 0, v0, vcc
	v_add_u32_e32 v74, v0, v74
	v_mad_u64_u32 v[0:1], vcc, v97, s11, 0
	v_mad_u64_u32 v[2:3], vcc, v116, s10, 0
	v_xor_b32_e32 v1, v1, v73
	v_xor_b32_e32 v3, v3, v72
	v_xor_b32_e32 v1, v74, v1
	v_xor_b32_e32 v3, v98, v3
	v_mad_u64_u32 v[86:87], vcc, v1, s10, 0
	v_mad_u64_u32 v[84:85], vcc, v3, s11, 0
	v_xor_b32_e32 v1, v99, v87
	v_xor_b32_e32 v1, v1, v2
	v_xor_b32_e32 v2, v100, v85
	v_xor_b32_e32 v2, v2, v0
	;; [unrolled: 6-line block ×10, first 2 shown]
	v_mov_b32_e32 v15, 0
	v_mov_b32_e32 v1, v86
	;; [unrolled: 1-line block ×5, first 2 shown]
.LBB71_20:                              ;   in Loop: Header=BB71_13 Depth=2
	s_or_b64 exec, exec, s[2:3]
	v_add_u32_e32 v117, 1, v15
	v_cmp_eq_u32_e32 vcc, 4, v117
	s_and_saveexec_b64 s[2:3], vcc
	s_cbranch_execz .LBB71_22
; %bb.21:                               ;   in Loop: Header=BB71_13 Depth=2
	v_add_co_u32_e32 v97, vcc, 1, v97
	v_cndmask_b32_e64 v84, 0, 1, vcc
	v_addc_co_u32_e32 v98, vcc, 0, v98, vcc
	v_cmp_eq_u32_e32 vcc, 0, v98
	v_cndmask_b32_e32 v84, 0, v84, vcc
	v_add_u32_e32 v116, v84, v116
	v_cmp_eq_u32_e32 vcc, 0, v116
	v_cndmask_b32_e32 v84, 0, v84, vcc
	v_add_u32_e32 v74, v84, v74
	v_mad_u64_u32 v[84:85], vcc, v97, s11, 0
	v_mad_u64_u32 v[86:87], vcc, v116, s10, 0
	v_xor_b32_e32 v85, v85, v73
	v_xor_b32_e32 v87, v87, v72
	v_xor_b32_e32 v85, v74, v85
	v_xor_b32_e32 v87, v98, v87
	v_mad_u64_u32 v[122:123], vcc, v85, s10, 0
	v_mad_u64_u32 v[120:121], vcc, v87, s11, 0
	v_xor_b32_e32 v85, v99, v123
	v_xor_b32_e32 v85, v85, v86
	v_xor_b32_e32 v86, v100, v121
	v_xor_b32_e32 v86, v86, v84
	;; [unrolled: 6-line block ×9, first 2 shown]
	v_mad_u64_u32 v[84:85], vcc, v84, s11, 0
	v_mad_u64_u32 v[86:87], vcc, v86, s10, 0
	v_xor_b32_e32 v87, v87, v126
	v_xor_b32_e32 v85, v85, v124
	v_mov_b32_e32 v117, 0
	v_xor_b32_e32 v87, v106, v87
	v_xor_b32_e32 v85, v96, v85
.LBB71_22:                              ;   in Loop: Header=BB71_13 Depth=2
	s_or_b64 exec, exec, s[2:3]
	v_cmp_eq_u32_e32 vcc, 1, v118
	v_cndmask_b32_e32 v4, v4, v5, vcc
	v_cmp_eq_u32_e32 vcc, 2, v118
	v_cndmask_b32_e32 v4, v4, v6, vcc
	;; [unrolled: 2-line block ×6, first 2 shown]
	v_lshrrev_b32_e32 v0, 11, v0
	v_cvt_f64_u32_e32 v[0:1], v0
	v_ldexp_f64 v[0:1], v[0:1], 32
	v_cvt_f64_u32_e32 v[2:3], v4
	v_add_f64 v[0:1], v[0:1], v[2:3]
	v_mov_b32_e32 v2, 0
	v_mov_b32_e32 v3, 0x3ca00000
	v_fma_f64 v[4:5], -v[76:77], v[10:11], v[78:79]
	v_fmac_f64_e32 v[2:3], 0x3ca00000, v[0:1]
	v_mul_f64 v[0:1], v[4:5], s[52:53]
	v_rndne_f64_e32 v[0:1], v[0:1]
	s_mov_b32 s54, s46
	v_fma_f64 v[6:7], s[54:55], v[0:1], v[4:5]
	s_mov_b32 s56, s48
	v_fmac_f64_e32 v[6:7], s[56:57], v[0:1]
	v_pk_mov_b32 v[10:11], v[30:31], v[30:31] op_sel:[0,1]
	v_fmac_f64_e32 v[10:11], s[58:59], v[6:7]
	v_pk_mov_b32 v[118:119], v[32:33], v[32:33] op_sel:[0,1]
	;; [unrolled: 2-line block ×9, first 2 shown]
	v_fmac_f64_e32 v[10:11], v[6:7], v[118:119]
	v_fma_f64 v[10:11], v[6:7], v[10:11], 1.0
	v_fma_f64 v[6:7], v[6:7], v[10:11], 1.0
	v_cvt_i32_f64_e32 v0, v[0:1]
	v_ldexp_f64 v[0:1], v[6:7], v0
	v_add_f64 v[0:1], v[0:1], 1.0
	v_cmp_nlt_f64_e32 vcc, s[62:63], v[4:5]
	v_cmp_ngt_f64_e64 s[2:3], s[64:65], v[4:5]
	v_cndmask_b32_e32 v1, v94, v1, vcc
	s_and_b64 vcc, s[2:3], vcc
	v_cndmask_b32_e64 v1, v91, v1, s[2:3]
	v_cndmask_b32_e32 v0, 0, v0, vcc
	v_mul_f64 v[0:1], v[0:1], v[0:1]
	v_div_scale_f64 v[6:7], s[2:3], v[0:1], v[0:1], v[2:3]
	v_rcp_f64_e32 v[10:11], v[6:7]
	s_mov_b32 s45, s29
	v_fma_f64 v[118:119], -v[6:7], v[10:11], 1.0
	v_fmac_f64_e32 v[10:11], v[10:11], v[118:119]
	v_fma_f64 v[118:119], -v[6:7], v[10:11], 1.0
	v_fmac_f64_e32 v[10:11], v[10:11], v[118:119]
	v_div_scale_f64 v[118:119], vcc, v[2:3], v[0:1], v[2:3]
	v_mul_f64 v[120:121], v[118:119], v[10:11]
	v_fma_f64 v[6:7], -v[6:7], v[120:121], v[118:119]
	s_nop 1
	v_div_fmas_f64 v[6:7], v[6:7], v[10:11], v[120:121]
	v_div_fixup_f64 v[2:3], v[6:7], v[0:1], v[2:3]
	v_frexp_mant_f64_e32 v[0:1], v[2:3]
	v_cmp_gt_f64_e32 vcc, s[28:29], v[0:1]
	v_cndmask_b32_e64 v15, v91, 2.0, vcc
	v_frexp_exp_i32_f64_e32 v6, v[2:3]
	v_mul_f64 v[0:1], v[0:1], v[14:15]
	v_subbrev_co_u32_e32 v15, vcc, 0, v6, vcc
	v_add_f64 v[6:7], v[0:1], 1.0
	v_rcp_f64_e32 v[10:11], v[6:7]
	v_add_f64 v[120:121], v[6:7], -1.0
	v_add_f64 v[118:119], v[0:1], -1.0
	v_add_f64 v[0:1], v[0:1], -v[120:121]
	v_fma_f64 v[120:121], -v[6:7], v[10:11], 1.0
	v_fmac_f64_e32 v[10:11], v[120:121], v[10:11]
	v_fma_f64 v[120:121], -v[6:7], v[10:11], 1.0
	v_fmac_f64_e32 v[10:11], v[120:121], v[10:11]
	v_mul_f64 v[120:121], v[118:119], v[10:11]
	v_mul_f64 v[122:123], v[6:7], v[120:121]
	v_fma_f64 v[6:7], v[120:121], v[6:7], -v[122:123]
	v_fmac_f64_e32 v[6:7], v[120:121], v[0:1]
	v_add_f64 v[0:1], v[122:123], v[6:7]
	v_add_f64 v[124:125], v[118:119], -v[0:1]
	v_add_f64 v[122:123], v[0:1], -v[122:123]
	v_add_f64 v[118:119], v[118:119], -v[124:125]
	v_add_f64 v[0:1], v[118:119], -v[0:1]
	v_add_f64 v[6:7], v[122:123], -v[6:7]
	v_add_f64 v[0:1], v[6:7], v[0:1]
	v_add_f64 v[0:1], v[124:125], v[0:1]
	v_mul_f64 v[0:1], v[10:11], v[0:1]
	v_add_f64 v[6:7], v[120:121], v[0:1]
	v_add_f64 v[10:11], v[6:7], -v[120:121]
	v_add_f64 v[10:11], v[0:1], -v[10:11]
	v_mul_f64 v[118:119], v[6:7], v[6:7]
	v_pk_mov_b32 v[0:1], s[30:31], s[30:31] op_sel:[0,1]
	v_fma_f64 v[120:121], s[34:35], v[118:119], v[0:1]
	v_fma_f64 v[120:121], v[118:119], v[120:121], s[36:37]
	;; [unrolled: 1-line block ×6, first 2 shown]
	v_ldexp_f64 v[122:123], v[6:7], 1
	v_mul_f64 v[6:7], v[6:7], v[118:119]
	v_mul_f64 v[6:7], v[6:7], v[120:121]
	v_add_f64 v[118:119], v[122:123], v[6:7]
	v_add_f64 v[120:121], v[118:119], -v[122:123]
	v_ldexp_f64 v[10:11], v[10:11], 1
	v_add_f64 v[6:7], v[6:7], -v[120:121]
	v_add_f64 v[6:7], v[10:11], v[6:7]
	v_add_f64 v[10:11], v[118:119], v[6:7]
	v_add_f64 v[118:119], v[10:11], -v[118:119]
	v_add_f64 v[6:7], v[6:7], -v[118:119]
	v_cvt_f64_i32_e32 v[118:119], v15
	v_mul_f64 v[120:121], v[118:119], s[46:47]
	v_fma_f64 v[122:123], v[118:119], s[46:47], -v[120:121]
	v_fmac_f64_e32 v[122:123], s[48:49], v[118:119]
	v_add_f64 v[118:119], v[120:121], v[122:123]
	v_add_f64 v[120:121], v[118:119], -v[120:121]
	v_add_f64 v[120:121], v[122:123], -v[120:121]
	v_add_f64 v[122:123], v[118:119], v[10:11]
	v_add_f64 v[124:125], v[122:123], -v[118:119]
	v_add_f64 v[126:127], v[122:123], -v[124:125]
	;; [unrolled: 1-line block ×4, first 2 shown]
	v_add_f64 v[10:11], v[10:11], v[118:119]
	v_add_f64 v[118:119], v[120:121], v[6:7]
	v_add_f64 v[124:125], v[118:119], -v[120:121]
	v_add_f64 v[126:127], v[118:119], -v[124:125]
	v_add_f64 v[10:11], v[118:119], v[10:11]
	v_add_f64 v[120:121], v[120:121], -v[126:127]
	v_add_f64 v[6:7], v[6:7], -v[124:125]
	v_add_f64 v[118:119], v[122:123], v[10:11]
	v_add_f64 v[6:7], v[6:7], v[120:121]
	v_add_f64 v[120:121], v[118:119], -v[122:123]
	v_add_f64 v[10:11], v[10:11], -v[120:121]
	v_add_f64 v[6:7], v[6:7], v[10:11]
	v_add_f64 v[6:7], v[118:119], v[6:7]
	v_cmp_class_f64_e64 vcc, v[2:3], s9
	v_cndmask_b32_e32 v15, v6, v2, vcc
	v_cndmask_b32_e32 v6, v7, v3, vcc
	v_cmp_neq_f64_e32 vcc, 0, v[2:3]
	v_cndmask_b32_e32 v3, v93, v6, vcc
	v_add_f64 v[6:7], v[8:9], 1.0
	v_add_f64 v[6:7], v[6:7], -1.0
	v_add_f64 v[118:119], v[6:7], s[66:67]
	v_div_scale_f64 v[10:11], s[2:3], v[118:119], v[118:119], s[68:69]
	v_rcp_f64_e32 v[120:121], v[10:11]
	v_cndmask_b32_e32 v2, 0, v15, vcc
	v_add_f64 v[2:3], v[4:5], v[2:3]
	v_fma_f64 v[4:5], v[82:83], v[8:9], v[80:81]
	v_fma_f64 v[122:123], -v[10:11], v[120:121], 1.0
	v_fmac_f64_e32 v[120:121], v[120:121], v[122:123]
	v_fma_f64 v[122:123], -v[10:11], v[120:121], 1.0
	v_fmac_f64_e32 v[120:121], v[120:121], v[122:123]
	v_div_scale_f64 v[122:123], vcc, s[68:69], v[118:119], s[68:69]
	v_mul_f64 v[124:125], v[122:123], v[120:121]
	v_fma_f64 v[122:123], -v[10:11], v[124:125], v[122:123]
	v_add_f64 v[10:11], v[6:7], s[70:71]
	v_div_scale_f64 v[126:127], s[2:3], v[10:11], v[10:11], s[72:73]
	v_rcp_f64_e32 v[128:129], v[126:127]
	v_div_fmas_f64 v[120:121], v[122:123], v[120:121], v[124:125]
	v_div_fixup_f64 v[118:119], v[120:121], v[118:119], s[68:69]
	v_add_f64 v[124:125], v[6:7], s[74:75]
	v_fma_f64 v[120:121], -v[126:127], v[128:129], 1.0
	v_fmac_f64_e32 v[128:129], v[128:129], v[120:121]
	v_fma_f64 v[120:121], -v[126:127], v[128:129], 1.0
	v_fmac_f64_e32 v[128:129], v[128:129], v[120:121]
	v_div_scale_f64 v[120:121], vcc, s[72:73], v[10:11], s[72:73]
	v_mul_f64 v[122:123], v[120:121], v[128:129]
	v_fma_f64 v[120:121], -v[126:127], v[122:123], v[120:121]
	v_div_scale_f64 v[126:127], s[2:3], v[124:125], v[124:125], s[76:77]
	v_rcp_f64_e32 v[130:131], v[126:127]
	v_div_fmas_f64 v[120:121], v[120:121], v[128:129], v[122:123]
	v_add_f64 v[118:119], v[118:119], 0
	v_div_fixup_f64 v[120:121], v[120:121], v[10:11], s[72:73]
	v_add_f64 v[118:119], v[120:121], v[118:119]
	v_fma_f64 v[120:121], -v[126:127], v[130:131], 1.0
	v_fmac_f64_e32 v[130:131], v[130:131], v[120:121]
	v_fma_f64 v[120:121], -v[126:127], v[130:131], 1.0
	v_fmac_f64_e32 v[130:131], v[130:131], v[120:121]
	v_div_scale_f64 v[120:121], vcc, s[76:77], v[124:125], s[76:77]
	v_mul_f64 v[122:123], v[120:121], v[130:131]
	v_fma_f64 v[120:121], -v[126:127], v[122:123], v[120:121]
	v_add_f64 v[126:127], v[6:7], s[78:79]
	v_div_scale_f64 v[128:129], s[2:3], v[126:127], v[126:127], s[80:81]
	v_rcp_f64_e32 v[132:133], v[128:129]
	v_div_fmas_f64 v[120:121], v[120:121], v[130:131], v[122:123]
	v_div_fixup_f64 v[120:121], v[120:121], v[124:125], s[76:77]
	v_add_f64 v[118:119], v[118:119], v[120:121]
	v_fma_f64 v[120:121], -v[128:129], v[132:133], 1.0
	v_fmac_f64_e32 v[132:133], v[132:133], v[120:121]
	v_fma_f64 v[120:121], -v[128:129], v[132:133], 1.0
	v_fmac_f64_e32 v[132:133], v[132:133], v[120:121]
	v_div_scale_f64 v[120:121], vcc, s[80:81], v[126:127], s[80:81]
	v_mul_f64 v[122:123], v[120:121], v[132:133]
	v_add_f64 v[124:125], v[6:7], 4.0
	v_fma_f64 v[120:121], -v[128:129], v[122:123], v[120:121]
	v_div_scale_f64 v[128:129], s[2:3], v[124:125], v[124:125], s[82:83]
	v_rcp_f64_e32 v[130:131], v[128:129]
	v_div_fmas_f64 v[120:121], v[120:121], v[132:133], v[122:123]
	v_div_fixup_f64 v[120:121], v[120:121], v[126:127], s[80:81]
	v_add_f64 v[118:119], v[120:121], v[118:119]
	v_fma_f64 v[120:121], -v[128:129], v[130:131], 1.0
	v_fmac_f64_e32 v[130:131], v[130:131], v[120:121]
	v_fma_f64 v[120:121], -v[128:129], v[130:131], 1.0
	v_fmac_f64_e32 v[130:131], v[130:131], v[120:121]
	v_div_scale_f64 v[120:121], vcc, s[82:83], v[124:125], s[82:83]
	v_mul_f64 v[122:123], v[120:121], v[130:131]
	v_add_f64 v[126:127], v[6:7], s[22:23]
	v_fma_f64 v[120:121], -v[128:129], v[122:123], v[120:121]
	v_div_scale_f64 v[128:129], s[2:3], v[126:127], v[126:127], s[84:85]
	v_rcp_f64_e32 v[132:133], v[128:129]
	v_div_fmas_f64 v[120:121], v[120:121], v[130:131], v[122:123]
	v_div_fixup_f64 v[120:121], v[120:121], v[124:125], s[82:83]
	v_add_f64 v[118:119], v[118:119], v[120:121]
	v_fma_f64 v[120:121], -v[128:129], v[132:133], 1.0
	v_fmac_f64_e32 v[132:133], v[132:133], v[120:121]
	v_fma_f64 v[120:121], -v[128:129], v[132:133], 1.0
	v_fmac_f64_e32 v[132:133], v[132:133], v[120:121]
	v_div_scale_f64 v[120:121], vcc, s[84:85], v[126:127], s[84:85]
	v_mul_f64 v[122:123], v[120:121], v[132:133]
	v_add_f64 v[124:125], v[6:7], 2.0
	v_fma_f64 v[120:121], -v[128:129], v[122:123], v[120:121]
	v_div_scale_f64 v[128:129], s[2:3], v[124:125], v[124:125], s[86:87]
	v_rcp_f64_e32 v[130:131], v[128:129]
	v_div_fmas_f64 v[120:121], v[120:121], v[132:133], v[122:123]
	v_div_fixup_f64 v[120:121], v[120:121], v[126:127], s[84:85]
	v_add_f64 v[118:119], v[120:121], v[118:119]
	v_fma_f64 v[120:121], -v[128:129], v[130:131], 1.0
	v_fmac_f64_e32 v[130:131], v[130:131], v[120:121]
	v_fma_f64 v[120:121], -v[128:129], v[130:131], 1.0
	v_fmac_f64_e32 v[130:131], v[130:131], v[120:121]
	v_div_scale_f64 v[120:121], vcc, s[86:87], v[124:125], s[86:87]
	v_mul_f64 v[122:123], v[120:121], v[130:131]
	v_add_f64 v[126:127], v[6:7], 1.0
	v_fma_f64 v[120:121], -v[128:129], v[122:123], v[120:121]
	v_div_scale_f64 v[128:129], s[2:3], v[126:127], v[126:127], s[88:89]
	v_rcp_f64_e32 v[132:133], v[128:129]
	v_div_fmas_f64 v[120:121], v[120:121], v[130:131], v[122:123]
	v_div_fixup_f64 v[120:121], v[120:121], v[124:125], s[86:87]
	v_add_f64 v[118:119], v[118:119], v[120:121]
	v_fma_f64 v[120:121], -v[128:129], v[132:133], 1.0
	v_fmac_f64_e32 v[132:133], v[132:133], v[120:121]
	v_fma_f64 v[120:121], -v[128:129], v[132:133], 1.0
	v_fmac_f64_e32 v[132:133], v[132:133], v[120:121]
	v_div_scale_f64 v[120:121], vcc, s[88:89], v[126:127], s[88:89]
	v_mul_f64 v[122:123], v[120:121], v[132:133]
	v_fma_f64 v[120:121], -v[128:129], v[122:123], v[120:121]
	v_add_f64 v[10:11], v[10:11], 0.5
	s_nop 0
	v_div_fmas_f64 v[120:121], v[120:121], v[132:133], v[122:123]
	v_div_fixup_f64 v[120:121], v[120:121], v[126:127], s[88:89]
	v_add_f64 v[118:119], v[120:121], v[118:119]
	v_add_f64 v[118:119], v[118:119], s[90:91]
	v_frexp_mant_f64_e32 v[120:121], v[118:119]
	v_cmp_gt_f64_e32 vcc, s[28:29], v[120:121]
	v_cndmask_b32_e64 v15, v91, 2.0, vcc
	v_frexp_exp_i32_f64_e32 v122, v[118:119]
	v_mul_f64 v[120:121], v[120:121], v[14:15]
	v_subbrev_co_u32_e32 v15, vcc, 0, v122, vcc
	v_add_f64 v[122:123], v[120:121], 1.0
	v_rcp_f64_e32 v[124:125], v[122:123]
	v_add_f64 v[128:129], v[122:123], -1.0
	v_add_f64 v[126:127], v[120:121], -1.0
	v_add_f64 v[120:121], v[120:121], -v[128:129]
	v_fma_f64 v[128:129], -v[122:123], v[124:125], 1.0
	v_fmac_f64_e32 v[124:125], v[128:129], v[124:125]
	v_fma_f64 v[128:129], -v[122:123], v[124:125], 1.0
	v_fmac_f64_e32 v[124:125], v[128:129], v[124:125]
	v_mul_f64 v[128:129], v[126:127], v[124:125]
	v_mul_f64 v[130:131], v[122:123], v[128:129]
	v_fma_f64 v[122:123], v[128:129], v[122:123], -v[130:131]
	v_fmac_f64_e32 v[122:123], v[128:129], v[120:121]
	v_add_f64 v[120:121], v[130:131], v[122:123]
	v_add_f64 v[132:133], v[126:127], -v[120:121]
	v_add_f64 v[130:131], v[120:121], -v[130:131]
	;; [unrolled: 1-line block ×5, first 2 shown]
	v_add_f64 v[120:121], v[122:123], v[120:121]
	v_add_f64 v[120:121], v[132:133], v[120:121]
	v_mul_f64 v[120:121], v[124:125], v[120:121]
	v_add_f64 v[122:123], v[128:129], v[120:121]
	v_add_f64 v[124:125], v[122:123], -v[128:129]
	v_add_f64 v[120:121], v[120:121], -v[124:125]
	v_mul_f64 v[124:125], v[122:123], v[122:123]
	v_fma_f64 v[126:127], s[34:35], v[124:125], v[0:1]
	v_fma_f64 v[126:127], v[124:125], v[126:127], s[36:37]
	;; [unrolled: 1-line block ×6, first 2 shown]
	v_ldexp_f64 v[128:129], v[122:123], 1
	v_mul_f64 v[122:123], v[122:123], v[124:125]
	v_mul_f64 v[122:123], v[122:123], v[126:127]
	v_add_f64 v[124:125], v[128:129], v[122:123]
	v_add_f64 v[126:127], v[124:125], -v[128:129]
	v_ldexp_f64 v[120:121], v[120:121], 1
	v_add_f64 v[122:123], v[122:123], -v[126:127]
	v_add_f64 v[120:121], v[120:121], v[122:123]
	v_add_f64 v[122:123], v[124:125], v[120:121]
	v_add_f64 v[124:125], v[122:123], -v[124:125]
	v_add_f64 v[120:121], v[120:121], -v[124:125]
	v_cvt_f64_i32_e32 v[124:125], v15
	v_mul_f64 v[126:127], v[124:125], s[46:47]
	v_fma_f64 v[128:129], v[124:125], s[46:47], -v[126:127]
	v_fmac_f64_e32 v[128:129], s[48:49], v[124:125]
	v_add_f64 v[124:125], v[126:127], v[128:129]
	v_add_f64 v[126:127], v[124:125], -v[126:127]
	v_add_f64 v[126:127], v[128:129], -v[126:127]
	v_add_f64 v[128:129], v[124:125], v[122:123]
	v_add_f64 v[130:131], v[128:129], -v[124:125]
	v_add_f64 v[132:133], v[128:129], -v[130:131]
	;; [unrolled: 1-line block ×4, first 2 shown]
	v_add_f64 v[122:123], v[122:123], v[124:125]
	v_add_f64 v[124:125], v[126:127], v[120:121]
	v_add_f64 v[130:131], v[124:125], -v[126:127]
	v_add_f64 v[132:133], v[124:125], -v[130:131]
	v_add_f64 v[122:123], v[124:125], v[122:123]
	v_add_f64 v[126:127], v[126:127], -v[132:133]
	v_add_f64 v[120:121], v[120:121], -v[130:131]
	v_add_f64 v[124:125], v[128:129], v[122:123]
	v_add_f64 v[120:121], v[120:121], v[126:127]
	v_add_f64 v[126:127], v[124:125], -v[128:129]
	v_add_f64 v[122:123], v[122:123], -v[126:127]
	v_add_f64 v[120:121], v[120:121], v[122:123]
	v_add_f64 v[120:121], v[124:125], v[120:121]
	v_cmp_class_f64_e64 vcc, v[118:119], s9
	v_div_scale_f64 v[122:123], s[2:3], s[20:21], s[20:21], v[10:11]
	v_cndmask_b32_e32 v121, v121, v119, vcc
	v_cndmask_b32_e32 v120, v120, v118, vcc
	v_rcp_f64_e32 v[124:125], v[122:123]
	v_add_f64 v[120:121], v[120:121], s[92:93]
	v_add_f64 v[120:121], v[120:121], s[94:95]
	v_cmp_ngt_f64_e32 vcc, 0, v[118:119]
	v_cndmask_b32_e32 v15, v92, v121, vcc
	v_cmp_nge_f64_e32 vcc, 0, v[118:119]
	v_cndmask_b32_e32 v120, 0, v120, vcc
	v_cmp_neq_f64_e32 vcc, 0, v[118:119]
	v_fma_f64 v[118:119], -v[122:123], v[124:125], 1.0
	v_fmac_f64_e32 v[124:125], v[124:125], v[118:119]
	v_fma_f64 v[118:119], -v[122:123], v[124:125], 1.0
	v_cndmask_b32_e32 v121, v93, v15, vcc
	v_fmac_f64_e32 v[124:125], v[124:125], v[118:119]
	v_div_scale_f64 v[118:119], vcc, v[10:11], s[20:21], v[10:11]
	v_mul_f64 v[126:127], v[118:119], v[124:125]
	v_fma_f64 v[118:119], -v[122:123], v[126:127], v[118:119]
	v_add_f64 v[6:7], v[6:7], 0.5
	s_nop 0
	v_div_fmas_f64 v[118:119], v[118:119], v[124:125], v[126:127]
	v_div_fixup_f64 v[10:11], v[118:119], s[20:21], v[10:11]
	v_frexp_mant_f64_e32 v[118:119], v[10:11]
	v_cmp_gt_f64_e32 vcc, s[28:29], v[118:119]
	v_cndmask_b32_e64 v15, v91, 2.0, vcc
	v_frexp_exp_i32_f64_e32 v122, v[10:11]
	v_mul_f64 v[118:119], v[118:119], v[14:15]
	v_subbrev_co_u32_e32 v15, vcc, 0, v122, vcc
	v_add_f64 v[122:123], v[118:119], 1.0
	v_rcp_f64_e32 v[124:125], v[122:123]
	v_add_f64 v[128:129], v[122:123], -1.0
	v_add_f64 v[126:127], v[118:119], -1.0
	v_add_f64 v[118:119], v[118:119], -v[128:129]
	v_fma_f64 v[128:129], -v[122:123], v[124:125], 1.0
	v_fmac_f64_e32 v[124:125], v[128:129], v[124:125]
	v_fma_f64 v[128:129], -v[122:123], v[124:125], 1.0
	v_fmac_f64_e32 v[124:125], v[128:129], v[124:125]
	v_mul_f64 v[128:129], v[126:127], v[124:125]
	v_mul_f64 v[130:131], v[122:123], v[128:129]
	v_fma_f64 v[122:123], v[128:129], v[122:123], -v[130:131]
	v_fmac_f64_e32 v[122:123], v[128:129], v[118:119]
	v_add_f64 v[118:119], v[130:131], v[122:123]
	v_add_f64 v[132:133], v[126:127], -v[118:119]
	v_add_f64 v[130:131], v[118:119], -v[130:131]
	;; [unrolled: 1-line block ×5, first 2 shown]
	v_add_f64 v[118:119], v[122:123], v[118:119]
	v_add_f64 v[118:119], v[132:133], v[118:119]
	v_mul_f64 v[118:119], v[124:125], v[118:119]
	v_add_f64 v[122:123], v[128:129], v[118:119]
	v_add_f64 v[124:125], v[122:123], -v[128:129]
	v_add_f64 v[118:119], v[118:119], -v[124:125]
	v_mul_f64 v[124:125], v[122:123], v[122:123]
	v_fmac_f64_e32 v[0:1], s[34:35], v[124:125]
	v_fma_f64 v[0:1], v[124:125], v[0:1], s[36:37]
	v_fma_f64 v[0:1], v[124:125], v[0:1], s[38:39]
	;; [unrolled: 1-line block ×5, first 2 shown]
	v_ldexp_f64 v[126:127], v[122:123], 1
	v_mul_f64 v[122:123], v[122:123], v[124:125]
	v_mul_f64 v[0:1], v[122:123], v[0:1]
	v_add_f64 v[122:123], v[126:127], v[0:1]
	v_add_f64 v[124:125], v[122:123], -v[126:127]
	v_ldexp_f64 v[118:119], v[118:119], 1
	v_add_f64 v[0:1], v[0:1], -v[124:125]
	v_add_f64 v[0:1], v[118:119], v[0:1]
	v_add_f64 v[118:119], v[122:123], v[0:1]
	v_add_f64 v[122:123], v[118:119], -v[122:123]
	v_add_f64 v[0:1], v[0:1], -v[122:123]
	v_cvt_f64_i32_e32 v[122:123], v15
	v_mul_f64 v[124:125], v[122:123], s[46:47]
	v_fma_f64 v[126:127], v[122:123], s[46:47], -v[124:125]
	v_fmac_f64_e32 v[126:127], s[48:49], v[122:123]
	v_add_f64 v[122:123], v[124:125], v[126:127]
	v_add_f64 v[124:125], v[122:123], -v[124:125]
	v_add_f64 v[124:125], v[126:127], -v[124:125]
	v_add_f64 v[126:127], v[122:123], v[118:119]
	v_add_f64 v[128:129], v[126:127], -v[122:123]
	v_add_f64 v[130:131], v[126:127], -v[128:129]
	;; [unrolled: 1-line block ×4, first 2 shown]
	v_add_f64 v[118:119], v[118:119], v[122:123]
	v_add_f64 v[122:123], v[124:125], v[0:1]
	v_add_f64 v[128:129], v[122:123], -v[124:125]
	v_add_f64 v[130:131], v[122:123], -v[128:129]
	v_add_f64 v[118:119], v[122:123], v[118:119]
	v_add_f64 v[124:125], v[124:125], -v[130:131]
	v_add_f64 v[0:1], v[0:1], -v[128:129]
	v_add_f64 v[122:123], v[126:127], v[118:119]
	v_add_f64 v[0:1], v[0:1], v[124:125]
	v_add_f64 v[124:125], v[122:123], -v[126:127]
	v_add_f64 v[118:119], v[118:119], -v[124:125]
	v_add_f64 v[0:1], v[0:1], v[118:119]
	v_add_f64 v[0:1], v[122:123], v[0:1]
	v_cmp_class_f64_e64 vcc, v[10:11], s9
	v_cndmask_b32_e32 v0, v0, v10, vcc
	v_cndmask_b32_e32 v1, v1, v11, vcc
	v_cmp_ngt_f64_e32 vcc, 0, v[10:11]
	v_cndmask_b32_e32 v1, v92, v1, vcc
	v_cmp_nge_f64_e32 vcc, 0, v[10:11]
	v_cndmask_b32_e32 v0, 0, v0, vcc
	v_cmp_neq_f64_e32 vcc, 0, v[10:11]
	v_cndmask_b32_e32 v1, v93, v1, vcc
	v_fmac_f64_e32 v[120:121], v[6:7], v[0:1]
	v_add_f64 v[0:1], v[4:5], -v[120:121]
	v_cvt_u32_f64_e32 v4, v[8:9]
	v_cmp_le_f64_e32 vcc, v[2:3], v[0:1]
	v_cndmask_b32_e64 v119, 0, 1, vcc
	v_cndmask_b32_e32 v75, v75, v4, vcc
	v_mov_b32_e32 v118, v117
.LBB71_23:                              ;   in Loop: Header=BB71_13 Depth=2
	s_or_b64 exec, exec, s[0:1]
	v_cmp_gt_i32_e32 vcc, 2, v119
	s_or_b64 s[14:15], vcc, s[14:15]
	v_mov_b32_e32 v15, v118
	v_mov_b32_e32 v0, v87
	;; [unrolled: 1-line block ×5, first 2 shown]
	s_andn2_b64 exec, exec, s[14:15]
	s_cbranch_execnz .LBB71_13
; %bb.24:                               ;   in Loop: Header=BB71_13 Depth=2
	s_or_b64 exec, exec, s[14:15]
	v_cmp_ne_u32_e32 vcc, 0, v119
	s_or_b64 s[12:13], vcc, s[12:13]
	s_mov_b64 s[14:15], 0
	v_mov_b32_e32 v15, v118
	v_mov_b32_e32 v0, v87
	;; [unrolled: 1-line block ×5, first 2 shown]
	s_andn2_b64 exec, exec, s[12:13]
	s_cbranch_execnz .LBB71_13
; %bb.25:                               ;   in Loop: Header=BB71_5 Depth=1
	s_or_b64 exec, exec, s[12:13]
	v_readlane_b32 s45, v134, 14
                                        ; implicit-def: $vgpr72_vgpr73
                                        ; implicit-def: $vgpr15
                                        ; implicit-def: $vgpr97
                                        ; implicit-def: $vgpr98
                                        ; implicit-def: $vgpr106
                                        ; implicit-def: $vgpr96
                                        ; implicit-def: $vgpr3
                                        ; implicit-def: $vgpr4_vgpr5
                                        ; implicit-def: $vgpr99
                                        ; implicit-def: $vgpr100
                                        ; implicit-def: $vgpr101
                                        ; implicit-def: $vgpr102
                                        ; implicit-def: $vgpr104
                                        ; implicit-def: $vgpr105
                                        ; implicit-def: $vgpr107
                                        ; implicit-def: $vgpr108
                                        ; implicit-def: $vgpr109
                                        ; implicit-def: $vgpr110
                                        ; implicit-def: $vgpr111
                                        ; implicit-def: $vgpr112
                                        ; implicit-def: $vgpr113
                                        ; implicit-def: $vgpr114
                                        ; implicit-def: $vgpr103
                                        ; implicit-def: $vgpr115
.LBB71_26:                              ;   in Loop: Header=BB71_5 Depth=1
	s_andn2_saveexec_b64 s[0:1], s[6:7]
	s_cbranch_execz .LBB71_38
; %bb.27:                               ;   in Loop: Header=BB71_5 Depth=1
	v_add_co_u32_e32 v6, vcc, 1, v97
	v_cndmask_b32_e64 v7, 0, 1, vcc
	v_addc_co_u32_e32 v10, vcc, 0, v98, vcc
	v_cmp_eq_u32_e32 vcc, 0, v10
	v_cndmask_b32_e32 v7, 0, v7, vcc
	v_add_u32_e32 v8, v7, v17
	v_cmp_eq_u32_e32 vcc, 0, v8
	v_cndmask_b32_e32 v11, 0, v7, vcc
	v_mad_u64_u32 v[6:7], s[2:3], v6, s11, 0
	v_mad_u64_u32 v[8:9], s[2:3], v8, s10, 0
	v_xor_b32_e32 v7, v7, v73
	v_xor_b32_e32 v9, v9, v72
	v_xor_b32_e32 v7, v11, v7
	v_xor_b32_e32 v9, v10, v9
	v_mad_u64_u32 v[72:73], s[2:3], v7, s10, 0
	v_mad_u64_u32 v[10:11], s[2:3], v9, s11, 0
	v_xor_b32_e32 v7, v99, v73
	v_xor_b32_e32 v7, v7, v8
	v_xor_b32_e32 v8, v100, v11
	v_xor_b32_e32 v8, v8, v6
	;; [unrolled: 6-line block ×8, first 2 shown]
	v_mad_u64_u32 v[74:75], s[2:3], v7, s11, 0
	v_mad_u64_u32 v[8:9], s[2:3], v6, s10, 0
	v_xor_b32_e32 v6, v115, v75
	v_xor_b32_e32 v6, v6, v10
	v_mad_u64_u32 v[6:7], s[2:3], v6, s10, 0
	v_xor_b32_e32 v7, v7, v8
	v_xor_b32_e32 v10, v106, v7
	v_cmp_lt_i32_e32 vcc, 1, v15
                                        ; implicit-def: $vgpr8
	s_and_saveexec_b64 s[2:3], vcc
	s_xor_b64 s[2:3], exec, s[2:3]
	s_cbranch_execz .LBB71_33
; %bb.28:                               ;   in Loop: Header=BB71_5 Depth=1
	v_cmp_lt_i32_e32 vcc, 2, v15
                                        ; implicit-def: $vgpr8
	s_and_saveexec_b64 s[6:7], vcc
	s_xor_b64 s[6:7], exec, s[6:7]
; %bb.29:                               ;   in Loop: Header=BB71_5 Depth=1
	v_xor_b32_e32 v0, v103, v9
	v_xor_b32_e32 v0, v0, v72
	v_mul_hi_u32 v0, v0, s11
	v_xor_b32_e32 v0, v0, v74
	v_xor_b32_e32 v8, v96, v0
; %bb.30:                               ;   in Loop: Header=BB71_5 Depth=1
	s_andn2_saveexec_b64 s[6:7], s[6:7]
; %bb.31:                               ;   in Loop: Header=BB71_5 Depth=1
	v_mov_b32_e32 v8, v6
	v_mov_b32_e32 v6, v10
	;; [unrolled: 1-line block ×4, first 2 shown]
; %bb.32:                               ;   in Loop: Header=BB71_5 Depth=1
	s_or_b64 exec, exec, s[6:7]
                                        ; implicit-def: $vgpr15
.LBB71_33:                              ;   in Loop: Header=BB71_5 Depth=1
	s_andn2_saveexec_b64 s[2:3], s[2:3]
	s_cbranch_execz .LBB71_37
; %bb.34:                               ;   in Loop: Header=BB71_5 Depth=1
	v_cmp_eq_u32_e32 vcc, 1, v15
	v_mov_b32_e32 v8, v3
	v_mov_b32_e32 v6, v2
	;; [unrolled: 1-line block ×3, first 2 shown]
	s_and_saveexec_b64 s[6:7], vcc
; %bb.35:                               ;   in Loop: Header=BB71_5 Depth=1
	v_mov_b32_e32 v8, v10
	v_mov_b32_e32 v6, v3
	;; [unrolled: 1-line block ×4, first 2 shown]
; %bb.36:                               ;   in Loop: Header=BB71_5 Depth=1
	s_or_b64 exec, exec, s[6:7]
	v_mov_b32_e32 v3, v0
	v_mov_b32_e32 v10, v7
.LBB71_37:                              ;   in Loop: Header=BB71_5 Depth=1
	s_or_b64 exec, exec, s[2:3]
	v_mov_b32_e32 v11, v14
	v_lshlrev_b64 v[0:1], 21, v[10:11]
	v_xor_b32_e32 v2, v0, v3
	v_cvt_f64_u32_e32 v[0:1], v1
	v_ldexp_f64 v[0:1], v[0:1], 32
	v_cvt_f64_u32_e32 v[2:3], v2
	v_add_f64 v[0:1], v[0:1], v[2:3]
	v_mov_b32_e32 v2, 0
	v_mov_b32_e32 v3, 0x3ca00000
	v_fmac_f64_e32 v[2:3], 0x3ca00000, v[0:1]
	v_mov_b32_e32 v9, v14
	v_lshlrev_b64 v[0:1], 21, v[8:9]
	v_frexp_mant_f64_e32 v[8:9], v[2:3]
	v_cmp_gt_f64_e32 vcc, s[28:29], v[8:9]
	v_cndmask_b32_e64 v15, v91, 2.0, vcc
	v_frexp_exp_i32_f64_e32 v10, v[2:3]
	v_mul_f64 v[8:9], v[8:9], v[14:15]
	v_subbrev_co_u32_e32 v15, vcc, 0, v10, vcc
	v_add_f64 v[10:11], v[8:9], 1.0
	v_rcp_f64_e32 v[72:73], v[10:11]
	v_add_f64 v[76:77], v[10:11], -1.0
	v_add_f64 v[74:75], v[8:9], -1.0
	v_add_f64 v[8:9], v[8:9], -v[76:77]
	v_fma_f64 v[76:77], -v[10:11], v[72:73], 1.0
	v_fmac_f64_e32 v[72:73], v[76:77], v[72:73]
	v_fma_f64 v[76:77], -v[10:11], v[72:73], 1.0
	v_fmac_f64_e32 v[72:73], v[76:77], v[72:73]
	v_mul_f64 v[76:77], v[74:75], v[72:73]
	v_mul_f64 v[78:79], v[10:11], v[76:77]
	v_fma_f64 v[10:11], v[76:77], v[10:11], -v[78:79]
	v_fmac_f64_e32 v[10:11], v[76:77], v[8:9]
	v_add_f64 v[8:9], v[78:79], v[10:11]
	v_add_f64 v[80:81], v[74:75], -v[8:9]
	v_add_f64 v[78:79], v[8:9], -v[78:79]
	;; [unrolled: 1-line block ×5, first 2 shown]
	v_add_f64 v[8:9], v[10:11], v[8:9]
	v_add_f64 v[8:9], v[80:81], v[8:9]
	v_mul_f64 v[8:9], v[72:73], v[8:9]
	v_add_f64 v[10:11], v[76:77], v[8:9]
	v_add_f64 v[72:73], v[10:11], -v[76:77]
	v_add_f64 v[8:9], v[8:9], -v[72:73]
	v_mul_f64 v[72:73], v[10:11], v[10:11]
	v_pk_mov_b32 v[74:75], v[18:19], v[18:19] op_sel:[0,1]
	v_fmac_f64_e32 v[74:75], s[34:35], v[72:73]
	v_pk_mov_b32 v[76:77], v[20:21], v[20:21] op_sel:[0,1]
	v_fmac_f64_e32 v[76:77], v[72:73], v[74:75]
	;; [unrolled: 2-line block ×6, first 2 shown]
	v_ldexp_f64 v[74:75], v[10:11], 1
	v_mul_f64 v[10:11], v[10:11], v[72:73]
	v_mul_f64 v[10:11], v[10:11], v[76:77]
	v_add_f64 v[72:73], v[74:75], v[10:11]
	v_add_f64 v[74:75], v[72:73], -v[74:75]
	v_ldexp_f64 v[8:9], v[8:9], 1
	v_add_f64 v[10:11], v[10:11], -v[74:75]
	v_add_f64 v[8:9], v[8:9], v[10:11]
	v_add_f64 v[10:11], v[72:73], v[8:9]
	v_add_f64 v[72:73], v[10:11], -v[72:73]
	v_add_f64 v[8:9], v[8:9], -v[72:73]
	v_cvt_f64_i32_e32 v[72:73], v15
	v_mul_f64 v[74:75], v[72:73], s[46:47]
	v_fma_f64 v[76:77], v[72:73], s[46:47], -v[74:75]
	v_fmac_f64_e32 v[76:77], s[48:49], v[72:73]
	v_add_f64 v[72:73], v[74:75], v[76:77]
	v_add_f64 v[74:75], v[72:73], -v[74:75]
	v_add_f64 v[74:75], v[76:77], -v[74:75]
	v_add_f64 v[76:77], v[72:73], v[10:11]
	v_add_f64 v[78:79], v[76:77], -v[72:73]
	v_add_f64 v[80:81], v[76:77], -v[78:79]
	;; [unrolled: 1-line block ×4, first 2 shown]
	v_add_f64 v[10:11], v[10:11], v[72:73]
	v_add_f64 v[72:73], v[74:75], v[8:9]
	v_add_f64 v[78:79], v[72:73], -v[74:75]
	v_add_f64 v[80:81], v[72:73], -v[78:79]
	v_add_f64 v[10:11], v[72:73], v[10:11]
	v_add_f64 v[74:75], v[74:75], -v[80:81]
	v_add_f64 v[8:9], v[8:9], -v[78:79]
	v_add_f64 v[72:73], v[76:77], v[10:11]
	v_add_f64 v[8:9], v[8:9], v[74:75]
	v_add_f64 v[74:75], v[72:73], -v[76:77]
	v_add_f64 v[10:11], v[10:11], -v[74:75]
	s_mov_b32 s12, 0
	v_add_f64 v[8:9], v[8:9], v[10:11]
	s_mov_b32 s13, 0x7ff00000
	v_add_f64 v[8:9], v[72:73], v[8:9]
	v_cmp_eq_f64_e32 vcc, s[12:13], v[2:3]
	v_cndmask_b32_e32 v9, v9, v3, vcc
	v_cndmask_b32_e32 v8, v8, v2, vcc
	v_mul_f64 v[8:9], v[8:9], -2.0
	v_cmp_neq_f64_e32 vcc, 0, v[2:3]
	s_mov_b32 s2, 0
	v_cndmask_b32_e32 v3, v94, v9, vcc
	v_cndmask_b32_e32 v2, 0, v8, vcc
	s_brev_b32 s3, 8
	v_cmp_gt_f64_e32 vcc, s[2:3], v[2:3]
	v_cndmask_b32_e64 v8, 0, 1, vcc
	v_lshlrev_b32_e32 v8, 8, v8
	v_ldexp_f64 v[2:3], v[2:3], v8
	v_xor_b32_e32 v6, v0, v6
	v_cvt_f64_u32_e32 v[0:1], v1
	v_rsq_f64_e32 v[8:9], v[2:3]
	v_ldexp_f64 v[0:1], v[0:1], 32
	v_cvt_f64_u32_e32 v[6:7], v6
	v_add_f64 v[0:1], v[0:1], v[6:7]
	v_mov_b32_e32 v6, 0
	v_mov_b32_e32 v7, 0x3cb00000
	v_fmac_f64_e32 v[6:7], 0x3cb00000, v[0:1]
	v_mul_f64 v[0:1], v[2:3], v[8:9]
	v_mul_f64 v[8:9], v[8:9], 0.5
	v_fma_f64 v[10:11], -v[8:9], v[0:1], 0.5
	v_fmac_f64_e32 v[0:1], v[0:1], v[10:11]
	v_fma_f64 v[72:73], -v[0:1], v[0:1], v[2:3]
	v_fmac_f64_e32 v[8:9], v[8:9], v[10:11]
	v_fmac_f64_e32 v[0:1], v[72:73], v[8:9]
	v_fma_f64 v[10:11], -v[0:1], v[0:1], v[2:3]
	v_fmac_f64_e32 v[0:1], v[10:11], v[8:9]
	v_cndmask_b32_e32 v8, 0, v90, vcc
	v_ldexp_f64 v[0:1], v[0:1], v8
	v_cmp_class_f64_e32 vcc, v[2:3], v89
	v_cndmask_b32_e32 v1, v1, v3, vcc
	v_cndmask_b32_e32 v0, v0, v2, vcc
	v_mul_f64 v[2:3], v[6:7], 0.5
	v_fract_f64_e32 v[8:9], v[2:3]
	v_add_f64 v[8:9], v[8:9], v[8:9]
	v_cmp_neq_f64_e32 vcc, s[12:13], v[2:3]
	v_cndmask_b32_e32 v2, 0, v8, vcc
	v_cndmask_b32_e32 v3, 0, v9, vcc
	v_cmp_lt_f64_e32 vcc, 1.0, v[6:7]
	v_cndmask_b32_e32 v3, v7, v3, vcc
	v_cndmask_b32_e32 v2, v6, v2, vcc
	v_add_f64 v[8:9], v[2:3], v[2:3]
	v_rndne_f64_e32 v[8:9], v[8:9]
	v_fmac_f64_e32 v[2:3], -0.5, v[8:9]
	s_mov_b32 s6, 0xf99eb0bb
	v_cvt_i32_f64_e32 v15, v[8:9]
	v_mul_f64 v[8:9], v[2:3], v[2:3]
	v_pk_mov_b32 v[10:11], v[48:49], v[48:49] op_sel:[0,1]
	s_mov_b32 s7, 0x3f3e357e
	v_fmac_f64_e32 v[10:11], s[6:7], v[8:9]
	v_pk_mov_b32 v[72:73], v[50:51], v[50:51] op_sel:[0,1]
	v_fmac_f64_e32 v[72:73], v[8:9], v[10:11]
	v_pk_mov_b32 v[10:11], v[52:53], v[52:53] op_sel:[0,1]
	;; [unrolled: 2-line block ×4, first 2 shown]
	v_fmac_f64_e32 v[10:11], v[8:9], v[72:73]
	v_mul_f64 v[72:73], v[2:3], v[8:9]
	s_mov_b32 s6, 0x54442d18
	v_mul_f64 v[10:11], v[72:73], v[10:11]
	s_mov_b32 s7, 0x400921fb
	v_fmac_f64_e32 v[10:11], s[6:7], v[2:3]
	s_mov_b32 s6, 0x2e21c33
	v_pk_mov_b32 v[2:3], v[58:59], v[58:59] op_sel:[0,1]
	s_mov_b32 s7, 0xbf1b1673
	v_fmac_f64_e32 v[2:3], s[6:7], v[8:9]
	v_pk_mov_b32 v[72:73], v[60:61], v[60:61] op_sel:[0,1]
	v_fmac_f64_e32 v[72:73], v[8:9], v[2:3]
	v_pk_mov_b32 v[2:3], v[62:63], v[62:63] op_sel:[0,1]
	;; [unrolled: 2-line block ×5, first 2 shown]
	v_fmac_f64_e32 v[72:73], v[8:9], v[2:3]
	v_fma_f64 v[2:3], v[8:9], v[72:73], 1.0
	v_and_b32_e32 v9, 1, v15
	v_lshlrev_b32_e32 v8, 30, v15
	v_cmp_eq_u32_e32 vcc, 0, v9
	v_cndmask_b32_e32 v10, v2, v10, vcc
	v_cndmask_b32_e32 v2, v3, v11, vcc
	v_xor_b32_e32 v3, v8, v7
	v_and_b32_e32 v3, 0x80000000, v3
	v_cmp_gt_f64_e32 vcc, s[2:3], v[4:5]
	v_xor_b32_e32 v11, v2, v3
	v_cndmask_b32_e64 v2, 0, 1, vcc
	v_lshlrev_b32_e32 v2, 8, v2
	v_ldexp_f64 v[2:3], v[4:5], v2
	v_rsq_f64_e32 v[8:9], v[2:3]
	v_cmp_lg_f64_e64 s[2:3], s[12:13], v[6:7]
	v_cndmask_b32_e64 v6, 0, v10, s[2:3]
	v_cndmask_b32_e64 v7, v92, v11, s[2:3]
	v_mul_f64 v[0:1], v[0:1], v[6:7]
	v_mul_f64 v[6:7], v[2:3], v[8:9]
	v_mul_f64 v[8:9], v[8:9], 0.5
	v_fma_f64 v[10:11], -v[8:9], v[6:7], 0.5
	v_fmac_f64_e32 v[6:7], v[6:7], v[10:11]
	v_fma_f64 v[72:73], -v[6:7], v[6:7], v[2:3]
	v_fmac_f64_e32 v[8:9], v[8:9], v[10:11]
	v_fmac_f64_e32 v[6:7], v[72:73], v[8:9]
	v_fma_f64 v[10:11], -v[6:7], v[6:7], v[2:3]
	v_fmac_f64_e32 v[6:7], v[10:11], v[8:9]
	v_cndmask_b32_e32 v8, 0, v90, vcc
	v_ldexp_f64 v[6:7], v[6:7], v8
	v_cmp_class_f64_e32 vcc, v[2:3], v89
	v_cndmask_b32_e32 v3, v7, v3, vcc
	v_cndmask_b32_e32 v2, v6, v2, vcc
	v_fmac_f64_e32 v[4:5], v[2:3], v[0:1]
	v_trunc_f64_e32 v[0:1], v[4:5]
	v_add_f64 v[2:3], v[4:5], -v[0:1]
	v_cmp_ge_f64_e64 vcc, |v[2:3]|, 0.5
	v_cndmask_b32_e32 v2, 0, v91, vcc
	s_brev_b32 s2, -2
	v_bfi_b32 v15, s2, v2, v5
	v_add_f64 v[0:1], v[0:1], v[14:15]
	v_cvt_u32_f64_e32 v75, v[0:1]
.LBB71_38:                              ;   in Loop: Header=BB71_5 Depth=1
	s_or_b64 exec, exec, s[0:1]
                                        ; implicit-def: $vgpr6
                                        ; implicit-def: $vgpr72_vgpr73
                                        ; implicit-def: $vgpr15
                                        ; implicit-def: $vgpr97
                                        ; implicit-def: $vgpr98
                                        ; implicit-def: $vgpr106
                                        ; implicit-def: $vgpr96
                                        ; implicit-def: $vgpr3
                                        ; implicit-def: $vgpr4_vgpr5
                                        ; implicit-def: $vgpr99
                                        ; implicit-def: $vgpr100
                                        ; implicit-def: $vgpr101
                                        ; implicit-def: $vgpr102
                                        ; implicit-def: $vgpr104
                                        ; implicit-def: $vgpr105
                                        ; implicit-def: $vgpr107
                                        ; implicit-def: $vgpr108
                                        ; implicit-def: $vgpr109
                                        ; implicit-def: $vgpr110
                                        ; implicit-def: $vgpr111
                                        ; implicit-def: $vgpr112
                                        ; implicit-def: $vgpr113
                                        ; implicit-def: $vgpr114
                                        ; implicit-def: $vgpr103
                                        ; implicit-def: $vgpr115
.LBB71_39:                              ;   in Loop: Header=BB71_5 Depth=1
	s_andn2_saveexec_b64 s[0:1], s[50:51]
	s_cbranch_execz .LBB71_3
; %bb.40:                               ;   in Loop: Header=BB71_5 Depth=1
	v_readlane_b32 s2, v134, 12
	v_readlane_b32 s3, v134, 13
	s_mov_b32 s2, s52
	v_mul_f64 v[8:9], v[4:5], s[2:3]
	v_rndne_f64_e32 v[10:11], v[8:9]
	s_mov_b32 s54, s46
	v_fma_f64 v[4:5], v[10:11], s[54:55], -v[4:5]
	s_mov_b32 s56, s48
	v_fmac_f64_e32 v[4:5], s[56:57], v[10:11]
	v_pk_mov_b32 v[8:9], v[30:31], v[30:31] op_sel:[0,1]
	v_fmac_f64_e32 v[8:9], s[58:59], v[4:5]
	v_pk_mov_b32 v[74:75], v[32:33], v[32:33] op_sel:[0,1]
	;; [unrolled: 2-line block ×9, first 2 shown]
	v_fmac_f64_e32 v[76:77], v[4:5], v[74:75]
	v_fma_f64 v[74:75], v[4:5], v[76:77], 1.0
	s_mov_b32 s2, 0xc4800000
	v_fma_f64 v[4:5], v[4:5], v[74:75], 1.0
	v_cvt_i32_f64_e32 v7, v[10:11]
	v_cmp_ngt_f32_e32 vcc, s2, v6
	s_mov_b32 s2, 0x44866000
	s_mov_b32 s7, s3
	v_ldexp_f64 v[4:5], v[4:5], v7
	v_cmp_nlt_f32_e64 s[2:3], s2, v6
	v_mov_b32_e32 v8, 0
	v_cndmask_b32_e32 v5, v94, v5, vcc
	s_and_b64 vcc, s[2:3], vcc
	v_writelane_b32 v134, s6, 12
	v_mov_b32_e32 v9, 0x3ff00000
	v_mov_b32_e32 v78, 0
	v_cndmask_b32_e64 v11, 0, v5, s[2:3]
	v_cndmask_b32_e32 v10, 0, v4, vcc
	s_mov_b32 s12, -1
	s_mov_b64 s[2:3], 0
	v_mov_b32_e32 v79, v17
	v_writelane_b32 v134, s7, 13
	s_branch .LBB71_42
.LBB71_41:                              ;   in Loop: Header=BB71_42 Depth=2
	s_or_b64 exec, exec, s[6:7]
	v_cmp_eq_u32_e32 vcc, 1, v15
	v_cndmask_b32_e32 v0, v0, v1, vcc
	v_cmp_eq_u32_e32 vcc, 2, v15
	v_cndmask_b32_e32 v0, v0, v2, vcc
	;; [unrolled: 2-line block ×6, first 2 shown]
	v_lshrrev_b32_e32 v0, 11, v0
	v_cvt_f64_u32_e32 v[0:1], v0
	v_ldexp_f64 v[0:1], v[0:1], 32
	v_cvt_f64_u32_e32 v[2:3], v2
	v_add_f64 v[0:1], v[0:1], v[2:3]
	v_mov_b32_e32 v2, 0
	v_mov_b32_e32 v3, 0x3ca00000
	v_fmac_f64_e32 v[2:3], 0x3ca00000, v[0:1]
	v_mul_f64 v[8:9], v[8:9], v[2:3]
	v_cmp_ngt_f64_e32 vcc, v[8:9], v[10:11]
	s_add_i32 s12, s12, 1
	s_or_b64 s[2:3], vcc, s[2:3]
	v_mov_b32_e32 v75, s12
	v_mov_b32_e32 v15, v81
	;; [unrolled: 1-line block ×6, first 2 shown]
	s_andn2_b64 exec, exec, s[2:3]
	s_cbranch_execz .LBB71_2
.LBB71_42:                              ;   Parent Loop BB71_5 Depth=1
                                        ; =>  This Inner Loop Header: Depth=2
	v_add_u32_e32 v80, 1, v15
	v_pk_mov_b32 v[6:7], v[2:3], v[2:3] op_sel:[0,1]
	v_cmp_eq_u32_e32 vcc, 4, v80
	v_pk_mov_b32 v[4:5], v[0:1], v[0:1] op_sel:[0,1]
	v_mov_b32_e32 v77, v0
	v_mov_b32_e32 v76, v1
	;; [unrolled: 1-line block ×4, first 2 shown]
	s_and_saveexec_b64 s[6:7], vcc
	s_cbranch_execz .LBB71_44
; %bb.43:                               ;   in Loop: Header=BB71_42 Depth=2
	v_add_co_u32_e32 v97, vcc, 1, v97
	v_cndmask_b32_e64 v4, 0, 1, vcc
	v_addc_co_u32_e32 v98, vcc, 0, v98, vcc
	v_cmp_eq_u32_e32 vcc, 0, v98
	v_cndmask_b32_e32 v4, 0, v4, vcc
	v_add_u32_e32 v79, v4, v79
	v_cmp_eq_u32_e32 vcc, 0, v79
	v_cndmask_b32_e32 v4, 0, v4, vcc
	v_add_u32_e32 v78, v4, v78
	v_mad_u64_u32 v[4:5], s[14:15], v97, s11, 0
	v_mad_u64_u32 v[6:7], s[14:15], v79, s10, 0
	v_xor_b32_e32 v5, v5, v73
	v_xor_b32_e32 v7, v7, v72
	v_xor_b32_e32 v5, v78, v5
	v_xor_b32_e32 v7, v98, v7
	v_mad_u64_u32 v[76:77], s[14:15], v5, s10, 0
	v_mad_u64_u32 v[74:75], s[14:15], v7, s11, 0
	v_xor_b32_e32 v5, v99, v77
	v_xor_b32_e32 v5, v5, v6
	v_xor_b32_e32 v6, v100, v75
	v_xor_b32_e32 v6, v6, v4
	;; [unrolled: 6-line block ×10, first 2 shown]
	v_mov_b32_e32 v80, 0
	v_mov_b32_e32 v5, v76
	;; [unrolled: 1-line block ×5, first 2 shown]
.LBB71_44:                              ;   in Loop: Header=BB71_42 Depth=2
	s_or_b64 exec, exec, s[6:7]
	v_add_u32_e32 v81, 1, v80
	v_cmp_eq_u32_e32 vcc, 4, v81
	s_and_saveexec_b64 s[6:7], vcc
	s_cbranch_execz .LBB71_41
; %bb.45:                               ;   in Loop: Header=BB71_42 Depth=2
	v_add_co_u32_e32 v97, vcc, 1, v97
	v_cndmask_b32_e64 v74, 0, 1, vcc
	v_addc_co_u32_e32 v98, vcc, 0, v98, vcc
	v_cmp_eq_u32_e32 vcc, 0, v98
	v_cndmask_b32_e32 v74, 0, v74, vcc
	v_add_u32_e32 v79, v74, v79
	v_cmp_eq_u32_e32 vcc, 0, v79
	v_cndmask_b32_e32 v74, 0, v74, vcc
	v_add_u32_e32 v78, v74, v78
	v_mad_u64_u32 v[74:75], s[14:15], v97, s11, 0
	v_mad_u64_u32 v[76:77], s[14:15], v79, s10, 0
	v_xor_b32_e32 v75, v75, v73
	v_xor_b32_e32 v77, v77, v72
	v_xor_b32_e32 v75, v78, v75
	v_xor_b32_e32 v77, v98, v77
	v_mad_u64_u32 v[84:85], s[14:15], v75, s10, 0
	v_mad_u64_u32 v[82:83], s[14:15], v77, s11, 0
	v_xor_b32_e32 v75, v99, v85
	v_xor_b32_e32 v75, v75, v76
	v_xor_b32_e32 v76, v100, v83
	v_xor_b32_e32 v76, v76, v74
	;; [unrolled: 6-line block ×9, first 2 shown]
	v_mad_u64_u32 v[74:75], s[14:15], v74, s11, 0
	v_mad_u64_u32 v[76:77], s[14:15], v76, s10, 0
	v_xor_b32_e32 v77, v77, v116
	v_xor_b32_e32 v75, v75, v86
	v_mov_b32_e32 v81, 0
	v_xor_b32_e32 v77, v106, v77
	v_xor_b32_e32 v82, v96, v75
	s_branch .LBB71_41
.LBB71_46:
	s_or_b64 exec, exec, s[4:5]
	s_and_saveexec_b64 s[0:1], s[18:19]
	s_xor_b64 s[0:1], exec, s[0:1]
	s_cbranch_execnz .LBB71_48
.LBB71_47:
	s_endpgm
.LBB71_48:
	s_trap 2
	; divergent unreachable
	s_endpgm
	.section	.rodata,"a",@progbits
	.p2align	6, 0x0
	.amdhsa_kernel _ZN2at4cuda12_GLOBAL__N_121kernelPointwiseApply2IZN12_GLOBAL__N_119poisson_cuda_kernelIfEEvRKNS_10TensorBaseES7_NS_15PhiloxCudaStateEEUlRfRKfE_ffjLi2ELi1ELi1ELi512ELi2EEEvNS0_6detail10TensorInfoIT0_T2_EENSE_IT1_SG_EESG_T_
		.amdhsa_group_segment_fixed_size 0
		.amdhsa_private_segment_fixed_size 0
		.amdhsa_kernarg_size 728
		.amdhsa_user_sgpr_count 6
		.amdhsa_user_sgpr_private_segment_buffer 1
		.amdhsa_user_sgpr_dispatch_ptr 0
		.amdhsa_user_sgpr_queue_ptr 0
		.amdhsa_user_sgpr_kernarg_segment_ptr 1
		.amdhsa_user_sgpr_dispatch_id 0
		.amdhsa_user_sgpr_flat_scratch_init 0
		.amdhsa_user_sgpr_kernarg_preload_length 0
		.amdhsa_user_sgpr_kernarg_preload_offset 0
		.amdhsa_user_sgpr_private_segment_size 0
		.amdhsa_uses_dynamic_stack 0
		.amdhsa_system_sgpr_private_segment_wavefront_offset 0
		.amdhsa_system_sgpr_workgroup_id_x 1
		.amdhsa_system_sgpr_workgroup_id_y 0
		.amdhsa_system_sgpr_workgroup_id_z 0
		.amdhsa_system_sgpr_workgroup_info 0
		.amdhsa_system_vgpr_workitem_id 0
		.amdhsa_next_free_vgpr 135
		.amdhsa_next_free_sgpr 96
		.amdhsa_accum_offset 136
		.amdhsa_reserve_vcc 1
		.amdhsa_reserve_flat_scratch 0
		.amdhsa_float_round_mode_32 0
		.amdhsa_float_round_mode_16_64 0
		.amdhsa_float_denorm_mode_32 3
		.amdhsa_float_denorm_mode_16_64 3
		.amdhsa_dx10_clamp 1
		.amdhsa_ieee_mode 1
		.amdhsa_fp16_overflow 0
		.amdhsa_tg_split 0
		.amdhsa_exception_fp_ieee_invalid_op 0
		.amdhsa_exception_fp_denorm_src 0
		.amdhsa_exception_fp_ieee_div_zero 0
		.amdhsa_exception_fp_ieee_overflow 0
		.amdhsa_exception_fp_ieee_underflow 0
		.amdhsa_exception_fp_ieee_inexact 0
		.amdhsa_exception_int_div_zero 0
	.end_amdhsa_kernel
	.section	.text._ZN2at4cuda12_GLOBAL__N_121kernelPointwiseApply2IZN12_GLOBAL__N_119poisson_cuda_kernelIfEEvRKNS_10TensorBaseES7_NS_15PhiloxCudaStateEEUlRfRKfE_ffjLi2ELi1ELi1ELi512ELi2EEEvNS0_6detail10TensorInfoIT0_T2_EENSE_IT1_SG_EESG_T_,"axG",@progbits,_ZN2at4cuda12_GLOBAL__N_121kernelPointwiseApply2IZN12_GLOBAL__N_119poisson_cuda_kernelIfEEvRKNS_10TensorBaseES7_NS_15PhiloxCudaStateEEUlRfRKfE_ffjLi2ELi1ELi1ELi512ELi2EEEvNS0_6detail10TensorInfoIT0_T2_EENSE_IT1_SG_EESG_T_,comdat
.Lfunc_end71:
	.size	_ZN2at4cuda12_GLOBAL__N_121kernelPointwiseApply2IZN12_GLOBAL__N_119poisson_cuda_kernelIfEEvRKNS_10TensorBaseES7_NS_15PhiloxCudaStateEEUlRfRKfE_ffjLi2ELi1ELi1ELi512ELi2EEEvNS0_6detail10TensorInfoIT0_T2_EENSE_IT1_SG_EESG_T_, .Lfunc_end71-_ZN2at4cuda12_GLOBAL__N_121kernelPointwiseApply2IZN12_GLOBAL__N_119poisson_cuda_kernelIfEEvRKNS_10TensorBaseES7_NS_15PhiloxCudaStateEEUlRfRKfE_ffjLi2ELi1ELi1ELi512ELi2EEEvNS0_6detail10TensorInfoIT0_T2_EENSE_IT1_SG_EESG_T_
                                        ; -- End function
	.section	.AMDGPU.csdata,"",@progbits
; Kernel info:
; codeLenInByte = 13468
; NumSgprs: 100
; NumVgprs: 135
; NumAgprs: 0
; TotalNumVgprs: 135
; ScratchSize: 0
; MemoryBound: 0
; FloatMode: 240
; IeeeMode: 1
; LDSByteSize: 0 bytes/workgroup (compile time only)
; SGPRBlocks: 12
; VGPRBlocks: 16
; NumSGPRsForWavesPerEU: 100
; NumVGPRsForWavesPerEU: 135
; AccumOffset: 136
; Occupancy: 3
; WaveLimiterHint : 1
; COMPUTE_PGM_RSRC2:SCRATCH_EN: 0
; COMPUTE_PGM_RSRC2:USER_SGPR: 6
; COMPUTE_PGM_RSRC2:TRAP_HANDLER: 0
; COMPUTE_PGM_RSRC2:TGID_X_EN: 1
; COMPUTE_PGM_RSRC2:TGID_Y_EN: 0
; COMPUTE_PGM_RSRC2:TGID_Z_EN: 0
; COMPUTE_PGM_RSRC2:TIDIG_COMP_CNT: 0
; COMPUTE_PGM_RSRC3_GFX90A:ACCUM_OFFSET: 33
; COMPUTE_PGM_RSRC3_GFX90A:TG_SPLIT: 0
	.section	.text._ZN2at4cuda12_GLOBAL__N_121kernelPointwiseApply2IZN12_GLOBAL__N_119poisson_cuda_kernelIfEEvRKNS_10TensorBaseES7_NS_15PhiloxCudaStateEEUlRfRKfE_ffjLi2ELi2ELi1ELi512ELi2EEEvNS0_6detail10TensorInfoIT0_T2_EENSE_IT1_SG_EESG_T_,"axG",@progbits,_ZN2at4cuda12_GLOBAL__N_121kernelPointwiseApply2IZN12_GLOBAL__N_119poisson_cuda_kernelIfEEvRKNS_10TensorBaseES7_NS_15PhiloxCudaStateEEUlRfRKfE_ffjLi2ELi2ELi1ELi512ELi2EEEvNS0_6detail10TensorInfoIT0_T2_EENSE_IT1_SG_EESG_T_,comdat
	.globl	_ZN2at4cuda12_GLOBAL__N_121kernelPointwiseApply2IZN12_GLOBAL__N_119poisson_cuda_kernelIfEEvRKNS_10TensorBaseES7_NS_15PhiloxCudaStateEEUlRfRKfE_ffjLi2ELi2ELi1ELi512ELi2EEEvNS0_6detail10TensorInfoIT0_T2_EENSE_IT1_SG_EESG_T_ ; -- Begin function _ZN2at4cuda12_GLOBAL__N_121kernelPointwiseApply2IZN12_GLOBAL__N_119poisson_cuda_kernelIfEEvRKNS_10TensorBaseES7_NS_15PhiloxCudaStateEEUlRfRKfE_ffjLi2ELi2ELi1ELi512ELi2EEEvNS0_6detail10TensorInfoIT0_T2_EENSE_IT1_SG_EESG_T_
	.p2align	8
	.type	_ZN2at4cuda12_GLOBAL__N_121kernelPointwiseApply2IZN12_GLOBAL__N_119poisson_cuda_kernelIfEEvRKNS_10TensorBaseES7_NS_15PhiloxCudaStateEEUlRfRKfE_ffjLi2ELi2ELi1ELi512ELi2EEEvNS0_6detail10TensorInfoIT0_T2_EENSE_IT1_SG_EESG_T_,@function
_ZN2at4cuda12_GLOBAL__N_121kernelPointwiseApply2IZN12_GLOBAL__N_119poisson_cuda_kernelIfEEvRKNS_10TensorBaseES7_NS_15PhiloxCudaStateEEUlRfRKfE_ffjLi2ELi2ELi1ELi512ELi2EEEvNS0_6detail10TensorInfoIT0_T2_EENSE_IT1_SG_EESG_T_: ; @_ZN2at4cuda12_GLOBAL__N_121kernelPointwiseApply2IZN12_GLOBAL__N_119poisson_cuda_kernelIfEEvRKNS_10TensorBaseES7_NS_15PhiloxCudaStateEEUlRfRKfE_ffjLi2ELi2ELi1ELi512ELi2EEEvNS0_6detail10TensorInfoIT0_T2_EENSE_IT1_SG_EESG_T_
; %bb.0:
	s_load_dword s2, s[4:5], 0x1e4
	s_load_dword s16, s[4:5], 0x1b0
	s_add_u32 s0, s4, 0x1d8
	s_addc_u32 s1, s5, 0
	s_waitcnt lgkmcnt(0)
	s_and_b32 s2, s2, 0xffff
	s_mul_i32 s6, s6, s2
	v_add_u32_e32 v17, s6, v0
	v_cmp_gt_u32_e32 vcc, s16, v17
	s_and_saveexec_b64 s[6:7], vcc
	s_cbranch_execz .LBB72_49
; %bb.1:
	s_load_dwordx2 s[6:7], s[4:5], 0x0
	s_load_dwordx4 s[12:15], s[4:5], 0x1b8
                                        ; implicit-def: $vgpr136 : SGPR spill to VGPR lane
	s_mov_b32 s10, 0xcd9e8d57
	s_mov_b32 s24, 0
	;; [unrolled: 1-line block ×3, first 2 shown]
	s_waitcnt lgkmcnt(0)
	v_writelane_b32 v136, s6, 0
	v_writelane_b32 v136, s7, 1
	s_load_dword s8, s[4:5], 0xc
	s_load_dwordx2 s[6:7], s[4:5], 0x6c
	s_mov_b32 s34, 0x6b47b09a
	s_mov_b32 s36, 0xbf559e2b
	;; [unrolled: 1-line block ×3, first 2 shown]
	s_waitcnt lgkmcnt(0)
	v_cvt_f32_u32_e32 v0, s8
	v_writelane_b32 v136, s6, 2
	v_writelane_b32 v136, s7, 3
	s_load_dwordx2 s[18:19], s[4:5], 0xd8
	s_load_dword s9, s[4:5], 0xe4
	s_load_dwordx2 s[6:7], s[4:5], 0x144
	v_rcp_iflag_f32_e32 v0, v0
	s_mov_b32 s40, 0x16291751
	s_mov_b32 s42, 0x9b27acf1
	s_waitcnt lgkmcnt(0)
	v_cvt_f32_u32_e32 v1, s9
	v_writelane_b32 v136, s6, 4
	v_writelane_b32 v136, s7, 5
	s_load_dwordx2 s[6:7], s[4:5], 0x1c8
	v_rcp_iflag_f32_e32 v1, v1
	v_mul_f32_e32 v0, 0x4f7ffffe, v0
	v_cvt_u32_f32_e32 v0, v0
	s_mov_b32 s44, 0x998ef7b6
	s_waitcnt lgkmcnt(0)
	v_writelane_b32 v136, s6, 6
	v_writelane_b32 v136, s7, 7
	s_load_dword s3, s[0:1], 0x0
	s_load_dword s6, s[4:5], 0x1d0
	s_getpc_b64 s[0:1]
	s_add_u32 s0, s0, .str@rel32@lo+4
	s_addc_u32 s1, s1, .str@rel32@hi+12
	s_cmp_eq_u64 s[0:1], 0
	v_mul_f32_e32 v1, 0x4f7ffffe, v1
	s_cselect_b64 s[0:1], -1, 0
	s_waitcnt lgkmcnt(0)
	s_bitcmp1_b32 s6, 0
	v_mad_u64_u32 v[12:13], s[6:7], v17, s10, 0
	v_cvt_u32_f32_e32 v1, v1
	s_mul_i32 s17, s3, s2
	s_cselect_b64 s[2:3], -1, 0
	s_sub_i32 s6, 0, s8
	v_mul_lo_u32 v2, s6, v0
	v_mul_hi_u32 v2, v0, v2
	s_sub_i32 s6, 0, s9
	v_writelane_b32 v136, s12, 8
	v_mov_b32_e32 v16, v13
	v_add_u32_e32 v13, v0, v2
	v_mul_lo_u32 v0, s6, v1
	v_writelane_b32 v136, s13, 9
	v_mul_hi_u32 v0, v1, v0
	v_writelane_b32 v136, s14, 10
	v_add_u32_e32 v88, v1, v0
	v_cndmask_b32_e64 v0, 0, 1, s[2:3]
	v_writelane_b32 v136, s15, 11
	s_xor_b64 s[62:63], s[0:1], -1
	v_cmp_ne_u32_e64 s[0:1], 1, v0
	v_writelane_b32 v136, s0, 12
	v_writelane_b32 v136, s1, 13
	s_mov_b32 s1, 0xbff71547
	s_mov_b32 s48, 0xfefa39ef
	;; [unrolled: 1-line block ×19, first 2 shown]
	s_movk_i32 s92, 0xf950
	s_mov_b32 s94, 0xc864beb5
	s_mov_b32 s22, 0
	;; [unrolled: 1-line block ×3, first 2 shown]
	v_writelane_b32 v136, s0, 14
	s_mov_b64 s[4:5], 0
	v_mov_b32_e32 v14, 0
	s_mov_b32 s11, 0xd2511f53
	s_mov_b32 s25, 0x40080000
	s_mov_b32 s31, 0x3fe55555
	s_mov_b32 s35, 0x3fc38538
	s_mov_b32 s37, 0x3fc3ab76
	s_mov_b32 s39, 0x3fc7474d
	s_mov_b32 s41, 0x3fcc71c0
	s_mov_b32 s43, 0x3fd24924
	s_mov_b32 s45, 0x3fd99999
	s_mov_b32 s46, 0x55555780
	s_mov_b32 s49, 0x3fe62e42
	s_mov_b32 s51, 0x3c7abc9e
	s_movk_i32 s33, 0x204
	s_mov_b32 s55, 0x3ff71547
	s_mov_b32 s57, 0xbfe62e42
	;; [unrolled: 1-line block ×4, first 2 shown]
	v_mov_b32_e32 v18, 0x6b47b09a
	v_mov_b32_e32 v20, 0xd7f4df2e
	;; [unrolled: 1-line block ×60, first 2 shown]
	s_mov_b32 s65, 0x40900000
	s_mov_b32 s67, 0xc090cc00
	;; [unrolled: 1-line block ×18, first 2 shown]
	v_writelane_b32 v136, s1, 15
                                        ; implicit-def: $sgpr26_sgpr27
                                        ; implicit-def: $sgpr28_sgpr29
	v_writelane_b32 v136, s17, 16
	s_branch .LBB72_5
.LBB72_2:                               ;   in Loop: Header=BB72_5 Depth=1
	s_or_b64 exec, exec, s[2:3]
.LBB72_3:                               ;   in Loop: Header=BB72_5 Depth=1
	s_or_b64 exec, exec, s[0:1]
	v_readlane_b32 s0, v136, 0
	v_lshlrev_b64 v[0:1], 2, v[70:71]
	v_readlane_b32 s1, v136, 1
	v_mov_b32_e32 v2, s1
	v_cvt_f32_u32_e32 v3, v75
	v_add_co_u32_e32 v0, vcc, s0, v0
	v_addc_co_u32_e32 v1, vcc, v2, v1, vcc
	v_add_u32_e32 v96, s17, v96
	v_cmp_le_u32_e32 vcc, s16, v96
	s_andn2_b64 s[28:29], s[28:29], exec
	s_orn2_b64 s[0:1], vcc, exec
	global_store_dword v[0:1], v3, off
.LBB72_4:                               ;   in Loop: Header=BB72_5 Depth=1
	s_or_b64 exec, exec, s[52:53]
	s_and_b64 s[0:1], exec, s[0:1]
	s_or_b64 s[4:5], s[0:1], s[4:5]
	s_andn2_b64 s[0:1], s[26:27], exec
	s_and_b64 s[2:3], s[28:29], exec
	s_or_b64 s[26:27], s[0:1], s[2:3]
	s_andn2_b64 exec, exec, s[4:5]
	s_cbranch_execz .LBB72_48
.LBB72_5:                               ; =>This Loop Header: Depth=1
                                        ;     Child Loop BB72_15 Depth 2
                                        ;     Child Loop BB72_44 Depth 2
	v_sub_u32_e32 v0, s16, v96
	v_cmp_lt_i32_e32 vcc, 0, v0
	v_pk_mov_b32 v[0:1], 0, 0
	v_pk_mov_b32 v[70:71], v[0:1], v[0:1] op_sel:[0,1]
	s_and_saveexec_b64 s[0:1], vcc
	s_cbranch_execz .LBB72_7
; %bb.6:                                ;   in Loop: Header=BB72_5 Depth=1
	v_mul_hi_u32 v2, v96, v13
	v_mul_lo_u32 v3, v2, s8
	v_sub_u32_e32 v3, v96, v3
	v_add_u32_e32 v4, 1, v2
	v_cmp_le_u32_e64 s[2:3], s8, v3
	v_cndmask_b32_e64 v2, v2, v4, s[2:3]
	v_subrev_u32_e32 v4, s8, v3
	v_cndmask_b32_e64 v3, v3, v4, s[2:3]
	v_add_u32_e32 v4, 1, v2
	v_cmp_le_u32_e64 s[2:3], s8, v3
	v_cndmask_b32_e64 v3, v2, v4, s[2:3]
	v_mul_lo_u32 v2, v3, s8
	v_readlane_b32 s2, v136, 2
	v_sub_u32_e32 v2, v96, v2
	v_readlane_b32 s3, v136, 3
	v_mul_lo_u32 v2, v2, s3
	v_mad_u64_u32 v[70:71], s[2:3], v3, s2, v[2:3]
	v_mov_b32_e32 v71, v14
.LBB72_7:                               ;   in Loop: Header=BB72_5 Depth=1
	s_or_b64 exec, exec, s[0:1]
	s_and_saveexec_b64 s[0:1], vcc
	s_cbranch_execz .LBB72_9
; %bb.8:                                ;   in Loop: Header=BB72_5 Depth=1
	v_mul_hi_u32 v0, v96, v88
	v_mul_lo_u32 v1, v0, s9
	v_sub_u32_e32 v1, v96, v1
	v_add_u32_e32 v2, 1, v0
	v_cmp_le_u32_e32 vcc, s9, v1
	v_cndmask_b32_e32 v0, v0, v2, vcc
	v_subrev_u32_e32 v2, s9, v1
	v_cndmask_b32_e32 v1, v1, v2, vcc
	v_add_u32_e32 v2, 1, v0
	v_cmp_le_u32_e32 vcc, s9, v1
	v_cndmask_b32_e32 v1, v0, v2, vcc
	v_mul_lo_u32 v0, v1, s9
	v_readlane_b32 s2, v136, 4
	v_sub_u32_e32 v0, v96, v0
	v_readlane_b32 s3, v136, 5
	v_mul_lo_u32 v0, v0, s3
	v_mad_u64_u32 v[0:1], s[2:3], v1, s2, v[0:1]
	v_mov_b32_e32 v1, v14
.LBB72_9:                               ;   in Loop: Header=BB72_5 Depth=1
	s_or_b64 exec, exec, s[0:1]
	v_lshlrev_b64 v[0:1], 2, v[0:1]
	v_add_co_u32_e32 v0, vcc, s18, v0
	v_addc_co_u32_e32 v1, vcc, v89, v1, vcc
	global_load_dword v6, v[0:1], off
	s_mov_b64 s[0:1], -1
	s_or_b64 s[28:29], s[28:29], exec
	s_waitcnt vmcnt(0)
	v_cmp_le_f32_e32 vcc, 0, v6
	s_and_b64 s[2:3], s[62:63], vcc
	s_and_saveexec_b64 s[52:53], s[2:3]
	s_cbranch_execz .LBB72_4
; %bb.10:                               ;   in Loop: Header=BB72_5 Depth=1
	v_readlane_b32 s0, v136, 12
	v_readlane_b32 s1, v136, 13
	s_and_b64 vcc, exec, s[0:1]
	v_readlane_b32 s0, v136, 8
	v_readlane_b32 s1, v136, 9
	v_readlane_b32 s2, v136, 10
	v_readlane_b32 s3, v136, 11
	v_pk_mov_b32 v[0:1], s[2:3], s[2:3] op_sel:[0,1]
	v_pk_mov_b32 v[72:73], s[0:1], s[0:1] op_sel:[0,1]
	s_cbranch_vccnz .LBB72_12
; %bb.11:                               ;   in Loop: Header=BB72_5 Depth=1
	v_readlane_b32 s0, v136, 8
	v_readlane_b32 s2, v136, 10
	;; [unrolled: 1-line block ×3, first 2 shown]
	v_pk_mov_b32 v[0:1], s[2:3], s[2:3] op_sel:[0,1]
	v_readlane_b32 s1, v136, 9
	flat_load_dwordx2 v[0:1], v[0:1]
	v_pk_mov_b32 v[2:3], s[0:1], s[0:1] op_sel:[0,1]
	flat_load_dwordx2 v[72:73], v[2:3]
	v_readlane_b32 s0, v136, 6
	v_readlane_b32 s1, v136, 7
	v_mov_b32_e32 v2, s1
	s_waitcnt vmcnt(0) lgkmcnt(0)
	v_add_co_u32_e32 v0, vcc, s0, v0
	v_addc_co_u32_e32 v1, vcc, v1, v2, vcc
.LBB72_12:                              ;   in Loop: Header=BB72_5 Depth=1
	v_alignbit_b32 v98, v1, v0, 2
	v_and_b32_e32 v15, 3, v0
	v_lshrrev_b32_e32 v99, 2, v1
	v_mad_u64_u32 v[0:1], s[0:1], v98, s11, 0
	v_xor_b32_e32 v3, v16, v72
	v_mov_b32_e32 v2, v73
	v_xor_b32_e32 v1, v1, v73
	s_mov_b32 s0, 0xbb67ae85
	v_xor_b32_e32 v3, v3, v99
	v_add_co_u32_e32 v101, vcc, s0, v2
	v_mad_u64_u32 v[4:5], s[0:1], v3, s11, 0
	v_mad_u64_u32 v[8:9], s[0:1], v1, s10, 0
	v_add_co_u32_e32 v100, vcc, 0x9e3779b9, v72
	v_xor_b32_e32 v1, v12, v9
	v_xor_b32_e32 v3, v101, v5
	s_mov_b32 s0, 0x3c6ef372
	v_xor_b32_e32 v1, v1, v100
	v_xor_b32_e32 v3, v3, v0
	v_add_co_u32_e32 v102, vcc, s0, v72
	s_mov_b32 s0, 0x76cf5d0a
	v_add_co_u32_e32 v103, vcc, s0, v2
	v_mad_u64_u32 v[0:1], s[0:1], v1, s11, 0
	v_mad_u64_u32 v[10:11], s[0:1], v3, s10, 0
	v_xor_b32_e32 v3, v102, v11
	v_xor_b32_e32 v1, v103, v1
	s_mov_b32 s0, 0xdaa66d2b
	v_xor_b32_e32 v3, v3, v8
	v_xor_b32_e32 v1, v1, v4
	v_add_co_u32_e32 v105, vcc, s0, v72
	s_mov_b32 s0, 0x32370b8f
	v_add_co_u32_e32 v106, vcc, s0, v2
	v_mad_u64_u32 v[4:5], s[0:1], v3, s11, 0
	v_mad_u64_u32 v[8:9], s[0:1], v1, s10, 0
	;; [unrolled: 10-line block ×7, first 2 shown]
	v_xor_b32_e32 v1, v104, v1
	v_xor_b32_e32 v3, v116, v3
	;; [unrolled: 1-line block ×4, first 2 shown]
	v_mad_u64_u32 v[4:5], s[0:1], v1, s11, 0
	v_mad_u64_u32 v[8:9], s[0:1], v7, s10, 0
	v_add_u32_e32 v107, 0x8ff34781, v72
	v_add_u32_e32 v97, 0x96a522ad, v73
	v_xor_b32_e32 v0, v9, v0
	v_xor_b32_e32 v2, v5, v2
	s_mov_b32 s0, 0x42800000
	v_mov_b32_e32 v3, v4
	v_mov_b32_e32 v1, v8
	v_xor_b32_e32 v0, v107, v0
	v_xor_b32_e32 v2, v97, v2
	v_cvt_f64_f32_e32 v[4:5], v6
	v_cmp_ngt_f32_e32 vcc, s0, v6
                                        ; implicit-def: $vgpr75
	s_and_saveexec_b64 s[0:1], vcc
	s_xor_b64 s[6:7], exec, s[0:1]
	s_cbranch_execz .LBB72_41
; %bb.13:                               ;   in Loop: Header=BB72_5 Depth=1
	s_mov_b32 s0, 0x457a0000
	v_cmp_ge_f32_e32 vcc, s0, v6
                                        ; implicit-def: $vgpr75
	s_and_saveexec_b64 s[0:1], vcc
	s_xor_b64 s[12:13], exec, s[0:1]
	s_cbranch_execz .LBB72_28
; %bb.14:                               ;   in Loop: Header=BB72_5 Depth=1
	s_mov_b32 s14, 0xae147ae1
	s_mov_b32 s15, 0xc00ae147
	v_div_scale_f64 v[6:7], s[0:1], v[4:5], v[4:5], s[14:15]
	v_rcp_f64_e32 v[8:9], v[6:7]
	s_mov_b32 s0, 0
	v_mul_f64 v[76:77], v[4:5], s[24:25]
	s_brev_b32 s1, 8
	v_cmp_gt_f64_e64 s[2:3], s[0:1], v[76:77]
	v_cndmask_b32_e64 v78, 0, 1, s[2:3]
	v_fma_f64 v[74:75], -v[6:7], v[8:9], 1.0
	v_lshlrev_b32_e32 v78, 8, v78
	v_fmac_f64_e32 v[8:9], v[8:9], v[74:75]
	v_ldexp_f64 v[76:77], v[76:77], v78
	v_fma_f64 v[74:75], -v[6:7], v[8:9], 1.0
	v_rsq_f64_e32 v[78:79], v[76:77]
	v_div_scale_f64 v[10:11], vcc, s[14:15], v[4:5], s[14:15]
	v_fmac_f64_e32 v[8:9], v[8:9], v[74:75]
	v_mul_f64 v[74:75], v[10:11], v[8:9]
	v_fma_f64 v[6:7], -v[6:7], v[74:75], v[10:11]
	s_nop 0
	v_div_fmas_f64 v[6:7], v[6:7], v[8:9], v[74:75]
	v_mul_f64 v[8:9], v[76:77], v[78:79]
	v_mul_f64 v[10:11], v[78:79], 0.5
	v_fma_f64 v[74:75], -v[10:11], v[8:9], 0.5
	v_fmac_f64_e32 v[8:9], v[8:9], v[74:75]
	v_fma_f64 v[78:79], -v[8:9], v[8:9], v[76:77]
	v_fmac_f64_e32 v[10:11], v[10:11], v[74:75]
	v_fmac_f64_e32 v[8:9], v[78:79], v[10:11]
	v_fma_f64 v[74:75], -v[8:9], v[8:9], v[76:77]
	v_fmac_f64_e32 v[8:9], v[74:75], v[10:11]
	v_cndmask_b32_e64 v10, 0, v91, s[2:3]
	v_ldexp_f64 v[8:9], v[8:9], v10
	v_cmp_class_f64_e32 vcc, v[76:77], v90
	s_mov_b32 s2, 0x54442d18
	v_cndmask_b32_e32 v9, v9, v77, vcc
	v_cndmask_b32_e32 v8, v8, v76, vcc
	s_mov_b32 s3, 0x400921fb
	v_div_scale_f64 v[10:11], s[0:1], v[8:9], v[8:9], s[2:3]
	v_rcp_f64_e32 v[76:77], v[10:11]
	s_mov_b32 s0, 0x95810625
	v_div_fixup_f64 v[6:7], v[6:7], v[4:5], s[14:15]
	s_mov_b32 s1, 0x3fe88b43
	v_fma_f64 v[78:79], -v[10:11], v[76:77], 1.0
	v_fmac_f64_e32 v[76:77], v[76:77], v[78:79]
	v_fma_f64 v[78:79], -v[10:11], v[76:77], 1.0
	v_fmac_f64_e32 v[76:77], v[76:77], v[78:79]
	v_div_scale_f64 v[78:79], vcc, s[2:3], v[8:9], s[2:3]
	v_mul_f64 v[80:81], v[78:79], v[76:77]
	v_fma_f64 v[10:11], -v[10:11], v[80:81], v[78:79]
	v_add_f64 v[6:7], v[6:7], s[0:1]
	s_nop 0
	v_div_fmas_f64 v[10:11], v[10:11], v[76:77], v[80:81]
	v_div_fixup_f64 v[76:77], v[10:11], v[8:9], s[2:3]
	v_frexp_mant_f64_e32 v[8:9], v[6:7]
	v_cmp_gt_f64_e32 vcc, s[30:31], v[8:9]
	v_mov_b32_e32 v74, 0
	v_cndmask_b32_e64 v75, v92, 2.0, vcc
	v_frexp_exp_i32_f64_e32 v10, v[6:7]
	v_mul_f64 v[8:9], v[8:9], v[74:75]
	v_subbrev_co_u32_e32 v75, vcc, 0, v10, vcc
	v_add_f64 v[10:11], v[8:9], 1.0
	v_rcp_f64_e32 v[80:81], v[10:11]
	v_add_f64 v[84:85], v[10:11], -1.0
	v_add_f64 v[82:83], v[8:9], -1.0
	v_add_f64 v[8:9], v[8:9], -v[84:85]
	v_fma_f64 v[84:85], -v[10:11], v[80:81], 1.0
	v_fmac_f64_e32 v[80:81], v[84:85], v[80:81]
	v_fma_f64 v[84:85], -v[10:11], v[80:81], 1.0
	v_fmac_f64_e32 v[80:81], v[84:85], v[80:81]
	v_mul_f64 v[84:85], v[82:83], v[80:81]
	v_mul_f64 v[86:87], v[10:11], v[84:85]
	v_fma_f64 v[10:11], v[84:85], v[10:11], -v[86:87]
	v_fmac_f64_e32 v[10:11], v[84:85], v[8:9]
	v_add_f64 v[8:9], v[86:87], v[10:11]
	v_add_f64 v[118:119], v[82:83], -v[8:9]
	v_add_f64 v[86:87], v[8:9], -v[86:87]
	;; [unrolled: 1-line block ×5, first 2 shown]
	v_add_f64 v[8:9], v[10:11], v[8:9]
	v_add_f64 v[8:9], v[118:119], v[8:9]
	v_mul_f64 v[8:9], v[80:81], v[8:9]
	v_add_f64 v[10:11], v[84:85], v[8:9]
	v_add_f64 v[80:81], v[10:11], -v[84:85]
	v_add_f64 v[8:9], v[8:9], -v[80:81]
	v_mul_f64 v[80:81], v[10:11], v[10:11]
	v_pk_mov_b32 v[82:83], s[34:35], s[34:35] op_sel:[0,1]
	v_fma_f64 v[84:85], s[36:37], v[80:81], v[82:83]
	v_fma_f64 v[84:85], v[80:81], v[84:85], s[38:39]
	;; [unrolled: 1-line block ×5, first 2 shown]
	s_mov_b32 s47, s31
	v_fma_f64 v[84:85], v[80:81], v[84:85], s[46:47]
	v_ldexp_f64 v[86:87], v[10:11], 1
	v_mul_f64 v[10:11], v[10:11], v[80:81]
	v_mul_f64 v[10:11], v[10:11], v[84:85]
	v_add_f64 v[80:81], v[86:87], v[10:11]
	v_add_f64 v[84:85], v[80:81], -v[86:87]
	v_ldexp_f64 v[8:9], v[8:9], 1
	v_add_f64 v[10:11], v[10:11], -v[84:85]
	v_add_f64 v[8:9], v[8:9], v[10:11]
	v_add_f64 v[10:11], v[80:81], v[8:9]
	v_add_f64 v[80:81], v[10:11], -v[80:81]
	v_add_f64 v[8:9], v[8:9], -v[80:81]
	v_cvt_f64_i32_e32 v[80:81], v75
	v_mul_f64 v[84:85], v[80:81], s[48:49]
	v_fma_f64 v[86:87], v[80:81], s[48:49], -v[84:85]
	v_fmac_f64_e32 v[86:87], s[50:51], v[80:81]
	v_add_f64 v[80:81], v[84:85], v[86:87]
	v_add_f64 v[84:85], v[80:81], -v[84:85]
	v_add_f64 v[84:85], v[86:87], -v[84:85]
	v_add_f64 v[86:87], v[80:81], v[10:11]
	v_add_f64 v[118:119], v[86:87], -v[80:81]
	v_add_f64 v[120:121], v[86:87], -v[118:119]
	;; [unrolled: 1-line block ×4, first 2 shown]
	v_add_f64 v[10:11], v[10:11], v[80:81]
	v_add_f64 v[80:81], v[84:85], v[8:9]
	v_add_f64 v[118:119], v[80:81], -v[84:85]
	v_add_f64 v[120:121], v[80:81], -v[118:119]
	v_add_f64 v[10:11], v[80:81], v[10:11]
	v_add_f64 v[84:85], v[84:85], -v[120:121]
	v_add_f64 v[8:9], v[8:9], -v[118:119]
	v_add_f64 v[80:81], v[86:87], v[10:11]
	v_add_f64 v[8:9], v[8:9], v[84:85]
	v_add_f64 v[84:85], v[80:81], -v[86:87]
	v_add_f64 v[10:11], v[10:11], -v[84:85]
	v_add_f64 v[8:9], v[8:9], v[10:11]
	v_add_f64 v[8:9], v[80:81], v[8:9]
	v_cmp_class_f64_e64 vcc, v[6:7], s33
	v_cndmask_b32_e32 v8, v8, v6, vcc
	v_cndmask_b32_e32 v9, v9, v7, vcc
	v_cmp_ngt_f64_e32 vcc, 0, v[6:7]
	v_cndmask_b32_e32 v9, v93, v9, vcc
	v_cmp_nge_f64_e32 vcc, 0, v[6:7]
	v_cndmask_b32_e32 v8, 0, v8, vcc
	v_cmp_neq_f64_e32 vcc, 0, v[6:7]
	v_cndmask_b32_e32 v9, v94, v9, vcc
	v_add_f64 v[6:7], v[8:9], -v[4:5]
	v_frexp_mant_f64_e32 v[8:9], v[76:77]
	v_cmp_gt_f64_e32 vcc, s[30:31], v[8:9]
	v_cndmask_b32_e64 v75, v92, 2.0, vcc
	v_frexp_exp_i32_f64_e32 v10, v[76:77]
	v_mul_f64 v[8:9], v[8:9], v[74:75]
	v_subbrev_co_u32_e32 v75, vcc, 0, v10, vcc
	v_add_f64 v[10:11], v[8:9], 1.0
	v_rcp_f64_e32 v[80:81], v[10:11]
	v_add_f64 v[86:87], v[10:11], -1.0
	v_add_f64 v[84:85], v[8:9], -1.0
	v_add_f64 v[8:9], v[8:9], -v[86:87]
	v_fma_f64 v[86:87], -v[10:11], v[80:81], 1.0
	v_fmac_f64_e32 v[80:81], v[86:87], v[80:81]
	v_fma_f64 v[86:87], -v[10:11], v[80:81], 1.0
	v_fmac_f64_e32 v[80:81], v[86:87], v[80:81]
	v_mul_f64 v[86:87], v[84:85], v[80:81]
	v_mul_f64 v[118:119], v[10:11], v[86:87]
	v_fma_f64 v[10:11], v[86:87], v[10:11], -v[118:119]
	v_fmac_f64_e32 v[10:11], v[86:87], v[8:9]
	v_add_f64 v[8:9], v[118:119], v[10:11]
	v_add_f64 v[120:121], v[84:85], -v[8:9]
	v_add_f64 v[118:119], v[8:9], -v[118:119]
	;; [unrolled: 1-line block ×5, first 2 shown]
	v_add_f64 v[8:9], v[10:11], v[8:9]
	v_add_f64 v[8:9], v[120:121], v[8:9]
	v_mul_f64 v[8:9], v[80:81], v[8:9]
	v_add_f64 v[10:11], v[86:87], v[8:9]
	v_add_f64 v[80:81], v[10:11], -v[86:87]
	v_add_f64 v[8:9], v[8:9], -v[80:81]
	v_mul_f64 v[80:81], v[10:11], v[10:11]
	v_fma_f64 v[84:85], s[36:37], v[80:81], v[82:83]
	v_fma_f64 v[84:85], v[80:81], v[84:85], s[38:39]
	;; [unrolled: 1-line block ×6, first 2 shown]
	v_ldexp_f64 v[86:87], v[10:11], 1
	v_mul_f64 v[10:11], v[10:11], v[80:81]
	v_mul_f64 v[10:11], v[10:11], v[84:85]
	v_add_f64 v[80:81], v[86:87], v[10:11]
	v_add_f64 v[84:85], v[80:81], -v[86:87]
	v_ldexp_f64 v[8:9], v[8:9], 1
	v_add_f64 v[10:11], v[10:11], -v[84:85]
	v_add_f64 v[8:9], v[8:9], v[10:11]
	v_add_f64 v[10:11], v[80:81], v[8:9]
	v_add_f64 v[80:81], v[10:11], -v[80:81]
	v_add_f64 v[8:9], v[8:9], -v[80:81]
	v_cvt_f64_i32_e32 v[80:81], v75
	v_mul_f64 v[84:85], v[80:81], s[48:49]
	v_fma_f64 v[86:87], v[80:81], s[48:49], -v[84:85]
	v_fmac_f64_e32 v[86:87], s[50:51], v[80:81]
	v_add_f64 v[80:81], v[84:85], v[86:87]
	v_add_f64 v[84:85], v[80:81], -v[84:85]
	v_add_f64 v[84:85], v[86:87], -v[84:85]
	v_add_f64 v[86:87], v[80:81], v[10:11]
	v_add_f64 v[118:119], v[86:87], -v[80:81]
	v_add_f64 v[120:121], v[86:87], -v[118:119]
	;; [unrolled: 1-line block ×4, first 2 shown]
	v_add_f64 v[10:11], v[10:11], v[80:81]
	v_add_f64 v[80:81], v[84:85], v[8:9]
	v_add_f64 v[118:119], v[80:81], -v[84:85]
	v_add_f64 v[120:121], v[80:81], -v[118:119]
	v_add_f64 v[10:11], v[80:81], v[10:11]
	v_add_f64 v[84:85], v[84:85], -v[120:121]
	v_add_f64 v[8:9], v[8:9], -v[118:119]
	v_add_f64 v[80:81], v[86:87], v[10:11]
	v_add_f64 v[8:9], v[8:9], v[84:85]
	v_add_f64 v[84:85], v[80:81], -v[86:87]
	v_add_f64 v[10:11], v[10:11], -v[84:85]
	s_mov_b32 s0, 0
	v_add_f64 v[8:9], v[8:9], v[10:11]
	s_mov_b32 s1, 0x7ff00000
	v_add_f64 v[8:9], v[80:81], v[8:9]
	v_cmp_eq_f64_e32 vcc, s[0:1], v[76:77]
	v_cndmask_b32_e32 v8, v8, v76, vcc
	v_cndmask_b32_e32 v9, v9, v77, vcc
	v_cmp_neq_f64_e32 vcc, 0, v[76:77]
	v_cndmask_b32_e32 v9, v94, v9, vcc
	v_cndmask_b32_e32 v8, 0, v8, vcc
	v_mul_f64 v[78:79], v[76:77], v[4:5]
	v_add_f64 v[80:81], v[6:7], -v[8:9]
	v_frexp_exp_i32_f64_e32 v6, v[4:5]
	v_frexp_mant_f64_e32 v[4:5], v[4:5]
	v_cmp_gt_f64_e32 vcc, s[30:31], v[4:5]
	v_cndmask_b32_e64 v75, v92, 2.0, vcc
	v_mul_f64 v[4:5], v[4:5], v[74:75]
	v_subbrev_co_u32_e32 v75, vcc, 0, v6, vcc
	v_add_f64 v[6:7], v[4:5], 1.0
	v_rcp_f64_e32 v[8:9], v[6:7]
	v_add_f64 v[84:85], v[6:7], -1.0
	v_add_f64 v[10:11], v[4:5], -1.0
	v_add_f64 v[4:5], v[4:5], -v[84:85]
	v_fma_f64 v[84:85], -v[6:7], v[8:9], 1.0
	v_fmac_f64_e32 v[8:9], v[84:85], v[8:9]
	v_fma_f64 v[84:85], -v[6:7], v[8:9], 1.0
	v_fmac_f64_e32 v[8:9], v[84:85], v[8:9]
	v_mul_f64 v[84:85], v[10:11], v[8:9]
	v_mul_f64 v[86:87], v[6:7], v[84:85]
	v_fma_f64 v[6:7], v[84:85], v[6:7], -v[86:87]
	v_fmac_f64_e32 v[6:7], v[84:85], v[4:5]
	v_add_f64 v[4:5], v[86:87], v[6:7]
	v_add_f64 v[118:119], v[10:11], -v[4:5]
	v_add_f64 v[86:87], v[4:5], -v[86:87]
	;; [unrolled: 1-line block ×5, first 2 shown]
	v_add_f64 v[4:5], v[6:7], v[4:5]
	v_add_f64 v[4:5], v[118:119], v[4:5]
	v_mul_f64 v[4:5], v[8:9], v[4:5]
	v_add_f64 v[6:7], v[84:85], v[4:5]
	v_add_f64 v[8:9], v[6:7], -v[84:85]
	v_add_f64 v[4:5], v[4:5], -v[8:9]
	v_mul_f64 v[8:9], v[6:7], v[6:7]
	v_fmac_f64_e32 v[82:83], s[36:37], v[8:9]
	v_fma_f64 v[10:11], v[8:9], v[82:83], s[38:39]
	v_fma_f64 v[10:11], v[8:9], v[10:11], s[40:41]
	;; [unrolled: 1-line block ×5, first 2 shown]
	v_ldexp_f64 v[82:83], v[6:7], 1
	v_mul_f64 v[6:7], v[6:7], v[8:9]
	v_mul_f64 v[6:7], v[6:7], v[10:11]
	v_add_f64 v[8:9], v[82:83], v[6:7]
	v_add_f64 v[10:11], v[8:9], -v[82:83]
	v_ldexp_f64 v[4:5], v[4:5], 1
	v_add_f64 v[6:7], v[6:7], -v[10:11]
	v_add_f64 v[4:5], v[4:5], v[6:7]
	v_add_f64 v[6:7], v[8:9], v[4:5]
	v_add_f64 v[8:9], v[6:7], -v[8:9]
	v_add_f64 v[4:5], v[4:5], -v[8:9]
	v_cvt_f64_i32_e32 v[8:9], v75
	v_mul_f64 v[10:11], v[8:9], s[48:49]
	v_fma_f64 v[82:83], v[8:9], s[48:49], -v[10:11]
	v_fmac_f64_e32 v[82:83], s[50:51], v[8:9]
	v_add_f64 v[8:9], v[10:11], v[82:83]
	v_add_f64 v[10:11], v[8:9], -v[10:11]
	v_add_f64 v[10:11], v[82:83], -v[10:11]
	v_add_f64 v[82:83], v[8:9], v[6:7]
	v_add_f64 v[84:85], v[82:83], -v[8:9]
	v_add_f64 v[86:87], v[82:83], -v[84:85]
	;; [unrolled: 1-line block ×4, first 2 shown]
	v_add_f64 v[6:7], v[6:7], v[8:9]
	v_add_f64 v[8:9], v[10:11], v[4:5]
	v_add_f64 v[84:85], v[8:9], -v[10:11]
	v_add_f64 v[86:87], v[8:9], -v[84:85]
	v_add_f64 v[6:7], v[8:9], v[6:7]
	v_add_f64 v[10:11], v[10:11], -v[86:87]
	v_add_f64 v[4:5], v[4:5], -v[84:85]
	v_add_f64 v[8:9], v[82:83], v[6:7]
	v_add_f64 v[4:5], v[4:5], v[10:11]
	v_add_f64 v[10:11], v[8:9], -v[82:83]
	v_add_f64 v[6:7], v[6:7], -v[10:11]
	v_add_f64 v[4:5], v[4:5], v[6:7]
	s_mov_b32 s19, s16
	v_add_f64 v[82:83], v[8:9], v[4:5]
	s_mov_b64 s[16:17], 0
	s_mov_b64 s[14:15], 0
	v_mov_b32_e32 v117, v17
                                        ; implicit-def: $vgpr75
.LBB72_15:                              ;   Parent Loop BB72_5 Depth=1
                                        ; =>  This Inner Loop Header: Depth=2
	v_add_u32_e32 v118, 1, v15
	v_pk_mov_b32 v[10:11], v[2:3], v[2:3] op_sel:[0,1]
	v_cmp_eq_u32_e32 vcc, 4, v118
	v_pk_mov_b32 v[8:9], v[0:1], v[0:1] op_sel:[0,1]
	v_mov_b32_e32 v87, v0
	v_mov_b32_e32 v86, v1
	;; [unrolled: 1-line block ×4, first 2 shown]
	s_and_saveexec_b64 s[0:1], vcc
	s_cbranch_execz .LBB72_17
; %bb.16:                               ;   in Loop: Header=BB72_15 Depth=2
	v_add_co_u32_e32 v98, vcc, 1, v98
	v_cndmask_b32_e64 v4, 0, 1, vcc
	v_addc_co_u32_e32 v99, vcc, 0, v99, vcc
	v_cmp_eq_u32_e32 vcc, 0, v99
	v_cndmask_b32_e32 v4, 0, v4, vcc
	v_add_u32_e32 v117, v4, v117
	v_cmp_eq_u32_e32 vcc, 0, v117
	v_cndmask_b32_e32 v4, 0, v4, vcc
	v_add_u32_e32 v74, v4, v74
	v_mad_u64_u32 v[4:5], s[2:3], v98, s11, 0
	v_mad_u64_u32 v[6:7], s[2:3], v117, s10, 0
	v_xor_b32_e32 v5, v5, v73
	v_xor_b32_e32 v7, v7, v72
	v_xor_b32_e32 v5, v74, v5
	v_xor_b32_e32 v7, v99, v7
	v_mad_u64_u32 v[10:11], s[2:3], v5, s10, 0
	v_mad_u64_u32 v[8:9], s[2:3], v7, s11, 0
	v_xor_b32_e32 v5, v100, v11
	v_xor_b32_e32 v5, v5, v6
	v_xor_b32_e32 v6, v101, v9
	v_xor_b32_e32 v6, v6, v4
	;; [unrolled: 6-line block ×10, first 2 shown]
	v_mov_b32_e32 v118, 0
	v_mov_b32_e32 v9, v86
	;; [unrolled: 1-line block ×5, first 2 shown]
.LBB72_17:                              ;   in Loop: Header=BB72_15 Depth=2
	s_or_b64 exec, exec, s[0:1]
	v_add_u32_e32 v119, 1, v118
	v_pk_mov_b32 v[4:5], v[8:9], v[8:9] op_sel:[0,1]
	v_cmp_eq_u32_e32 vcc, 4, v119
	v_pk_mov_b32 v[6:7], v[10:11], v[10:11] op_sel:[0,1]
	s_and_saveexec_b64 s[0:1], vcc
	s_cbranch_execz .LBB72_19
; %bb.18:                               ;   in Loop: Header=BB72_15 Depth=2
	v_add_co_u32_e32 v98, vcc, 1, v98
	v_cndmask_b32_e64 v4, 0, 1, vcc
	v_addc_co_u32_e32 v99, vcc, 0, v99, vcc
	v_cmp_eq_u32_e32 vcc, 0, v99
	v_cndmask_b32_e32 v4, 0, v4, vcc
	v_add_u32_e32 v117, v4, v117
	v_cmp_eq_u32_e32 vcc, 0, v117
	v_cndmask_b32_e32 v4, 0, v4, vcc
	v_add_u32_e32 v74, v4, v74
	v_mad_u64_u32 v[4:5], s[2:3], v98, s11, 0
	v_mad_u64_u32 v[6:7], s[2:3], v117, s10, 0
	v_xor_b32_e32 v5, v5, v73
	v_xor_b32_e32 v7, v7, v72
	v_xor_b32_e32 v5, v74, v5
	v_xor_b32_e32 v7, v99, v7
	v_mad_u64_u32 v[86:87], s[2:3], v5, s10, 0
	v_mad_u64_u32 v[84:85], s[2:3], v7, s11, 0
	v_xor_b32_e32 v5, v100, v87
	v_xor_b32_e32 v5, v5, v6
	v_xor_b32_e32 v6, v101, v85
	v_xor_b32_e32 v6, v6, v4
	;; [unrolled: 6-line block ×10, first 2 shown]
	v_mov_b32_e32 v119, 0
	v_mov_b32_e32 v5, v86
	;; [unrolled: 1-line block ×5, first 2 shown]
.LBB72_19:                              ;   in Loop: Header=BB72_15 Depth=2
	s_or_b64 exec, exec, s[0:1]
	v_cmp_eq_u32_e32 vcc, 1, v15
	v_cndmask_b32_e32 v0, v0, v1, vcc
	v_cmp_eq_u32_e32 vcc, 2, v15
	v_cndmask_b32_e32 v0, v0, v2, vcc
	;; [unrolled: 2-line block ×6, first 2 shown]
	v_lshrrev_b32_e32 v0, 11, v0
	v_cvt_f64_u32_e32 v[0:1], v0
	v_ldexp_f64 v[0:1], v[0:1], 32
	v_cvt_f64_u32_e32 v[2:3], v2
	v_add_f64 v[0:1], v[0:1], v[2:3]
	v_mov_b32_e32 v2, 0
	v_mov_b32_e32 v3, 0x3ca00000
	v_fmac_f64_e32 v[2:3], 0x3ca00000, v[0:1]
	v_add_f64 v[0:1], -v[2:3], 1.0
	v_div_scale_f64 v[8:9], s[0:1], v[2:3], v[2:3], v[0:1]
	v_rcp_f64_e32 v[10:11], v[8:9]
	v_fma_f64 v[120:121], -v[8:9], v[10:11], 1.0
	v_fmac_f64_e32 v[10:11], v[10:11], v[120:121]
	v_fma_f64 v[120:121], -v[8:9], v[10:11], 1.0
	v_fmac_f64_e32 v[10:11], v[10:11], v[120:121]
	v_div_scale_f64 v[120:121], vcc, v[0:1], v[2:3], v[0:1]
	v_mul_f64 v[122:123], v[120:121], v[10:11]
	v_fma_f64 v[8:9], -v[8:9], v[122:123], v[120:121]
	s_nop 1
	v_div_fmas_f64 v[8:9], v[8:9], v[10:11], v[122:123]
	v_div_fixup_f64 v[0:1], v[8:9], v[2:3], v[0:1]
	v_frexp_mant_f64_e32 v[2:3], v[0:1]
	v_cmp_gt_f64_e32 vcc, s[30:31], v[2:3]
	v_cndmask_b32_e64 v15, v92, 2.0, vcc
	v_frexp_exp_i32_f64_e32 v8, v[0:1]
	v_mul_f64 v[2:3], v[2:3], v[14:15]
	v_subbrev_co_u32_e32 v15, vcc, 0, v8, vcc
	v_add_f64 v[8:9], v[2:3], 1.0
	v_rcp_f64_e32 v[10:11], v[8:9]
	v_add_f64 v[122:123], v[8:9], -1.0
	v_add_f64 v[120:121], v[2:3], -1.0
	v_add_f64 v[2:3], v[2:3], -v[122:123]
	v_fma_f64 v[122:123], -v[8:9], v[10:11], 1.0
	v_fmac_f64_e32 v[10:11], v[122:123], v[10:11]
	v_fma_f64 v[122:123], -v[8:9], v[10:11], 1.0
	v_fmac_f64_e32 v[10:11], v[122:123], v[10:11]
	v_mul_f64 v[122:123], v[120:121], v[10:11]
	v_mul_f64 v[124:125], v[8:9], v[122:123]
	v_fma_f64 v[8:9], v[122:123], v[8:9], -v[124:125]
	v_fmac_f64_e32 v[8:9], v[122:123], v[2:3]
	v_add_f64 v[2:3], v[124:125], v[8:9]
	v_add_f64 v[126:127], v[120:121], -v[2:3]
	v_add_f64 v[124:125], v[2:3], -v[124:125]
	;; [unrolled: 1-line block ×5, first 2 shown]
	v_add_f64 v[2:3], v[8:9], v[2:3]
	v_add_f64 v[2:3], v[126:127], v[2:3]
	v_mul_f64 v[2:3], v[10:11], v[2:3]
	v_add_f64 v[8:9], v[122:123], v[2:3]
	v_add_f64 v[10:11], v[8:9], -v[122:123]
	v_add_f64 v[2:3], v[2:3], -v[10:11]
	v_mul_f64 v[10:11], v[8:9], v[8:9]
	v_pk_mov_b32 v[120:121], v[18:19], v[18:19] op_sel:[0,1]
	v_fmac_f64_e32 v[120:121], s[36:37], v[10:11]
	v_pk_mov_b32 v[122:123], v[20:21], v[20:21] op_sel:[0,1]
	v_fmac_f64_e32 v[122:123], v[10:11], v[120:121]
	;; [unrolled: 2-line block ×6, first 2 shown]
	v_ldexp_f64 v[120:121], v[8:9], 1
	v_mul_f64 v[8:9], v[8:9], v[10:11]
	v_mul_f64 v[8:9], v[8:9], v[122:123]
	v_add_f64 v[10:11], v[120:121], v[8:9]
	v_add_f64 v[120:121], v[10:11], -v[120:121]
	v_ldexp_f64 v[2:3], v[2:3], 1
	v_add_f64 v[8:9], v[8:9], -v[120:121]
	v_add_f64 v[2:3], v[2:3], v[8:9]
	v_add_f64 v[8:9], v[10:11], v[2:3]
	v_add_f64 v[10:11], v[8:9], -v[10:11]
	v_add_f64 v[2:3], v[2:3], -v[10:11]
	v_cvt_f64_i32_e32 v[10:11], v15
	v_mul_f64 v[120:121], v[10:11], s[48:49]
	v_fma_f64 v[122:123], v[10:11], s[48:49], -v[120:121]
	v_fmac_f64_e32 v[122:123], s[50:51], v[10:11]
	v_add_f64 v[10:11], v[120:121], v[122:123]
	v_add_f64 v[120:121], v[10:11], -v[120:121]
	v_add_f64 v[120:121], v[122:123], -v[120:121]
	v_add_f64 v[122:123], v[10:11], v[8:9]
	v_add_f64 v[124:125], v[122:123], -v[10:11]
	v_add_f64 v[126:127], v[122:123], -v[124:125]
	;; [unrolled: 1-line block ×4, first 2 shown]
	v_add_f64 v[8:9], v[8:9], v[10:11]
	v_add_f64 v[10:11], v[120:121], v[2:3]
	v_add_f64 v[124:125], v[10:11], -v[120:121]
	v_add_f64 v[126:127], v[10:11], -v[124:125]
	v_add_f64 v[8:9], v[10:11], v[8:9]
	v_add_f64 v[120:121], v[120:121], -v[126:127]
	v_add_f64 v[2:3], v[2:3], -v[124:125]
	v_add_f64 v[10:11], v[122:123], v[8:9]
	v_add_f64 v[2:3], v[2:3], v[120:121]
	v_add_f64 v[120:121], v[10:11], -v[122:123]
	v_add_f64 v[8:9], v[8:9], -v[120:121]
	v_add_f64 v[2:3], v[2:3], v[8:9]
	v_add_f64 v[2:3], v[10:11], v[2:3]
	v_cmp_class_f64_e64 vcc, v[0:1], s33
	v_cndmask_b32_e32 v2, v2, v0, vcc
	v_cndmask_b32_e32 v3, v3, v1, vcc
	v_cmp_ngt_f64_e32 vcc, 0, v[0:1]
	v_cndmask_b32_e32 v3, v93, v3, vcc
	v_cmp_nge_f64_e32 vcc, 0, v[0:1]
	v_cndmask_b32_e32 v2, 0, v2, vcc
	v_cmp_neq_f64_e32 vcc, 0, v[0:1]
	v_cndmask_b32_e32 v3, v94, v3, vcc
	v_add_f64 v[0:1], v[78:79], -v[2:3]
	v_div_scale_f64 v[2:3], s[0:1], v[76:77], v[76:77], v[0:1]
	v_rcp_f64_e32 v[8:9], v[2:3]
	v_fma_f64 v[10:11], -v[2:3], v[8:9], 1.0
	v_fmac_f64_e32 v[8:9], v[8:9], v[10:11]
	v_fma_f64 v[10:11], -v[2:3], v[8:9], 1.0
	v_fmac_f64_e32 v[8:9], v[8:9], v[10:11]
	v_div_scale_f64 v[10:11], vcc, v[0:1], v[76:77], v[0:1]
	v_mul_f64 v[120:121], v[10:11], v[8:9]
	v_fma_f64 v[2:3], -v[2:3], v[120:121], v[10:11]
	s_nop 1
	v_div_fmas_f64 v[2:3], v[2:3], v[8:9], v[120:121]
	v_div_fixup_f64 v[10:11], v[2:3], v[76:77], v[0:1]
	v_add_f64 v[0:1], v[10:11], 0.5
	v_floor_f64_e32 v[8:9], v[0:1]
	v_cmp_ngt_f64_e32 vcc, 0, v[8:9]
	v_mov_b32_e32 v120, 2
	s_and_saveexec_b64 s[0:1], vcc
	s_cbranch_execz .LBB72_25
; %bb.20:                               ;   in Loop: Header=BB72_15 Depth=2
	v_add_u32_e32 v15, 1, v119
	v_pk_mov_b32 v[0:1], v[4:5], v[4:5] op_sel:[0,1]
	v_cmp_eq_u32_e32 vcc, 4, v15
	v_pk_mov_b32 v[2:3], v[6:7], v[6:7] op_sel:[0,1]
	s_and_saveexec_b64 s[2:3], vcc
	s_cbranch_execz .LBB72_22
; %bb.21:                               ;   in Loop: Header=BB72_15 Depth=2
	v_add_co_u32_e32 v98, vcc, 1, v98
	v_cndmask_b32_e64 v0, 0, 1, vcc
	v_addc_co_u32_e32 v99, vcc, 0, v99, vcc
	v_cmp_eq_u32_e32 vcc, 0, v99
	v_cndmask_b32_e32 v0, 0, v0, vcc
	v_add_u32_e32 v117, v0, v117
	v_cmp_eq_u32_e32 vcc, 0, v117
	v_cndmask_b32_e32 v0, 0, v0, vcc
	v_add_u32_e32 v74, v0, v74
	v_mad_u64_u32 v[0:1], vcc, v98, s11, 0
	v_mad_u64_u32 v[2:3], vcc, v117, s10, 0
	v_xor_b32_e32 v1, v1, v73
	v_xor_b32_e32 v3, v3, v72
	v_xor_b32_e32 v1, v74, v1
	v_xor_b32_e32 v3, v99, v3
	v_mad_u64_u32 v[86:87], vcc, v1, s10, 0
	v_mad_u64_u32 v[84:85], vcc, v3, s11, 0
	v_xor_b32_e32 v1, v100, v87
	v_xor_b32_e32 v1, v1, v2
	v_xor_b32_e32 v2, v101, v85
	v_xor_b32_e32 v2, v2, v0
	v_mad_u64_u32 v[0:1], vcc, v1, s11, 0
	v_mad_u64_u32 v[2:3], vcc, v2, s10, 0
	v_xor_b32_e32 v1, v103, v1
	v_xor_b32_e32 v3, v102, v3
	v_xor_b32_e32 v1, v1, v84
	v_xor_b32_e32 v3, v3, v86
	v_mad_u64_u32 v[86:87], vcc, v1, s10, 0
	v_mad_u64_u32 v[84:85], vcc, v3, s11, 0
	v_xor_b32_e32 v1, v105, v87
	v_xor_b32_e32 v1, v1, v2
	v_xor_b32_e32 v2, v106, v85
	v_xor_b32_e32 v2, v2, v0
	v_mad_u64_u32 v[0:1], vcc, v1, s11, 0
	v_mad_u64_u32 v[2:3], vcc, v2, s10, 0
	v_xor_b32_e32 v1, v109, v1
	v_xor_b32_e32 v3, v108, v3
	v_xor_b32_e32 v1, v1, v84
	v_xor_b32_e32 v3, v3, v86
	v_mad_u64_u32 v[86:87], vcc, v1, s10, 0
	v_mad_u64_u32 v[84:85], vcc, v3, s11, 0
	v_xor_b32_e32 v1, v110, v87
	v_xor_b32_e32 v1, v1, v2
	v_xor_b32_e32 v2, v111, v85
	v_xor_b32_e32 v2, v2, v0
	v_mad_u64_u32 v[0:1], vcc, v1, s11, 0
	v_mad_u64_u32 v[2:3], vcc, v2, s10, 0
	v_xor_b32_e32 v1, v113, v1
	v_xor_b32_e32 v3, v112, v3
	v_xor_b32_e32 v1, v1, v84
	v_xor_b32_e32 v3, v3, v86
	v_mad_u64_u32 v[86:87], vcc, v1, s10, 0
	v_mad_u64_u32 v[84:85], vcc, v3, s11, 0
	v_xor_b32_e32 v1, v114, v87
	v_xor_b32_e32 v1, v1, v2
	v_xor_b32_e32 v2, v115, v85
	v_xor_b32_e32 v0, v2, v0
	v_mad_u64_u32 v[2:3], vcc, v1, s11, 0
	v_mad_u64_u32 v[0:1], vcc, v0, s10, 0
	v_xor_b32_e32 v1, v104, v1
	v_xor_b32_e32 v3, v116, v3
	v_xor_b32_e32 v1, v1, v86
	v_xor_b32_e32 v3, v3, v84
	v_mad_u64_u32 v[84:85], vcc, v1, s11, 0
	v_mad_u64_u32 v[86:87], vcc, v3, s10, 0
	v_xor_b32_e32 v0, v87, v0
	v_xor_b32_e32 v1, v85, v2
	v_xor_b32_e32 v0, v107, v0
	v_xor_b32_e32 v2, v97, v1
	v_mov_b32_e32 v15, 0
	v_mov_b32_e32 v1, v86
	;; [unrolled: 1-line block ×5, first 2 shown]
.LBB72_22:                              ;   in Loop: Header=BB72_15 Depth=2
	s_or_b64 exec, exec, s[2:3]
	v_add_u32_e32 v118, 1, v15
	v_cmp_eq_u32_e32 vcc, 4, v118
	s_and_saveexec_b64 s[2:3], vcc
	s_cbranch_execz .LBB72_24
; %bb.23:                               ;   in Loop: Header=BB72_15 Depth=2
	v_add_co_u32_e32 v98, vcc, 1, v98
	v_cndmask_b32_e64 v84, 0, 1, vcc
	v_addc_co_u32_e32 v99, vcc, 0, v99, vcc
	v_cmp_eq_u32_e32 vcc, 0, v99
	v_cndmask_b32_e32 v84, 0, v84, vcc
	v_add_u32_e32 v117, v84, v117
	v_cmp_eq_u32_e32 vcc, 0, v117
	v_cndmask_b32_e32 v84, 0, v84, vcc
	v_add_u32_e32 v74, v84, v74
	v_mad_u64_u32 v[84:85], vcc, v98, s11, 0
	v_mad_u64_u32 v[86:87], vcc, v117, s10, 0
	v_xor_b32_e32 v85, v85, v73
	v_xor_b32_e32 v87, v87, v72
	v_xor_b32_e32 v85, v74, v85
	v_xor_b32_e32 v87, v99, v87
	v_mad_u64_u32 v[122:123], vcc, v85, s10, 0
	v_mad_u64_u32 v[120:121], vcc, v87, s11, 0
	v_xor_b32_e32 v85, v100, v123
	v_xor_b32_e32 v85, v85, v86
	v_xor_b32_e32 v86, v101, v121
	v_xor_b32_e32 v86, v86, v84
	;; [unrolled: 6-line block ×9, first 2 shown]
	v_mad_u64_u32 v[84:85], vcc, v84, s11, 0
	v_mad_u64_u32 v[86:87], vcc, v86, s10, 0
	v_xor_b32_e32 v87, v87, v126
	v_xor_b32_e32 v85, v85, v124
	v_mov_b32_e32 v118, 0
	v_xor_b32_e32 v87, v107, v87
	v_xor_b32_e32 v85, v97, v85
.LBB72_24:                              ;   in Loop: Header=BB72_15 Depth=2
	s_or_b64 exec, exec, s[2:3]
	v_cmp_eq_u32_e32 vcc, 1, v119
	v_cndmask_b32_e32 v4, v4, v5, vcc
	v_cmp_eq_u32_e32 vcc, 2, v119
	v_cndmask_b32_e32 v4, v4, v6, vcc
	;; [unrolled: 2-line block ×6, first 2 shown]
	v_lshrrev_b32_e32 v0, 11, v0
	v_cvt_f64_u32_e32 v[0:1], v0
	v_ldexp_f64 v[0:1], v[0:1], 32
	v_cvt_f64_u32_e32 v[2:3], v4
	v_add_f64 v[0:1], v[0:1], v[2:3]
	v_mov_b32_e32 v2, 0
	v_mov_b32_e32 v3, 0x3ca00000
	v_fma_f64 v[4:5], -v[76:77], v[10:11], v[78:79]
	v_fmac_f64_e32 v[2:3], 0x3ca00000, v[0:1]
	v_mul_f64 v[0:1], v[4:5], s[54:55]
	v_rndne_f64_e32 v[0:1], v[0:1]
	s_mov_b32 s56, s48
	v_fma_f64 v[6:7], s[56:57], v[0:1], v[4:5]
	s_mov_b32 s58, s50
	v_fmac_f64_e32 v[6:7], s[58:59], v[0:1]
	v_pk_mov_b32 v[10:11], v[30:31], v[30:31] op_sel:[0,1]
	v_fmac_f64_e32 v[10:11], s[60:61], v[6:7]
	v_pk_mov_b32 v[120:121], v[32:33], v[32:33] op_sel:[0,1]
	;; [unrolled: 2-line block ×9, first 2 shown]
	v_fmac_f64_e32 v[10:11], v[6:7], v[120:121]
	v_fma_f64 v[10:11], v[6:7], v[10:11], 1.0
	v_fma_f64 v[6:7], v[6:7], v[10:11], 1.0
	v_cvt_i32_f64_e32 v0, v[0:1]
	v_ldexp_f64 v[0:1], v[6:7], v0
	v_add_f64 v[0:1], v[0:1], 1.0
	v_cmp_nlt_f64_e32 vcc, s[64:65], v[4:5]
	v_cmp_ngt_f64_e64 s[2:3], s[66:67], v[4:5]
	v_cndmask_b32_e32 v1, v95, v1, vcc
	s_and_b64 vcc, s[2:3], vcc
	v_cndmask_b32_e64 v1, v92, v1, s[2:3]
	v_cndmask_b32_e32 v0, 0, v0, vcc
	v_mul_f64 v[0:1], v[0:1], v[0:1]
	v_div_scale_f64 v[6:7], s[2:3], v[0:1], v[0:1], v[2:3]
	v_rcp_f64_e32 v[10:11], v[6:7]
	s_mov_b32 s47, s31
	v_fma_f64 v[120:121], -v[6:7], v[10:11], 1.0
	v_fmac_f64_e32 v[10:11], v[10:11], v[120:121]
	v_fma_f64 v[120:121], -v[6:7], v[10:11], 1.0
	v_fmac_f64_e32 v[10:11], v[10:11], v[120:121]
	v_div_scale_f64 v[120:121], vcc, v[2:3], v[0:1], v[2:3]
	v_mul_f64 v[122:123], v[120:121], v[10:11]
	v_fma_f64 v[6:7], -v[6:7], v[122:123], v[120:121]
	s_nop 1
	v_div_fmas_f64 v[6:7], v[6:7], v[10:11], v[122:123]
	v_div_fixup_f64 v[2:3], v[6:7], v[0:1], v[2:3]
	v_frexp_mant_f64_e32 v[0:1], v[2:3]
	v_cmp_gt_f64_e32 vcc, s[30:31], v[0:1]
	v_cndmask_b32_e64 v15, v92, 2.0, vcc
	v_frexp_exp_i32_f64_e32 v6, v[2:3]
	v_mul_f64 v[0:1], v[0:1], v[14:15]
	v_subbrev_co_u32_e32 v15, vcc, 0, v6, vcc
	v_add_f64 v[6:7], v[0:1], 1.0
	v_rcp_f64_e32 v[10:11], v[6:7]
	v_add_f64 v[122:123], v[6:7], -1.0
	v_add_f64 v[120:121], v[0:1], -1.0
	v_add_f64 v[0:1], v[0:1], -v[122:123]
	v_fma_f64 v[122:123], -v[6:7], v[10:11], 1.0
	v_fmac_f64_e32 v[10:11], v[122:123], v[10:11]
	v_fma_f64 v[122:123], -v[6:7], v[10:11], 1.0
	v_fmac_f64_e32 v[10:11], v[122:123], v[10:11]
	v_mul_f64 v[122:123], v[120:121], v[10:11]
	v_mul_f64 v[124:125], v[6:7], v[122:123]
	v_fma_f64 v[6:7], v[122:123], v[6:7], -v[124:125]
	v_fmac_f64_e32 v[6:7], v[122:123], v[0:1]
	v_add_f64 v[0:1], v[124:125], v[6:7]
	v_add_f64 v[126:127], v[120:121], -v[0:1]
	v_add_f64 v[124:125], v[0:1], -v[124:125]
	;; [unrolled: 1-line block ×5, first 2 shown]
	v_add_f64 v[0:1], v[6:7], v[0:1]
	v_add_f64 v[0:1], v[126:127], v[0:1]
	v_mul_f64 v[0:1], v[10:11], v[0:1]
	v_add_f64 v[6:7], v[122:123], v[0:1]
	v_add_f64 v[10:11], v[6:7], -v[122:123]
	v_add_f64 v[10:11], v[0:1], -v[10:11]
	v_mul_f64 v[120:121], v[6:7], v[6:7]
	v_pk_mov_b32 v[0:1], s[34:35], s[34:35] op_sel:[0,1]
	v_fma_f64 v[122:123], s[36:37], v[120:121], v[0:1]
	v_fma_f64 v[122:123], v[120:121], v[122:123], s[38:39]
	;; [unrolled: 1-line block ×6, first 2 shown]
	v_ldexp_f64 v[124:125], v[6:7], 1
	v_mul_f64 v[6:7], v[6:7], v[120:121]
	v_mul_f64 v[6:7], v[6:7], v[122:123]
	v_add_f64 v[120:121], v[124:125], v[6:7]
	v_add_f64 v[122:123], v[120:121], -v[124:125]
	v_ldexp_f64 v[10:11], v[10:11], 1
	v_add_f64 v[6:7], v[6:7], -v[122:123]
	v_add_f64 v[6:7], v[10:11], v[6:7]
	v_add_f64 v[10:11], v[120:121], v[6:7]
	v_add_f64 v[120:121], v[10:11], -v[120:121]
	v_add_f64 v[6:7], v[6:7], -v[120:121]
	v_cvt_f64_i32_e32 v[120:121], v15
	v_mul_f64 v[122:123], v[120:121], s[48:49]
	v_fma_f64 v[124:125], v[120:121], s[48:49], -v[122:123]
	v_fmac_f64_e32 v[124:125], s[50:51], v[120:121]
	v_add_f64 v[120:121], v[122:123], v[124:125]
	v_add_f64 v[122:123], v[120:121], -v[122:123]
	v_add_f64 v[122:123], v[124:125], -v[122:123]
	v_add_f64 v[124:125], v[120:121], v[10:11]
	v_add_f64 v[126:127], v[124:125], -v[120:121]
	v_add_f64 v[128:129], v[124:125], -v[126:127]
	;; [unrolled: 1-line block ×4, first 2 shown]
	v_add_f64 v[10:11], v[10:11], v[120:121]
	v_add_f64 v[120:121], v[122:123], v[6:7]
	v_add_f64 v[126:127], v[120:121], -v[122:123]
	v_add_f64 v[128:129], v[120:121], -v[126:127]
	v_add_f64 v[10:11], v[120:121], v[10:11]
	v_add_f64 v[122:123], v[122:123], -v[128:129]
	v_add_f64 v[6:7], v[6:7], -v[126:127]
	v_add_f64 v[120:121], v[124:125], v[10:11]
	v_add_f64 v[6:7], v[6:7], v[122:123]
	v_add_f64 v[122:123], v[120:121], -v[124:125]
	v_add_f64 v[10:11], v[10:11], -v[122:123]
	v_add_f64 v[6:7], v[6:7], v[10:11]
	v_add_f64 v[6:7], v[120:121], v[6:7]
	v_cmp_class_f64_e64 vcc, v[2:3], s33
	v_cndmask_b32_e32 v15, v6, v2, vcc
	v_cndmask_b32_e32 v6, v7, v3, vcc
	v_cmp_neq_f64_e32 vcc, 0, v[2:3]
	v_cndmask_b32_e32 v3, v94, v6, vcc
	v_add_f64 v[6:7], v[8:9], 1.0
	v_add_f64 v[6:7], v[6:7], -1.0
	v_add_f64 v[120:121], v[6:7], s[68:69]
	v_div_scale_f64 v[10:11], s[2:3], v[120:121], v[120:121], s[70:71]
	v_rcp_f64_e32 v[122:123], v[10:11]
	v_cndmask_b32_e32 v2, 0, v15, vcc
	v_add_f64 v[2:3], v[4:5], v[2:3]
	v_fma_f64 v[4:5], v[82:83], v[8:9], v[80:81]
	v_fma_f64 v[124:125], -v[10:11], v[122:123], 1.0
	v_fmac_f64_e32 v[122:123], v[122:123], v[124:125]
	v_fma_f64 v[124:125], -v[10:11], v[122:123], 1.0
	v_fmac_f64_e32 v[122:123], v[122:123], v[124:125]
	v_div_scale_f64 v[124:125], vcc, s[70:71], v[120:121], s[70:71]
	v_mul_f64 v[126:127], v[124:125], v[122:123]
	v_fma_f64 v[124:125], -v[10:11], v[126:127], v[124:125]
	v_add_f64 v[10:11], v[6:7], s[72:73]
	v_div_scale_f64 v[128:129], s[2:3], v[10:11], v[10:11], s[74:75]
	v_rcp_f64_e32 v[130:131], v[128:129]
	v_div_fmas_f64 v[122:123], v[124:125], v[122:123], v[126:127]
	v_div_fixup_f64 v[120:121], v[122:123], v[120:121], s[70:71]
	v_add_f64 v[126:127], v[6:7], s[76:77]
	v_fma_f64 v[122:123], -v[128:129], v[130:131], 1.0
	v_fmac_f64_e32 v[130:131], v[130:131], v[122:123]
	v_fma_f64 v[122:123], -v[128:129], v[130:131], 1.0
	v_fmac_f64_e32 v[130:131], v[130:131], v[122:123]
	v_div_scale_f64 v[122:123], vcc, s[74:75], v[10:11], s[74:75]
	v_mul_f64 v[124:125], v[122:123], v[130:131]
	v_fma_f64 v[122:123], -v[128:129], v[124:125], v[122:123]
	v_div_scale_f64 v[128:129], s[2:3], v[126:127], v[126:127], s[78:79]
	v_rcp_f64_e32 v[132:133], v[128:129]
	v_div_fmas_f64 v[122:123], v[122:123], v[130:131], v[124:125]
	v_add_f64 v[120:121], v[120:121], 0
	v_div_fixup_f64 v[122:123], v[122:123], v[10:11], s[74:75]
	v_add_f64 v[120:121], v[122:123], v[120:121]
	v_fma_f64 v[122:123], -v[128:129], v[132:133], 1.0
	v_fmac_f64_e32 v[132:133], v[132:133], v[122:123]
	v_fma_f64 v[122:123], -v[128:129], v[132:133], 1.0
	v_fmac_f64_e32 v[132:133], v[132:133], v[122:123]
	v_div_scale_f64 v[122:123], vcc, s[78:79], v[126:127], s[78:79]
	v_mul_f64 v[124:125], v[122:123], v[132:133]
	v_fma_f64 v[122:123], -v[128:129], v[124:125], v[122:123]
	v_add_f64 v[128:129], v[6:7], s[80:81]
	v_div_scale_f64 v[130:131], s[2:3], v[128:129], v[128:129], s[82:83]
	v_rcp_f64_e32 v[134:135], v[130:131]
	v_div_fmas_f64 v[122:123], v[122:123], v[132:133], v[124:125]
	v_div_fixup_f64 v[122:123], v[122:123], v[126:127], s[78:79]
	v_add_f64 v[120:121], v[120:121], v[122:123]
	v_fma_f64 v[122:123], -v[130:131], v[134:135], 1.0
	v_fmac_f64_e32 v[134:135], v[134:135], v[122:123]
	v_fma_f64 v[122:123], -v[130:131], v[134:135], 1.0
	v_fmac_f64_e32 v[134:135], v[134:135], v[122:123]
	v_div_scale_f64 v[122:123], vcc, s[82:83], v[128:129], s[82:83]
	v_mul_f64 v[124:125], v[122:123], v[134:135]
	v_add_f64 v[126:127], v[6:7], 4.0
	v_fma_f64 v[122:123], -v[130:131], v[124:125], v[122:123]
	v_div_scale_f64 v[130:131], s[2:3], v[126:127], v[126:127], s[84:85]
	v_rcp_f64_e32 v[132:133], v[130:131]
	v_div_fmas_f64 v[122:123], v[122:123], v[134:135], v[124:125]
	v_div_fixup_f64 v[122:123], v[122:123], v[128:129], s[82:83]
	v_add_f64 v[120:121], v[122:123], v[120:121]
	v_fma_f64 v[122:123], -v[130:131], v[132:133], 1.0
	v_fmac_f64_e32 v[132:133], v[132:133], v[122:123]
	v_fma_f64 v[122:123], -v[130:131], v[132:133], 1.0
	v_fmac_f64_e32 v[132:133], v[132:133], v[122:123]
	v_div_scale_f64 v[122:123], vcc, s[84:85], v[126:127], s[84:85]
	v_mul_f64 v[124:125], v[122:123], v[132:133]
	v_add_f64 v[128:129], v[6:7], s[24:25]
	v_fma_f64 v[122:123], -v[130:131], v[124:125], v[122:123]
	v_div_scale_f64 v[130:131], s[2:3], v[128:129], v[128:129], s[86:87]
	v_rcp_f64_e32 v[134:135], v[130:131]
	v_div_fmas_f64 v[122:123], v[122:123], v[132:133], v[124:125]
	v_div_fixup_f64 v[122:123], v[122:123], v[126:127], s[84:85]
	v_add_f64 v[120:121], v[120:121], v[122:123]
	v_fma_f64 v[122:123], -v[130:131], v[134:135], 1.0
	v_fmac_f64_e32 v[134:135], v[134:135], v[122:123]
	v_fma_f64 v[122:123], -v[130:131], v[134:135], 1.0
	v_fmac_f64_e32 v[134:135], v[134:135], v[122:123]
	v_div_scale_f64 v[122:123], vcc, s[86:87], v[128:129], s[86:87]
	v_mul_f64 v[124:125], v[122:123], v[134:135]
	v_add_f64 v[126:127], v[6:7], 2.0
	v_fma_f64 v[122:123], -v[130:131], v[124:125], v[122:123]
	v_div_scale_f64 v[130:131], s[2:3], v[126:127], v[126:127], s[88:89]
	v_rcp_f64_e32 v[132:133], v[130:131]
	v_div_fmas_f64 v[122:123], v[122:123], v[134:135], v[124:125]
	v_div_fixup_f64 v[122:123], v[122:123], v[128:129], s[86:87]
	v_add_f64 v[120:121], v[122:123], v[120:121]
	v_fma_f64 v[122:123], -v[130:131], v[132:133], 1.0
	v_fmac_f64_e32 v[132:133], v[132:133], v[122:123]
	v_fma_f64 v[122:123], -v[130:131], v[132:133], 1.0
	v_fmac_f64_e32 v[132:133], v[132:133], v[122:123]
	v_div_scale_f64 v[122:123], vcc, s[88:89], v[126:127], s[88:89]
	v_mul_f64 v[124:125], v[122:123], v[132:133]
	v_add_f64 v[128:129], v[6:7], 1.0
	v_fma_f64 v[122:123], -v[130:131], v[124:125], v[122:123]
	v_div_scale_f64 v[130:131], s[2:3], v[128:129], v[128:129], s[90:91]
	v_rcp_f64_e32 v[134:135], v[130:131]
	v_div_fmas_f64 v[122:123], v[122:123], v[132:133], v[124:125]
	v_div_fixup_f64 v[122:123], v[122:123], v[126:127], s[88:89]
	v_add_f64 v[120:121], v[120:121], v[122:123]
	v_fma_f64 v[122:123], -v[130:131], v[134:135], 1.0
	v_fmac_f64_e32 v[134:135], v[134:135], v[122:123]
	v_fma_f64 v[122:123], -v[130:131], v[134:135], 1.0
	v_fmac_f64_e32 v[134:135], v[134:135], v[122:123]
	v_div_scale_f64 v[122:123], vcc, s[90:91], v[128:129], s[90:91]
	v_mul_f64 v[124:125], v[122:123], v[134:135]
	v_fma_f64 v[122:123], -v[130:131], v[124:125], v[122:123]
	v_add_f64 v[10:11], v[10:11], 0.5
	s_nop 0
	v_div_fmas_f64 v[122:123], v[122:123], v[134:135], v[124:125]
	v_div_fixup_f64 v[122:123], v[122:123], v[128:129], s[90:91]
	v_add_f64 v[120:121], v[122:123], v[120:121]
	v_add_f64 v[120:121], v[120:121], s[92:93]
	v_frexp_mant_f64_e32 v[122:123], v[120:121]
	v_cmp_gt_f64_e32 vcc, s[30:31], v[122:123]
	v_cndmask_b32_e64 v15, v92, 2.0, vcc
	v_mul_f64 v[122:123], v[122:123], v[14:15]
	v_add_f64 v[124:125], v[122:123], 1.0
	v_rcp_f64_e32 v[126:127], v[124:125]
	v_add_f64 v[130:131], v[124:125], -1.0
	v_add_f64 v[128:129], v[122:123], -1.0
	v_add_f64 v[122:123], v[122:123], -v[130:131]
	v_fma_f64 v[130:131], -v[124:125], v[126:127], 1.0
	v_fmac_f64_e32 v[126:127], v[130:131], v[126:127]
	v_fma_f64 v[130:131], -v[124:125], v[126:127], 1.0
	v_fmac_f64_e32 v[126:127], v[130:131], v[126:127]
	v_mul_f64 v[130:131], v[128:129], v[126:127]
	v_mul_f64 v[132:133], v[124:125], v[130:131]
	v_fma_f64 v[124:125], v[130:131], v[124:125], -v[132:133]
	v_fmac_f64_e32 v[124:125], v[130:131], v[122:123]
	v_add_f64 v[122:123], v[132:133], v[124:125]
	v_add_f64 v[134:135], v[128:129], -v[122:123]
	v_add_f64 v[132:133], v[122:123], -v[132:133]
	;; [unrolled: 1-line block ×5, first 2 shown]
	v_add_f64 v[122:123], v[124:125], v[122:123]
	v_add_f64 v[122:123], v[134:135], v[122:123]
	v_mul_f64 v[122:123], v[126:127], v[122:123]
	v_add_f64 v[124:125], v[130:131], v[122:123]
	v_add_f64 v[126:127], v[124:125], -v[130:131]
	v_add_f64 v[122:123], v[122:123], -v[126:127]
	v_mul_f64 v[126:127], v[124:125], v[124:125]
	v_fma_f64 v[128:129], s[36:37], v[126:127], v[0:1]
	v_fma_f64 v[128:129], v[126:127], v[128:129], s[38:39]
	;; [unrolled: 1-line block ×6, first 2 shown]
	v_ldexp_f64 v[130:131], v[124:125], 1
	v_mul_f64 v[124:125], v[124:125], v[126:127]
	v_mul_f64 v[124:125], v[124:125], v[128:129]
	v_add_f64 v[126:127], v[130:131], v[124:125]
	v_add_f64 v[128:129], v[126:127], -v[130:131]
	v_ldexp_f64 v[122:123], v[122:123], 1
	v_add_f64 v[124:125], v[124:125], -v[128:129]
	v_add_f64 v[122:123], v[122:123], v[124:125]
	v_frexp_exp_i32_f64_e32 v119, v[120:121]
	v_add_f64 v[124:125], v[126:127], v[122:123]
	v_subbrev_co_u32_e32 v15, vcc, 0, v119, vcc
	v_add_f64 v[126:127], v[124:125], -v[126:127]
	v_add_f64 v[122:123], v[122:123], -v[126:127]
	v_cvt_f64_i32_e32 v[126:127], v15
	v_mul_f64 v[128:129], v[126:127], s[48:49]
	v_fma_f64 v[130:131], v[126:127], s[48:49], -v[128:129]
	v_fmac_f64_e32 v[130:131], s[50:51], v[126:127]
	v_add_f64 v[126:127], v[128:129], v[130:131]
	v_add_f64 v[128:129], v[126:127], -v[128:129]
	v_add_f64 v[128:129], v[130:131], -v[128:129]
	v_add_f64 v[130:131], v[126:127], v[124:125]
	v_add_f64 v[132:133], v[130:131], -v[126:127]
	v_add_f64 v[134:135], v[130:131], -v[132:133]
	;; [unrolled: 1-line block ×4, first 2 shown]
	v_add_f64 v[124:125], v[124:125], v[126:127]
	v_add_f64 v[126:127], v[128:129], v[122:123]
	v_add_f64 v[132:133], v[126:127], -v[128:129]
	v_add_f64 v[134:135], v[126:127], -v[132:133]
	v_add_f64 v[124:125], v[126:127], v[124:125]
	v_add_f64 v[128:129], v[128:129], -v[134:135]
	v_add_f64 v[122:123], v[122:123], -v[132:133]
	v_add_f64 v[126:127], v[130:131], v[124:125]
	v_add_f64 v[122:123], v[122:123], v[128:129]
	v_add_f64 v[128:129], v[126:127], -v[130:131]
	v_add_f64 v[124:125], v[124:125], -v[128:129]
	v_add_f64 v[122:123], v[122:123], v[124:125]
	v_add_f64 v[122:123], v[126:127], v[122:123]
	v_cmp_class_f64_e64 vcc, v[120:121], s33
	v_div_scale_f64 v[124:125], s[2:3], s[20:21], s[20:21], v[10:11]
	v_cndmask_b32_e32 v123, v123, v121, vcc
	v_cndmask_b32_e32 v122, v122, v120, vcc
	v_rcp_f64_e32 v[126:127], v[124:125]
	v_add_f64 v[122:123], v[122:123], s[94:95]
	v_add_f64 v[122:123], v[122:123], s[22:23]
	v_cmp_ngt_f64_e32 vcc, 0, v[120:121]
	v_cndmask_b32_e32 v15, v93, v123, vcc
	v_cmp_nge_f64_e32 vcc, 0, v[120:121]
	v_cndmask_b32_e32 v122, 0, v122, vcc
	v_cmp_neq_f64_e32 vcc, 0, v[120:121]
	v_fma_f64 v[120:121], -v[124:125], v[126:127], 1.0
	v_fmac_f64_e32 v[126:127], v[126:127], v[120:121]
	v_fma_f64 v[120:121], -v[124:125], v[126:127], 1.0
	v_cndmask_b32_e32 v123, v94, v15, vcc
	v_fmac_f64_e32 v[126:127], v[126:127], v[120:121]
	v_div_scale_f64 v[120:121], vcc, v[10:11], s[20:21], v[10:11]
	v_mul_f64 v[128:129], v[120:121], v[126:127]
	v_fma_f64 v[120:121], -v[124:125], v[128:129], v[120:121]
	v_add_f64 v[6:7], v[6:7], 0.5
	s_nop 0
	v_div_fmas_f64 v[120:121], v[120:121], v[126:127], v[128:129]
	v_div_fixup_f64 v[10:11], v[120:121], s[20:21], v[10:11]
	v_frexp_mant_f64_e32 v[120:121], v[10:11]
	v_cmp_gt_f64_e32 vcc, s[30:31], v[120:121]
	v_cndmask_b32_e64 v15, v92, 2.0, vcc
	v_mul_f64 v[120:121], v[120:121], v[14:15]
	v_add_f64 v[124:125], v[120:121], 1.0
	v_rcp_f64_e32 v[126:127], v[124:125]
	v_add_f64 v[130:131], v[124:125], -1.0
	v_add_f64 v[128:129], v[120:121], -1.0
	v_add_f64 v[120:121], v[120:121], -v[130:131]
	v_fma_f64 v[130:131], -v[124:125], v[126:127], 1.0
	v_fmac_f64_e32 v[126:127], v[130:131], v[126:127]
	v_fma_f64 v[130:131], -v[124:125], v[126:127], 1.0
	v_fmac_f64_e32 v[126:127], v[130:131], v[126:127]
	v_mul_f64 v[130:131], v[128:129], v[126:127]
	v_mul_f64 v[132:133], v[124:125], v[130:131]
	v_fma_f64 v[124:125], v[130:131], v[124:125], -v[132:133]
	v_fmac_f64_e32 v[124:125], v[130:131], v[120:121]
	v_add_f64 v[120:121], v[132:133], v[124:125]
	v_add_f64 v[134:135], v[128:129], -v[120:121]
	v_add_f64 v[132:133], v[120:121], -v[132:133]
	;; [unrolled: 1-line block ×5, first 2 shown]
	v_add_f64 v[120:121], v[124:125], v[120:121]
	v_add_f64 v[120:121], v[134:135], v[120:121]
	v_mul_f64 v[120:121], v[126:127], v[120:121]
	v_add_f64 v[124:125], v[130:131], v[120:121]
	v_add_f64 v[126:127], v[124:125], -v[130:131]
	v_add_f64 v[120:121], v[120:121], -v[126:127]
	v_mul_f64 v[126:127], v[124:125], v[124:125]
	v_fmac_f64_e32 v[0:1], s[36:37], v[126:127]
	v_fma_f64 v[0:1], v[126:127], v[0:1], s[38:39]
	v_fma_f64 v[0:1], v[126:127], v[0:1], s[40:41]
	;; [unrolled: 1-line block ×5, first 2 shown]
	v_ldexp_f64 v[128:129], v[124:125], 1
	v_mul_f64 v[124:125], v[124:125], v[126:127]
	v_mul_f64 v[0:1], v[124:125], v[0:1]
	v_add_f64 v[124:125], v[128:129], v[0:1]
	v_add_f64 v[126:127], v[124:125], -v[128:129]
	v_ldexp_f64 v[120:121], v[120:121], 1
	v_add_f64 v[0:1], v[0:1], -v[126:127]
	v_add_f64 v[0:1], v[120:121], v[0:1]
	v_frexp_exp_i32_f64_e32 v119, v[10:11]
	v_add_f64 v[120:121], v[124:125], v[0:1]
	v_subbrev_co_u32_e32 v15, vcc, 0, v119, vcc
	v_add_f64 v[124:125], v[120:121], -v[124:125]
	v_add_f64 v[0:1], v[0:1], -v[124:125]
	v_cvt_f64_i32_e32 v[124:125], v15
	v_mul_f64 v[126:127], v[124:125], s[48:49]
	v_fma_f64 v[128:129], v[124:125], s[48:49], -v[126:127]
	v_fmac_f64_e32 v[128:129], s[50:51], v[124:125]
	v_add_f64 v[124:125], v[126:127], v[128:129]
	v_add_f64 v[126:127], v[124:125], -v[126:127]
	v_add_f64 v[126:127], v[128:129], -v[126:127]
	v_add_f64 v[128:129], v[124:125], v[120:121]
	v_add_f64 v[130:131], v[128:129], -v[124:125]
	v_add_f64 v[132:133], v[128:129], -v[130:131]
	;; [unrolled: 1-line block ×4, first 2 shown]
	v_add_f64 v[120:121], v[120:121], v[124:125]
	v_add_f64 v[124:125], v[126:127], v[0:1]
	v_add_f64 v[130:131], v[124:125], -v[126:127]
	v_add_f64 v[132:133], v[124:125], -v[130:131]
	v_add_f64 v[120:121], v[124:125], v[120:121]
	v_add_f64 v[126:127], v[126:127], -v[132:133]
	v_add_f64 v[0:1], v[0:1], -v[130:131]
	v_add_f64 v[124:125], v[128:129], v[120:121]
	v_add_f64 v[0:1], v[0:1], v[126:127]
	v_add_f64 v[126:127], v[124:125], -v[128:129]
	v_add_f64 v[120:121], v[120:121], -v[126:127]
	v_add_f64 v[0:1], v[0:1], v[120:121]
	v_add_f64 v[0:1], v[124:125], v[0:1]
	v_cmp_class_f64_e64 vcc, v[10:11], s33
	v_cndmask_b32_e32 v0, v0, v10, vcc
	v_cndmask_b32_e32 v1, v1, v11, vcc
	v_cmp_ngt_f64_e32 vcc, 0, v[10:11]
	v_cndmask_b32_e32 v1, v93, v1, vcc
	v_cmp_nge_f64_e32 vcc, 0, v[10:11]
	v_cndmask_b32_e32 v0, 0, v0, vcc
	v_cmp_neq_f64_e32 vcc, 0, v[10:11]
	v_cndmask_b32_e32 v1, v94, v1, vcc
	v_fmac_f64_e32 v[122:123], v[6:7], v[0:1]
	v_add_f64 v[0:1], v[4:5], -v[122:123]
	v_cvt_u32_f64_e32 v4, v[8:9]
	v_cmp_le_f64_e32 vcc, v[2:3], v[0:1]
	v_cndmask_b32_e64 v120, 0, 1, vcc
	v_cndmask_b32_e32 v75, v75, v4, vcc
	v_mov_b32_e32 v119, v118
.LBB72_25:                              ;   in Loop: Header=BB72_15 Depth=2
	s_or_b64 exec, exec, s[0:1]
	v_cmp_gt_i32_e32 vcc, 2, v120
	s_or_b64 s[14:15], vcc, s[14:15]
	v_mov_b32_e32 v15, v119
	v_mov_b32_e32 v0, v87
	;; [unrolled: 1-line block ×5, first 2 shown]
	s_andn2_b64 exec, exec, s[14:15]
	s_cbranch_execnz .LBB72_15
; %bb.26:                               ;   in Loop: Header=BB72_15 Depth=2
	s_or_b64 exec, exec, s[14:15]
	v_cmp_ne_u32_e32 vcc, 0, v120
	s_or_b64 s[16:17], vcc, s[16:17]
	s_mov_b64 s[14:15], 0
	v_mov_b32_e32 v15, v119
	v_mov_b32_e32 v0, v87
	;; [unrolled: 1-line block ×5, first 2 shown]
	s_andn2_b64 exec, exec, s[16:17]
	s_cbranch_execnz .LBB72_15
; %bb.27:                               ;   in Loop: Header=BB72_5 Depth=1
	s_or_b64 exec, exec, s[16:17]
	s_mov_b32 s16, s19
	v_readlane_b32 s17, v136, 16
                                        ; implicit-def: $vgpr72_vgpr73
                                        ; implicit-def: $vgpr15
                                        ; implicit-def: $vgpr98
                                        ; implicit-def: $vgpr99
                                        ; implicit-def: $vgpr107
                                        ; implicit-def: $vgpr97
                                        ; implicit-def: $vgpr3
                                        ; implicit-def: $vgpr4_vgpr5
                                        ; implicit-def: $vgpr100
                                        ; implicit-def: $vgpr101
                                        ; implicit-def: $vgpr102
                                        ; implicit-def: $vgpr103
                                        ; implicit-def: $vgpr105
                                        ; implicit-def: $vgpr106
                                        ; implicit-def: $vgpr108
                                        ; implicit-def: $vgpr109
                                        ; implicit-def: $vgpr110
                                        ; implicit-def: $vgpr111
                                        ; implicit-def: $vgpr112
                                        ; implicit-def: $vgpr113
                                        ; implicit-def: $vgpr114
                                        ; implicit-def: $vgpr115
                                        ; implicit-def: $vgpr104
                                        ; implicit-def: $vgpr116
.LBB72_28:                              ;   in Loop: Header=BB72_5 Depth=1
	s_andn2_saveexec_b64 s[0:1], s[12:13]
	s_cbranch_execz .LBB72_40
; %bb.29:                               ;   in Loop: Header=BB72_5 Depth=1
	v_add_co_u32_e32 v6, vcc, 1, v98
	v_cndmask_b32_e64 v7, 0, 1, vcc
	v_addc_co_u32_e32 v10, vcc, 0, v99, vcc
	v_cmp_eq_u32_e32 vcc, 0, v10
	v_cndmask_b32_e32 v7, 0, v7, vcc
	v_add_u32_e32 v8, v7, v17
	v_cmp_eq_u32_e32 vcc, 0, v8
	v_cndmask_b32_e32 v11, 0, v7, vcc
	v_mad_u64_u32 v[6:7], s[2:3], v6, s11, 0
	v_mad_u64_u32 v[8:9], s[2:3], v8, s10, 0
	v_xor_b32_e32 v7, v7, v73
	v_xor_b32_e32 v9, v9, v72
	v_xor_b32_e32 v7, v11, v7
	v_xor_b32_e32 v9, v10, v9
	v_mad_u64_u32 v[72:73], s[2:3], v7, s10, 0
	v_mad_u64_u32 v[10:11], s[2:3], v9, s11, 0
	v_xor_b32_e32 v7, v100, v73
	v_xor_b32_e32 v7, v7, v8
	v_xor_b32_e32 v8, v101, v11
	v_xor_b32_e32 v8, v8, v6
	;; [unrolled: 6-line block ×8, first 2 shown]
	v_mad_u64_u32 v[74:75], s[2:3], v7, s11, 0
	v_mad_u64_u32 v[8:9], s[2:3], v6, s10, 0
	v_xor_b32_e32 v6, v116, v75
	v_xor_b32_e32 v6, v6, v10
	v_mad_u64_u32 v[6:7], s[2:3], v6, s10, 0
	v_xor_b32_e32 v7, v7, v8
	v_xor_b32_e32 v10, v107, v7
	v_cmp_lt_i32_e32 vcc, 1, v15
                                        ; implicit-def: $vgpr8
	s_and_saveexec_b64 s[2:3], vcc
	s_xor_b64 s[2:3], exec, s[2:3]
	s_cbranch_execz .LBB72_35
; %bb.30:                               ;   in Loop: Header=BB72_5 Depth=1
	v_cmp_lt_i32_e32 vcc, 2, v15
                                        ; implicit-def: $vgpr8
	s_and_saveexec_b64 s[12:13], vcc
	s_xor_b64 s[12:13], exec, s[12:13]
; %bb.31:                               ;   in Loop: Header=BB72_5 Depth=1
	v_xor_b32_e32 v0, v104, v9
	v_xor_b32_e32 v0, v0, v72
	v_mul_hi_u32 v0, v0, s11
	v_xor_b32_e32 v0, v0, v74
	v_xor_b32_e32 v8, v97, v0
; %bb.32:                               ;   in Loop: Header=BB72_5 Depth=1
	s_andn2_saveexec_b64 s[12:13], s[12:13]
; %bb.33:                               ;   in Loop: Header=BB72_5 Depth=1
	v_mov_b32_e32 v8, v6
	v_mov_b32_e32 v6, v10
	;; [unrolled: 1-line block ×4, first 2 shown]
; %bb.34:                               ;   in Loop: Header=BB72_5 Depth=1
	s_or_b64 exec, exec, s[12:13]
                                        ; implicit-def: $vgpr15
.LBB72_35:                              ;   in Loop: Header=BB72_5 Depth=1
	s_andn2_saveexec_b64 s[2:3], s[2:3]
	s_cbranch_execz .LBB72_39
; %bb.36:                               ;   in Loop: Header=BB72_5 Depth=1
	v_cmp_eq_u32_e32 vcc, 1, v15
	v_mov_b32_e32 v8, v3
	v_mov_b32_e32 v6, v2
	;; [unrolled: 1-line block ×3, first 2 shown]
	s_and_saveexec_b64 s[12:13], vcc
; %bb.37:                               ;   in Loop: Header=BB72_5 Depth=1
	v_mov_b32_e32 v8, v10
	v_mov_b32_e32 v6, v3
	;; [unrolled: 1-line block ×4, first 2 shown]
; %bb.38:                               ;   in Loop: Header=BB72_5 Depth=1
	s_or_b64 exec, exec, s[12:13]
	v_mov_b32_e32 v3, v0
	v_mov_b32_e32 v10, v7
.LBB72_39:                              ;   in Loop: Header=BB72_5 Depth=1
	s_or_b64 exec, exec, s[2:3]
	v_mov_b32_e32 v11, v14
	v_lshlrev_b64 v[0:1], 21, v[10:11]
	v_xor_b32_e32 v2, v0, v3
	v_cvt_f64_u32_e32 v[0:1], v1
	v_ldexp_f64 v[0:1], v[0:1], 32
	v_cvt_f64_u32_e32 v[2:3], v2
	v_add_f64 v[0:1], v[0:1], v[2:3]
	v_mov_b32_e32 v2, 0
	v_mov_b32_e32 v3, 0x3ca00000
	v_fmac_f64_e32 v[2:3], 0x3ca00000, v[0:1]
	v_mov_b32_e32 v9, v14
	v_lshlrev_b64 v[0:1], 21, v[8:9]
	v_frexp_mant_f64_e32 v[8:9], v[2:3]
	v_cmp_gt_f64_e32 vcc, s[30:31], v[8:9]
	v_cndmask_b32_e64 v15, v92, 2.0, vcc
	v_frexp_exp_i32_f64_e32 v10, v[2:3]
	v_mul_f64 v[8:9], v[8:9], v[14:15]
	v_subbrev_co_u32_e32 v15, vcc, 0, v10, vcc
	v_add_f64 v[10:11], v[8:9], 1.0
	v_rcp_f64_e32 v[72:73], v[10:11]
	v_add_f64 v[76:77], v[10:11], -1.0
	v_add_f64 v[74:75], v[8:9], -1.0
	v_add_f64 v[8:9], v[8:9], -v[76:77]
	v_fma_f64 v[76:77], -v[10:11], v[72:73], 1.0
	v_fmac_f64_e32 v[72:73], v[76:77], v[72:73]
	v_fma_f64 v[76:77], -v[10:11], v[72:73], 1.0
	v_fmac_f64_e32 v[72:73], v[76:77], v[72:73]
	v_mul_f64 v[76:77], v[74:75], v[72:73]
	v_mul_f64 v[78:79], v[10:11], v[76:77]
	v_fma_f64 v[10:11], v[76:77], v[10:11], -v[78:79]
	v_fmac_f64_e32 v[10:11], v[76:77], v[8:9]
	v_add_f64 v[8:9], v[78:79], v[10:11]
	v_add_f64 v[80:81], v[74:75], -v[8:9]
	v_add_f64 v[78:79], v[8:9], -v[78:79]
	;; [unrolled: 1-line block ×5, first 2 shown]
	v_add_f64 v[8:9], v[10:11], v[8:9]
	v_add_f64 v[8:9], v[80:81], v[8:9]
	v_mul_f64 v[8:9], v[72:73], v[8:9]
	v_add_f64 v[10:11], v[76:77], v[8:9]
	v_add_f64 v[72:73], v[10:11], -v[76:77]
	v_add_f64 v[8:9], v[8:9], -v[72:73]
	v_mul_f64 v[72:73], v[10:11], v[10:11]
	v_pk_mov_b32 v[74:75], v[18:19], v[18:19] op_sel:[0,1]
	v_fmac_f64_e32 v[74:75], s[36:37], v[72:73]
	v_pk_mov_b32 v[76:77], v[20:21], v[20:21] op_sel:[0,1]
	v_fmac_f64_e32 v[76:77], v[72:73], v[74:75]
	;; [unrolled: 2-line block ×6, first 2 shown]
	v_ldexp_f64 v[74:75], v[10:11], 1
	v_mul_f64 v[10:11], v[10:11], v[72:73]
	v_mul_f64 v[10:11], v[10:11], v[76:77]
	v_add_f64 v[72:73], v[74:75], v[10:11]
	v_add_f64 v[74:75], v[72:73], -v[74:75]
	v_ldexp_f64 v[8:9], v[8:9], 1
	v_add_f64 v[10:11], v[10:11], -v[74:75]
	v_add_f64 v[8:9], v[8:9], v[10:11]
	v_add_f64 v[10:11], v[72:73], v[8:9]
	v_add_f64 v[72:73], v[10:11], -v[72:73]
	v_add_f64 v[8:9], v[8:9], -v[72:73]
	v_cvt_f64_i32_e32 v[72:73], v15
	v_mul_f64 v[74:75], v[72:73], s[48:49]
	v_fma_f64 v[76:77], v[72:73], s[48:49], -v[74:75]
	v_fmac_f64_e32 v[76:77], s[50:51], v[72:73]
	v_add_f64 v[72:73], v[74:75], v[76:77]
	v_add_f64 v[74:75], v[72:73], -v[74:75]
	v_add_f64 v[74:75], v[76:77], -v[74:75]
	v_add_f64 v[76:77], v[72:73], v[10:11]
	v_add_f64 v[78:79], v[76:77], -v[72:73]
	v_add_f64 v[80:81], v[76:77], -v[78:79]
	;; [unrolled: 1-line block ×4, first 2 shown]
	v_add_f64 v[10:11], v[10:11], v[72:73]
	v_add_f64 v[72:73], v[74:75], v[8:9]
	v_add_f64 v[78:79], v[72:73], -v[74:75]
	v_add_f64 v[80:81], v[72:73], -v[78:79]
	v_add_f64 v[10:11], v[72:73], v[10:11]
	v_add_f64 v[74:75], v[74:75], -v[80:81]
	v_add_f64 v[8:9], v[8:9], -v[78:79]
	v_add_f64 v[72:73], v[76:77], v[10:11]
	v_add_f64 v[8:9], v[8:9], v[74:75]
	v_add_f64 v[74:75], v[72:73], -v[76:77]
	v_add_f64 v[10:11], v[10:11], -v[74:75]
	s_mov_b32 s14, 0
	v_add_f64 v[8:9], v[8:9], v[10:11]
	s_mov_b32 s15, 0x7ff00000
	v_add_f64 v[8:9], v[72:73], v[8:9]
	v_cmp_eq_f64_e32 vcc, s[14:15], v[2:3]
	v_cndmask_b32_e32 v9, v9, v3, vcc
	v_cndmask_b32_e32 v8, v8, v2, vcc
	v_mul_f64 v[8:9], v[8:9], -2.0
	v_cmp_neq_f64_e32 vcc, 0, v[2:3]
	s_mov_b32 s2, 0
	v_cndmask_b32_e32 v3, v95, v9, vcc
	v_cndmask_b32_e32 v2, 0, v8, vcc
	s_brev_b32 s3, 8
	v_cmp_gt_f64_e32 vcc, s[2:3], v[2:3]
	v_cndmask_b32_e64 v8, 0, 1, vcc
	v_lshlrev_b32_e32 v8, 8, v8
	v_ldexp_f64 v[2:3], v[2:3], v8
	v_xor_b32_e32 v6, v0, v6
	v_cvt_f64_u32_e32 v[0:1], v1
	v_rsq_f64_e32 v[8:9], v[2:3]
	v_ldexp_f64 v[0:1], v[0:1], 32
	v_cvt_f64_u32_e32 v[6:7], v6
	v_add_f64 v[0:1], v[0:1], v[6:7]
	v_mov_b32_e32 v6, 0
	v_mov_b32_e32 v7, 0x3cb00000
	v_fmac_f64_e32 v[6:7], 0x3cb00000, v[0:1]
	v_mul_f64 v[0:1], v[2:3], v[8:9]
	v_mul_f64 v[8:9], v[8:9], 0.5
	v_fma_f64 v[10:11], -v[8:9], v[0:1], 0.5
	v_fmac_f64_e32 v[0:1], v[0:1], v[10:11]
	v_fma_f64 v[72:73], -v[0:1], v[0:1], v[2:3]
	v_fmac_f64_e32 v[8:9], v[8:9], v[10:11]
	v_fmac_f64_e32 v[0:1], v[72:73], v[8:9]
	v_fma_f64 v[10:11], -v[0:1], v[0:1], v[2:3]
	v_fmac_f64_e32 v[0:1], v[10:11], v[8:9]
	v_cndmask_b32_e32 v8, 0, v91, vcc
	v_ldexp_f64 v[0:1], v[0:1], v8
	v_cmp_class_f64_e32 vcc, v[2:3], v90
	v_cndmask_b32_e32 v1, v1, v3, vcc
	v_cndmask_b32_e32 v0, v0, v2, vcc
	v_mul_f64 v[2:3], v[6:7], 0.5
	v_fract_f64_e32 v[8:9], v[2:3]
	v_add_f64 v[8:9], v[8:9], v[8:9]
	v_cmp_neq_f64_e32 vcc, s[14:15], v[2:3]
	v_cndmask_b32_e32 v2, 0, v8, vcc
	v_cndmask_b32_e32 v3, 0, v9, vcc
	v_cmp_lt_f64_e32 vcc, 1.0, v[6:7]
	v_cndmask_b32_e32 v3, v7, v3, vcc
	v_cndmask_b32_e32 v2, v6, v2, vcc
	v_add_f64 v[8:9], v[2:3], v[2:3]
	v_rndne_f64_e32 v[8:9], v[8:9]
	v_fmac_f64_e32 v[2:3], -0.5, v[8:9]
	s_mov_b32 s12, 0xf99eb0bb
	v_cvt_i32_f64_e32 v15, v[8:9]
	v_mul_f64 v[8:9], v[2:3], v[2:3]
	v_pk_mov_b32 v[10:11], v[48:49], v[48:49] op_sel:[0,1]
	s_mov_b32 s13, 0x3f3e357e
	v_fmac_f64_e32 v[10:11], s[12:13], v[8:9]
	v_pk_mov_b32 v[72:73], v[50:51], v[50:51] op_sel:[0,1]
	v_fmac_f64_e32 v[72:73], v[8:9], v[10:11]
	v_pk_mov_b32 v[10:11], v[52:53], v[52:53] op_sel:[0,1]
	;; [unrolled: 2-line block ×4, first 2 shown]
	v_fmac_f64_e32 v[10:11], v[8:9], v[72:73]
	v_mul_f64 v[72:73], v[2:3], v[8:9]
	s_mov_b32 s12, 0x54442d18
	v_mul_f64 v[10:11], v[72:73], v[10:11]
	s_mov_b32 s13, 0x400921fb
	v_fmac_f64_e32 v[10:11], s[12:13], v[2:3]
	s_mov_b32 s12, 0x2e21c33
	v_pk_mov_b32 v[2:3], v[58:59], v[58:59] op_sel:[0,1]
	s_mov_b32 s13, 0xbf1b1673
	v_fmac_f64_e32 v[2:3], s[12:13], v[8:9]
	v_pk_mov_b32 v[72:73], v[60:61], v[60:61] op_sel:[0,1]
	v_fmac_f64_e32 v[72:73], v[8:9], v[2:3]
	v_pk_mov_b32 v[2:3], v[62:63], v[62:63] op_sel:[0,1]
	;; [unrolled: 2-line block ×5, first 2 shown]
	v_fmac_f64_e32 v[72:73], v[8:9], v[2:3]
	v_fma_f64 v[2:3], v[8:9], v[72:73], 1.0
	v_and_b32_e32 v9, 1, v15
	v_lshlrev_b32_e32 v8, 30, v15
	v_cmp_eq_u32_e32 vcc, 0, v9
	v_cndmask_b32_e32 v10, v2, v10, vcc
	v_cndmask_b32_e32 v2, v3, v11, vcc
	v_xor_b32_e32 v3, v8, v7
	v_and_b32_e32 v3, 0x80000000, v3
	v_cmp_gt_f64_e32 vcc, s[2:3], v[4:5]
	v_xor_b32_e32 v11, v2, v3
	v_cndmask_b32_e64 v2, 0, 1, vcc
	v_lshlrev_b32_e32 v2, 8, v2
	v_ldexp_f64 v[2:3], v[4:5], v2
	v_rsq_f64_e32 v[8:9], v[2:3]
	v_cmp_lg_f64_e64 s[2:3], s[14:15], v[6:7]
	v_cndmask_b32_e64 v6, 0, v10, s[2:3]
	v_cndmask_b32_e64 v7, v93, v11, s[2:3]
	v_mul_f64 v[0:1], v[0:1], v[6:7]
	v_mul_f64 v[6:7], v[2:3], v[8:9]
	v_mul_f64 v[8:9], v[8:9], 0.5
	v_fma_f64 v[10:11], -v[8:9], v[6:7], 0.5
	v_fmac_f64_e32 v[6:7], v[6:7], v[10:11]
	v_fma_f64 v[72:73], -v[6:7], v[6:7], v[2:3]
	v_fmac_f64_e32 v[8:9], v[8:9], v[10:11]
	v_fmac_f64_e32 v[6:7], v[72:73], v[8:9]
	v_fma_f64 v[10:11], -v[6:7], v[6:7], v[2:3]
	v_fmac_f64_e32 v[6:7], v[10:11], v[8:9]
	v_cndmask_b32_e32 v8, 0, v91, vcc
	v_ldexp_f64 v[6:7], v[6:7], v8
	v_cmp_class_f64_e32 vcc, v[2:3], v90
	v_cndmask_b32_e32 v3, v7, v3, vcc
	v_cndmask_b32_e32 v2, v6, v2, vcc
	v_fmac_f64_e32 v[4:5], v[2:3], v[0:1]
	v_trunc_f64_e32 v[0:1], v[4:5]
	v_add_f64 v[2:3], v[4:5], -v[0:1]
	v_cmp_ge_f64_e64 vcc, |v[2:3]|, 0.5
	v_cndmask_b32_e32 v2, 0, v92, vcc
	s_brev_b32 s2, -2
	v_bfi_b32 v15, s2, v2, v5
	v_add_f64 v[0:1], v[0:1], v[14:15]
	v_cvt_u32_f64_e32 v75, v[0:1]
.LBB72_40:                              ;   in Loop: Header=BB72_5 Depth=1
	s_or_b64 exec, exec, s[0:1]
                                        ; implicit-def: $vgpr6
                                        ; implicit-def: $vgpr72_vgpr73
                                        ; implicit-def: $vgpr15
                                        ; implicit-def: $vgpr98
                                        ; implicit-def: $vgpr99
                                        ; implicit-def: $vgpr107
                                        ; implicit-def: $vgpr97
                                        ; implicit-def: $vgpr3
                                        ; implicit-def: $vgpr4_vgpr5
                                        ; implicit-def: $vgpr100
                                        ; implicit-def: $vgpr101
                                        ; implicit-def: $vgpr102
                                        ; implicit-def: $vgpr103
                                        ; implicit-def: $vgpr105
                                        ; implicit-def: $vgpr106
                                        ; implicit-def: $vgpr108
                                        ; implicit-def: $vgpr109
                                        ; implicit-def: $vgpr110
                                        ; implicit-def: $vgpr111
                                        ; implicit-def: $vgpr112
                                        ; implicit-def: $vgpr113
                                        ; implicit-def: $vgpr114
                                        ; implicit-def: $vgpr115
                                        ; implicit-def: $vgpr104
                                        ; implicit-def: $vgpr116
.LBB72_41:                              ;   in Loop: Header=BB72_5 Depth=1
	s_andn2_saveexec_b64 s[0:1], s[6:7]
	s_cbranch_execz .LBB72_3
; %bb.42:                               ;   in Loop: Header=BB72_5 Depth=1
	v_readlane_b32 s2, v136, 14
	v_readlane_b32 s3, v136, 15
	s_mov_b32 s2, s54
	v_mul_f64 v[8:9], v[4:5], s[2:3]
	v_rndne_f64_e32 v[10:11], v[8:9]
	s_mov_b32 s56, s48
	v_fma_f64 v[4:5], v[10:11], s[56:57], -v[4:5]
	s_mov_b32 s58, s50
	v_fmac_f64_e32 v[4:5], s[58:59], v[10:11]
	v_pk_mov_b32 v[8:9], v[30:31], v[30:31] op_sel:[0,1]
	v_fmac_f64_e32 v[8:9], s[60:61], v[4:5]
	v_pk_mov_b32 v[74:75], v[32:33], v[32:33] op_sel:[0,1]
	;; [unrolled: 2-line block ×9, first 2 shown]
	v_fmac_f64_e32 v[76:77], v[4:5], v[74:75]
	v_fma_f64 v[74:75], v[4:5], v[76:77], 1.0
	s_mov_b32 s2, 0xc4800000
	v_fma_f64 v[4:5], v[4:5], v[74:75], 1.0
	v_cvt_i32_f64_e32 v7, v[10:11]
	v_cmp_ngt_f32_e32 vcc, s2, v6
	s_mov_b32 s2, 0x44866000
	s_mov_b32 s7, s3
	v_ldexp_f64 v[4:5], v[4:5], v7
	v_cmp_nlt_f32_e64 s[2:3], s2, v6
	v_mov_b32_e32 v8, 0
	v_cndmask_b32_e32 v5, v95, v5, vcc
	s_and_b64 vcc, s[2:3], vcc
	v_writelane_b32 v136, s6, 14
	v_mov_b32_e32 v9, 0x3ff00000
	v_mov_b32_e32 v78, 0
	v_cndmask_b32_e64 v11, 0, v5, s[2:3]
	v_cndmask_b32_e32 v10, 0, v4, vcc
	s_mov_b32 s12, -1
	s_mov_b64 s[2:3], 0
	v_mov_b32_e32 v79, v17
	v_writelane_b32 v136, s7, 15
	s_branch .LBB72_44
.LBB72_43:                              ;   in Loop: Header=BB72_44 Depth=2
	s_or_b64 exec, exec, s[6:7]
	v_cmp_eq_u32_e32 vcc, 1, v15
	v_cndmask_b32_e32 v0, v0, v1, vcc
	v_cmp_eq_u32_e32 vcc, 2, v15
	v_cndmask_b32_e32 v0, v0, v2, vcc
	;; [unrolled: 2-line block ×6, first 2 shown]
	v_lshrrev_b32_e32 v0, 11, v0
	v_cvt_f64_u32_e32 v[0:1], v0
	v_ldexp_f64 v[0:1], v[0:1], 32
	v_cvt_f64_u32_e32 v[2:3], v2
	v_add_f64 v[0:1], v[0:1], v[2:3]
	v_mov_b32_e32 v2, 0
	v_mov_b32_e32 v3, 0x3ca00000
	v_fmac_f64_e32 v[2:3], 0x3ca00000, v[0:1]
	v_mul_f64 v[8:9], v[8:9], v[2:3]
	v_cmp_ngt_f64_e32 vcc, v[8:9], v[10:11]
	s_add_i32 s12, s12, 1
	s_or_b64 s[2:3], vcc, s[2:3]
	v_mov_b32_e32 v75, s12
	v_mov_b32_e32 v15, v81
	;; [unrolled: 1-line block ×6, first 2 shown]
	s_andn2_b64 exec, exec, s[2:3]
	s_cbranch_execz .LBB72_2
.LBB72_44:                              ;   Parent Loop BB72_5 Depth=1
                                        ; =>  This Inner Loop Header: Depth=2
	v_add_u32_e32 v80, 1, v15
	v_pk_mov_b32 v[6:7], v[2:3], v[2:3] op_sel:[0,1]
	v_cmp_eq_u32_e32 vcc, 4, v80
	v_pk_mov_b32 v[4:5], v[0:1], v[0:1] op_sel:[0,1]
	v_mov_b32_e32 v77, v0
	v_mov_b32_e32 v76, v1
	v_mov_b32_e32 v82, v2
	v_mov_b32_e32 v74, v3
	s_and_saveexec_b64 s[6:7], vcc
	s_cbranch_execz .LBB72_46
; %bb.45:                               ;   in Loop: Header=BB72_44 Depth=2
	v_add_co_u32_e32 v98, vcc, 1, v98
	v_cndmask_b32_e64 v4, 0, 1, vcc
	v_addc_co_u32_e32 v99, vcc, 0, v99, vcc
	v_cmp_eq_u32_e32 vcc, 0, v99
	v_cndmask_b32_e32 v4, 0, v4, vcc
	v_add_u32_e32 v79, v4, v79
	v_cmp_eq_u32_e32 vcc, 0, v79
	v_cndmask_b32_e32 v4, 0, v4, vcc
	v_add_u32_e32 v78, v4, v78
	v_mad_u64_u32 v[4:5], s[14:15], v98, s11, 0
	v_mad_u64_u32 v[6:7], s[14:15], v79, s10, 0
	v_xor_b32_e32 v5, v5, v73
	v_xor_b32_e32 v7, v7, v72
	v_xor_b32_e32 v5, v78, v5
	v_xor_b32_e32 v7, v99, v7
	v_mad_u64_u32 v[76:77], s[14:15], v5, s10, 0
	v_mad_u64_u32 v[74:75], s[14:15], v7, s11, 0
	v_xor_b32_e32 v5, v100, v77
	v_xor_b32_e32 v5, v5, v6
	v_xor_b32_e32 v6, v101, v75
	v_xor_b32_e32 v6, v6, v4
	;; [unrolled: 6-line block ×10, first 2 shown]
	v_mov_b32_e32 v80, 0
	v_mov_b32_e32 v5, v76
	;; [unrolled: 1-line block ×5, first 2 shown]
.LBB72_46:                              ;   in Loop: Header=BB72_44 Depth=2
	s_or_b64 exec, exec, s[6:7]
	v_add_u32_e32 v81, 1, v80
	v_cmp_eq_u32_e32 vcc, 4, v81
	s_and_saveexec_b64 s[6:7], vcc
	s_cbranch_execz .LBB72_43
; %bb.47:                               ;   in Loop: Header=BB72_44 Depth=2
	v_add_co_u32_e32 v98, vcc, 1, v98
	v_cndmask_b32_e64 v74, 0, 1, vcc
	v_addc_co_u32_e32 v99, vcc, 0, v99, vcc
	v_cmp_eq_u32_e32 vcc, 0, v99
	v_cndmask_b32_e32 v74, 0, v74, vcc
	v_add_u32_e32 v79, v74, v79
	v_cmp_eq_u32_e32 vcc, 0, v79
	v_cndmask_b32_e32 v74, 0, v74, vcc
	v_add_u32_e32 v78, v74, v78
	v_mad_u64_u32 v[74:75], s[14:15], v98, s11, 0
	v_mad_u64_u32 v[76:77], s[14:15], v79, s10, 0
	v_xor_b32_e32 v75, v75, v73
	v_xor_b32_e32 v77, v77, v72
	v_xor_b32_e32 v75, v78, v75
	v_xor_b32_e32 v77, v99, v77
	v_mad_u64_u32 v[84:85], s[14:15], v75, s10, 0
	v_mad_u64_u32 v[82:83], s[14:15], v77, s11, 0
	v_xor_b32_e32 v75, v100, v85
	v_xor_b32_e32 v75, v75, v76
	v_xor_b32_e32 v76, v101, v83
	v_xor_b32_e32 v76, v76, v74
	v_mad_u64_u32 v[74:75], s[14:15], v75, s11, 0
	v_mad_u64_u32 v[76:77], s[14:15], v76, s10, 0
	v_xor_b32_e32 v75, v103, v75
	v_xor_b32_e32 v77, v102, v77
	v_xor_b32_e32 v75, v75, v82
	v_xor_b32_e32 v77, v77, v84
	v_mad_u64_u32 v[84:85], s[14:15], v75, s10, 0
	v_mad_u64_u32 v[82:83], s[14:15], v77, s11, 0
	v_xor_b32_e32 v75, v105, v85
	v_xor_b32_e32 v75, v75, v76
	v_xor_b32_e32 v76, v106, v83
	v_xor_b32_e32 v76, v76, v74
	v_mad_u64_u32 v[74:75], s[14:15], v75, s11, 0
	v_mad_u64_u32 v[76:77], s[14:15], v76, s10, 0
	v_xor_b32_e32 v75, v109, v75
	v_xor_b32_e32 v77, v108, v77
	v_xor_b32_e32 v75, v75, v82
	v_xor_b32_e32 v77, v77, v84
	v_mad_u64_u32 v[84:85], s[14:15], v75, s10, 0
	v_mad_u64_u32 v[82:83], s[14:15], v77, s11, 0
	v_xor_b32_e32 v75, v110, v85
	v_xor_b32_e32 v75, v75, v76
	v_xor_b32_e32 v76, v111, v83
	v_xor_b32_e32 v76, v76, v74
	v_mad_u64_u32 v[74:75], s[14:15], v75, s11, 0
	v_mad_u64_u32 v[76:77], s[14:15], v76, s10, 0
	v_xor_b32_e32 v75, v113, v75
	v_xor_b32_e32 v77, v112, v77
	v_xor_b32_e32 v75, v75, v82
	v_xor_b32_e32 v77, v77, v84
	v_mad_u64_u32 v[84:85], s[14:15], v75, s10, 0
	v_mad_u64_u32 v[82:83], s[14:15], v77, s11, 0
	v_xor_b32_e32 v75, v114, v85
	v_xor_b32_e32 v75, v75, v76
	v_xor_b32_e32 v76, v115, v83
	v_xor_b32_e32 v74, v76, v74
	v_mad_u64_u32 v[86:87], s[14:15], v75, s11, 0
	v_mad_u64_u32 v[118:119], s[14:15], v74, s10, 0
	v_xor_b32_e32 v74, v104, v119
	v_xor_b32_e32 v75, v116, v87
	v_xor_b32_e32 v74, v74, v84
	v_xor_b32_e32 v76, v75, v82
	v_mad_u64_u32 v[74:75], s[14:15], v74, s11, 0
	v_mad_u64_u32 v[76:77], s[14:15], v76, s10, 0
	v_xor_b32_e32 v77, v77, v118
	v_xor_b32_e32 v75, v75, v86
	v_mov_b32_e32 v81, 0
	v_xor_b32_e32 v77, v107, v77
	v_xor_b32_e32 v82, v97, v75
	s_branch .LBB72_43
.LBB72_48:
	s_or_b64 exec, exec, s[4:5]
	s_and_saveexec_b64 s[0:1], s[26:27]
	s_xor_b64 s[0:1], exec, s[0:1]
	s_cbranch_execnz .LBB72_50
.LBB72_49:
	s_endpgm
.LBB72_50:
	s_trap 2
	; divergent unreachable
	s_endpgm
	.section	.rodata,"a",@progbits
	.p2align	6, 0x0
	.amdhsa_kernel _ZN2at4cuda12_GLOBAL__N_121kernelPointwiseApply2IZN12_GLOBAL__N_119poisson_cuda_kernelIfEEvRKNS_10TensorBaseES7_NS_15PhiloxCudaStateEEUlRfRKfE_ffjLi2ELi2ELi1ELi512ELi2EEEvNS0_6detail10TensorInfoIT0_T2_EENSE_IT1_SG_EESG_T_
		.amdhsa_group_segment_fixed_size 0
		.amdhsa_private_segment_fixed_size 0
		.amdhsa_kernarg_size 728
		.amdhsa_user_sgpr_count 6
		.amdhsa_user_sgpr_private_segment_buffer 1
		.amdhsa_user_sgpr_dispatch_ptr 0
		.amdhsa_user_sgpr_queue_ptr 0
		.amdhsa_user_sgpr_kernarg_segment_ptr 1
		.amdhsa_user_sgpr_dispatch_id 0
		.amdhsa_user_sgpr_flat_scratch_init 0
		.amdhsa_user_sgpr_kernarg_preload_length 0
		.amdhsa_user_sgpr_kernarg_preload_offset 0
		.amdhsa_user_sgpr_private_segment_size 0
		.amdhsa_uses_dynamic_stack 0
		.amdhsa_system_sgpr_private_segment_wavefront_offset 0
		.amdhsa_system_sgpr_workgroup_id_x 1
		.amdhsa_system_sgpr_workgroup_id_y 0
		.amdhsa_system_sgpr_workgroup_id_z 0
		.amdhsa_system_sgpr_workgroup_info 0
		.amdhsa_system_vgpr_workitem_id 0
		.amdhsa_next_free_vgpr 137
		.amdhsa_next_free_sgpr 96
		.amdhsa_accum_offset 140
		.amdhsa_reserve_vcc 1
		.amdhsa_reserve_flat_scratch 0
		.amdhsa_float_round_mode_32 0
		.amdhsa_float_round_mode_16_64 0
		.amdhsa_float_denorm_mode_32 3
		.amdhsa_float_denorm_mode_16_64 3
		.amdhsa_dx10_clamp 1
		.amdhsa_ieee_mode 1
		.amdhsa_fp16_overflow 0
		.amdhsa_tg_split 0
		.amdhsa_exception_fp_ieee_invalid_op 0
		.amdhsa_exception_fp_denorm_src 0
		.amdhsa_exception_fp_ieee_div_zero 0
		.amdhsa_exception_fp_ieee_overflow 0
		.amdhsa_exception_fp_ieee_underflow 0
		.amdhsa_exception_fp_ieee_inexact 0
		.amdhsa_exception_int_div_zero 0
	.end_amdhsa_kernel
	.section	.text._ZN2at4cuda12_GLOBAL__N_121kernelPointwiseApply2IZN12_GLOBAL__N_119poisson_cuda_kernelIfEEvRKNS_10TensorBaseES7_NS_15PhiloxCudaStateEEUlRfRKfE_ffjLi2ELi2ELi1ELi512ELi2EEEvNS0_6detail10TensorInfoIT0_T2_EENSE_IT1_SG_EESG_T_,"axG",@progbits,_ZN2at4cuda12_GLOBAL__N_121kernelPointwiseApply2IZN12_GLOBAL__N_119poisson_cuda_kernelIfEEvRKNS_10TensorBaseES7_NS_15PhiloxCudaStateEEUlRfRKfE_ffjLi2ELi2ELi1ELi512ELi2EEEvNS0_6detail10TensorInfoIT0_T2_EENSE_IT1_SG_EESG_T_,comdat
.Lfunc_end72:
	.size	_ZN2at4cuda12_GLOBAL__N_121kernelPointwiseApply2IZN12_GLOBAL__N_119poisson_cuda_kernelIfEEvRKNS_10TensorBaseES7_NS_15PhiloxCudaStateEEUlRfRKfE_ffjLi2ELi2ELi1ELi512ELi2EEEvNS0_6detail10TensorInfoIT0_T2_EENSE_IT1_SG_EESG_T_, .Lfunc_end72-_ZN2at4cuda12_GLOBAL__N_121kernelPointwiseApply2IZN12_GLOBAL__N_119poisson_cuda_kernelIfEEvRKNS_10TensorBaseES7_NS_15PhiloxCudaStateEEUlRfRKfE_ffjLi2ELi2ELi1ELi512ELi2EEEvNS0_6detail10TensorInfoIT0_T2_EENSE_IT1_SG_EESG_T_
                                        ; -- End function
	.section	.AMDGPU.csdata,"",@progbits
; Kernel info:
; codeLenInByte = 13648
; NumSgprs: 100
; NumVgprs: 137
; NumAgprs: 0
; TotalNumVgprs: 137
; ScratchSize: 0
; MemoryBound: 0
; FloatMode: 240
; IeeeMode: 1
; LDSByteSize: 0 bytes/workgroup (compile time only)
; SGPRBlocks: 12
; VGPRBlocks: 17
; NumSGPRsForWavesPerEU: 100
; NumVGPRsForWavesPerEU: 137
; AccumOffset: 140
; Occupancy: 3
; WaveLimiterHint : 1
; COMPUTE_PGM_RSRC2:SCRATCH_EN: 0
; COMPUTE_PGM_RSRC2:USER_SGPR: 6
; COMPUTE_PGM_RSRC2:TRAP_HANDLER: 0
; COMPUTE_PGM_RSRC2:TGID_X_EN: 1
; COMPUTE_PGM_RSRC2:TGID_Y_EN: 0
; COMPUTE_PGM_RSRC2:TGID_Z_EN: 0
; COMPUTE_PGM_RSRC2:TIDIG_COMP_CNT: 0
; COMPUTE_PGM_RSRC3_GFX90A:ACCUM_OFFSET: 34
; COMPUTE_PGM_RSRC3_GFX90A:TG_SPLIT: 0
	.section	.text._ZN2at4cuda12_GLOBAL__N_121kernelPointwiseApply2IZN12_GLOBAL__N_119poisson_cuda_kernelIfEEvRKNS_10TensorBaseES7_NS_15PhiloxCudaStateEEUlRfRKfE_ffjLi2ELin1ELi1ELi512ELi2EEEvNS0_6detail10TensorInfoIT0_T2_EENSE_IT1_SG_EESG_T_,"axG",@progbits,_ZN2at4cuda12_GLOBAL__N_121kernelPointwiseApply2IZN12_GLOBAL__N_119poisson_cuda_kernelIfEEvRKNS_10TensorBaseES7_NS_15PhiloxCudaStateEEUlRfRKfE_ffjLi2ELin1ELi1ELi512ELi2EEEvNS0_6detail10TensorInfoIT0_T2_EENSE_IT1_SG_EESG_T_,comdat
	.globl	_ZN2at4cuda12_GLOBAL__N_121kernelPointwiseApply2IZN12_GLOBAL__N_119poisson_cuda_kernelIfEEvRKNS_10TensorBaseES7_NS_15PhiloxCudaStateEEUlRfRKfE_ffjLi2ELin1ELi1ELi512ELi2EEEvNS0_6detail10TensorInfoIT0_T2_EENSE_IT1_SG_EESG_T_ ; -- Begin function _ZN2at4cuda12_GLOBAL__N_121kernelPointwiseApply2IZN12_GLOBAL__N_119poisson_cuda_kernelIfEEvRKNS_10TensorBaseES7_NS_15PhiloxCudaStateEEUlRfRKfE_ffjLi2ELin1ELi1ELi512ELi2EEEvNS0_6detail10TensorInfoIT0_T2_EENSE_IT1_SG_EESG_T_
	.p2align	8
	.type	_ZN2at4cuda12_GLOBAL__N_121kernelPointwiseApply2IZN12_GLOBAL__N_119poisson_cuda_kernelIfEEvRKNS_10TensorBaseES7_NS_15PhiloxCudaStateEEUlRfRKfE_ffjLi2ELin1ELi1ELi512ELi2EEEvNS0_6detail10TensorInfoIT0_T2_EENSE_IT1_SG_EESG_T_,@function
_ZN2at4cuda12_GLOBAL__N_121kernelPointwiseApply2IZN12_GLOBAL__N_119poisson_cuda_kernelIfEEvRKNS_10TensorBaseES7_NS_15PhiloxCudaStateEEUlRfRKfE_ffjLi2ELin1ELi1ELi512ELi2EEEvNS0_6detail10TensorInfoIT0_T2_EENSE_IT1_SG_EESG_T_: ; @_ZN2at4cuda12_GLOBAL__N_121kernelPointwiseApply2IZN12_GLOBAL__N_119poisson_cuda_kernelIfEEvRKNS_10TensorBaseES7_NS_15PhiloxCudaStateEEUlRfRKfE_ffjLi2ELin1ELi1ELi512ELi2EEEvNS0_6detail10TensorInfoIT0_T2_EENSE_IT1_SG_EESG_T_
; %bb.0:
	s_load_dword s2, s[4:5], 0x1e4
	s_load_dword s33, s[4:5], 0x1b0
	s_add_u32 s0, s4, 0x1d8
	s_addc_u32 s1, s5, 0
	s_waitcnt lgkmcnt(0)
	s_and_b32 s2, s2, 0xffff
	s_mul_i32 s6, s6, s2
	v_add_u32_e32 v17, s6, v0
	v_cmp_gt_u32_e32 vcc, s33, v17
	s_and_saveexec_b64 s[6:7], vcc
	s_cbranch_execz .LBB73_52
; %bb.1:
	s_load_dwordx2 s[18:19], s[4:5], 0x1c8
	s_load_dwordx4 s[8:11], s[4:5], 0x1b8
                                        ; implicit-def: $vgpr134 : SGPR spill to VGPR lane
	s_load_dword s7, s[4:5], 0x1a8
	s_load_dwordx2 s[64:65], s[4:5], 0xd8
	s_add_u32 s6, s4, 0xd8
                                        ; kill: killed $sgpr4 killed $sgpr5
	s_mov_b32 s26, 0
	s_waitcnt lgkmcnt(0)
	v_writelane_b32 v134, s8, 0
	v_writelane_b32 v134, s9, 1
	;; [unrolled: 1-line block ×4, first 2 shown]
	s_load_dword s11, s[0:1], 0x0
	s_load_dword s3, s[4:5], 0x1d0
	;; [unrolled: 1-line block ×3, first 2 shown]
	s_addc_u32 s10, s5, 0
	s_load_dwordx2 s[0:1], s[4:5], 0x0
	s_cmp_gt_i32 s7, 1
	s_mov_b32 s9, 0xcd9e8d57
	s_mov_b32 s34, 0x55555555
	;; [unrolled: 1-line block ×3, first 2 shown]
	s_waitcnt lgkmcnt(0)
	v_writelane_b32 v134, s0, 4
	v_writelane_b32 v134, s1, 5
	s_load_dword s8, s[4:5], 0xc
	s_load_dwordx2 s[0:1], s[4:5], 0x6c
	s_mov_b32 s38, 0xbf559e2b
	s_mov_b32 s40, 0xd7f4df2e
	;; [unrolled: 1-line block ×3, first 2 shown]
	s_waitcnt lgkmcnt(0)
	v_cvt_f32_u32_e32 v0, s8
	v_writelane_b32 v134, s0, 6
	v_writelane_b32 v134, s1, 7
	s_cselect_b64 s[0:1], -1, 0
	v_rcp_iflag_f32_e32 v0, v0
	v_writelane_b32 v134, s0, 8
	v_writelane_b32 v134, s1, 9
	s_getpc_b64 s[0:1]
	s_add_u32 s0, s0, .str@rel32@lo+4
	s_addc_u32 s1, s1, .str@rel32@hi+12
	s_cmp_eq_u64 s[0:1], 0
	s_cselect_b64 s[0:1], -1, 0
	s_bitcmp1_b32 s3, 0
	v_mul_f32_e32 v0, 0x4f7ffffe, v0
	s_cselect_b64 s[4:5], -1, 0
	v_cvt_u32_f32_e32 v0, v0
	v_writelane_b32 v134, s4, 10
	v_writelane_b32 v134, s5, 11
	v_mad_u64_u32 v[12:13], s[4:5], v17, s9, 0
	s_mul_i32 s4, s11, s2
	s_sub_i32 s2, 0, s8
	v_mul_lo_u32 v1, s2, v0
	s_add_i32 s2, s7, 1
	s_mov_b32 s3, 0
	v_writelane_b32 v134, s2, 12
	s_add_i32 s2, s7, -1
	s_lshl_b64 s[2:3], s[2:3], 2
	s_add_u32 s2, s2, s6
	s_addc_u32 s3, s3, s10
	s_add_u32 s2, s2, 8
	s_addc_u32 s3, s3, 0
	v_writelane_b32 v134, s2, 13
	v_writelane_b32 v134, s3, 14
	s_xor_b64 s[0:1], s[0:1], -1
	v_writelane_b32 v134, s0, 15
	v_mul_hi_u32 v1, v0, v1
	s_mov_b32 s44, 0x9b27acf1
	s_mov_b32 s46, 0x998ef7b6
	s_mov_b32 s50, 0xfefa39ef
	s_mov_b32 s52, 0x3b39803f
	s_mov_b32 s56, 0x652b82fe
	s_mov_b32 s62, 0x6a5dcb37
	v_writelane_b32 v134, s1, 16
	s_mov_b32 s66, 0
	s_mov_b32 s68, 0
	;; [unrolled: 1-line block ×14, first 2 shown]
	s_movk_i32 s94, 0xf950
	s_mov_b32 s24, 0xc864beb5
	s_mov_b32 s22, 0
	;; [unrolled: 1-line block ×3, first 2 shown]
	s_mov_b64 s[16:17], 0
	v_mov_b32_e32 v14, 0
	v_mov_b32_e32 v16, v13
	v_add_u32_e32 v13, v0, v1
	s_mov_b32 s10, 0xd2511f53
	s_mov_b32 s27, 0x40080000
	;; [unrolled: 1-line block ×12, first 2 shown]
	s_movk_i32 s11, 0x204
	s_mov_b32 s57, 0x3ff71547
	s_mov_b32 s59, 0xbfe62e42
	;; [unrolled: 1-line block ×4, first 2 shown]
	v_mov_b32_e32 v18, 0x6b47b09a
	v_mov_b32_e32 v20, 0xd7f4df2e
	;; [unrolled: 1-line block ×27, first 2 shown]
	s_mov_b32 s65, s4
	v_mov_b32_e32 v89, 0x260
	v_mov_b32_e32 v90, 0xffffff80
	;; [unrolled: 1-line block ×33, first 2 shown]
	s_mov_b32 s67, 0x40900000
	s_mov_b32 s69, 0xc090cc00
	;; [unrolled: 1-line block ×19, first 2 shown]
	v_writelane_b32 v134, s18, 17
                                        ; implicit-def: $sgpr2_sgpr3
                                        ; implicit-def: $sgpr54_sgpr55
	v_writelane_b32 v134, s19, 18
	s_branch .LBB73_5
.LBB73_2:                               ;   in Loop: Header=BB73_5 Depth=1
	s_or_b64 exec, exec, s[0:1]
	s_mov_b32 s30, s13
.LBB73_3:                               ;   in Loop: Header=BB73_5 Depth=1
	s_or_b64 exec, exec, s[4:5]
	v_readlane_b32 s0, v134, 4
	v_lshlrev_b64 v[0:1], 2, v[70:71]
	v_readlane_b32 s1, v134, 5
	v_mov_b32_e32 v2, s1
	v_cvt_f32_u32_e32 v3, v75
	v_add_co_u32_e32 v0, vcc, s0, v0
	v_addc_co_u32_e32 v1, vcc, v2, v1, vcc
	v_add_u32_e32 v95, s65, v95
	v_cmp_le_u32_e32 vcc, s33, v95
	s_andn2_b64 s[54:55], s[54:55], exec
	s_orn2_b64 s[0:1], vcc, exec
	global_store_dword v[0:1], v3, off
.LBB73_4:                               ;   in Loop: Header=BB73_5 Depth=1
	s_or_b64 exec, exec, s[20:21]
	s_and_b64 s[0:1], exec, s[0:1]
	s_or_b64 s[16:17], s[0:1], s[16:17]
	s_andn2_b64 s[0:1], s[2:3], exec
	s_and_b64 s[2:3], s[54:55], exec
	s_or_b64 s[2:3], s[0:1], s[2:3]
	s_andn2_b64 exec, exec, s[16:17]
	s_cbranch_execz .LBB73_51
.LBB73_5:                               ; =>This Loop Header: Depth=1
                                        ;     Child Loop BB73_10 Depth 2
                                        ;     Child Loop BB73_18 Depth 2
	;; [unrolled: 1-line block ×3, first 2 shown]
	v_sub_u32_e32 v0, s33, v95
	v_cmp_lt_i32_e32 vcc, 0, v0
	v_pk_mov_b32 v[0:1], 0, 0
	v_pk_mov_b32 v[70:71], v[0:1], v[0:1] op_sel:[0,1]
	s_and_saveexec_b64 s[4:5], vcc
	s_cbranch_execz .LBB73_7
; %bb.6:                                ;   in Loop: Header=BB73_5 Depth=1
	v_mul_hi_u32 v2, v95, v13
	v_mul_lo_u32 v3, v2, s8
	v_sub_u32_e32 v3, v95, v3
	v_add_u32_e32 v4, 1, v2
	v_cmp_le_u32_e64 s[0:1], s8, v3
	v_cndmask_b32_e64 v2, v2, v4, s[0:1]
	v_subrev_u32_e32 v4, s8, v3
	v_cndmask_b32_e64 v3, v3, v4, s[0:1]
	v_add_u32_e32 v4, 1, v2
	v_cmp_le_u32_e64 s[0:1], s8, v3
	v_cndmask_b32_e64 v3, v2, v4, s[0:1]
	v_mul_lo_u32 v2, v3, s8
	v_readlane_b32 s0, v134, 6
	v_sub_u32_e32 v2, v95, v2
	v_readlane_b32 s1, v134, 7
	v_mul_lo_u32 v2, v2, s1
	v_mad_u64_u32 v[70:71], s[0:1], v3, s0, v[2:3]
	v_mov_b32_e32 v71, v14
.LBB73_7:                               ;   in Loop: Header=BB73_5 Depth=1
	s_or_b64 exec, exec, s[4:5]
	s_and_saveexec_b64 s[0:1], vcc
	s_cbranch_execz .LBB73_12
; %bb.8:                                ;   in Loop: Header=BB73_5 Depth=1
	v_readlane_b32 s4, v134, 8
	v_readlane_b32 s5, v134, 9
	s_andn2_b64 vcc, exec, s[4:5]
	v_mov_b32_e32 v0, 0
	v_mov_b32_e32 v2, v95
	s_cbranch_vccnz .LBB73_11
; %bb.9:                                ;   in Loop: Header=BB73_5 Depth=1
	v_readlane_b32 s4, v134, 13
	v_mov_b32_e32 v0, 0
	v_readlane_b32 s5, v134, 14
	v_readlane_b32 s6, v134, 12
	v_mov_b32_e32 v2, v95
.LBB73_10:                              ;   Parent Loop BB73_5 Depth=1
                                        ; =>  This Inner Loop Header: Depth=2
	s_load_dword s7, s[4:5], 0x0
	s_load_dword s12, s[4:5], 0x64
	v_mov_b32_e32 v1, v2
	s_add_i32 s6, s6, -1
	s_waitcnt lgkmcnt(0)
	v_cvt_f32_u32_e32 v2, s7
	s_sub_i32 s13, 0, s7
	s_add_u32 s4, s4, -4
	s_addc_u32 s5, s5, -1
	v_rcp_iflag_f32_e32 v2, v2
	s_cmp_gt_u32 s6, 2
	v_mul_f32_e32 v2, 0x4f7ffffe, v2
	v_cvt_u32_f32_e32 v2, v2
	v_mul_lo_u32 v3, s13, v2
	v_mul_hi_u32 v3, v2, v3
	v_add_u32_e32 v2, v2, v3
	v_mul_hi_u32 v2, v1, v2
	v_mul_lo_u32 v3, v2, s7
	v_sub_u32_e32 v3, v1, v3
	v_add_u32_e32 v4, 1, v2
	v_subrev_u32_e32 v5, s7, v3
	v_cmp_le_u32_e32 vcc, s7, v3
	v_cndmask_b32_e32 v2, v2, v4, vcc
	v_cndmask_b32_e32 v3, v3, v5, vcc
	v_add_u32_e32 v4, 1, v2
	v_cmp_le_u32_e32 vcc, s7, v3
	v_cndmask_b32_e32 v2, v2, v4, vcc
	v_mul_lo_u32 v3, v2, s7
	v_sub_u32_e32 v1, v1, v3
	v_mad_u64_u32 v[0:1], s[12:13], s12, v1, v[0:1]
	s_cbranch_scc1 .LBB73_10
.LBB73_11:                              ;   in Loop: Header=BB73_5 Depth=1
	v_mad_u64_u32 v[0:1], s[4:5], s30, v2, v[0:1]
	v_mov_b32_e32 v1, v14
.LBB73_12:                              ;   in Loop: Header=BB73_5 Depth=1
	s_or_b64 exec, exec, s[0:1]
	v_lshlrev_b64 v[0:1], 2, v[0:1]
	v_add_co_u32_e32 v0, vcc, s64, v0
	v_addc_co_u32_e32 v1, vcc, v88, v1, vcc
	global_load_dword v6, v[0:1], off
	v_readlane_b32 s4, v134, 15
	v_readlane_b32 s5, v134, 16
	s_mov_b64 s[0:1], -1
	s_or_b64 s[54:55], s[54:55], exec
	s_waitcnt vmcnt(0)
	v_cmp_le_f32_e32 vcc, 0, v6
	s_and_b64 s[4:5], s[4:5], vcc
	s_and_saveexec_b64 s[20:21], s[4:5]
	s_cbranch_execz .LBB73_4
; %bb.13:                               ;   in Loop: Header=BB73_5 Depth=1
	v_readlane_b32 s0, v134, 10
	v_readlane_b32 s4, v134, 0
	v_readlane_b32 s1, v134, 11
	v_readlane_b32 s5, v134, 1
	v_readlane_b32 s6, v134, 2
	v_readlane_b32 s7, v134, 3
	s_andn2_b64 vcc, exec, s[0:1]
	v_pk_mov_b32 v[0:1], s[6:7], s[6:7] op_sel:[0,1]
	v_pk_mov_b32 v[72:73], s[4:5], s[4:5] op_sel:[0,1]
	s_cbranch_vccnz .LBB73_15
; %bb.14:                               ;   in Loop: Header=BB73_5 Depth=1
	v_readlane_b32 s4, v134, 0
	v_readlane_b32 s6, v134, 2
	;; [unrolled: 1-line block ×3, first 2 shown]
	v_pk_mov_b32 v[0:1], s[6:7], s[6:7] op_sel:[0,1]
	v_readlane_b32 s5, v134, 1
	flat_load_dwordx2 v[0:1], v[0:1]
	v_pk_mov_b32 v[2:3], s[4:5], s[4:5] op_sel:[0,1]
	flat_load_dwordx2 v[72:73], v[2:3]
	v_mov_b32_e32 v2, s19
	s_waitcnt vmcnt(0) lgkmcnt(0)
	v_add_co_u32_e32 v0, vcc, s18, v0
	v_addc_co_u32_e32 v1, vcc, v1, v2, vcc
.LBB73_15:                              ;   in Loop: Header=BB73_5 Depth=1
	v_alignbit_b32 v97, v1, v0, 2
	v_and_b32_e32 v15, 3, v0
	v_lshrrev_b32_e32 v98, 2, v1
	v_mad_u64_u32 v[0:1], s[0:1], v97, s10, 0
	v_xor_b32_e32 v3, v16, v72
	v_mov_b32_e32 v2, v73
	v_xor_b32_e32 v1, v1, v73
	s_mov_b32 s0, 0xbb67ae85
	v_xor_b32_e32 v3, v3, v98
	v_add_co_u32_e32 v100, vcc, s0, v2
	v_mad_u64_u32 v[4:5], s[0:1], v3, s10, 0
	v_mad_u64_u32 v[8:9], s[0:1], v1, s9, 0
	v_add_co_u32_e32 v99, vcc, 0x9e3779b9, v72
	v_xor_b32_e32 v1, v12, v9
	v_xor_b32_e32 v3, v100, v5
	s_mov_b32 s0, 0x3c6ef372
	v_xor_b32_e32 v1, v1, v99
	v_xor_b32_e32 v3, v3, v0
	v_add_co_u32_e32 v101, vcc, s0, v72
	s_mov_b32 s0, 0x76cf5d0a
	v_add_co_u32_e32 v102, vcc, s0, v2
	v_mad_u64_u32 v[0:1], s[0:1], v1, s10, 0
	v_mad_u64_u32 v[10:11], s[0:1], v3, s9, 0
	v_xor_b32_e32 v3, v101, v11
	v_xor_b32_e32 v1, v102, v1
	s_mov_b32 s0, 0xdaa66d2b
	v_xor_b32_e32 v3, v3, v8
	v_xor_b32_e32 v1, v1, v4
	v_add_co_u32_e32 v104, vcc, s0, v72
	s_mov_b32 s0, 0x32370b8f
	v_add_co_u32_e32 v105, vcc, s0, v2
	v_mad_u64_u32 v[4:5], s[0:1], v3, s10, 0
	v_mad_u64_u32 v[8:9], s[0:1], v1, s9, 0
	;; [unrolled: 10-line block ×7, first 2 shown]
	v_xor_b32_e32 v1, v103, v1
	v_xor_b32_e32 v3, v115, v3
	;; [unrolled: 1-line block ×4, first 2 shown]
	v_mad_u64_u32 v[4:5], s[0:1], v1, s10, 0
	v_mad_u64_u32 v[8:9], s[0:1], v7, s9, 0
	v_add_u32_e32 v106, 0x8ff34781, v72
	v_add_u32_e32 v96, 0x96a522ad, v73
	v_xor_b32_e32 v0, v9, v0
	v_xor_b32_e32 v2, v5, v2
	s_mov_b32 s0, 0x42800000
	v_mov_b32_e32 v3, v4
	v_mov_b32_e32 v1, v8
	v_xor_b32_e32 v0, v106, v0
	v_xor_b32_e32 v2, v96, v2
	v_cvt_f64_f32_e32 v[4:5], v6
	v_cmp_ngt_f32_e32 vcc, s0, v6
                                        ; implicit-def: $vgpr75
	s_and_saveexec_b64 s[0:1], vcc
	s_xor_b64 s[6:7], exec, s[0:1]
	s_cbranch_execz .LBB73_44
; %bb.16:                               ;   in Loop: Header=BB73_5 Depth=1
	s_mov_b32 s0, 0x457a0000
	v_cmp_ge_f32_e32 vcc, s0, v6
                                        ; implicit-def: $vgpr75
	s_and_saveexec_b64 s[0:1], vcc
	s_xor_b64 s[12:13], exec, s[0:1]
	s_cbranch_execz .LBB73_31
; %bb.17:                               ;   in Loop: Header=BB73_5 Depth=1
	s_mov_b32 s4, 0xae147ae1
	s_mov_b32 s5, 0xc00ae147
	v_div_scale_f64 v[6:7], s[0:1], v[4:5], v[4:5], s[4:5]
	v_rcp_f64_e32 v[8:9], v[6:7]
	s_mov_b32 s0, 0
	v_mul_f64 v[76:77], v[4:5], s[26:27]
	s_brev_b32 s1, 8
	v_cmp_gt_f64_e64 s[0:1], s[0:1], v[76:77]
	v_cndmask_b32_e64 v78, 0, 1, s[0:1]
	v_fma_f64 v[74:75], -v[6:7], v[8:9], 1.0
	v_lshlrev_b32_e32 v78, 8, v78
	v_fmac_f64_e32 v[8:9], v[8:9], v[74:75]
	v_ldexp_f64 v[76:77], v[76:77], v78
	v_fma_f64 v[74:75], -v[6:7], v[8:9], 1.0
	v_rsq_f64_e32 v[78:79], v[76:77]
	v_div_scale_f64 v[10:11], vcc, s[4:5], v[4:5], s[4:5]
	v_fmac_f64_e32 v[8:9], v[8:9], v[74:75]
	v_mul_f64 v[74:75], v[10:11], v[8:9]
	v_fma_f64 v[6:7], -v[6:7], v[74:75], v[10:11]
	s_nop 0
	v_div_fmas_f64 v[6:7], v[6:7], v[8:9], v[74:75]
	v_mul_f64 v[8:9], v[76:77], v[78:79]
	v_mul_f64 v[10:11], v[78:79], 0.5
	v_fma_f64 v[74:75], -v[10:11], v[8:9], 0.5
	v_fmac_f64_e32 v[8:9], v[8:9], v[74:75]
	v_fma_f64 v[78:79], -v[8:9], v[8:9], v[76:77]
	v_fmac_f64_e32 v[10:11], v[10:11], v[74:75]
	v_fmac_f64_e32 v[8:9], v[78:79], v[10:11]
	v_fma_f64 v[74:75], -v[8:9], v[8:9], v[76:77]
	v_fmac_f64_e32 v[8:9], v[74:75], v[10:11]
	v_cndmask_b32_e64 v10, 0, v90, s[0:1]
	v_ldexp_f64 v[8:9], v[8:9], v10
	v_cmp_class_f64_e32 vcc, v[76:77], v89
	s_mov_b32 s14, 0x54442d18
	v_cndmask_b32_e32 v9, v9, v77, vcc
	v_cndmask_b32_e32 v8, v8, v76, vcc
	s_mov_b32 s15, 0x400921fb
	v_div_scale_f64 v[10:11], s[0:1], v[8:9], v[8:9], s[14:15]
	v_rcp_f64_e32 v[76:77], v[10:11]
	s_mov_b32 s0, 0x95810625
	v_div_fixup_f64 v[6:7], v[6:7], v[4:5], s[4:5]
	s_mov_b32 s1, 0x3fe88b43
	v_fma_f64 v[78:79], -v[10:11], v[76:77], 1.0
	v_fmac_f64_e32 v[76:77], v[76:77], v[78:79]
	v_fma_f64 v[78:79], -v[10:11], v[76:77], 1.0
	v_fmac_f64_e32 v[76:77], v[76:77], v[78:79]
	v_div_scale_f64 v[78:79], vcc, s[14:15], v[8:9], s[14:15]
	v_mul_f64 v[80:81], v[78:79], v[76:77]
	v_fma_f64 v[10:11], -v[10:11], v[80:81], v[78:79]
	v_add_f64 v[6:7], v[6:7], s[0:1]
	s_nop 0
	v_div_fmas_f64 v[10:11], v[10:11], v[76:77], v[80:81]
	v_div_fixup_f64 v[76:77], v[10:11], v[8:9], s[14:15]
	v_frexp_mant_f64_e32 v[8:9], v[6:7]
	v_cmp_gt_f64_e32 vcc, s[34:35], v[8:9]
	v_mov_b32_e32 v74, 0
	v_cndmask_b32_e64 v75, v91, 2.0, vcc
	v_frexp_exp_i32_f64_e32 v10, v[6:7]
	v_mul_f64 v[8:9], v[8:9], v[74:75]
	v_subbrev_co_u32_e32 v75, vcc, 0, v10, vcc
	v_add_f64 v[10:11], v[8:9], 1.0
	v_rcp_f64_e32 v[80:81], v[10:11]
	v_add_f64 v[84:85], v[10:11], -1.0
	v_add_f64 v[82:83], v[8:9], -1.0
	v_add_f64 v[8:9], v[8:9], -v[84:85]
	v_fma_f64 v[84:85], -v[10:11], v[80:81], 1.0
	v_fmac_f64_e32 v[80:81], v[84:85], v[80:81]
	v_fma_f64 v[84:85], -v[10:11], v[80:81], 1.0
	v_fmac_f64_e32 v[80:81], v[84:85], v[80:81]
	v_mul_f64 v[84:85], v[82:83], v[80:81]
	v_mul_f64 v[86:87], v[10:11], v[84:85]
	v_fma_f64 v[10:11], v[84:85], v[10:11], -v[86:87]
	v_fmac_f64_e32 v[10:11], v[84:85], v[8:9]
	v_add_f64 v[8:9], v[86:87], v[10:11]
	v_add_f64 v[116:117], v[82:83], -v[8:9]
	v_add_f64 v[86:87], v[8:9], -v[86:87]
	;; [unrolled: 1-line block ×5, first 2 shown]
	v_add_f64 v[8:9], v[10:11], v[8:9]
	v_add_f64 v[8:9], v[116:117], v[8:9]
	v_mul_f64 v[8:9], v[80:81], v[8:9]
	v_add_f64 v[10:11], v[84:85], v[8:9]
	v_add_f64 v[80:81], v[10:11], -v[84:85]
	v_add_f64 v[8:9], v[8:9], -v[80:81]
	v_mul_f64 v[80:81], v[10:11], v[10:11]
	v_pk_mov_b32 v[82:83], s[36:37], s[36:37] op_sel:[0,1]
	v_fma_f64 v[84:85], s[38:39], v[80:81], v[82:83]
	v_fma_f64 v[84:85], v[80:81], v[84:85], s[40:41]
	;; [unrolled: 1-line block ×5, first 2 shown]
	s_mov_b32 s49, s35
	v_fma_f64 v[84:85], v[80:81], v[84:85], s[48:49]
	v_ldexp_f64 v[86:87], v[10:11], 1
	v_mul_f64 v[10:11], v[10:11], v[80:81]
	v_mul_f64 v[10:11], v[10:11], v[84:85]
	v_add_f64 v[80:81], v[86:87], v[10:11]
	v_add_f64 v[84:85], v[80:81], -v[86:87]
	v_ldexp_f64 v[8:9], v[8:9], 1
	v_add_f64 v[10:11], v[10:11], -v[84:85]
	v_add_f64 v[8:9], v[8:9], v[10:11]
	v_add_f64 v[10:11], v[80:81], v[8:9]
	v_add_f64 v[80:81], v[10:11], -v[80:81]
	v_add_f64 v[8:9], v[8:9], -v[80:81]
	v_cvt_f64_i32_e32 v[80:81], v75
	v_mul_f64 v[84:85], v[80:81], s[50:51]
	v_fma_f64 v[86:87], v[80:81], s[50:51], -v[84:85]
	v_fmac_f64_e32 v[86:87], s[52:53], v[80:81]
	v_add_f64 v[80:81], v[84:85], v[86:87]
	v_add_f64 v[84:85], v[80:81], -v[84:85]
	v_add_f64 v[84:85], v[86:87], -v[84:85]
	v_add_f64 v[86:87], v[80:81], v[10:11]
	v_add_f64 v[116:117], v[86:87], -v[80:81]
	v_add_f64 v[118:119], v[86:87], -v[116:117]
	;; [unrolled: 1-line block ×4, first 2 shown]
	v_add_f64 v[10:11], v[10:11], v[80:81]
	v_add_f64 v[80:81], v[84:85], v[8:9]
	v_add_f64 v[116:117], v[80:81], -v[84:85]
	v_add_f64 v[118:119], v[80:81], -v[116:117]
	v_add_f64 v[10:11], v[80:81], v[10:11]
	v_add_f64 v[84:85], v[84:85], -v[118:119]
	v_add_f64 v[8:9], v[8:9], -v[116:117]
	v_add_f64 v[80:81], v[86:87], v[10:11]
	v_add_f64 v[8:9], v[8:9], v[84:85]
	v_add_f64 v[84:85], v[80:81], -v[86:87]
	v_add_f64 v[10:11], v[10:11], -v[84:85]
	v_add_f64 v[8:9], v[8:9], v[10:11]
	v_add_f64 v[8:9], v[80:81], v[8:9]
	v_cmp_class_f64_e64 vcc, v[6:7], s11
	v_cndmask_b32_e32 v8, v8, v6, vcc
	v_cndmask_b32_e32 v9, v9, v7, vcc
	v_cmp_ngt_f64_e32 vcc, 0, v[6:7]
	v_cndmask_b32_e32 v9, v92, v9, vcc
	v_cmp_nge_f64_e32 vcc, 0, v[6:7]
	v_cndmask_b32_e32 v8, 0, v8, vcc
	v_cmp_neq_f64_e32 vcc, 0, v[6:7]
	v_cndmask_b32_e32 v9, v93, v9, vcc
	v_add_f64 v[6:7], v[8:9], -v[4:5]
	v_frexp_mant_f64_e32 v[8:9], v[76:77]
	v_cmp_gt_f64_e32 vcc, s[34:35], v[8:9]
	v_cndmask_b32_e64 v75, v91, 2.0, vcc
	v_frexp_exp_i32_f64_e32 v10, v[76:77]
	v_mul_f64 v[8:9], v[8:9], v[74:75]
	v_subbrev_co_u32_e32 v75, vcc, 0, v10, vcc
	v_add_f64 v[10:11], v[8:9], 1.0
	v_rcp_f64_e32 v[80:81], v[10:11]
	v_add_f64 v[86:87], v[10:11], -1.0
	v_add_f64 v[84:85], v[8:9], -1.0
	v_add_f64 v[8:9], v[8:9], -v[86:87]
	v_fma_f64 v[86:87], -v[10:11], v[80:81], 1.0
	v_fmac_f64_e32 v[80:81], v[86:87], v[80:81]
	v_fma_f64 v[86:87], -v[10:11], v[80:81], 1.0
	v_fmac_f64_e32 v[80:81], v[86:87], v[80:81]
	v_mul_f64 v[86:87], v[84:85], v[80:81]
	v_mul_f64 v[116:117], v[10:11], v[86:87]
	v_fma_f64 v[10:11], v[86:87], v[10:11], -v[116:117]
	v_fmac_f64_e32 v[10:11], v[86:87], v[8:9]
	v_add_f64 v[8:9], v[116:117], v[10:11]
	v_add_f64 v[118:119], v[84:85], -v[8:9]
	v_add_f64 v[116:117], v[8:9], -v[116:117]
	;; [unrolled: 1-line block ×5, first 2 shown]
	v_add_f64 v[8:9], v[10:11], v[8:9]
	v_add_f64 v[8:9], v[118:119], v[8:9]
	v_mul_f64 v[8:9], v[80:81], v[8:9]
	v_add_f64 v[10:11], v[86:87], v[8:9]
	v_add_f64 v[80:81], v[10:11], -v[86:87]
	v_add_f64 v[8:9], v[8:9], -v[80:81]
	v_mul_f64 v[80:81], v[10:11], v[10:11]
	v_fma_f64 v[84:85], s[38:39], v[80:81], v[82:83]
	v_fma_f64 v[84:85], v[80:81], v[84:85], s[40:41]
	;; [unrolled: 1-line block ×6, first 2 shown]
	v_ldexp_f64 v[86:87], v[10:11], 1
	v_mul_f64 v[10:11], v[10:11], v[80:81]
	v_mul_f64 v[10:11], v[10:11], v[84:85]
	v_add_f64 v[80:81], v[86:87], v[10:11]
	v_add_f64 v[84:85], v[80:81], -v[86:87]
	v_ldexp_f64 v[8:9], v[8:9], 1
	v_add_f64 v[10:11], v[10:11], -v[84:85]
	v_add_f64 v[8:9], v[8:9], v[10:11]
	v_add_f64 v[10:11], v[80:81], v[8:9]
	v_add_f64 v[80:81], v[10:11], -v[80:81]
	v_add_f64 v[8:9], v[8:9], -v[80:81]
	v_cvt_f64_i32_e32 v[80:81], v75
	v_mul_f64 v[84:85], v[80:81], s[50:51]
	v_fma_f64 v[86:87], v[80:81], s[50:51], -v[84:85]
	v_fmac_f64_e32 v[86:87], s[52:53], v[80:81]
	v_add_f64 v[80:81], v[84:85], v[86:87]
	v_add_f64 v[84:85], v[80:81], -v[84:85]
	v_add_f64 v[84:85], v[86:87], -v[84:85]
	v_add_f64 v[86:87], v[80:81], v[10:11]
	v_add_f64 v[116:117], v[86:87], -v[80:81]
	v_add_f64 v[118:119], v[86:87], -v[116:117]
	v_add_f64 v[80:81], v[80:81], -v[118:119]
	v_add_f64 v[10:11], v[10:11], -v[116:117]
	v_add_f64 v[10:11], v[10:11], v[80:81]
	v_add_f64 v[80:81], v[84:85], v[8:9]
	v_add_f64 v[116:117], v[80:81], -v[84:85]
	v_add_f64 v[118:119], v[80:81], -v[116:117]
	v_add_f64 v[10:11], v[80:81], v[10:11]
	v_add_f64 v[84:85], v[84:85], -v[118:119]
	v_add_f64 v[8:9], v[8:9], -v[116:117]
	v_add_f64 v[80:81], v[86:87], v[10:11]
	v_add_f64 v[8:9], v[8:9], v[84:85]
	v_add_f64 v[84:85], v[80:81], -v[86:87]
	v_add_f64 v[10:11], v[10:11], -v[84:85]
	s_mov_b32 s0, 0
	v_add_f64 v[8:9], v[8:9], v[10:11]
	s_mov_b32 s1, 0x7ff00000
	v_add_f64 v[8:9], v[80:81], v[8:9]
	v_cmp_eq_f64_e32 vcc, s[0:1], v[76:77]
	v_cndmask_b32_e32 v8, v8, v76, vcc
	v_cndmask_b32_e32 v9, v9, v77, vcc
	v_cmp_neq_f64_e32 vcc, 0, v[76:77]
	v_cndmask_b32_e32 v9, v93, v9, vcc
	v_cndmask_b32_e32 v8, 0, v8, vcc
	v_mul_f64 v[78:79], v[76:77], v[4:5]
	v_add_f64 v[80:81], v[6:7], -v[8:9]
	v_frexp_exp_i32_f64_e32 v6, v[4:5]
	v_frexp_mant_f64_e32 v[4:5], v[4:5]
	v_cmp_gt_f64_e32 vcc, s[34:35], v[4:5]
	v_cndmask_b32_e64 v75, v91, 2.0, vcc
	v_mul_f64 v[4:5], v[4:5], v[74:75]
	v_subbrev_co_u32_e32 v75, vcc, 0, v6, vcc
	v_add_f64 v[6:7], v[4:5], 1.0
	v_rcp_f64_e32 v[8:9], v[6:7]
	v_add_f64 v[84:85], v[6:7], -1.0
	v_add_f64 v[10:11], v[4:5], -1.0
	v_add_f64 v[4:5], v[4:5], -v[84:85]
	v_fma_f64 v[84:85], -v[6:7], v[8:9], 1.0
	v_fmac_f64_e32 v[8:9], v[84:85], v[8:9]
	v_fma_f64 v[84:85], -v[6:7], v[8:9], 1.0
	v_fmac_f64_e32 v[8:9], v[84:85], v[8:9]
	v_mul_f64 v[84:85], v[10:11], v[8:9]
	v_mul_f64 v[86:87], v[6:7], v[84:85]
	v_fma_f64 v[6:7], v[84:85], v[6:7], -v[86:87]
	v_fmac_f64_e32 v[6:7], v[84:85], v[4:5]
	v_add_f64 v[4:5], v[86:87], v[6:7]
	v_add_f64 v[116:117], v[10:11], -v[4:5]
	v_add_f64 v[86:87], v[4:5], -v[86:87]
	;; [unrolled: 1-line block ×5, first 2 shown]
	v_add_f64 v[4:5], v[6:7], v[4:5]
	v_add_f64 v[4:5], v[116:117], v[4:5]
	v_mul_f64 v[4:5], v[8:9], v[4:5]
	v_add_f64 v[6:7], v[84:85], v[4:5]
	v_add_f64 v[8:9], v[6:7], -v[84:85]
	v_add_f64 v[4:5], v[4:5], -v[8:9]
	v_mul_f64 v[8:9], v[6:7], v[6:7]
	v_fmac_f64_e32 v[82:83], s[38:39], v[8:9]
	v_fma_f64 v[10:11], v[8:9], v[82:83], s[40:41]
	v_fma_f64 v[10:11], v[8:9], v[10:11], s[42:43]
	;; [unrolled: 1-line block ×5, first 2 shown]
	v_ldexp_f64 v[82:83], v[6:7], 1
	v_mul_f64 v[6:7], v[6:7], v[8:9]
	v_mul_f64 v[6:7], v[6:7], v[10:11]
	v_add_f64 v[8:9], v[82:83], v[6:7]
	v_add_f64 v[10:11], v[8:9], -v[82:83]
	v_ldexp_f64 v[4:5], v[4:5], 1
	v_add_f64 v[6:7], v[6:7], -v[10:11]
	v_add_f64 v[4:5], v[4:5], v[6:7]
	v_add_f64 v[6:7], v[8:9], v[4:5]
	v_add_f64 v[8:9], v[6:7], -v[8:9]
	v_add_f64 v[4:5], v[4:5], -v[8:9]
	v_cvt_f64_i32_e32 v[8:9], v75
	v_mul_f64 v[10:11], v[8:9], s[50:51]
	v_fma_f64 v[82:83], v[8:9], s[50:51], -v[10:11]
	v_fmac_f64_e32 v[82:83], s[52:53], v[8:9]
	v_add_f64 v[8:9], v[10:11], v[82:83]
	v_add_f64 v[10:11], v[8:9], -v[10:11]
	v_add_f64 v[10:11], v[82:83], -v[10:11]
	v_add_f64 v[82:83], v[8:9], v[6:7]
	v_add_f64 v[84:85], v[82:83], -v[8:9]
	v_add_f64 v[86:87], v[82:83], -v[84:85]
	;; [unrolled: 1-line block ×4, first 2 shown]
	v_add_f64 v[6:7], v[6:7], v[8:9]
	v_add_f64 v[8:9], v[10:11], v[4:5]
	v_add_f64 v[84:85], v[8:9], -v[10:11]
	v_add_f64 v[86:87], v[8:9], -v[84:85]
	v_add_f64 v[6:7], v[8:9], v[6:7]
	v_add_f64 v[10:11], v[10:11], -v[86:87]
	v_add_f64 v[4:5], v[4:5], -v[84:85]
	v_add_f64 v[8:9], v[82:83], v[6:7]
	v_add_f64 v[4:5], v[4:5], v[10:11]
	v_add_f64 v[10:11], v[8:9], -v[82:83]
	v_add_f64 v[6:7], v[6:7], -v[10:11]
	v_add_f64 v[4:5], v[4:5], v[6:7]
	v_add_f64 v[82:83], v[8:9], v[4:5]
	s_mov_b64 s[14:15], 0
	s_mov_b64 s[4:5], 0
	v_mov_b32_e32 v116, v17
                                        ; implicit-def: $vgpr75
.LBB73_18:                              ;   Parent Loop BB73_5 Depth=1
                                        ; =>  This Inner Loop Header: Depth=2
	v_add_u32_e32 v117, 1, v15
	v_pk_mov_b32 v[10:11], v[2:3], v[2:3] op_sel:[0,1]
	v_cmp_eq_u32_e32 vcc, 4, v117
	v_pk_mov_b32 v[8:9], v[0:1], v[0:1] op_sel:[0,1]
	v_mov_b32_e32 v87, v0
	v_mov_b32_e32 v86, v1
	;; [unrolled: 1-line block ×4, first 2 shown]
	s_and_saveexec_b64 s[0:1], vcc
	s_cbranch_execz .LBB73_20
; %bb.19:                               ;   in Loop: Header=BB73_18 Depth=2
	v_add_co_u32_e32 v97, vcc, 1, v97
	v_cndmask_b32_e64 v4, 0, 1, vcc
	v_addc_co_u32_e32 v98, vcc, 0, v98, vcc
	v_cmp_eq_u32_e32 vcc, 0, v98
	v_cndmask_b32_e32 v4, 0, v4, vcc
	v_add_u32_e32 v116, v4, v116
	v_cmp_eq_u32_e32 vcc, 0, v116
	v_cndmask_b32_e32 v4, 0, v4, vcc
	v_add_u32_e32 v74, v4, v74
	v_mad_u64_u32 v[4:5], s[18:19], v97, s10, 0
	v_mad_u64_u32 v[6:7], s[18:19], v116, s9, 0
	v_xor_b32_e32 v5, v5, v73
	v_xor_b32_e32 v7, v7, v72
	v_xor_b32_e32 v5, v74, v5
	v_xor_b32_e32 v7, v98, v7
	v_mad_u64_u32 v[10:11], s[18:19], v5, s9, 0
	v_mad_u64_u32 v[8:9], s[18:19], v7, s10, 0
	v_xor_b32_e32 v5, v99, v11
	v_xor_b32_e32 v5, v5, v6
	v_xor_b32_e32 v6, v100, v9
	v_xor_b32_e32 v6, v6, v4
	;; [unrolled: 6-line block ×10, first 2 shown]
	v_mov_b32_e32 v117, 0
	v_mov_b32_e32 v9, v86
	;; [unrolled: 1-line block ×5, first 2 shown]
.LBB73_20:                              ;   in Loop: Header=BB73_18 Depth=2
	s_or_b64 exec, exec, s[0:1]
	v_add_u32_e32 v118, 1, v117
	v_pk_mov_b32 v[4:5], v[8:9], v[8:9] op_sel:[0,1]
	v_cmp_eq_u32_e32 vcc, 4, v118
	v_pk_mov_b32 v[6:7], v[10:11], v[10:11] op_sel:[0,1]
	s_and_saveexec_b64 s[0:1], vcc
	s_cbranch_execz .LBB73_22
; %bb.21:                               ;   in Loop: Header=BB73_18 Depth=2
	v_add_co_u32_e32 v97, vcc, 1, v97
	v_cndmask_b32_e64 v4, 0, 1, vcc
	v_addc_co_u32_e32 v98, vcc, 0, v98, vcc
	v_cmp_eq_u32_e32 vcc, 0, v98
	v_cndmask_b32_e32 v4, 0, v4, vcc
	v_add_u32_e32 v116, v4, v116
	v_cmp_eq_u32_e32 vcc, 0, v116
	v_cndmask_b32_e32 v4, 0, v4, vcc
	v_add_u32_e32 v74, v4, v74
	v_mad_u64_u32 v[4:5], s[18:19], v97, s10, 0
	v_mad_u64_u32 v[6:7], s[18:19], v116, s9, 0
	v_xor_b32_e32 v5, v5, v73
	v_xor_b32_e32 v7, v7, v72
	v_xor_b32_e32 v5, v74, v5
	v_xor_b32_e32 v7, v98, v7
	v_mad_u64_u32 v[86:87], s[18:19], v5, s9, 0
	v_mad_u64_u32 v[84:85], s[18:19], v7, s10, 0
	v_xor_b32_e32 v5, v99, v87
	v_xor_b32_e32 v5, v5, v6
	v_xor_b32_e32 v6, v100, v85
	v_xor_b32_e32 v6, v6, v4
	;; [unrolled: 6-line block ×10, first 2 shown]
	v_mov_b32_e32 v118, 0
	v_mov_b32_e32 v5, v86
	;; [unrolled: 1-line block ×5, first 2 shown]
.LBB73_22:                              ;   in Loop: Header=BB73_18 Depth=2
	s_or_b64 exec, exec, s[0:1]
	v_cmp_eq_u32_e32 vcc, 1, v15
	v_cndmask_b32_e32 v0, v0, v1, vcc
	v_cmp_eq_u32_e32 vcc, 2, v15
	v_cndmask_b32_e32 v0, v0, v2, vcc
	;; [unrolled: 2-line block ×6, first 2 shown]
	v_lshrrev_b32_e32 v0, 11, v0
	v_cvt_f64_u32_e32 v[0:1], v0
	v_ldexp_f64 v[0:1], v[0:1], 32
	v_cvt_f64_u32_e32 v[2:3], v2
	v_add_f64 v[0:1], v[0:1], v[2:3]
	v_mov_b32_e32 v2, 0
	v_mov_b32_e32 v3, 0x3ca00000
	v_fmac_f64_e32 v[2:3], 0x3ca00000, v[0:1]
	v_add_f64 v[0:1], -v[2:3], 1.0
	v_div_scale_f64 v[8:9], s[0:1], v[2:3], v[2:3], v[0:1]
	v_rcp_f64_e32 v[10:11], v[8:9]
	v_mov_b32_e32 v119, 2
	v_fma_f64 v[120:121], -v[8:9], v[10:11], 1.0
	v_fmac_f64_e32 v[10:11], v[10:11], v[120:121]
	v_fma_f64 v[120:121], -v[8:9], v[10:11], 1.0
	v_fmac_f64_e32 v[10:11], v[10:11], v[120:121]
	v_div_scale_f64 v[120:121], vcc, v[0:1], v[2:3], v[0:1]
	v_mul_f64 v[122:123], v[120:121], v[10:11]
	v_fma_f64 v[8:9], -v[8:9], v[122:123], v[120:121]
	s_nop 1
	v_div_fmas_f64 v[8:9], v[8:9], v[10:11], v[122:123]
	v_div_fixup_f64 v[0:1], v[8:9], v[2:3], v[0:1]
	v_frexp_mant_f64_e32 v[2:3], v[0:1]
	v_cmp_gt_f64_e32 vcc, s[34:35], v[2:3]
	v_cndmask_b32_e64 v15, v91, 2.0, vcc
	v_frexp_exp_i32_f64_e32 v8, v[0:1]
	v_mul_f64 v[2:3], v[2:3], v[14:15]
	v_subbrev_co_u32_e32 v15, vcc, 0, v8, vcc
	v_add_f64 v[8:9], v[2:3], 1.0
	v_rcp_f64_e32 v[10:11], v[8:9]
	v_add_f64 v[122:123], v[8:9], -1.0
	v_add_f64 v[120:121], v[2:3], -1.0
	v_add_f64 v[2:3], v[2:3], -v[122:123]
	v_fma_f64 v[122:123], -v[8:9], v[10:11], 1.0
	v_fmac_f64_e32 v[10:11], v[122:123], v[10:11]
	v_fma_f64 v[122:123], -v[8:9], v[10:11], 1.0
	v_fmac_f64_e32 v[10:11], v[122:123], v[10:11]
	v_mul_f64 v[122:123], v[120:121], v[10:11]
	v_mul_f64 v[124:125], v[8:9], v[122:123]
	v_fma_f64 v[8:9], v[122:123], v[8:9], -v[124:125]
	v_fmac_f64_e32 v[8:9], v[122:123], v[2:3]
	v_add_f64 v[2:3], v[124:125], v[8:9]
	v_add_f64 v[126:127], v[120:121], -v[2:3]
	v_add_f64 v[124:125], v[2:3], -v[124:125]
	;; [unrolled: 1-line block ×5, first 2 shown]
	v_add_f64 v[2:3], v[8:9], v[2:3]
	v_add_f64 v[2:3], v[126:127], v[2:3]
	v_mul_f64 v[2:3], v[10:11], v[2:3]
	v_add_f64 v[8:9], v[122:123], v[2:3]
	v_add_f64 v[10:11], v[8:9], -v[122:123]
	v_add_f64 v[2:3], v[2:3], -v[10:11]
	v_mul_f64 v[10:11], v[8:9], v[8:9]
	v_pk_mov_b32 v[120:121], v[18:19], v[18:19] op_sel:[0,1]
	v_fmac_f64_e32 v[120:121], s[38:39], v[10:11]
	v_pk_mov_b32 v[122:123], v[20:21], v[20:21] op_sel:[0,1]
	v_fmac_f64_e32 v[122:123], v[10:11], v[120:121]
	;; [unrolled: 2-line block ×6, first 2 shown]
	v_ldexp_f64 v[120:121], v[8:9], 1
	v_mul_f64 v[8:9], v[8:9], v[10:11]
	v_mul_f64 v[8:9], v[8:9], v[122:123]
	v_add_f64 v[10:11], v[120:121], v[8:9]
	v_add_f64 v[120:121], v[10:11], -v[120:121]
	v_ldexp_f64 v[2:3], v[2:3], 1
	v_add_f64 v[8:9], v[8:9], -v[120:121]
	v_add_f64 v[2:3], v[2:3], v[8:9]
	v_add_f64 v[8:9], v[10:11], v[2:3]
	v_add_f64 v[10:11], v[8:9], -v[10:11]
	v_add_f64 v[2:3], v[2:3], -v[10:11]
	v_cvt_f64_i32_e32 v[10:11], v15
	v_mul_f64 v[120:121], v[10:11], s[50:51]
	v_fma_f64 v[122:123], v[10:11], s[50:51], -v[120:121]
	v_fmac_f64_e32 v[122:123], s[52:53], v[10:11]
	v_add_f64 v[10:11], v[120:121], v[122:123]
	v_add_f64 v[120:121], v[10:11], -v[120:121]
	v_add_f64 v[120:121], v[122:123], -v[120:121]
	v_add_f64 v[122:123], v[10:11], v[8:9]
	v_add_f64 v[124:125], v[122:123], -v[10:11]
	v_add_f64 v[126:127], v[122:123], -v[124:125]
	;; [unrolled: 1-line block ×4, first 2 shown]
	v_add_f64 v[8:9], v[8:9], v[10:11]
	v_add_f64 v[10:11], v[120:121], v[2:3]
	v_add_f64 v[124:125], v[10:11], -v[120:121]
	v_add_f64 v[126:127], v[10:11], -v[124:125]
	v_add_f64 v[8:9], v[10:11], v[8:9]
	v_add_f64 v[120:121], v[120:121], -v[126:127]
	v_add_f64 v[2:3], v[2:3], -v[124:125]
	v_add_f64 v[10:11], v[122:123], v[8:9]
	v_add_f64 v[2:3], v[2:3], v[120:121]
	v_add_f64 v[120:121], v[10:11], -v[122:123]
	v_add_f64 v[8:9], v[8:9], -v[120:121]
	v_add_f64 v[2:3], v[2:3], v[8:9]
	v_add_f64 v[2:3], v[10:11], v[2:3]
	v_cmp_class_f64_e64 vcc, v[0:1], s11
	v_cndmask_b32_e32 v2, v2, v0, vcc
	v_cndmask_b32_e32 v3, v3, v1, vcc
	v_cmp_ngt_f64_e32 vcc, 0, v[0:1]
	v_cndmask_b32_e32 v3, v92, v3, vcc
	v_cmp_nge_f64_e32 vcc, 0, v[0:1]
	v_cndmask_b32_e32 v2, 0, v2, vcc
	v_cmp_neq_f64_e32 vcc, 0, v[0:1]
	v_cndmask_b32_e32 v3, v93, v3, vcc
	v_add_f64 v[0:1], v[78:79], -v[2:3]
	v_div_scale_f64 v[2:3], s[0:1], v[76:77], v[76:77], v[0:1]
	v_rcp_f64_e32 v[8:9], v[2:3]
	v_fma_f64 v[10:11], -v[2:3], v[8:9], 1.0
	v_fmac_f64_e32 v[8:9], v[8:9], v[10:11]
	v_fma_f64 v[10:11], -v[2:3], v[8:9], 1.0
	v_fmac_f64_e32 v[8:9], v[8:9], v[10:11]
	v_div_scale_f64 v[10:11], vcc, v[0:1], v[76:77], v[0:1]
	v_mul_f64 v[120:121], v[10:11], v[8:9]
	v_fma_f64 v[2:3], -v[2:3], v[120:121], v[10:11]
	s_nop 1
	v_div_fmas_f64 v[2:3], v[2:3], v[8:9], v[120:121]
	v_div_fixup_f64 v[10:11], v[2:3], v[76:77], v[0:1]
	v_add_f64 v[0:1], v[10:11], 0.5
	v_floor_f64_e32 v[8:9], v[0:1]
	v_cmp_ngt_f64_e32 vcc, 0, v[8:9]
	s_and_saveexec_b64 s[18:19], vcc
	s_cbranch_execz .LBB73_28
; %bb.23:                               ;   in Loop: Header=BB73_18 Depth=2
	v_add_u32_e32 v15, 1, v118
	v_pk_mov_b32 v[0:1], v[4:5], v[4:5] op_sel:[0,1]
	v_cmp_eq_u32_e32 vcc, 4, v15
	v_pk_mov_b32 v[2:3], v[6:7], v[6:7] op_sel:[0,1]
	s_and_saveexec_b64 s[0:1], vcc
	s_cbranch_execz .LBB73_25
; %bb.24:                               ;   in Loop: Header=BB73_18 Depth=2
	v_add_co_u32_e32 v97, vcc, 1, v97
	v_cndmask_b32_e64 v0, 0, 1, vcc
	v_addc_co_u32_e32 v98, vcc, 0, v98, vcc
	v_cmp_eq_u32_e32 vcc, 0, v98
	v_cndmask_b32_e32 v0, 0, v0, vcc
	v_add_u32_e32 v116, v0, v116
	v_cmp_eq_u32_e32 vcc, 0, v116
	v_cndmask_b32_e32 v0, 0, v0, vcc
	v_add_u32_e32 v74, v0, v74
	v_mad_u64_u32 v[0:1], vcc, v97, s10, 0
	v_mad_u64_u32 v[2:3], vcc, v116, s9, 0
	v_xor_b32_e32 v1, v1, v73
	v_xor_b32_e32 v3, v3, v72
	v_xor_b32_e32 v1, v74, v1
	v_xor_b32_e32 v3, v98, v3
	v_mad_u64_u32 v[86:87], vcc, v1, s9, 0
	v_mad_u64_u32 v[84:85], vcc, v3, s10, 0
	v_xor_b32_e32 v1, v99, v87
	v_xor_b32_e32 v1, v1, v2
	v_xor_b32_e32 v2, v100, v85
	v_xor_b32_e32 v2, v2, v0
	;; [unrolled: 6-line block ×10, first 2 shown]
	v_mov_b32_e32 v15, 0
	v_mov_b32_e32 v1, v86
	;; [unrolled: 1-line block ×5, first 2 shown]
.LBB73_25:                              ;   in Loop: Header=BB73_18 Depth=2
	s_or_b64 exec, exec, s[0:1]
	v_add_u32_e32 v117, 1, v15
	v_cmp_eq_u32_e32 vcc, 4, v117
	s_and_saveexec_b64 s[0:1], vcc
	s_cbranch_execz .LBB73_27
; %bb.26:                               ;   in Loop: Header=BB73_18 Depth=2
	v_add_co_u32_e32 v97, vcc, 1, v97
	v_cndmask_b32_e64 v84, 0, 1, vcc
	v_addc_co_u32_e32 v98, vcc, 0, v98, vcc
	v_cmp_eq_u32_e32 vcc, 0, v98
	v_cndmask_b32_e32 v84, 0, v84, vcc
	v_add_u32_e32 v116, v84, v116
	v_cmp_eq_u32_e32 vcc, 0, v116
	v_cndmask_b32_e32 v84, 0, v84, vcc
	v_add_u32_e32 v74, v84, v74
	v_mad_u64_u32 v[84:85], vcc, v97, s10, 0
	v_mad_u64_u32 v[86:87], vcc, v116, s9, 0
	v_xor_b32_e32 v85, v85, v73
	v_xor_b32_e32 v87, v87, v72
	v_xor_b32_e32 v85, v74, v85
	v_xor_b32_e32 v87, v98, v87
	v_mad_u64_u32 v[122:123], vcc, v85, s9, 0
	v_mad_u64_u32 v[120:121], vcc, v87, s10, 0
	v_xor_b32_e32 v85, v99, v123
	v_xor_b32_e32 v85, v85, v86
	v_xor_b32_e32 v86, v100, v121
	v_xor_b32_e32 v86, v86, v84
	;; [unrolled: 6-line block ×9, first 2 shown]
	v_mad_u64_u32 v[84:85], vcc, v84, s10, 0
	v_mad_u64_u32 v[86:87], vcc, v86, s9, 0
	v_xor_b32_e32 v87, v87, v126
	v_xor_b32_e32 v85, v85, v124
	v_mov_b32_e32 v117, 0
	v_xor_b32_e32 v87, v106, v87
	v_xor_b32_e32 v85, v96, v85
.LBB73_27:                              ;   in Loop: Header=BB73_18 Depth=2
	s_or_b64 exec, exec, s[0:1]
	v_cmp_eq_u32_e32 vcc, 1, v118
	v_cndmask_b32_e32 v4, v4, v5, vcc
	v_cmp_eq_u32_e32 vcc, 2, v118
	v_cndmask_b32_e32 v4, v4, v6, vcc
	;; [unrolled: 2-line block ×6, first 2 shown]
	v_lshrrev_b32_e32 v0, 11, v0
	v_cvt_f64_u32_e32 v[0:1], v0
	v_ldexp_f64 v[0:1], v[0:1], 32
	v_cvt_f64_u32_e32 v[2:3], v4
	v_add_f64 v[0:1], v[0:1], v[2:3]
	v_mov_b32_e32 v2, 0
	v_mov_b32_e32 v3, 0x3ca00000
	v_fma_f64 v[4:5], -v[76:77], v[10:11], v[78:79]
	v_fmac_f64_e32 v[2:3], 0x3ca00000, v[0:1]
	v_mul_f64 v[0:1], v[4:5], s[56:57]
	v_rndne_f64_e32 v[0:1], v[0:1]
	s_mov_b32 s58, s50
	v_fma_f64 v[6:7], s[58:59], v[0:1], v[4:5]
	s_mov_b32 s60, s52
	v_fmac_f64_e32 v[6:7], s[60:61], v[0:1]
	v_pk_mov_b32 v[10:11], v[30:31], v[30:31] op_sel:[0,1]
	v_fmac_f64_e32 v[10:11], s[62:63], v[6:7]
	v_pk_mov_b32 v[118:119], v[32:33], v[32:33] op_sel:[0,1]
	;; [unrolled: 2-line block ×9, first 2 shown]
	v_fmac_f64_e32 v[10:11], v[6:7], v[118:119]
	v_fma_f64 v[10:11], v[6:7], v[10:11], 1.0
	v_fma_f64 v[6:7], v[6:7], v[10:11], 1.0
	v_cvt_i32_f64_e32 v0, v[0:1]
	v_ldexp_f64 v[0:1], v[6:7], v0
	v_add_f64 v[0:1], v[0:1], 1.0
	v_cmp_nlt_f64_e32 vcc, s[66:67], v[4:5]
	v_cmp_ngt_f64_e64 s[0:1], s[68:69], v[4:5]
	v_cndmask_b32_e32 v1, v94, v1, vcc
	s_and_b64 vcc, s[0:1], vcc
	v_cndmask_b32_e64 v1, v91, v1, s[0:1]
	v_cndmask_b32_e32 v0, 0, v0, vcc
	v_mul_f64 v[0:1], v[0:1], v[0:1]
	v_div_scale_f64 v[6:7], s[0:1], v[0:1], v[0:1], v[2:3]
	v_rcp_f64_e32 v[10:11], v[6:7]
	s_mov_b32 s49, s35
	v_fma_f64 v[118:119], -v[6:7], v[10:11], 1.0
	v_fmac_f64_e32 v[10:11], v[10:11], v[118:119]
	v_fma_f64 v[118:119], -v[6:7], v[10:11], 1.0
	v_fmac_f64_e32 v[10:11], v[10:11], v[118:119]
	v_div_scale_f64 v[118:119], vcc, v[2:3], v[0:1], v[2:3]
	v_mul_f64 v[120:121], v[118:119], v[10:11]
	v_fma_f64 v[6:7], -v[6:7], v[120:121], v[118:119]
	s_nop 1
	v_div_fmas_f64 v[6:7], v[6:7], v[10:11], v[120:121]
	v_div_fixup_f64 v[2:3], v[6:7], v[0:1], v[2:3]
	v_frexp_mant_f64_e32 v[0:1], v[2:3]
	v_cmp_gt_f64_e32 vcc, s[34:35], v[0:1]
	v_cndmask_b32_e64 v15, v91, 2.0, vcc
	v_frexp_exp_i32_f64_e32 v6, v[2:3]
	v_mul_f64 v[0:1], v[0:1], v[14:15]
	v_subbrev_co_u32_e32 v15, vcc, 0, v6, vcc
	v_add_f64 v[6:7], v[0:1], 1.0
	v_rcp_f64_e32 v[10:11], v[6:7]
	v_add_f64 v[120:121], v[6:7], -1.0
	v_add_f64 v[118:119], v[0:1], -1.0
	v_add_f64 v[0:1], v[0:1], -v[120:121]
	v_fma_f64 v[120:121], -v[6:7], v[10:11], 1.0
	v_fmac_f64_e32 v[10:11], v[120:121], v[10:11]
	v_fma_f64 v[120:121], -v[6:7], v[10:11], 1.0
	v_fmac_f64_e32 v[10:11], v[120:121], v[10:11]
	v_mul_f64 v[120:121], v[118:119], v[10:11]
	v_mul_f64 v[122:123], v[6:7], v[120:121]
	v_fma_f64 v[6:7], v[120:121], v[6:7], -v[122:123]
	v_fmac_f64_e32 v[6:7], v[120:121], v[0:1]
	v_add_f64 v[0:1], v[122:123], v[6:7]
	v_add_f64 v[124:125], v[118:119], -v[0:1]
	v_add_f64 v[122:123], v[0:1], -v[122:123]
	;; [unrolled: 1-line block ×5, first 2 shown]
	v_add_f64 v[0:1], v[6:7], v[0:1]
	v_add_f64 v[0:1], v[124:125], v[0:1]
	v_mul_f64 v[0:1], v[10:11], v[0:1]
	v_add_f64 v[6:7], v[120:121], v[0:1]
	v_add_f64 v[10:11], v[6:7], -v[120:121]
	v_add_f64 v[10:11], v[0:1], -v[10:11]
	v_mul_f64 v[118:119], v[6:7], v[6:7]
	v_pk_mov_b32 v[0:1], s[36:37], s[36:37] op_sel:[0,1]
	v_fma_f64 v[120:121], s[38:39], v[118:119], v[0:1]
	v_fma_f64 v[120:121], v[118:119], v[120:121], s[40:41]
	;; [unrolled: 1-line block ×6, first 2 shown]
	v_ldexp_f64 v[122:123], v[6:7], 1
	v_mul_f64 v[6:7], v[6:7], v[118:119]
	v_mul_f64 v[6:7], v[6:7], v[120:121]
	v_add_f64 v[118:119], v[122:123], v[6:7]
	v_add_f64 v[120:121], v[118:119], -v[122:123]
	v_ldexp_f64 v[10:11], v[10:11], 1
	v_add_f64 v[6:7], v[6:7], -v[120:121]
	v_add_f64 v[6:7], v[10:11], v[6:7]
	v_add_f64 v[10:11], v[118:119], v[6:7]
	v_add_f64 v[118:119], v[10:11], -v[118:119]
	v_add_f64 v[6:7], v[6:7], -v[118:119]
	v_cvt_f64_i32_e32 v[118:119], v15
	v_mul_f64 v[120:121], v[118:119], s[50:51]
	v_fma_f64 v[122:123], v[118:119], s[50:51], -v[120:121]
	v_fmac_f64_e32 v[122:123], s[52:53], v[118:119]
	v_add_f64 v[118:119], v[120:121], v[122:123]
	v_add_f64 v[120:121], v[118:119], -v[120:121]
	v_add_f64 v[120:121], v[122:123], -v[120:121]
	v_add_f64 v[122:123], v[118:119], v[10:11]
	v_add_f64 v[124:125], v[122:123], -v[118:119]
	v_add_f64 v[126:127], v[122:123], -v[124:125]
	;; [unrolled: 1-line block ×4, first 2 shown]
	v_add_f64 v[10:11], v[10:11], v[118:119]
	v_add_f64 v[118:119], v[120:121], v[6:7]
	v_add_f64 v[124:125], v[118:119], -v[120:121]
	v_add_f64 v[126:127], v[118:119], -v[124:125]
	v_add_f64 v[10:11], v[118:119], v[10:11]
	v_add_f64 v[120:121], v[120:121], -v[126:127]
	v_add_f64 v[6:7], v[6:7], -v[124:125]
	v_add_f64 v[118:119], v[122:123], v[10:11]
	v_add_f64 v[6:7], v[6:7], v[120:121]
	v_add_f64 v[120:121], v[118:119], -v[122:123]
	v_add_f64 v[10:11], v[10:11], -v[120:121]
	v_add_f64 v[6:7], v[6:7], v[10:11]
	v_add_f64 v[6:7], v[118:119], v[6:7]
	v_cmp_class_f64_e64 vcc, v[2:3], s11
	v_cndmask_b32_e32 v15, v6, v2, vcc
	v_cndmask_b32_e32 v6, v7, v3, vcc
	v_cmp_neq_f64_e32 vcc, 0, v[2:3]
	v_cndmask_b32_e32 v3, v93, v6, vcc
	v_add_f64 v[6:7], v[8:9], 1.0
	v_add_f64 v[6:7], v[6:7], -1.0
	v_add_f64 v[118:119], v[6:7], s[70:71]
	v_div_scale_f64 v[10:11], s[0:1], v[118:119], v[118:119], s[72:73]
	v_rcp_f64_e32 v[120:121], v[10:11]
	v_cndmask_b32_e32 v2, 0, v15, vcc
	v_add_f64 v[2:3], v[4:5], v[2:3]
	v_fma_f64 v[4:5], v[82:83], v[8:9], v[80:81]
	v_fma_f64 v[122:123], -v[10:11], v[120:121], 1.0
	v_fmac_f64_e32 v[120:121], v[120:121], v[122:123]
	v_fma_f64 v[122:123], -v[10:11], v[120:121], 1.0
	v_fmac_f64_e32 v[120:121], v[120:121], v[122:123]
	v_div_scale_f64 v[122:123], vcc, s[72:73], v[118:119], s[72:73]
	v_mul_f64 v[124:125], v[122:123], v[120:121]
	v_fma_f64 v[122:123], -v[10:11], v[124:125], v[122:123]
	v_add_f64 v[10:11], v[6:7], s[74:75]
	v_div_scale_f64 v[126:127], s[0:1], v[10:11], v[10:11], s[76:77]
	v_rcp_f64_e32 v[128:129], v[126:127]
	v_div_fmas_f64 v[120:121], v[122:123], v[120:121], v[124:125]
	v_div_fixup_f64 v[118:119], v[120:121], v[118:119], s[72:73]
	v_add_f64 v[124:125], v[6:7], s[78:79]
	v_fma_f64 v[120:121], -v[126:127], v[128:129], 1.0
	v_fmac_f64_e32 v[128:129], v[128:129], v[120:121]
	v_fma_f64 v[120:121], -v[126:127], v[128:129], 1.0
	v_fmac_f64_e32 v[128:129], v[128:129], v[120:121]
	v_div_scale_f64 v[120:121], vcc, s[76:77], v[10:11], s[76:77]
	v_mul_f64 v[122:123], v[120:121], v[128:129]
	v_fma_f64 v[120:121], -v[126:127], v[122:123], v[120:121]
	v_div_scale_f64 v[126:127], s[0:1], v[124:125], v[124:125], s[80:81]
	v_rcp_f64_e32 v[130:131], v[126:127]
	v_div_fmas_f64 v[120:121], v[120:121], v[128:129], v[122:123]
	v_add_f64 v[118:119], v[118:119], 0
	v_div_fixup_f64 v[120:121], v[120:121], v[10:11], s[76:77]
	v_add_f64 v[118:119], v[120:121], v[118:119]
	v_fma_f64 v[120:121], -v[126:127], v[130:131], 1.0
	v_fmac_f64_e32 v[130:131], v[130:131], v[120:121]
	v_fma_f64 v[120:121], -v[126:127], v[130:131], 1.0
	v_fmac_f64_e32 v[130:131], v[130:131], v[120:121]
	v_div_scale_f64 v[120:121], vcc, s[80:81], v[124:125], s[80:81]
	v_mul_f64 v[122:123], v[120:121], v[130:131]
	v_fma_f64 v[120:121], -v[126:127], v[122:123], v[120:121]
	v_add_f64 v[126:127], v[6:7], s[82:83]
	v_div_scale_f64 v[128:129], s[0:1], v[126:127], v[126:127], s[84:85]
	v_rcp_f64_e32 v[132:133], v[128:129]
	v_div_fmas_f64 v[120:121], v[120:121], v[130:131], v[122:123]
	v_div_fixup_f64 v[120:121], v[120:121], v[124:125], s[80:81]
	v_add_f64 v[118:119], v[118:119], v[120:121]
	v_fma_f64 v[120:121], -v[128:129], v[132:133], 1.0
	v_fmac_f64_e32 v[132:133], v[132:133], v[120:121]
	v_fma_f64 v[120:121], -v[128:129], v[132:133], 1.0
	v_fmac_f64_e32 v[132:133], v[132:133], v[120:121]
	v_div_scale_f64 v[120:121], vcc, s[84:85], v[126:127], s[84:85]
	v_mul_f64 v[122:123], v[120:121], v[132:133]
	v_add_f64 v[124:125], v[6:7], 4.0
	v_fma_f64 v[120:121], -v[128:129], v[122:123], v[120:121]
	v_div_scale_f64 v[128:129], s[0:1], v[124:125], v[124:125], s[86:87]
	v_rcp_f64_e32 v[130:131], v[128:129]
	v_div_fmas_f64 v[120:121], v[120:121], v[132:133], v[122:123]
	v_div_fixup_f64 v[120:121], v[120:121], v[126:127], s[84:85]
	v_add_f64 v[118:119], v[120:121], v[118:119]
	v_fma_f64 v[120:121], -v[128:129], v[130:131], 1.0
	v_fmac_f64_e32 v[130:131], v[130:131], v[120:121]
	v_fma_f64 v[120:121], -v[128:129], v[130:131], 1.0
	v_fmac_f64_e32 v[130:131], v[130:131], v[120:121]
	v_div_scale_f64 v[120:121], vcc, s[86:87], v[124:125], s[86:87]
	v_mul_f64 v[122:123], v[120:121], v[130:131]
	v_add_f64 v[126:127], v[6:7], s[26:27]
	v_fma_f64 v[120:121], -v[128:129], v[122:123], v[120:121]
	v_div_scale_f64 v[128:129], s[0:1], v[126:127], v[126:127], s[88:89]
	v_rcp_f64_e32 v[132:133], v[128:129]
	v_div_fmas_f64 v[120:121], v[120:121], v[130:131], v[122:123]
	v_div_fixup_f64 v[120:121], v[120:121], v[124:125], s[86:87]
	v_add_f64 v[118:119], v[118:119], v[120:121]
	v_fma_f64 v[120:121], -v[128:129], v[132:133], 1.0
	v_fmac_f64_e32 v[132:133], v[132:133], v[120:121]
	v_fma_f64 v[120:121], -v[128:129], v[132:133], 1.0
	v_fmac_f64_e32 v[132:133], v[132:133], v[120:121]
	v_div_scale_f64 v[120:121], vcc, s[88:89], v[126:127], s[88:89]
	v_mul_f64 v[122:123], v[120:121], v[132:133]
	v_add_f64 v[124:125], v[6:7], 2.0
	v_fma_f64 v[120:121], -v[128:129], v[122:123], v[120:121]
	v_div_scale_f64 v[128:129], s[0:1], v[124:125], v[124:125], s[90:91]
	v_rcp_f64_e32 v[130:131], v[128:129]
	v_div_fmas_f64 v[120:121], v[120:121], v[132:133], v[122:123]
	v_div_fixup_f64 v[120:121], v[120:121], v[126:127], s[88:89]
	v_add_f64 v[118:119], v[120:121], v[118:119]
	v_fma_f64 v[120:121], -v[128:129], v[130:131], 1.0
	v_fmac_f64_e32 v[130:131], v[130:131], v[120:121]
	v_fma_f64 v[120:121], -v[128:129], v[130:131], 1.0
	v_fmac_f64_e32 v[130:131], v[130:131], v[120:121]
	v_div_scale_f64 v[120:121], vcc, s[90:91], v[124:125], s[90:91]
	v_mul_f64 v[122:123], v[120:121], v[130:131]
	v_add_f64 v[126:127], v[6:7], 1.0
	v_fma_f64 v[120:121], -v[128:129], v[122:123], v[120:121]
	v_div_scale_f64 v[128:129], s[0:1], v[126:127], v[126:127], s[92:93]
	v_rcp_f64_e32 v[132:133], v[128:129]
	v_div_fmas_f64 v[120:121], v[120:121], v[130:131], v[122:123]
	v_div_fixup_f64 v[120:121], v[120:121], v[124:125], s[90:91]
	v_add_f64 v[118:119], v[118:119], v[120:121]
	v_fma_f64 v[120:121], -v[128:129], v[132:133], 1.0
	v_fmac_f64_e32 v[132:133], v[132:133], v[120:121]
	v_fma_f64 v[120:121], -v[128:129], v[132:133], 1.0
	v_fmac_f64_e32 v[132:133], v[132:133], v[120:121]
	v_div_scale_f64 v[120:121], vcc, s[92:93], v[126:127], s[92:93]
	v_mul_f64 v[122:123], v[120:121], v[132:133]
	v_fma_f64 v[120:121], -v[128:129], v[122:123], v[120:121]
	v_add_f64 v[10:11], v[10:11], 0.5
	s_nop 0
	v_div_fmas_f64 v[120:121], v[120:121], v[132:133], v[122:123]
	v_div_fixup_f64 v[120:121], v[120:121], v[126:127], s[92:93]
	v_add_f64 v[118:119], v[120:121], v[118:119]
	v_add_f64 v[118:119], v[118:119], s[94:95]
	v_frexp_mant_f64_e32 v[120:121], v[118:119]
	v_cmp_gt_f64_e32 vcc, s[34:35], v[120:121]
	v_cndmask_b32_e64 v15, v91, 2.0, vcc
	v_frexp_exp_i32_f64_e32 v122, v[118:119]
	v_mul_f64 v[120:121], v[120:121], v[14:15]
	v_subbrev_co_u32_e32 v15, vcc, 0, v122, vcc
	v_add_f64 v[122:123], v[120:121], 1.0
	v_rcp_f64_e32 v[124:125], v[122:123]
	v_add_f64 v[128:129], v[122:123], -1.0
	v_add_f64 v[126:127], v[120:121], -1.0
	v_add_f64 v[120:121], v[120:121], -v[128:129]
	v_fma_f64 v[128:129], -v[122:123], v[124:125], 1.0
	v_fmac_f64_e32 v[124:125], v[128:129], v[124:125]
	v_fma_f64 v[128:129], -v[122:123], v[124:125], 1.0
	v_fmac_f64_e32 v[124:125], v[128:129], v[124:125]
	v_mul_f64 v[128:129], v[126:127], v[124:125]
	v_mul_f64 v[130:131], v[122:123], v[128:129]
	v_fma_f64 v[122:123], v[128:129], v[122:123], -v[130:131]
	v_fmac_f64_e32 v[122:123], v[128:129], v[120:121]
	v_add_f64 v[120:121], v[130:131], v[122:123]
	v_add_f64 v[132:133], v[126:127], -v[120:121]
	v_add_f64 v[130:131], v[120:121], -v[130:131]
	;; [unrolled: 1-line block ×5, first 2 shown]
	v_add_f64 v[120:121], v[122:123], v[120:121]
	v_add_f64 v[120:121], v[132:133], v[120:121]
	v_mul_f64 v[120:121], v[124:125], v[120:121]
	v_add_f64 v[122:123], v[128:129], v[120:121]
	v_add_f64 v[124:125], v[122:123], -v[128:129]
	v_add_f64 v[120:121], v[120:121], -v[124:125]
	v_mul_f64 v[124:125], v[122:123], v[122:123]
	v_fma_f64 v[126:127], s[38:39], v[124:125], v[0:1]
	v_fma_f64 v[126:127], v[124:125], v[126:127], s[40:41]
	;; [unrolled: 1-line block ×6, first 2 shown]
	v_ldexp_f64 v[128:129], v[122:123], 1
	v_mul_f64 v[122:123], v[122:123], v[124:125]
	v_mul_f64 v[122:123], v[122:123], v[126:127]
	v_add_f64 v[124:125], v[128:129], v[122:123]
	v_add_f64 v[126:127], v[124:125], -v[128:129]
	v_ldexp_f64 v[120:121], v[120:121], 1
	v_add_f64 v[122:123], v[122:123], -v[126:127]
	v_add_f64 v[120:121], v[120:121], v[122:123]
	v_add_f64 v[122:123], v[124:125], v[120:121]
	v_add_f64 v[124:125], v[122:123], -v[124:125]
	v_add_f64 v[120:121], v[120:121], -v[124:125]
	v_cvt_f64_i32_e32 v[124:125], v15
	v_mul_f64 v[126:127], v[124:125], s[50:51]
	v_fma_f64 v[128:129], v[124:125], s[50:51], -v[126:127]
	v_fmac_f64_e32 v[128:129], s[52:53], v[124:125]
	v_add_f64 v[124:125], v[126:127], v[128:129]
	v_add_f64 v[126:127], v[124:125], -v[126:127]
	v_add_f64 v[126:127], v[128:129], -v[126:127]
	v_add_f64 v[128:129], v[124:125], v[122:123]
	v_add_f64 v[130:131], v[128:129], -v[124:125]
	v_add_f64 v[132:133], v[128:129], -v[130:131]
	;; [unrolled: 1-line block ×4, first 2 shown]
	v_add_f64 v[122:123], v[122:123], v[124:125]
	v_add_f64 v[124:125], v[126:127], v[120:121]
	v_add_f64 v[130:131], v[124:125], -v[126:127]
	v_add_f64 v[132:133], v[124:125], -v[130:131]
	v_add_f64 v[122:123], v[124:125], v[122:123]
	v_add_f64 v[126:127], v[126:127], -v[132:133]
	v_add_f64 v[120:121], v[120:121], -v[130:131]
	v_add_f64 v[124:125], v[128:129], v[122:123]
	v_add_f64 v[120:121], v[120:121], v[126:127]
	v_add_f64 v[126:127], v[124:125], -v[128:129]
	v_add_f64 v[122:123], v[122:123], -v[126:127]
	v_add_f64 v[120:121], v[120:121], v[122:123]
	v_add_f64 v[120:121], v[124:125], v[120:121]
	v_cmp_class_f64_e64 vcc, v[118:119], s11
	v_div_scale_f64 v[122:123], s[0:1], s[28:29], s[28:29], v[10:11]
	v_cndmask_b32_e32 v121, v121, v119, vcc
	v_cndmask_b32_e32 v120, v120, v118, vcc
	v_rcp_f64_e32 v[124:125], v[122:123]
	v_add_f64 v[120:121], v[120:121], s[24:25]
	v_add_f64 v[120:121], v[120:121], s[22:23]
	v_cmp_ngt_f64_e32 vcc, 0, v[118:119]
	v_cndmask_b32_e32 v15, v92, v121, vcc
	v_cmp_nge_f64_e32 vcc, 0, v[118:119]
	v_cndmask_b32_e32 v120, 0, v120, vcc
	v_cmp_neq_f64_e32 vcc, 0, v[118:119]
	v_fma_f64 v[118:119], -v[122:123], v[124:125], 1.0
	v_fmac_f64_e32 v[124:125], v[124:125], v[118:119]
	v_fma_f64 v[118:119], -v[122:123], v[124:125], 1.0
	v_cndmask_b32_e32 v121, v93, v15, vcc
	v_fmac_f64_e32 v[124:125], v[124:125], v[118:119]
	v_div_scale_f64 v[118:119], vcc, v[10:11], s[28:29], v[10:11]
	v_mul_f64 v[126:127], v[118:119], v[124:125]
	v_fma_f64 v[118:119], -v[122:123], v[126:127], v[118:119]
	v_add_f64 v[6:7], v[6:7], 0.5
	s_nop 0
	v_div_fmas_f64 v[118:119], v[118:119], v[124:125], v[126:127]
	v_div_fixup_f64 v[10:11], v[118:119], s[28:29], v[10:11]
	v_frexp_mant_f64_e32 v[118:119], v[10:11]
	v_cmp_gt_f64_e32 vcc, s[34:35], v[118:119]
	v_cndmask_b32_e64 v15, v91, 2.0, vcc
	v_frexp_exp_i32_f64_e32 v122, v[10:11]
	v_mul_f64 v[118:119], v[118:119], v[14:15]
	v_subbrev_co_u32_e32 v15, vcc, 0, v122, vcc
	v_add_f64 v[122:123], v[118:119], 1.0
	v_rcp_f64_e32 v[124:125], v[122:123]
	v_add_f64 v[128:129], v[122:123], -1.0
	v_add_f64 v[126:127], v[118:119], -1.0
	v_add_f64 v[118:119], v[118:119], -v[128:129]
	v_fma_f64 v[128:129], -v[122:123], v[124:125], 1.0
	v_fmac_f64_e32 v[124:125], v[128:129], v[124:125]
	v_fma_f64 v[128:129], -v[122:123], v[124:125], 1.0
	v_fmac_f64_e32 v[124:125], v[128:129], v[124:125]
	v_mul_f64 v[128:129], v[126:127], v[124:125]
	v_mul_f64 v[130:131], v[122:123], v[128:129]
	v_fma_f64 v[122:123], v[128:129], v[122:123], -v[130:131]
	v_fmac_f64_e32 v[122:123], v[128:129], v[118:119]
	v_add_f64 v[118:119], v[130:131], v[122:123]
	v_add_f64 v[132:133], v[126:127], -v[118:119]
	v_add_f64 v[130:131], v[118:119], -v[130:131]
	;; [unrolled: 1-line block ×5, first 2 shown]
	v_add_f64 v[118:119], v[122:123], v[118:119]
	v_add_f64 v[118:119], v[132:133], v[118:119]
	v_mul_f64 v[118:119], v[124:125], v[118:119]
	v_add_f64 v[122:123], v[128:129], v[118:119]
	v_add_f64 v[124:125], v[122:123], -v[128:129]
	v_add_f64 v[118:119], v[118:119], -v[124:125]
	v_mul_f64 v[124:125], v[122:123], v[122:123]
	v_fmac_f64_e32 v[0:1], s[38:39], v[124:125]
	v_fma_f64 v[0:1], v[124:125], v[0:1], s[40:41]
	v_fma_f64 v[0:1], v[124:125], v[0:1], s[42:43]
	v_fma_f64 v[0:1], v[124:125], v[0:1], s[44:45]
	v_fma_f64 v[0:1], v[124:125], v[0:1], s[46:47]
	v_fma_f64 v[0:1], v[124:125], v[0:1], s[48:49]
	v_ldexp_f64 v[126:127], v[122:123], 1
	v_mul_f64 v[122:123], v[122:123], v[124:125]
	v_mul_f64 v[0:1], v[122:123], v[0:1]
	v_add_f64 v[122:123], v[126:127], v[0:1]
	v_add_f64 v[124:125], v[122:123], -v[126:127]
	v_ldexp_f64 v[118:119], v[118:119], 1
	v_add_f64 v[0:1], v[0:1], -v[124:125]
	v_add_f64 v[0:1], v[118:119], v[0:1]
	v_add_f64 v[118:119], v[122:123], v[0:1]
	v_add_f64 v[122:123], v[118:119], -v[122:123]
	v_add_f64 v[0:1], v[0:1], -v[122:123]
	v_cvt_f64_i32_e32 v[122:123], v15
	v_mul_f64 v[124:125], v[122:123], s[50:51]
	v_fma_f64 v[126:127], v[122:123], s[50:51], -v[124:125]
	v_fmac_f64_e32 v[126:127], s[52:53], v[122:123]
	v_add_f64 v[122:123], v[124:125], v[126:127]
	v_add_f64 v[124:125], v[122:123], -v[124:125]
	v_add_f64 v[124:125], v[126:127], -v[124:125]
	v_add_f64 v[126:127], v[122:123], v[118:119]
	v_add_f64 v[128:129], v[126:127], -v[122:123]
	v_add_f64 v[130:131], v[126:127], -v[128:129]
	;; [unrolled: 1-line block ×4, first 2 shown]
	v_add_f64 v[118:119], v[118:119], v[122:123]
	v_add_f64 v[122:123], v[124:125], v[0:1]
	v_add_f64 v[128:129], v[122:123], -v[124:125]
	v_add_f64 v[130:131], v[122:123], -v[128:129]
	v_add_f64 v[118:119], v[122:123], v[118:119]
	v_add_f64 v[124:125], v[124:125], -v[130:131]
	v_add_f64 v[0:1], v[0:1], -v[128:129]
	v_add_f64 v[122:123], v[126:127], v[118:119]
	v_add_f64 v[0:1], v[0:1], v[124:125]
	v_add_f64 v[124:125], v[122:123], -v[126:127]
	v_add_f64 v[118:119], v[118:119], -v[124:125]
	v_add_f64 v[0:1], v[0:1], v[118:119]
	v_add_f64 v[0:1], v[122:123], v[0:1]
	v_cmp_class_f64_e64 vcc, v[10:11], s11
	v_cndmask_b32_e32 v0, v0, v10, vcc
	v_cndmask_b32_e32 v1, v1, v11, vcc
	v_cmp_ngt_f64_e32 vcc, 0, v[10:11]
	v_cndmask_b32_e32 v1, v92, v1, vcc
	v_cmp_nge_f64_e32 vcc, 0, v[10:11]
	v_cndmask_b32_e32 v0, 0, v0, vcc
	v_cmp_neq_f64_e32 vcc, 0, v[10:11]
	v_cndmask_b32_e32 v1, v93, v1, vcc
	v_fmac_f64_e32 v[120:121], v[6:7], v[0:1]
	v_add_f64 v[0:1], v[4:5], -v[120:121]
	v_cvt_u32_f64_e32 v4, v[8:9]
	v_cmp_le_f64_e32 vcc, v[2:3], v[0:1]
	v_cndmask_b32_e64 v119, 0, 1, vcc
	v_cndmask_b32_e32 v75, v75, v4, vcc
	v_mov_b32_e32 v118, v117
.LBB73_28:                              ;   in Loop: Header=BB73_18 Depth=2
	s_or_b64 exec, exec, s[18:19]
	v_cmp_gt_i32_e32 vcc, 2, v119
	s_or_b64 s[4:5], vcc, s[4:5]
	v_mov_b32_e32 v15, v118
	v_mov_b32_e32 v0, v87
	;; [unrolled: 1-line block ×5, first 2 shown]
	s_andn2_b64 exec, exec, s[4:5]
	s_cbranch_execnz .LBB73_18
; %bb.29:                               ;   in Loop: Header=BB73_18 Depth=2
	s_or_b64 exec, exec, s[4:5]
	v_cmp_ne_u32_e32 vcc, 0, v119
	s_or_b64 s[14:15], vcc, s[14:15]
	s_mov_b64 s[4:5], 0
	v_mov_b32_e32 v15, v118
	v_mov_b32_e32 v0, v87
	;; [unrolled: 1-line block ×5, first 2 shown]
	s_andn2_b64 exec, exec, s[14:15]
	s_cbranch_execnz .LBB73_18
; %bb.30:                               ;   in Loop: Header=BB73_5 Depth=1
	s_or_b64 exec, exec, s[14:15]
	v_readlane_b32 s18, v134, 17
	v_readlane_b32 s19, v134, 18
                                        ; implicit-def: $vgpr72_vgpr73
                                        ; implicit-def: $vgpr15
                                        ; implicit-def: $vgpr97
                                        ; implicit-def: $vgpr98
                                        ; implicit-def: $vgpr106
                                        ; implicit-def: $vgpr96
                                        ; implicit-def: $vgpr3
                                        ; implicit-def: $vgpr4_vgpr5
                                        ; implicit-def: $vgpr99
                                        ; implicit-def: $vgpr100
                                        ; implicit-def: $vgpr101
                                        ; implicit-def: $vgpr102
                                        ; implicit-def: $vgpr104
                                        ; implicit-def: $vgpr105
                                        ; implicit-def: $vgpr107
                                        ; implicit-def: $vgpr108
                                        ; implicit-def: $vgpr109
                                        ; implicit-def: $vgpr110
                                        ; implicit-def: $vgpr111
                                        ; implicit-def: $vgpr112
                                        ; implicit-def: $vgpr113
                                        ; implicit-def: $vgpr114
                                        ; implicit-def: $vgpr103
                                        ; implicit-def: $vgpr115
.LBB73_31:                              ;   in Loop: Header=BB73_5 Depth=1
	s_andn2_saveexec_b64 s[4:5], s[12:13]
	s_cbranch_execz .LBB73_43
; %bb.32:                               ;   in Loop: Header=BB73_5 Depth=1
	v_add_co_u32_e32 v6, vcc, 1, v97
	v_cndmask_b32_e64 v7, 0, 1, vcc
	v_addc_co_u32_e32 v10, vcc, 0, v98, vcc
	v_cmp_eq_u32_e32 vcc, 0, v10
	v_cndmask_b32_e32 v7, 0, v7, vcc
	v_add_u32_e32 v8, v7, v17
	v_cmp_eq_u32_e32 vcc, 0, v8
	v_cndmask_b32_e32 v11, 0, v7, vcc
	v_mad_u64_u32 v[6:7], s[0:1], v6, s10, 0
	v_mad_u64_u32 v[8:9], s[0:1], v8, s9, 0
	v_xor_b32_e32 v7, v7, v73
	v_xor_b32_e32 v9, v9, v72
	v_xor_b32_e32 v7, v11, v7
	v_xor_b32_e32 v9, v10, v9
	v_mad_u64_u32 v[72:73], s[0:1], v7, s9, 0
	v_mad_u64_u32 v[10:11], s[0:1], v9, s10, 0
	v_xor_b32_e32 v7, v99, v73
	v_xor_b32_e32 v7, v7, v8
	v_xor_b32_e32 v8, v100, v11
	v_xor_b32_e32 v8, v8, v6
	;; [unrolled: 6-line block ×8, first 2 shown]
	v_mad_u64_u32 v[74:75], s[0:1], v7, s10, 0
	v_mad_u64_u32 v[8:9], s[0:1], v6, s9, 0
	v_xor_b32_e32 v6, v115, v75
	v_xor_b32_e32 v6, v6, v10
	v_mad_u64_u32 v[6:7], s[0:1], v6, s9, 0
	v_xor_b32_e32 v7, v7, v8
	v_xor_b32_e32 v10, v106, v7
	v_cmp_lt_i32_e32 vcc, 1, v15
                                        ; implicit-def: $vgpr8
	s_and_saveexec_b64 s[0:1], vcc
	s_xor_b64 s[0:1], exec, s[0:1]
	s_cbranch_execz .LBB73_38
; %bb.33:                               ;   in Loop: Header=BB73_5 Depth=1
	v_cmp_lt_i32_e32 vcc, 2, v15
                                        ; implicit-def: $vgpr8
	s_and_saveexec_b64 s[12:13], vcc
	s_xor_b64 s[12:13], exec, s[12:13]
; %bb.34:                               ;   in Loop: Header=BB73_5 Depth=1
	v_xor_b32_e32 v0, v103, v9
	v_xor_b32_e32 v0, v0, v72
	v_mul_hi_u32 v0, v0, s10
	v_xor_b32_e32 v0, v0, v74
	v_xor_b32_e32 v8, v96, v0
; %bb.35:                               ;   in Loop: Header=BB73_5 Depth=1
	s_andn2_saveexec_b64 s[12:13], s[12:13]
; %bb.36:                               ;   in Loop: Header=BB73_5 Depth=1
	v_mov_b32_e32 v8, v6
	v_mov_b32_e32 v6, v10
	;; [unrolled: 1-line block ×4, first 2 shown]
; %bb.37:                               ;   in Loop: Header=BB73_5 Depth=1
	s_or_b64 exec, exec, s[12:13]
                                        ; implicit-def: $vgpr15
.LBB73_38:                              ;   in Loop: Header=BB73_5 Depth=1
	s_andn2_saveexec_b64 s[0:1], s[0:1]
	s_cbranch_execz .LBB73_42
; %bb.39:                               ;   in Loop: Header=BB73_5 Depth=1
	v_cmp_eq_u32_e32 vcc, 1, v15
	v_mov_b32_e32 v8, v3
	v_mov_b32_e32 v6, v2
	;; [unrolled: 1-line block ×3, first 2 shown]
	s_and_saveexec_b64 s[12:13], vcc
; %bb.40:                               ;   in Loop: Header=BB73_5 Depth=1
	v_mov_b32_e32 v8, v10
	v_mov_b32_e32 v6, v3
	;; [unrolled: 1-line block ×4, first 2 shown]
; %bb.41:                               ;   in Loop: Header=BB73_5 Depth=1
	s_or_b64 exec, exec, s[12:13]
	v_mov_b32_e32 v3, v0
	v_mov_b32_e32 v10, v7
.LBB73_42:                              ;   in Loop: Header=BB73_5 Depth=1
	s_or_b64 exec, exec, s[0:1]
	v_mov_b32_e32 v11, v14
	v_lshlrev_b64 v[0:1], 21, v[10:11]
	v_xor_b32_e32 v2, v0, v3
	v_cvt_f64_u32_e32 v[0:1], v1
	v_ldexp_f64 v[0:1], v[0:1], 32
	v_cvt_f64_u32_e32 v[2:3], v2
	v_add_f64 v[0:1], v[0:1], v[2:3]
	v_mov_b32_e32 v2, 0
	v_mov_b32_e32 v3, 0x3ca00000
	v_fmac_f64_e32 v[2:3], 0x3ca00000, v[0:1]
	v_mov_b32_e32 v9, v14
	v_lshlrev_b64 v[0:1], 21, v[8:9]
	v_frexp_mant_f64_e32 v[8:9], v[2:3]
	v_cmp_gt_f64_e32 vcc, s[34:35], v[8:9]
	v_cndmask_b32_e64 v15, v91, 2.0, vcc
	v_frexp_exp_i32_f64_e32 v10, v[2:3]
	v_mul_f64 v[8:9], v[8:9], v[14:15]
	v_subbrev_co_u32_e32 v15, vcc, 0, v10, vcc
	v_add_f64 v[10:11], v[8:9], 1.0
	v_rcp_f64_e32 v[72:73], v[10:11]
	v_add_f64 v[76:77], v[10:11], -1.0
	v_add_f64 v[74:75], v[8:9], -1.0
	v_add_f64 v[8:9], v[8:9], -v[76:77]
	v_fma_f64 v[76:77], -v[10:11], v[72:73], 1.0
	v_fmac_f64_e32 v[72:73], v[76:77], v[72:73]
	v_fma_f64 v[76:77], -v[10:11], v[72:73], 1.0
	v_fmac_f64_e32 v[72:73], v[76:77], v[72:73]
	v_mul_f64 v[76:77], v[74:75], v[72:73]
	v_mul_f64 v[78:79], v[10:11], v[76:77]
	v_fma_f64 v[10:11], v[76:77], v[10:11], -v[78:79]
	v_fmac_f64_e32 v[10:11], v[76:77], v[8:9]
	v_add_f64 v[8:9], v[78:79], v[10:11]
	v_add_f64 v[80:81], v[74:75], -v[8:9]
	v_add_f64 v[78:79], v[8:9], -v[78:79]
	;; [unrolled: 1-line block ×5, first 2 shown]
	v_add_f64 v[8:9], v[10:11], v[8:9]
	v_add_f64 v[8:9], v[80:81], v[8:9]
	v_mul_f64 v[8:9], v[72:73], v[8:9]
	v_add_f64 v[10:11], v[76:77], v[8:9]
	v_add_f64 v[72:73], v[10:11], -v[76:77]
	v_add_f64 v[8:9], v[8:9], -v[72:73]
	v_mul_f64 v[72:73], v[10:11], v[10:11]
	v_pk_mov_b32 v[74:75], v[18:19], v[18:19] op_sel:[0,1]
	v_fmac_f64_e32 v[74:75], s[38:39], v[72:73]
	v_pk_mov_b32 v[76:77], v[20:21], v[20:21] op_sel:[0,1]
	v_fmac_f64_e32 v[76:77], v[72:73], v[74:75]
	;; [unrolled: 2-line block ×6, first 2 shown]
	v_ldexp_f64 v[74:75], v[10:11], 1
	v_mul_f64 v[10:11], v[10:11], v[72:73]
	v_mul_f64 v[10:11], v[10:11], v[76:77]
	v_add_f64 v[72:73], v[74:75], v[10:11]
	v_add_f64 v[74:75], v[72:73], -v[74:75]
	v_ldexp_f64 v[8:9], v[8:9], 1
	v_add_f64 v[10:11], v[10:11], -v[74:75]
	v_add_f64 v[8:9], v[8:9], v[10:11]
	v_add_f64 v[10:11], v[72:73], v[8:9]
	v_add_f64 v[72:73], v[10:11], -v[72:73]
	v_add_f64 v[8:9], v[8:9], -v[72:73]
	v_cvt_f64_i32_e32 v[72:73], v15
	v_mul_f64 v[74:75], v[72:73], s[50:51]
	v_fma_f64 v[76:77], v[72:73], s[50:51], -v[74:75]
	v_fmac_f64_e32 v[76:77], s[52:53], v[72:73]
	v_add_f64 v[72:73], v[74:75], v[76:77]
	v_add_f64 v[74:75], v[72:73], -v[74:75]
	v_add_f64 v[74:75], v[76:77], -v[74:75]
	v_add_f64 v[76:77], v[72:73], v[10:11]
	v_add_f64 v[78:79], v[76:77], -v[72:73]
	v_add_f64 v[80:81], v[76:77], -v[78:79]
	v_add_f64 v[72:73], v[72:73], -v[80:81]
	v_add_f64 v[10:11], v[10:11], -v[78:79]
	v_add_f64 v[10:11], v[10:11], v[72:73]
	v_add_f64 v[72:73], v[74:75], v[8:9]
	v_add_f64 v[78:79], v[72:73], -v[74:75]
	v_add_f64 v[80:81], v[72:73], -v[78:79]
	v_add_f64 v[10:11], v[72:73], v[10:11]
	v_add_f64 v[74:75], v[74:75], -v[80:81]
	v_add_f64 v[8:9], v[8:9], -v[78:79]
	v_add_f64 v[72:73], v[76:77], v[10:11]
	v_add_f64 v[8:9], v[8:9], v[74:75]
	v_add_f64 v[74:75], v[72:73], -v[76:77]
	v_add_f64 v[10:11], v[10:11], -v[74:75]
	s_mov_b32 s14, 0
	v_add_f64 v[8:9], v[8:9], v[10:11]
	s_mov_b32 s15, 0x7ff00000
	v_add_f64 v[8:9], v[72:73], v[8:9]
	v_cmp_eq_f64_e32 vcc, s[14:15], v[2:3]
	v_cndmask_b32_e32 v9, v9, v3, vcc
	v_cndmask_b32_e32 v8, v8, v2, vcc
	v_mul_f64 v[8:9], v[8:9], -2.0
	v_cmp_neq_f64_e32 vcc, 0, v[2:3]
	s_mov_b32 s0, 0
	v_cndmask_b32_e32 v3, v94, v9, vcc
	v_cndmask_b32_e32 v2, 0, v8, vcc
	s_brev_b32 s1, 8
	v_cmp_gt_f64_e32 vcc, s[0:1], v[2:3]
	v_cndmask_b32_e64 v8, 0, 1, vcc
	v_lshlrev_b32_e32 v8, 8, v8
	v_ldexp_f64 v[2:3], v[2:3], v8
	v_xor_b32_e32 v6, v0, v6
	v_cvt_f64_u32_e32 v[0:1], v1
	v_rsq_f64_e32 v[8:9], v[2:3]
	v_ldexp_f64 v[0:1], v[0:1], 32
	v_cvt_f64_u32_e32 v[6:7], v6
	v_add_f64 v[0:1], v[0:1], v[6:7]
	v_mov_b32_e32 v6, 0
	v_mov_b32_e32 v7, 0x3cb00000
	v_fmac_f64_e32 v[6:7], 0x3cb00000, v[0:1]
	v_mul_f64 v[0:1], v[2:3], v[8:9]
	v_mul_f64 v[8:9], v[8:9], 0.5
	v_fma_f64 v[10:11], -v[8:9], v[0:1], 0.5
	v_fmac_f64_e32 v[0:1], v[0:1], v[10:11]
	v_fma_f64 v[72:73], -v[0:1], v[0:1], v[2:3]
	v_fmac_f64_e32 v[8:9], v[8:9], v[10:11]
	v_fmac_f64_e32 v[0:1], v[72:73], v[8:9]
	v_fma_f64 v[10:11], -v[0:1], v[0:1], v[2:3]
	v_fmac_f64_e32 v[0:1], v[10:11], v[8:9]
	v_cndmask_b32_e32 v8, 0, v90, vcc
	v_ldexp_f64 v[0:1], v[0:1], v8
	v_cmp_class_f64_e32 vcc, v[2:3], v89
	v_cndmask_b32_e32 v1, v1, v3, vcc
	v_cndmask_b32_e32 v0, v0, v2, vcc
	v_mul_f64 v[2:3], v[6:7], 0.5
	v_fract_f64_e32 v[8:9], v[2:3]
	v_add_f64 v[8:9], v[8:9], v[8:9]
	v_cmp_neq_f64_e32 vcc, s[14:15], v[2:3]
	v_cndmask_b32_e32 v2, 0, v8, vcc
	v_cndmask_b32_e32 v3, 0, v9, vcc
	v_cmp_lt_f64_e32 vcc, 1.0, v[6:7]
	v_cndmask_b32_e32 v3, v7, v3, vcc
	v_cndmask_b32_e32 v2, v6, v2, vcc
	v_add_f64 v[8:9], v[2:3], v[2:3]
	v_rndne_f64_e32 v[8:9], v[8:9]
	v_fmac_f64_e32 v[2:3], -0.5, v[8:9]
	s_mov_b32 s12, 0xf99eb0bb
	v_cvt_i32_f64_e32 v15, v[8:9]
	v_mul_f64 v[8:9], v[2:3], v[2:3]
	v_pk_mov_b32 v[10:11], v[48:49], v[48:49] op_sel:[0,1]
	s_mov_b32 s13, 0x3f3e357e
	v_fmac_f64_e32 v[10:11], s[12:13], v[8:9]
	v_pk_mov_b32 v[72:73], v[50:51], v[50:51] op_sel:[0,1]
	v_fmac_f64_e32 v[72:73], v[8:9], v[10:11]
	v_pk_mov_b32 v[10:11], v[52:53], v[52:53] op_sel:[0,1]
	;; [unrolled: 2-line block ×4, first 2 shown]
	v_fmac_f64_e32 v[10:11], v[8:9], v[72:73]
	v_mul_f64 v[72:73], v[2:3], v[8:9]
	s_mov_b32 s12, 0x54442d18
	v_mul_f64 v[10:11], v[72:73], v[10:11]
	s_mov_b32 s13, 0x400921fb
	v_fmac_f64_e32 v[10:11], s[12:13], v[2:3]
	s_mov_b32 s12, 0x2e21c33
	v_pk_mov_b32 v[2:3], v[58:59], v[58:59] op_sel:[0,1]
	s_mov_b32 s13, 0xbf1b1673
	v_fmac_f64_e32 v[2:3], s[12:13], v[8:9]
	v_pk_mov_b32 v[72:73], v[60:61], v[60:61] op_sel:[0,1]
	v_fmac_f64_e32 v[72:73], v[8:9], v[2:3]
	v_pk_mov_b32 v[2:3], v[62:63], v[62:63] op_sel:[0,1]
	;; [unrolled: 2-line block ×5, first 2 shown]
	v_fmac_f64_e32 v[72:73], v[8:9], v[2:3]
	v_fma_f64 v[2:3], v[8:9], v[72:73], 1.0
	v_and_b32_e32 v9, 1, v15
	v_lshlrev_b32_e32 v8, 30, v15
	v_cmp_eq_u32_e32 vcc, 0, v9
	v_cndmask_b32_e32 v10, v2, v10, vcc
	v_cndmask_b32_e32 v2, v3, v11, vcc
	v_xor_b32_e32 v3, v8, v7
	v_and_b32_e32 v3, 0x80000000, v3
	v_cmp_gt_f64_e32 vcc, s[0:1], v[4:5]
	v_xor_b32_e32 v11, v2, v3
	v_cndmask_b32_e64 v2, 0, 1, vcc
	v_lshlrev_b32_e32 v2, 8, v2
	v_ldexp_f64 v[2:3], v[4:5], v2
	v_rsq_f64_e32 v[8:9], v[2:3]
	v_cmp_lg_f64_e64 s[0:1], s[14:15], v[6:7]
	v_cndmask_b32_e64 v6, 0, v10, s[0:1]
	v_cndmask_b32_e64 v7, v92, v11, s[0:1]
	v_mul_f64 v[0:1], v[0:1], v[6:7]
	v_mul_f64 v[6:7], v[2:3], v[8:9]
	v_mul_f64 v[8:9], v[8:9], 0.5
	v_fma_f64 v[10:11], -v[8:9], v[6:7], 0.5
	v_fmac_f64_e32 v[6:7], v[6:7], v[10:11]
	v_fma_f64 v[72:73], -v[6:7], v[6:7], v[2:3]
	v_fmac_f64_e32 v[8:9], v[8:9], v[10:11]
	v_fmac_f64_e32 v[6:7], v[72:73], v[8:9]
	v_fma_f64 v[10:11], -v[6:7], v[6:7], v[2:3]
	v_fmac_f64_e32 v[6:7], v[10:11], v[8:9]
	v_cndmask_b32_e32 v8, 0, v90, vcc
	v_ldexp_f64 v[6:7], v[6:7], v8
	v_cmp_class_f64_e32 vcc, v[2:3], v89
	v_cndmask_b32_e32 v3, v7, v3, vcc
	v_cndmask_b32_e32 v2, v6, v2, vcc
	v_fmac_f64_e32 v[4:5], v[2:3], v[0:1]
	v_trunc_f64_e32 v[0:1], v[4:5]
	v_add_f64 v[2:3], v[4:5], -v[0:1]
	v_cmp_ge_f64_e64 vcc, |v[2:3]|, 0.5
	v_cndmask_b32_e32 v2, 0, v91, vcc
	s_brev_b32 s0, -2
	v_bfi_b32 v15, s0, v2, v5
	v_add_f64 v[0:1], v[0:1], v[14:15]
	v_cvt_u32_f64_e32 v75, v[0:1]
.LBB73_43:                              ;   in Loop: Header=BB73_5 Depth=1
	s_or_b64 exec, exec, s[4:5]
                                        ; implicit-def: $vgpr6
                                        ; implicit-def: $vgpr72_vgpr73
                                        ; implicit-def: $vgpr15
                                        ; implicit-def: $vgpr97
                                        ; implicit-def: $vgpr98
                                        ; implicit-def: $vgpr106
                                        ; implicit-def: $vgpr96
                                        ; implicit-def: $vgpr3
                                        ; implicit-def: $vgpr4_vgpr5
                                        ; implicit-def: $vgpr99
                                        ; implicit-def: $vgpr100
                                        ; implicit-def: $vgpr101
                                        ; implicit-def: $vgpr102
                                        ; implicit-def: $vgpr104
                                        ; implicit-def: $vgpr105
                                        ; implicit-def: $vgpr107
                                        ; implicit-def: $vgpr108
                                        ; implicit-def: $vgpr109
                                        ; implicit-def: $vgpr110
                                        ; implicit-def: $vgpr111
                                        ; implicit-def: $vgpr112
                                        ; implicit-def: $vgpr113
                                        ; implicit-def: $vgpr114
                                        ; implicit-def: $vgpr103
                                        ; implicit-def: $vgpr115
.LBB73_44:                              ;   in Loop: Header=BB73_5 Depth=1
	s_andn2_saveexec_b64 s[4:5], s[6:7]
	s_cbranch_execz .LBB73_3
; %bb.45:                               ;   in Loop: Header=BB73_5 Depth=1
	s_mov_b32 s13, s30
	s_mov_b32 s30, s56
	v_mul_f64 v[8:9], v[4:5], s[30:31]
	v_rndne_f64_e32 v[10:11], v[8:9]
	s_mov_b32 s58, s50
	v_fma_f64 v[4:5], v[10:11], s[58:59], -v[4:5]
	s_mov_b32 s60, s52
	v_fmac_f64_e32 v[4:5], s[60:61], v[10:11]
	v_pk_mov_b32 v[8:9], v[30:31], v[30:31] op_sel:[0,1]
	v_fmac_f64_e32 v[8:9], s[62:63], v[4:5]
	v_pk_mov_b32 v[74:75], v[32:33], v[32:33] op_sel:[0,1]
	;; [unrolled: 2-line block ×9, first 2 shown]
	v_fmac_f64_e32 v[76:77], v[4:5], v[74:75]
	v_fma_f64 v[74:75], v[4:5], v[76:77], 1.0
	s_mov_b32 s0, 0xc4800000
	v_fma_f64 v[4:5], v[4:5], v[74:75], 1.0
	v_cvt_i32_f64_e32 v7, v[10:11]
	v_cmp_ngt_f32_e32 vcc, s0, v6
	s_mov_b32 s0, 0x44866000
	v_ldexp_f64 v[4:5], v[4:5], v7
	v_cmp_nlt_f32_e64 s[0:1], s0, v6
	v_mov_b32_e32 v8, 0
	v_cndmask_b32_e32 v5, v94, v5, vcc
	s_and_b64 vcc, s[0:1], vcc
	v_mov_b32_e32 v9, 0x3ff00000
	v_mov_b32_e32 v78, 0
	v_cndmask_b32_e64 v11, 0, v5, s[0:1]
	v_cndmask_b32_e32 v10, 0, v4, vcc
	s_mov_b32 s12, -1
	s_mov_b64 s[0:1], 0
	v_mov_b32_e32 v79, v17
	s_branch .LBB73_47
.LBB73_46:                              ;   in Loop: Header=BB73_47 Depth=2
	s_or_b64 exec, exec, s[6:7]
	v_cmp_eq_u32_e32 vcc, 1, v15
	v_cndmask_b32_e32 v0, v0, v1, vcc
	v_cmp_eq_u32_e32 vcc, 2, v15
	v_cndmask_b32_e32 v0, v0, v2, vcc
	;; [unrolled: 2-line block ×6, first 2 shown]
	v_lshrrev_b32_e32 v0, 11, v0
	v_cvt_f64_u32_e32 v[0:1], v0
	v_ldexp_f64 v[0:1], v[0:1], 32
	v_cvt_f64_u32_e32 v[2:3], v2
	v_add_f64 v[0:1], v[0:1], v[2:3]
	v_mov_b32_e32 v2, 0
	v_mov_b32_e32 v3, 0x3ca00000
	v_fmac_f64_e32 v[2:3], 0x3ca00000, v[0:1]
	v_mul_f64 v[8:9], v[8:9], v[2:3]
	v_cmp_ngt_f64_e32 vcc, v[8:9], v[10:11]
	s_add_i32 s12, s12, 1
	s_or_b64 s[0:1], vcc, s[0:1]
	v_mov_b32_e32 v75, s12
	v_mov_b32_e32 v15, v81
	;; [unrolled: 1-line block ×6, first 2 shown]
	s_andn2_b64 exec, exec, s[0:1]
	s_cbranch_execz .LBB73_2
.LBB73_47:                              ;   Parent Loop BB73_5 Depth=1
                                        ; =>  This Inner Loop Header: Depth=2
	v_add_u32_e32 v80, 1, v15
	v_pk_mov_b32 v[6:7], v[2:3], v[2:3] op_sel:[0,1]
	v_cmp_eq_u32_e32 vcc, 4, v80
	v_pk_mov_b32 v[4:5], v[0:1], v[0:1] op_sel:[0,1]
	v_mov_b32_e32 v77, v0
	v_mov_b32_e32 v76, v1
	;; [unrolled: 1-line block ×4, first 2 shown]
	s_and_saveexec_b64 s[6:7], vcc
	s_cbranch_execz .LBB73_49
; %bb.48:                               ;   in Loop: Header=BB73_47 Depth=2
	v_add_co_u32_e32 v97, vcc, 1, v97
	v_cndmask_b32_e64 v4, 0, 1, vcc
	v_addc_co_u32_e32 v98, vcc, 0, v98, vcc
	v_cmp_eq_u32_e32 vcc, 0, v98
	v_cndmask_b32_e32 v4, 0, v4, vcc
	v_add_u32_e32 v79, v4, v79
	v_cmp_eq_u32_e32 vcc, 0, v79
	v_cndmask_b32_e32 v4, 0, v4, vcc
	v_add_u32_e32 v78, v4, v78
	v_mad_u64_u32 v[4:5], s[14:15], v97, s10, 0
	v_mad_u64_u32 v[6:7], s[14:15], v79, s9, 0
	v_xor_b32_e32 v5, v5, v73
	v_xor_b32_e32 v7, v7, v72
	v_xor_b32_e32 v5, v78, v5
	v_xor_b32_e32 v7, v98, v7
	v_mad_u64_u32 v[76:77], s[14:15], v5, s9, 0
	v_mad_u64_u32 v[74:75], s[14:15], v7, s10, 0
	v_xor_b32_e32 v5, v99, v77
	v_xor_b32_e32 v5, v5, v6
	v_xor_b32_e32 v6, v100, v75
	v_xor_b32_e32 v6, v6, v4
	;; [unrolled: 6-line block ×10, first 2 shown]
	v_mov_b32_e32 v80, 0
	v_mov_b32_e32 v5, v76
	;; [unrolled: 1-line block ×5, first 2 shown]
.LBB73_49:                              ;   in Loop: Header=BB73_47 Depth=2
	s_or_b64 exec, exec, s[6:7]
	v_add_u32_e32 v81, 1, v80
	v_cmp_eq_u32_e32 vcc, 4, v81
	s_and_saveexec_b64 s[6:7], vcc
	s_cbranch_execz .LBB73_46
; %bb.50:                               ;   in Loop: Header=BB73_47 Depth=2
	v_add_co_u32_e32 v97, vcc, 1, v97
	v_cndmask_b32_e64 v74, 0, 1, vcc
	v_addc_co_u32_e32 v98, vcc, 0, v98, vcc
	v_cmp_eq_u32_e32 vcc, 0, v98
	v_cndmask_b32_e32 v74, 0, v74, vcc
	v_add_u32_e32 v79, v74, v79
	v_cmp_eq_u32_e32 vcc, 0, v79
	v_cndmask_b32_e32 v74, 0, v74, vcc
	v_add_u32_e32 v78, v74, v78
	v_mad_u64_u32 v[74:75], s[14:15], v97, s10, 0
	v_mad_u64_u32 v[76:77], s[14:15], v79, s9, 0
	v_xor_b32_e32 v75, v75, v73
	v_xor_b32_e32 v77, v77, v72
	v_xor_b32_e32 v75, v78, v75
	v_xor_b32_e32 v77, v98, v77
	v_mad_u64_u32 v[84:85], s[14:15], v75, s9, 0
	v_mad_u64_u32 v[82:83], s[14:15], v77, s10, 0
	v_xor_b32_e32 v75, v99, v85
	v_xor_b32_e32 v75, v75, v76
	v_xor_b32_e32 v76, v100, v83
	v_xor_b32_e32 v76, v76, v74
	;; [unrolled: 6-line block ×9, first 2 shown]
	v_mad_u64_u32 v[74:75], s[14:15], v74, s10, 0
	v_mad_u64_u32 v[76:77], s[14:15], v76, s9, 0
	v_xor_b32_e32 v77, v77, v116
	v_xor_b32_e32 v75, v75, v86
	v_mov_b32_e32 v81, 0
	v_xor_b32_e32 v77, v106, v77
	v_xor_b32_e32 v82, v96, v75
	s_branch .LBB73_46
.LBB73_51:
	s_or_b64 exec, exec, s[16:17]
	s_and_saveexec_b64 s[0:1], s[2:3]
	s_xor_b64 s[0:1], exec, s[0:1]
	s_cbranch_execnz .LBB73_53
.LBB73_52:
	s_endpgm
.LBB73_53:
	s_trap 2
	; divergent unreachable
	s_endpgm
	.section	.rodata,"a",@progbits
	.p2align	6, 0x0
	.amdhsa_kernel _ZN2at4cuda12_GLOBAL__N_121kernelPointwiseApply2IZN12_GLOBAL__N_119poisson_cuda_kernelIfEEvRKNS_10TensorBaseES7_NS_15PhiloxCudaStateEEUlRfRKfE_ffjLi2ELin1ELi1ELi512ELi2EEEvNS0_6detail10TensorInfoIT0_T2_EENSE_IT1_SG_EESG_T_
		.amdhsa_group_segment_fixed_size 0
		.amdhsa_private_segment_fixed_size 0
		.amdhsa_kernarg_size 728
		.amdhsa_user_sgpr_count 6
		.amdhsa_user_sgpr_private_segment_buffer 1
		.amdhsa_user_sgpr_dispatch_ptr 0
		.amdhsa_user_sgpr_queue_ptr 0
		.amdhsa_user_sgpr_kernarg_segment_ptr 1
		.amdhsa_user_sgpr_dispatch_id 0
		.amdhsa_user_sgpr_flat_scratch_init 0
		.amdhsa_user_sgpr_kernarg_preload_length 0
		.amdhsa_user_sgpr_kernarg_preload_offset 0
		.amdhsa_user_sgpr_private_segment_size 0
		.amdhsa_uses_dynamic_stack 0
		.amdhsa_system_sgpr_private_segment_wavefront_offset 0
		.amdhsa_system_sgpr_workgroup_id_x 1
		.amdhsa_system_sgpr_workgroup_id_y 0
		.amdhsa_system_sgpr_workgroup_id_z 0
		.amdhsa_system_sgpr_workgroup_info 0
		.amdhsa_system_vgpr_workitem_id 0
		.amdhsa_next_free_vgpr 135
		.amdhsa_next_free_sgpr 96
		.amdhsa_accum_offset 136
		.amdhsa_reserve_vcc 1
		.amdhsa_reserve_flat_scratch 0
		.amdhsa_float_round_mode_32 0
		.amdhsa_float_round_mode_16_64 0
		.amdhsa_float_denorm_mode_32 3
		.amdhsa_float_denorm_mode_16_64 3
		.amdhsa_dx10_clamp 1
		.amdhsa_ieee_mode 1
		.amdhsa_fp16_overflow 0
		.amdhsa_tg_split 0
		.amdhsa_exception_fp_ieee_invalid_op 0
		.amdhsa_exception_fp_denorm_src 0
		.amdhsa_exception_fp_ieee_div_zero 0
		.amdhsa_exception_fp_ieee_overflow 0
		.amdhsa_exception_fp_ieee_underflow 0
		.amdhsa_exception_fp_ieee_inexact 0
		.amdhsa_exception_int_div_zero 0
	.end_amdhsa_kernel
	.section	.text._ZN2at4cuda12_GLOBAL__N_121kernelPointwiseApply2IZN12_GLOBAL__N_119poisson_cuda_kernelIfEEvRKNS_10TensorBaseES7_NS_15PhiloxCudaStateEEUlRfRKfE_ffjLi2ELin1ELi1ELi512ELi2EEEvNS0_6detail10TensorInfoIT0_T2_EENSE_IT1_SG_EESG_T_,"axG",@progbits,_ZN2at4cuda12_GLOBAL__N_121kernelPointwiseApply2IZN12_GLOBAL__N_119poisson_cuda_kernelIfEEvRKNS_10TensorBaseES7_NS_15PhiloxCudaStateEEUlRfRKfE_ffjLi2ELin1ELi1ELi512ELi2EEEvNS0_6detail10TensorInfoIT0_T2_EENSE_IT1_SG_EESG_T_,comdat
.Lfunc_end73:
	.size	_ZN2at4cuda12_GLOBAL__N_121kernelPointwiseApply2IZN12_GLOBAL__N_119poisson_cuda_kernelIfEEvRKNS_10TensorBaseES7_NS_15PhiloxCudaStateEEUlRfRKfE_ffjLi2ELin1ELi1ELi512ELi2EEEvNS0_6detail10TensorInfoIT0_T2_EENSE_IT1_SG_EESG_T_, .Lfunc_end73-_ZN2at4cuda12_GLOBAL__N_121kernelPointwiseApply2IZN12_GLOBAL__N_119poisson_cuda_kernelIfEEvRKNS_10TensorBaseES7_NS_15PhiloxCudaStateEEUlRfRKfE_ffjLi2ELin1ELi1ELi512ELi2EEEvNS0_6detail10TensorInfoIT0_T2_EENSE_IT1_SG_EESG_T_
                                        ; -- End function
	.section	.AMDGPU.csdata,"",@progbits
; Kernel info:
; codeLenInByte = 13760
; NumSgprs: 100
; NumVgprs: 135
; NumAgprs: 0
; TotalNumVgprs: 135
; ScratchSize: 0
; MemoryBound: 0
; FloatMode: 240
; IeeeMode: 1
; LDSByteSize: 0 bytes/workgroup (compile time only)
; SGPRBlocks: 12
; VGPRBlocks: 16
; NumSGPRsForWavesPerEU: 100
; NumVGPRsForWavesPerEU: 135
; AccumOffset: 136
; Occupancy: 3
; WaveLimiterHint : 1
; COMPUTE_PGM_RSRC2:SCRATCH_EN: 0
; COMPUTE_PGM_RSRC2:USER_SGPR: 6
; COMPUTE_PGM_RSRC2:TRAP_HANDLER: 0
; COMPUTE_PGM_RSRC2:TGID_X_EN: 1
; COMPUTE_PGM_RSRC2:TGID_Y_EN: 0
; COMPUTE_PGM_RSRC2:TGID_Z_EN: 0
; COMPUTE_PGM_RSRC2:TIDIG_COMP_CNT: 0
; COMPUTE_PGM_RSRC3_GFX90A:ACCUM_OFFSET: 33
; COMPUTE_PGM_RSRC3_GFX90A:TG_SPLIT: 0
	.section	.text._ZN2at4cuda12_GLOBAL__N_121kernelPointwiseApply2IZN12_GLOBAL__N_119poisson_cuda_kernelIfEEvRKNS_10TensorBaseES7_NS_15PhiloxCudaStateEEUlRfRKfE_ffjLin1ELi1ELi1ELi512ELi2EEEvNS0_6detail10TensorInfoIT0_T2_EENSE_IT1_SG_EESG_T_,"axG",@progbits,_ZN2at4cuda12_GLOBAL__N_121kernelPointwiseApply2IZN12_GLOBAL__N_119poisson_cuda_kernelIfEEvRKNS_10TensorBaseES7_NS_15PhiloxCudaStateEEUlRfRKfE_ffjLin1ELi1ELi1ELi512ELi2EEEvNS0_6detail10TensorInfoIT0_T2_EENSE_IT1_SG_EESG_T_,comdat
	.globl	_ZN2at4cuda12_GLOBAL__N_121kernelPointwiseApply2IZN12_GLOBAL__N_119poisson_cuda_kernelIfEEvRKNS_10TensorBaseES7_NS_15PhiloxCudaStateEEUlRfRKfE_ffjLin1ELi1ELi1ELi512ELi2EEEvNS0_6detail10TensorInfoIT0_T2_EENSE_IT1_SG_EESG_T_ ; -- Begin function _ZN2at4cuda12_GLOBAL__N_121kernelPointwiseApply2IZN12_GLOBAL__N_119poisson_cuda_kernelIfEEvRKNS_10TensorBaseES7_NS_15PhiloxCudaStateEEUlRfRKfE_ffjLin1ELi1ELi1ELi512ELi2EEEvNS0_6detail10TensorInfoIT0_T2_EENSE_IT1_SG_EESG_T_
	.p2align	8
	.type	_ZN2at4cuda12_GLOBAL__N_121kernelPointwiseApply2IZN12_GLOBAL__N_119poisson_cuda_kernelIfEEvRKNS_10TensorBaseES7_NS_15PhiloxCudaStateEEUlRfRKfE_ffjLin1ELi1ELi1ELi512ELi2EEEvNS0_6detail10TensorInfoIT0_T2_EENSE_IT1_SG_EESG_T_,@function
_ZN2at4cuda12_GLOBAL__N_121kernelPointwiseApply2IZN12_GLOBAL__N_119poisson_cuda_kernelIfEEvRKNS_10TensorBaseES7_NS_15PhiloxCudaStateEEUlRfRKfE_ffjLin1ELi1ELi1ELi512ELi2EEEvNS0_6detail10TensorInfoIT0_T2_EENSE_IT1_SG_EESG_T_: ; @_ZN2at4cuda12_GLOBAL__N_121kernelPointwiseApply2IZN12_GLOBAL__N_119poisson_cuda_kernelIfEEvRKNS_10TensorBaseES7_NS_15PhiloxCudaStateEEUlRfRKfE_ffjLin1ELi1ELi1ELi512ELi2EEEvNS0_6detail10TensorInfoIT0_T2_EENSE_IT1_SG_EESG_T_
; %bb.0:
	s_load_dword s2, s[4:5], 0x1e4
	s_load_dword s33, s[4:5], 0x1b0
	s_add_u32 s0, s4, 0x1d8
	s_addc_u32 s1, s5, 0
	s_waitcnt lgkmcnt(0)
	s_and_b32 s2, s2, 0xffff
	s_mul_i32 s6, s6, s2
	v_add_u32_e32 v17, s6, v0
	v_cmp_gt_u32_e32 vcc, s33, v17
	s_and_saveexec_b64 s[6:7], vcc
	s_cbranch_execz .LBB74_50
; %bb.1:
	s_load_dword s18, s[4:5], 0x144
	s_load_dwordx4 s[8:11], s[4:5], 0x1b8
                                        ; implicit-def: $vgpr134 : SGPR spill to VGPR lane
                                        ; kill: killed $sgpr0 killed $sgpr1
	s_mov_b32 s24, 0
	s_mov_b32 s30, 0x55555555
	s_mov_b32 s34, 0x6b47b09a
	s_mov_b32 s36, 0xbf559e2b
	s_waitcnt lgkmcnt(0)
	v_writelane_b32 v134, s8, 0
	v_writelane_b32 v134, s9, 1
	;; [unrolled: 1-line block ×4, first 2 shown]
	s_load_dwordx2 s[64:65], s[4:5], 0xd8
	s_load_dword s3, s[4:5], 0xd0
	s_load_dword s9, s[0:1], 0x0
	s_load_dwordx2 s[6:7], s[4:5], 0x1c8
	s_mov_b32 s38, 0xd7f4df2e
	s_load_dwordx2 s[0:1], s[4:5], 0x0
	s_waitcnt lgkmcnt(0)
	s_cmp_gt_i32 s3, 1
	s_mul_i32 s19, s9, s2
	v_writelane_b32 v134, s6, 4
	v_writelane_b32 v134, s7, 5
	s_load_dword s8, s[4:5], 0x1d0
	s_load_dword s6, s[4:5], 0x6c
	s_mov_b32 s40, 0x16291751
	s_mov_b32 s42, 0x9b27acf1
	;; [unrolled: 1-line block ×4, first 2 shown]
	s_waitcnt lgkmcnt(0)
	v_writelane_b32 v134, s6, 6
	v_writelane_b32 v134, s0, 7
	;; [unrolled: 1-line block ×3, first 2 shown]
	s_cselect_b64 s[6:7], -1, 0
	s_getpc_b64 s[0:1]
	s_add_u32 s0, s0, .str@rel32@lo+4
	s_addc_u32 s1, s1, .str@rel32@hi+12
	s_cmp_eq_u64 s[0:1], 0
	s_cselect_b64 s[0:1], -1, 0
	s_bitcmp1_b32 s8, 0
	s_cselect_b64 s[10:11], -1, 0
	v_writelane_b32 v134, s10, 9
	s_mov_b32 s8, 0xcd9e8d57
	v_writelane_b32 v134, s11, 10
	v_mad_u64_u32 v[12:13], s[10:11], v17, s8, 0
	s_add_i32 s10, s3, 1
	s_add_i32 s2, s3, -1
	s_mov_b32 s3, 0
	s_lshl_b64 s[2:3], s[2:3], 2
	s_add_u32 s2, s2, s4
	s_addc_u32 s3, s3, s5
	s_add_u32 s2, s2, 8
	s_addc_u32 s3, s3, 0
	v_writelane_b32 v134, s2, 11
	v_writelane_b32 v134, s3, 12
	s_xor_b64 s[0:1], s[0:1], -1
	v_cndmask_b32_e64 v0, 0, 1, s[6:7]
	v_writelane_b32 v134, s0, 13
	s_mov_b32 s50, 0x3b39803f
	s_mov_b32 s54, 0x652b82fe
	;; [unrolled: 1-line block ×4, first 2 shown]
	v_writelane_b32 v134, s1, 14
	v_cmp_ne_u32_e64 s[0:1], 1, v0
	s_mov_b32 s66, 0
	s_mov_b32 s68, 0
	;; [unrolled: 1-line block ×13, first 2 shown]
	s_movk_i32 s92, 0xf950
	s_mov_b32 s94, 0xc864beb5
	s_mov_b32 s22, 0
	;; [unrolled: 1-line block ×3, first 2 shown]
	s_mov_b64 s[16:17], 0
	v_mov_b32_e32 v14, 0
	v_mov_b32_e32 v16, v13
	s_mov_b32 s11, 0xd2511f53
	s_mov_b32 s25, 0x40080000
	;; [unrolled: 1-line block ×12, first 2 shown]
	s_movk_i32 s9, 0x204
	s_mov_b32 s55, 0x3ff71547
	s_mov_b32 s57, 0xbfe62e42
	;; [unrolled: 1-line block ×5, first 2 shown]
	v_mov_b32_e32 v18, 0x6b47b09a
	v_mov_b32_e32 v20, 0xd7f4df2e
	;; [unrolled: 1-line block ×60, first 2 shown]
	v_writelane_b32 v134, s0, 15
	s_mov_b32 s67, 0xc090cc00
	s_mov_b32 s69, 0x40200000
	;; [unrolled: 1-line block ×18, first 2 shown]
	v_writelane_b32 v134, s1, 16
                                        ; implicit-def: $sgpr26_sgpr27
                                        ; implicit-def: $sgpr28_sgpr29
	s_branch .LBB74_5
.LBB74_2:                               ;   in Loop: Header=BB74_5 Depth=1
	s_or_b64 exec, exec, s[2:3]
.LBB74_3:                               ;   in Loop: Header=BB74_5 Depth=1
	s_or_b64 exec, exec, s[0:1]
	v_readlane_b32 s0, v134, 7
	v_lshlrev_b64 v[0:1], 2, v[70:71]
	v_readlane_b32 s1, v134, 8
	v_mov_b32_e32 v2, s1
	v_cvt_f32_u32_e32 v3, v75
	v_add_co_u32_e32 v0, vcc, s0, v0
	v_addc_co_u32_e32 v1, vcc, v2, v1, vcc
	v_add_u32_e32 v94, s19, v94
	v_cmp_le_u32_e32 vcc, s33, v94
	s_andn2_b64 s[28:29], s[28:29], exec
	s_orn2_b64 s[0:1], vcc, exec
	global_store_dword v[0:1], v3, off
.LBB74_4:                               ;   in Loop: Header=BB74_5 Depth=1
	s_or_b64 exec, exec, s[52:53]
	s_and_b64 s[0:1], exec, s[0:1]
	s_or_b64 s[16:17], s[0:1], s[16:17]
	s_andn2_b64 s[0:1], s[26:27], exec
	s_and_b64 s[2:3], s[28:29], exec
	s_or_b64 s[26:27], s[0:1], s[2:3]
	s_andn2_b64 exec, exec, s[16:17]
	s_cbranch_execz .LBB74_49
.LBB74_5:                               ; =>This Loop Header: Depth=1
                                        ;     Child Loop BB74_8 Depth 2
                                        ;     Child Loop BB74_16 Depth 2
	;; [unrolled: 1-line block ×3, first 2 shown]
	v_sub_u32_e32 v0, s33, v94
	v_cmp_lt_i32_e64 s[2:3], 0, v0
	v_pk_mov_b32 v[70:71], 0, 0
	s_and_saveexec_b64 s[0:1], s[2:3]
	s_cbranch_execz .LBB74_10
; %bb.6:                                ;   in Loop: Header=BB74_5 Depth=1
	v_readlane_b32 s4, v134, 15
	v_readlane_b32 s5, v134, 16
	s_and_b64 vcc, exec, s[4:5]
	v_mov_b32_e32 v0, 0
	v_mov_b32_e32 v2, v94
	s_cbranch_vccnz .LBB74_9
; %bb.7:                                ;   in Loop: Header=BB74_5 Depth=1
	v_readlane_b32 s4, v134, 11
	v_mov_b32_e32 v0, 0
	v_readlane_b32 s5, v134, 12
	s_mov_b32 s6, s10
	v_mov_b32_e32 v2, v94
.LBB74_8:                               ;   Parent Loop BB74_5 Depth=1
                                        ; =>  This Inner Loop Header: Depth=2
	s_load_dword s7, s[4:5], 0x0
	s_load_dword s12, s[4:5], 0x64
	v_mov_b32_e32 v1, v2
	s_add_i32 s6, s6, -1
	s_waitcnt lgkmcnt(0)
	v_cvt_f32_u32_e32 v2, s7
	s_sub_i32 s14, 0, s7
	s_add_u32 s4, s4, -4
	s_addc_u32 s5, s5, -1
	v_rcp_iflag_f32_e32 v2, v2
	s_cmp_gt_u32 s6, 2
	v_mul_f32_e32 v2, 0x4f7ffffe, v2
	v_cvt_u32_f32_e32 v2, v2
	v_mul_lo_u32 v3, s14, v2
	v_mul_hi_u32 v3, v2, v3
	v_add_u32_e32 v2, v2, v3
	v_mul_hi_u32 v2, v1, v2
	v_mul_lo_u32 v3, v2, s7
	v_sub_u32_e32 v3, v1, v3
	v_add_u32_e32 v4, 1, v2
	v_subrev_u32_e32 v5, s7, v3
	v_cmp_le_u32_e32 vcc, s7, v3
	v_cndmask_b32_e32 v2, v2, v4, vcc
	v_cndmask_b32_e32 v3, v3, v5, vcc
	v_add_u32_e32 v4, 1, v2
	v_cmp_le_u32_e32 vcc, s7, v3
	v_cndmask_b32_e32 v2, v2, v4, vcc
	v_mul_lo_u32 v3, v2, s7
	v_sub_u32_e32 v1, v1, v3
	v_mad_u64_u32 v[0:1], s[14:15], s12, v1, v[0:1]
	s_cbranch_scc1 .LBB74_8
.LBB74_9:                               ;   in Loop: Header=BB74_5 Depth=1
	v_readlane_b32 s4, v134, 6
	v_mad_u64_u32 v[70:71], s[4:5], s4, v2, v[0:1]
	v_mov_b32_e32 v71, v14
.LBB74_10:                              ;   in Loop: Header=BB74_5 Depth=1
	s_or_b64 exec, exec, s[0:1]
	v_mul_lo_u32 v0, v94, s18
	v_cndmask_b32_e64 v0, 0, v0, s[2:3]
	v_mov_b32_e32 v1, v14
	v_lshlrev_b64 v[0:1], 2, v[0:1]
	v_add_co_u32_e32 v0, vcc, s64, v0
	v_addc_co_u32_e32 v1, vcc, v13, v1, vcc
	global_load_dword v6, v[0:1], off
	v_readlane_b32 s2, v134, 13
	v_readlane_b32 s3, v134, 14
	s_mov_b64 s[0:1], -1
	s_or_b64 s[28:29], s[28:29], exec
	s_waitcnt vmcnt(0)
	v_cmp_le_f32_e32 vcc, 0, v6
	s_and_b64 s[2:3], s[2:3], vcc
	s_and_saveexec_b64 s[52:53], s[2:3]
	s_cbranch_execz .LBB74_4
; %bb.11:                               ;   in Loop: Header=BB74_5 Depth=1
	v_readlane_b32 s0, v134, 9
	v_readlane_b32 s1, v134, 10
	s_andn2_b64 vcc, exec, s[0:1]
	v_readlane_b32 s0, v134, 0
	v_readlane_b32 s1, v134, 1
	;; [unrolled: 1-line block ×4, first 2 shown]
	v_pk_mov_b32 v[0:1], s[2:3], s[2:3] op_sel:[0,1]
	v_pk_mov_b32 v[72:73], s[0:1], s[0:1] op_sel:[0,1]
	s_cbranch_vccnz .LBB74_13
; %bb.12:                               ;   in Loop: Header=BB74_5 Depth=1
	v_readlane_b32 s0, v134, 0
	v_readlane_b32 s2, v134, 2
	;; [unrolled: 1-line block ×3, first 2 shown]
	v_pk_mov_b32 v[0:1], s[2:3], s[2:3] op_sel:[0,1]
	v_readlane_b32 s1, v134, 1
	flat_load_dwordx2 v[0:1], v[0:1]
	v_pk_mov_b32 v[2:3], s[0:1], s[0:1] op_sel:[0,1]
	flat_load_dwordx2 v[72:73], v[2:3]
	v_readlane_b32 s0, v134, 4
	v_readlane_b32 s1, v134, 5
	v_mov_b32_e32 v2, s1
	s_waitcnt vmcnt(0) lgkmcnt(0)
	v_add_co_u32_e32 v0, vcc, s0, v0
	v_addc_co_u32_e32 v1, vcc, v1, v2, vcc
.LBB74_13:                              ;   in Loop: Header=BB74_5 Depth=1
	v_alignbit_b32 v96, v1, v0, 2
	v_and_b32_e32 v15, 3, v0
	v_lshrrev_b32_e32 v97, 2, v1
	v_mad_u64_u32 v[0:1], s[0:1], v96, s11, 0
	v_xor_b32_e32 v3, v16, v72
	v_mov_b32_e32 v2, v73
	v_xor_b32_e32 v1, v1, v73
	s_mov_b32 s0, 0xbb67ae85
	v_xor_b32_e32 v3, v3, v97
	v_add_co_u32_e32 v99, vcc, s0, v2
	v_mad_u64_u32 v[4:5], s[0:1], v3, s11, 0
	v_mad_u64_u32 v[8:9], s[0:1], v1, s8, 0
	v_add_co_u32_e32 v98, vcc, 0x9e3779b9, v72
	v_xor_b32_e32 v1, v12, v9
	v_xor_b32_e32 v3, v99, v5
	s_mov_b32 s0, 0x3c6ef372
	v_xor_b32_e32 v1, v1, v98
	v_xor_b32_e32 v3, v3, v0
	v_add_co_u32_e32 v100, vcc, s0, v72
	s_mov_b32 s0, 0x76cf5d0a
	v_add_co_u32_e32 v101, vcc, s0, v2
	v_mad_u64_u32 v[0:1], s[0:1], v1, s11, 0
	v_mad_u64_u32 v[10:11], s[0:1], v3, s8, 0
	v_xor_b32_e32 v3, v100, v11
	v_xor_b32_e32 v1, v101, v1
	s_mov_b32 s0, 0xdaa66d2b
	v_xor_b32_e32 v3, v3, v8
	v_xor_b32_e32 v1, v1, v4
	v_add_co_u32_e32 v103, vcc, s0, v72
	s_mov_b32 s0, 0x32370b8f
	v_add_co_u32_e32 v104, vcc, s0, v2
	v_mad_u64_u32 v[4:5], s[0:1], v3, s11, 0
	v_mad_u64_u32 v[8:9], s[0:1], v1, s8, 0
	;; [unrolled: 10-line block ×7, first 2 shown]
	v_xor_b32_e32 v1, v102, v1
	v_xor_b32_e32 v3, v114, v3
	;; [unrolled: 1-line block ×4, first 2 shown]
	v_mad_u64_u32 v[4:5], s[0:1], v1, s11, 0
	v_mad_u64_u32 v[8:9], s[0:1], v7, s8, 0
	v_add_u32_e32 v105, 0x8ff34781, v72
	v_add_u32_e32 v95, 0x96a522ad, v73
	v_xor_b32_e32 v0, v9, v0
	v_xor_b32_e32 v2, v5, v2
	s_mov_b32 s0, 0x42800000
	v_mov_b32_e32 v3, v4
	v_mov_b32_e32 v1, v8
	v_xor_b32_e32 v0, v105, v0
	v_xor_b32_e32 v2, v95, v2
	v_cvt_f64_f32_e32 v[4:5], v6
	v_cmp_ngt_f32_e32 vcc, s0, v6
                                        ; implicit-def: $vgpr75
	s_and_saveexec_b64 s[0:1], vcc
	s_xor_b64 s[4:5], exec, s[0:1]
	s_cbranch_execz .LBB74_42
; %bb.14:                               ;   in Loop: Header=BB74_5 Depth=1
	s_mov_b32 s0, 0x457a0000
	v_cmp_ge_f32_e32 vcc, s0, v6
                                        ; implicit-def: $vgpr75
	s_and_saveexec_b64 s[0:1], vcc
	s_xor_b64 s[14:15], exec, s[0:1]
	s_cbranch_execz .LBB74_29
; %bb.15:                               ;   in Loop: Header=BB74_5 Depth=1
	s_mov_b32 s6, 0xae147ae1
	s_mov_b32 s7, 0xc00ae147
	v_div_scale_f64 v[6:7], s[0:1], v[4:5], v[4:5], s[6:7]
	v_rcp_f64_e32 v[8:9], v[6:7]
	s_mov_b32 s0, 0
	v_mul_f64 v[76:77], v[4:5], s[24:25]
	s_brev_b32 s1, 8
	v_cmp_gt_f64_e64 s[2:3], s[0:1], v[76:77]
	v_cndmask_b32_e64 v78, 0, 1, s[2:3]
	v_fma_f64 v[74:75], -v[6:7], v[8:9], 1.0
	v_lshlrev_b32_e32 v78, 8, v78
	v_fmac_f64_e32 v[8:9], v[8:9], v[74:75]
	v_ldexp_f64 v[76:77], v[76:77], v78
	v_fma_f64 v[74:75], -v[6:7], v[8:9], 1.0
	v_rsq_f64_e32 v[78:79], v[76:77]
	v_div_scale_f64 v[10:11], vcc, s[6:7], v[4:5], s[6:7]
	v_fmac_f64_e32 v[8:9], v[8:9], v[74:75]
	v_mul_f64 v[74:75], v[10:11], v[8:9]
	v_fma_f64 v[6:7], -v[6:7], v[74:75], v[10:11]
	s_nop 0
	v_div_fmas_f64 v[6:7], v[6:7], v[8:9], v[74:75]
	v_mul_f64 v[8:9], v[76:77], v[78:79]
	v_mul_f64 v[10:11], v[78:79], 0.5
	v_fma_f64 v[74:75], -v[10:11], v[8:9], 0.5
	v_fmac_f64_e32 v[8:9], v[8:9], v[74:75]
	v_fma_f64 v[78:79], -v[8:9], v[8:9], v[76:77]
	v_fmac_f64_e32 v[10:11], v[10:11], v[74:75]
	v_fmac_f64_e32 v[8:9], v[78:79], v[10:11]
	v_fma_f64 v[74:75], -v[8:9], v[8:9], v[76:77]
	v_fmac_f64_e32 v[8:9], v[74:75], v[10:11]
	v_cndmask_b32_e64 v10, 0, v89, s[2:3]
	v_ldexp_f64 v[8:9], v[8:9], v10
	v_cmp_class_f64_e32 vcc, v[76:77], v88
	s_mov_b32 s2, 0x54442d18
	v_cndmask_b32_e32 v9, v9, v77, vcc
	v_cndmask_b32_e32 v8, v8, v76, vcc
	s_mov_b32 s3, 0x400921fb
	v_div_scale_f64 v[10:11], s[0:1], v[8:9], v[8:9], s[2:3]
	v_rcp_f64_e32 v[76:77], v[10:11]
	s_mov_b32 s0, 0x95810625
	v_div_fixup_f64 v[6:7], v[6:7], v[4:5], s[6:7]
	s_mov_b32 s1, 0x3fe88b43
	v_fma_f64 v[78:79], -v[10:11], v[76:77], 1.0
	v_fmac_f64_e32 v[76:77], v[76:77], v[78:79]
	v_fma_f64 v[78:79], -v[10:11], v[76:77], 1.0
	v_fmac_f64_e32 v[76:77], v[76:77], v[78:79]
	v_div_scale_f64 v[78:79], vcc, s[2:3], v[8:9], s[2:3]
	v_mul_f64 v[80:81], v[78:79], v[76:77]
	v_fma_f64 v[10:11], -v[10:11], v[80:81], v[78:79]
	v_add_f64 v[6:7], v[6:7], s[0:1]
	s_nop 0
	v_div_fmas_f64 v[10:11], v[10:11], v[76:77], v[80:81]
	v_div_fixup_f64 v[76:77], v[10:11], v[8:9], s[2:3]
	v_frexp_mant_f64_e32 v[8:9], v[6:7]
	v_cmp_gt_f64_e32 vcc, s[30:31], v[8:9]
	v_mov_b32_e32 v74, 0
	v_cndmask_b32_e64 v75, v90, 2.0, vcc
	v_frexp_exp_i32_f64_e32 v10, v[6:7]
	v_mul_f64 v[8:9], v[8:9], v[74:75]
	v_subbrev_co_u32_e32 v75, vcc, 0, v10, vcc
	v_add_f64 v[10:11], v[8:9], 1.0
	v_rcp_f64_e32 v[80:81], v[10:11]
	v_add_f64 v[84:85], v[10:11], -1.0
	v_add_f64 v[82:83], v[8:9], -1.0
	v_add_f64 v[8:9], v[8:9], -v[84:85]
	v_fma_f64 v[84:85], -v[10:11], v[80:81], 1.0
	v_fmac_f64_e32 v[80:81], v[84:85], v[80:81]
	v_fma_f64 v[84:85], -v[10:11], v[80:81], 1.0
	v_fmac_f64_e32 v[80:81], v[84:85], v[80:81]
	v_mul_f64 v[84:85], v[82:83], v[80:81]
	v_mul_f64 v[86:87], v[10:11], v[84:85]
	v_fma_f64 v[10:11], v[84:85], v[10:11], -v[86:87]
	v_fmac_f64_e32 v[10:11], v[84:85], v[8:9]
	v_add_f64 v[8:9], v[86:87], v[10:11]
	v_add_f64 v[116:117], v[82:83], -v[8:9]
	v_add_f64 v[86:87], v[8:9], -v[86:87]
	;; [unrolled: 1-line block ×5, first 2 shown]
	v_add_f64 v[8:9], v[10:11], v[8:9]
	v_add_f64 v[8:9], v[116:117], v[8:9]
	v_mul_f64 v[8:9], v[80:81], v[8:9]
	v_add_f64 v[10:11], v[84:85], v[8:9]
	v_add_f64 v[80:81], v[10:11], -v[84:85]
	v_add_f64 v[8:9], v[8:9], -v[80:81]
	v_mul_f64 v[80:81], v[10:11], v[10:11]
	v_pk_mov_b32 v[82:83], s[34:35], s[34:35] op_sel:[0,1]
	v_fma_f64 v[84:85], s[36:37], v[80:81], v[82:83]
	v_fma_f64 v[84:85], v[80:81], v[84:85], s[38:39]
	;; [unrolled: 1-line block ×5, first 2 shown]
	s_mov_b32 s47, s31
	v_fma_f64 v[84:85], v[80:81], v[84:85], s[46:47]
	v_ldexp_f64 v[86:87], v[10:11], 1
	v_mul_f64 v[10:11], v[10:11], v[80:81]
	v_mul_f64 v[10:11], v[10:11], v[84:85]
	v_add_f64 v[80:81], v[86:87], v[10:11]
	v_add_f64 v[84:85], v[80:81], -v[86:87]
	v_ldexp_f64 v[8:9], v[8:9], 1
	v_add_f64 v[10:11], v[10:11], -v[84:85]
	v_add_f64 v[8:9], v[8:9], v[10:11]
	v_add_f64 v[10:11], v[80:81], v[8:9]
	v_add_f64 v[80:81], v[10:11], -v[80:81]
	v_add_f64 v[8:9], v[8:9], -v[80:81]
	v_cvt_f64_i32_e32 v[80:81], v75
	v_mul_f64 v[84:85], v[80:81], s[48:49]
	v_fma_f64 v[86:87], v[80:81], s[48:49], -v[84:85]
	v_fmac_f64_e32 v[86:87], s[50:51], v[80:81]
	v_add_f64 v[80:81], v[84:85], v[86:87]
	v_add_f64 v[84:85], v[80:81], -v[84:85]
	v_add_f64 v[84:85], v[86:87], -v[84:85]
	v_add_f64 v[86:87], v[80:81], v[10:11]
	v_add_f64 v[116:117], v[86:87], -v[80:81]
	v_add_f64 v[118:119], v[86:87], -v[116:117]
	v_add_f64 v[80:81], v[80:81], -v[118:119]
	v_add_f64 v[10:11], v[10:11], -v[116:117]
	v_add_f64 v[10:11], v[10:11], v[80:81]
	v_add_f64 v[80:81], v[84:85], v[8:9]
	v_add_f64 v[116:117], v[80:81], -v[84:85]
	v_add_f64 v[118:119], v[80:81], -v[116:117]
	v_add_f64 v[10:11], v[80:81], v[10:11]
	v_add_f64 v[84:85], v[84:85], -v[118:119]
	v_add_f64 v[8:9], v[8:9], -v[116:117]
	v_add_f64 v[80:81], v[86:87], v[10:11]
	v_add_f64 v[8:9], v[8:9], v[84:85]
	v_add_f64 v[84:85], v[80:81], -v[86:87]
	v_add_f64 v[10:11], v[10:11], -v[84:85]
	v_add_f64 v[8:9], v[8:9], v[10:11]
	v_add_f64 v[8:9], v[80:81], v[8:9]
	v_cmp_class_f64_e64 vcc, v[6:7], s9
	v_cndmask_b32_e32 v8, v8, v6, vcc
	v_cndmask_b32_e32 v9, v9, v7, vcc
	v_cmp_ngt_f64_e32 vcc, 0, v[6:7]
	v_cndmask_b32_e32 v9, v91, v9, vcc
	v_cmp_nge_f64_e32 vcc, 0, v[6:7]
	v_cndmask_b32_e32 v8, 0, v8, vcc
	v_cmp_neq_f64_e32 vcc, 0, v[6:7]
	v_cndmask_b32_e32 v9, v92, v9, vcc
	v_add_f64 v[6:7], v[8:9], -v[4:5]
	v_frexp_mant_f64_e32 v[8:9], v[76:77]
	v_cmp_gt_f64_e32 vcc, s[30:31], v[8:9]
	v_cndmask_b32_e64 v75, v90, 2.0, vcc
	v_frexp_exp_i32_f64_e32 v10, v[76:77]
	v_mul_f64 v[8:9], v[8:9], v[74:75]
	v_subbrev_co_u32_e32 v75, vcc, 0, v10, vcc
	v_add_f64 v[10:11], v[8:9], 1.0
	v_rcp_f64_e32 v[80:81], v[10:11]
	v_add_f64 v[86:87], v[10:11], -1.0
	v_add_f64 v[84:85], v[8:9], -1.0
	v_add_f64 v[8:9], v[8:9], -v[86:87]
	v_fma_f64 v[86:87], -v[10:11], v[80:81], 1.0
	v_fmac_f64_e32 v[80:81], v[86:87], v[80:81]
	v_fma_f64 v[86:87], -v[10:11], v[80:81], 1.0
	v_fmac_f64_e32 v[80:81], v[86:87], v[80:81]
	v_mul_f64 v[86:87], v[84:85], v[80:81]
	v_mul_f64 v[116:117], v[10:11], v[86:87]
	v_fma_f64 v[10:11], v[86:87], v[10:11], -v[116:117]
	v_fmac_f64_e32 v[10:11], v[86:87], v[8:9]
	v_add_f64 v[8:9], v[116:117], v[10:11]
	v_add_f64 v[118:119], v[84:85], -v[8:9]
	v_add_f64 v[116:117], v[8:9], -v[116:117]
	;; [unrolled: 1-line block ×5, first 2 shown]
	v_add_f64 v[8:9], v[10:11], v[8:9]
	v_add_f64 v[8:9], v[118:119], v[8:9]
	v_mul_f64 v[8:9], v[80:81], v[8:9]
	v_add_f64 v[10:11], v[86:87], v[8:9]
	v_add_f64 v[80:81], v[10:11], -v[86:87]
	v_add_f64 v[8:9], v[8:9], -v[80:81]
	v_mul_f64 v[80:81], v[10:11], v[10:11]
	v_fma_f64 v[84:85], s[36:37], v[80:81], v[82:83]
	v_fma_f64 v[84:85], v[80:81], v[84:85], s[38:39]
	;; [unrolled: 1-line block ×6, first 2 shown]
	v_ldexp_f64 v[86:87], v[10:11], 1
	v_mul_f64 v[10:11], v[10:11], v[80:81]
	v_mul_f64 v[10:11], v[10:11], v[84:85]
	v_add_f64 v[80:81], v[86:87], v[10:11]
	v_add_f64 v[84:85], v[80:81], -v[86:87]
	v_ldexp_f64 v[8:9], v[8:9], 1
	v_add_f64 v[10:11], v[10:11], -v[84:85]
	v_add_f64 v[8:9], v[8:9], v[10:11]
	v_add_f64 v[10:11], v[80:81], v[8:9]
	v_add_f64 v[80:81], v[10:11], -v[80:81]
	v_add_f64 v[8:9], v[8:9], -v[80:81]
	v_cvt_f64_i32_e32 v[80:81], v75
	v_mul_f64 v[84:85], v[80:81], s[48:49]
	v_fma_f64 v[86:87], v[80:81], s[48:49], -v[84:85]
	v_fmac_f64_e32 v[86:87], s[50:51], v[80:81]
	v_add_f64 v[80:81], v[84:85], v[86:87]
	v_add_f64 v[84:85], v[80:81], -v[84:85]
	v_add_f64 v[84:85], v[86:87], -v[84:85]
	v_add_f64 v[86:87], v[80:81], v[10:11]
	v_add_f64 v[116:117], v[86:87], -v[80:81]
	v_add_f64 v[118:119], v[86:87], -v[116:117]
	;; [unrolled: 1-line block ×4, first 2 shown]
	v_add_f64 v[10:11], v[10:11], v[80:81]
	v_add_f64 v[80:81], v[84:85], v[8:9]
	v_add_f64 v[116:117], v[80:81], -v[84:85]
	v_add_f64 v[118:119], v[80:81], -v[116:117]
	v_add_f64 v[10:11], v[80:81], v[10:11]
	v_add_f64 v[84:85], v[84:85], -v[118:119]
	v_add_f64 v[8:9], v[8:9], -v[116:117]
	v_add_f64 v[80:81], v[86:87], v[10:11]
	v_add_f64 v[8:9], v[8:9], v[84:85]
	v_add_f64 v[84:85], v[80:81], -v[86:87]
	v_add_f64 v[10:11], v[10:11], -v[84:85]
	s_mov_b32 s0, 0
	v_add_f64 v[8:9], v[8:9], v[10:11]
	s_mov_b32 s1, 0x7ff00000
	v_add_f64 v[8:9], v[80:81], v[8:9]
	v_cmp_eq_f64_e32 vcc, s[0:1], v[76:77]
	v_cndmask_b32_e32 v8, v8, v76, vcc
	v_cndmask_b32_e32 v9, v9, v77, vcc
	v_cmp_neq_f64_e32 vcc, 0, v[76:77]
	v_cndmask_b32_e32 v9, v92, v9, vcc
	v_cndmask_b32_e32 v8, 0, v8, vcc
	v_mul_f64 v[78:79], v[76:77], v[4:5]
	v_add_f64 v[80:81], v[6:7], -v[8:9]
	v_frexp_exp_i32_f64_e32 v6, v[4:5]
	v_frexp_mant_f64_e32 v[4:5], v[4:5]
	v_cmp_gt_f64_e32 vcc, s[30:31], v[4:5]
	v_cndmask_b32_e64 v75, v90, 2.0, vcc
	v_mul_f64 v[4:5], v[4:5], v[74:75]
	v_subbrev_co_u32_e32 v75, vcc, 0, v6, vcc
	v_add_f64 v[6:7], v[4:5], 1.0
	v_rcp_f64_e32 v[8:9], v[6:7]
	v_add_f64 v[84:85], v[6:7], -1.0
	v_add_f64 v[10:11], v[4:5], -1.0
	v_add_f64 v[4:5], v[4:5], -v[84:85]
	v_fma_f64 v[84:85], -v[6:7], v[8:9], 1.0
	v_fmac_f64_e32 v[8:9], v[84:85], v[8:9]
	v_fma_f64 v[84:85], -v[6:7], v[8:9], 1.0
	v_fmac_f64_e32 v[8:9], v[84:85], v[8:9]
	v_mul_f64 v[84:85], v[10:11], v[8:9]
	v_mul_f64 v[86:87], v[6:7], v[84:85]
	v_fma_f64 v[6:7], v[84:85], v[6:7], -v[86:87]
	v_fmac_f64_e32 v[6:7], v[84:85], v[4:5]
	v_add_f64 v[4:5], v[86:87], v[6:7]
	v_add_f64 v[116:117], v[10:11], -v[4:5]
	v_add_f64 v[86:87], v[4:5], -v[86:87]
	v_add_f64 v[10:11], v[10:11], -v[116:117]
	v_add_f64 v[4:5], v[10:11], -v[4:5]
	v_add_f64 v[6:7], v[86:87], -v[6:7]
	v_add_f64 v[4:5], v[6:7], v[4:5]
	v_add_f64 v[4:5], v[116:117], v[4:5]
	v_mul_f64 v[4:5], v[8:9], v[4:5]
	v_add_f64 v[6:7], v[84:85], v[4:5]
	v_add_f64 v[8:9], v[6:7], -v[84:85]
	v_add_f64 v[4:5], v[4:5], -v[8:9]
	v_mul_f64 v[8:9], v[6:7], v[6:7]
	v_fmac_f64_e32 v[82:83], s[36:37], v[8:9]
	v_fma_f64 v[10:11], v[8:9], v[82:83], s[38:39]
	v_fma_f64 v[10:11], v[8:9], v[10:11], s[40:41]
	;; [unrolled: 1-line block ×5, first 2 shown]
	v_ldexp_f64 v[82:83], v[6:7], 1
	v_mul_f64 v[6:7], v[6:7], v[8:9]
	v_mul_f64 v[6:7], v[6:7], v[10:11]
	v_add_f64 v[8:9], v[82:83], v[6:7]
	v_add_f64 v[10:11], v[8:9], -v[82:83]
	v_ldexp_f64 v[4:5], v[4:5], 1
	v_add_f64 v[6:7], v[6:7], -v[10:11]
	v_add_f64 v[4:5], v[4:5], v[6:7]
	v_add_f64 v[6:7], v[8:9], v[4:5]
	v_add_f64 v[8:9], v[6:7], -v[8:9]
	v_add_f64 v[4:5], v[4:5], -v[8:9]
	v_cvt_f64_i32_e32 v[8:9], v75
	v_mul_f64 v[10:11], v[8:9], s[48:49]
	v_fma_f64 v[82:83], v[8:9], s[48:49], -v[10:11]
	v_fmac_f64_e32 v[82:83], s[50:51], v[8:9]
	v_add_f64 v[8:9], v[10:11], v[82:83]
	v_add_f64 v[10:11], v[8:9], -v[10:11]
	v_add_f64 v[10:11], v[82:83], -v[10:11]
	v_add_f64 v[82:83], v[8:9], v[6:7]
	v_add_f64 v[84:85], v[82:83], -v[8:9]
	v_add_f64 v[86:87], v[82:83], -v[84:85]
	;; [unrolled: 1-line block ×4, first 2 shown]
	v_add_f64 v[6:7], v[6:7], v[8:9]
	v_add_f64 v[8:9], v[10:11], v[4:5]
	v_add_f64 v[84:85], v[8:9], -v[10:11]
	v_add_f64 v[86:87], v[8:9], -v[84:85]
	v_add_f64 v[6:7], v[8:9], v[6:7]
	v_add_f64 v[10:11], v[10:11], -v[86:87]
	v_add_f64 v[4:5], v[4:5], -v[84:85]
	v_add_f64 v[8:9], v[82:83], v[6:7]
	v_add_f64 v[4:5], v[4:5], v[10:11]
	v_add_f64 v[10:11], v[8:9], -v[82:83]
	v_add_f64 v[6:7], v[6:7], -v[10:11]
	v_add_f64 v[4:5], v[4:5], v[6:7]
	s_mov_b32 s65, s19
	s_mov_b32 s12, s18
	v_add_f64 v[82:83], v[8:9], v[4:5]
	s_mov_b64 s[6:7], 0
	s_mov_b64 s[18:19], 0
	v_mov_b32_e32 v115, v17
                                        ; implicit-def: $vgpr75
.LBB74_16:                              ;   Parent Loop BB74_5 Depth=1
                                        ; =>  This Inner Loop Header: Depth=2
	v_add_u32_e32 v116, 1, v15
	v_pk_mov_b32 v[10:11], v[2:3], v[2:3] op_sel:[0,1]
	v_cmp_eq_u32_e32 vcc, 4, v116
	v_pk_mov_b32 v[8:9], v[0:1], v[0:1] op_sel:[0,1]
	v_mov_b32_e32 v87, v0
	v_mov_b32_e32 v86, v1
	;; [unrolled: 1-line block ×4, first 2 shown]
	s_and_saveexec_b64 s[0:1], vcc
	s_cbranch_execz .LBB74_18
; %bb.17:                               ;   in Loop: Header=BB74_16 Depth=2
	v_add_co_u32_e32 v96, vcc, 1, v96
	v_cndmask_b32_e64 v4, 0, 1, vcc
	v_addc_co_u32_e32 v97, vcc, 0, v97, vcc
	v_cmp_eq_u32_e32 vcc, 0, v97
	v_cndmask_b32_e32 v4, 0, v4, vcc
	v_add_u32_e32 v115, v4, v115
	v_cmp_eq_u32_e32 vcc, 0, v115
	v_cndmask_b32_e32 v4, 0, v4, vcc
	v_add_u32_e32 v74, v4, v74
	v_mad_u64_u32 v[4:5], s[2:3], v96, s11, 0
	v_mad_u64_u32 v[6:7], s[2:3], v115, s8, 0
	v_xor_b32_e32 v5, v5, v73
	v_xor_b32_e32 v7, v7, v72
	v_xor_b32_e32 v5, v74, v5
	v_xor_b32_e32 v7, v97, v7
	v_mad_u64_u32 v[10:11], s[2:3], v5, s8, 0
	v_mad_u64_u32 v[8:9], s[2:3], v7, s11, 0
	v_xor_b32_e32 v5, v98, v11
	v_xor_b32_e32 v5, v5, v6
	v_xor_b32_e32 v6, v99, v9
	v_xor_b32_e32 v6, v6, v4
	;; [unrolled: 6-line block ×10, first 2 shown]
	v_mov_b32_e32 v116, 0
	v_mov_b32_e32 v9, v86
	;; [unrolled: 1-line block ×5, first 2 shown]
.LBB74_18:                              ;   in Loop: Header=BB74_16 Depth=2
	s_or_b64 exec, exec, s[0:1]
	v_add_u32_e32 v117, 1, v116
	v_pk_mov_b32 v[4:5], v[8:9], v[8:9] op_sel:[0,1]
	v_cmp_eq_u32_e32 vcc, 4, v117
	v_pk_mov_b32 v[6:7], v[10:11], v[10:11] op_sel:[0,1]
	s_and_saveexec_b64 s[0:1], vcc
	s_cbranch_execz .LBB74_20
; %bb.19:                               ;   in Loop: Header=BB74_16 Depth=2
	v_add_co_u32_e32 v96, vcc, 1, v96
	v_cndmask_b32_e64 v4, 0, 1, vcc
	v_addc_co_u32_e32 v97, vcc, 0, v97, vcc
	v_cmp_eq_u32_e32 vcc, 0, v97
	v_cndmask_b32_e32 v4, 0, v4, vcc
	v_add_u32_e32 v115, v4, v115
	v_cmp_eq_u32_e32 vcc, 0, v115
	v_cndmask_b32_e32 v4, 0, v4, vcc
	v_add_u32_e32 v74, v4, v74
	v_mad_u64_u32 v[4:5], s[2:3], v96, s11, 0
	v_mad_u64_u32 v[6:7], s[2:3], v115, s8, 0
	v_xor_b32_e32 v5, v5, v73
	v_xor_b32_e32 v7, v7, v72
	v_xor_b32_e32 v5, v74, v5
	v_xor_b32_e32 v7, v97, v7
	v_mad_u64_u32 v[86:87], s[2:3], v5, s8, 0
	v_mad_u64_u32 v[84:85], s[2:3], v7, s11, 0
	v_xor_b32_e32 v5, v98, v87
	v_xor_b32_e32 v5, v5, v6
	v_xor_b32_e32 v6, v99, v85
	v_xor_b32_e32 v6, v6, v4
	;; [unrolled: 6-line block ×10, first 2 shown]
	v_mov_b32_e32 v117, 0
	v_mov_b32_e32 v5, v86
	;; [unrolled: 1-line block ×5, first 2 shown]
.LBB74_20:                              ;   in Loop: Header=BB74_16 Depth=2
	s_or_b64 exec, exec, s[0:1]
	v_cmp_eq_u32_e32 vcc, 1, v15
	v_cndmask_b32_e32 v0, v0, v1, vcc
	v_cmp_eq_u32_e32 vcc, 2, v15
	v_cndmask_b32_e32 v0, v0, v2, vcc
	v_cmp_eq_u32_e32 vcc, 3, v15
	v_cndmask_b32_e32 v2, v0, v3, vcc
	v_cmp_eq_u32_e32 vcc, 1, v116
	v_cndmask_b32_e32 v0, v8, v9, vcc
	v_cmp_eq_u32_e32 vcc, 2, v116
	v_cndmask_b32_e32 v0, v0, v10, vcc
	v_cmp_eq_u32_e32 vcc, 3, v116
	v_cndmask_b32_e32 v0, v0, v11, vcc
	v_lshrrev_b32_e32 v0, 11, v0
	v_cvt_f64_u32_e32 v[0:1], v0
	v_ldexp_f64 v[0:1], v[0:1], 32
	v_cvt_f64_u32_e32 v[2:3], v2
	v_add_f64 v[0:1], v[0:1], v[2:3]
	v_mov_b32_e32 v2, 0
	v_mov_b32_e32 v3, 0x3ca00000
	v_fmac_f64_e32 v[2:3], 0x3ca00000, v[0:1]
	v_add_f64 v[0:1], -v[2:3], 1.0
	v_div_scale_f64 v[8:9], s[0:1], v[2:3], v[2:3], v[0:1]
	v_rcp_f64_e32 v[10:11], v[8:9]
	v_fma_f64 v[118:119], -v[8:9], v[10:11], 1.0
	v_fmac_f64_e32 v[10:11], v[10:11], v[118:119]
	v_fma_f64 v[118:119], -v[8:9], v[10:11], 1.0
	v_fmac_f64_e32 v[10:11], v[10:11], v[118:119]
	v_div_scale_f64 v[118:119], vcc, v[0:1], v[2:3], v[0:1]
	v_mul_f64 v[120:121], v[118:119], v[10:11]
	v_fma_f64 v[8:9], -v[8:9], v[120:121], v[118:119]
	s_nop 1
	v_div_fmas_f64 v[8:9], v[8:9], v[10:11], v[120:121]
	v_div_fixup_f64 v[0:1], v[8:9], v[2:3], v[0:1]
	v_frexp_mant_f64_e32 v[2:3], v[0:1]
	v_cmp_gt_f64_e32 vcc, s[30:31], v[2:3]
	v_cndmask_b32_e64 v15, v90, 2.0, vcc
	v_frexp_exp_i32_f64_e32 v8, v[0:1]
	v_mul_f64 v[2:3], v[2:3], v[14:15]
	v_subbrev_co_u32_e32 v15, vcc, 0, v8, vcc
	v_add_f64 v[8:9], v[2:3], 1.0
	v_rcp_f64_e32 v[10:11], v[8:9]
	v_add_f64 v[120:121], v[8:9], -1.0
	v_add_f64 v[118:119], v[2:3], -1.0
	v_add_f64 v[2:3], v[2:3], -v[120:121]
	v_fma_f64 v[120:121], -v[8:9], v[10:11], 1.0
	v_fmac_f64_e32 v[10:11], v[120:121], v[10:11]
	v_fma_f64 v[120:121], -v[8:9], v[10:11], 1.0
	v_fmac_f64_e32 v[10:11], v[120:121], v[10:11]
	v_mul_f64 v[120:121], v[118:119], v[10:11]
	v_mul_f64 v[122:123], v[8:9], v[120:121]
	v_fma_f64 v[8:9], v[120:121], v[8:9], -v[122:123]
	v_fmac_f64_e32 v[8:9], v[120:121], v[2:3]
	v_add_f64 v[2:3], v[122:123], v[8:9]
	v_add_f64 v[124:125], v[118:119], -v[2:3]
	v_add_f64 v[122:123], v[2:3], -v[122:123]
	;; [unrolled: 1-line block ×5, first 2 shown]
	v_add_f64 v[2:3], v[8:9], v[2:3]
	v_add_f64 v[2:3], v[124:125], v[2:3]
	v_mul_f64 v[2:3], v[10:11], v[2:3]
	v_add_f64 v[8:9], v[120:121], v[2:3]
	v_add_f64 v[10:11], v[8:9], -v[120:121]
	v_add_f64 v[2:3], v[2:3], -v[10:11]
	v_mul_f64 v[10:11], v[8:9], v[8:9]
	v_pk_mov_b32 v[118:119], v[18:19], v[18:19] op_sel:[0,1]
	v_fmac_f64_e32 v[118:119], s[36:37], v[10:11]
	v_pk_mov_b32 v[120:121], v[20:21], v[20:21] op_sel:[0,1]
	v_fmac_f64_e32 v[120:121], v[10:11], v[118:119]
	;; [unrolled: 2-line block ×6, first 2 shown]
	v_ldexp_f64 v[118:119], v[8:9], 1
	v_mul_f64 v[8:9], v[8:9], v[10:11]
	v_mul_f64 v[8:9], v[8:9], v[120:121]
	v_add_f64 v[10:11], v[118:119], v[8:9]
	v_add_f64 v[118:119], v[10:11], -v[118:119]
	v_ldexp_f64 v[2:3], v[2:3], 1
	v_add_f64 v[8:9], v[8:9], -v[118:119]
	v_add_f64 v[2:3], v[2:3], v[8:9]
	v_add_f64 v[8:9], v[10:11], v[2:3]
	v_add_f64 v[10:11], v[8:9], -v[10:11]
	v_add_f64 v[2:3], v[2:3], -v[10:11]
	v_cvt_f64_i32_e32 v[10:11], v15
	v_mul_f64 v[118:119], v[10:11], s[48:49]
	v_fma_f64 v[120:121], v[10:11], s[48:49], -v[118:119]
	v_fmac_f64_e32 v[120:121], s[50:51], v[10:11]
	v_add_f64 v[10:11], v[118:119], v[120:121]
	v_add_f64 v[118:119], v[10:11], -v[118:119]
	v_add_f64 v[118:119], v[120:121], -v[118:119]
	v_add_f64 v[120:121], v[10:11], v[8:9]
	v_add_f64 v[122:123], v[120:121], -v[10:11]
	v_add_f64 v[124:125], v[120:121], -v[122:123]
	;; [unrolled: 1-line block ×4, first 2 shown]
	v_add_f64 v[8:9], v[8:9], v[10:11]
	v_add_f64 v[10:11], v[118:119], v[2:3]
	v_add_f64 v[122:123], v[10:11], -v[118:119]
	v_add_f64 v[124:125], v[10:11], -v[122:123]
	v_add_f64 v[8:9], v[10:11], v[8:9]
	v_add_f64 v[118:119], v[118:119], -v[124:125]
	v_add_f64 v[2:3], v[2:3], -v[122:123]
	v_add_f64 v[10:11], v[120:121], v[8:9]
	v_add_f64 v[2:3], v[2:3], v[118:119]
	v_add_f64 v[118:119], v[10:11], -v[120:121]
	v_add_f64 v[8:9], v[8:9], -v[118:119]
	v_add_f64 v[2:3], v[2:3], v[8:9]
	v_add_f64 v[2:3], v[10:11], v[2:3]
	v_cmp_class_f64_e64 vcc, v[0:1], s9
	v_cndmask_b32_e32 v2, v2, v0, vcc
	v_cndmask_b32_e32 v3, v3, v1, vcc
	v_cmp_ngt_f64_e32 vcc, 0, v[0:1]
	v_cndmask_b32_e32 v3, v91, v3, vcc
	v_cmp_nge_f64_e32 vcc, 0, v[0:1]
	v_cndmask_b32_e32 v2, 0, v2, vcc
	v_cmp_neq_f64_e32 vcc, 0, v[0:1]
	v_cndmask_b32_e32 v3, v92, v3, vcc
	v_add_f64 v[0:1], v[78:79], -v[2:3]
	v_div_scale_f64 v[2:3], s[0:1], v[76:77], v[76:77], v[0:1]
	v_rcp_f64_e32 v[8:9], v[2:3]
	v_fma_f64 v[10:11], -v[2:3], v[8:9], 1.0
	v_fmac_f64_e32 v[8:9], v[8:9], v[10:11]
	v_fma_f64 v[10:11], -v[2:3], v[8:9], 1.0
	v_fmac_f64_e32 v[8:9], v[8:9], v[10:11]
	v_div_scale_f64 v[10:11], vcc, v[0:1], v[76:77], v[0:1]
	v_mul_f64 v[118:119], v[10:11], v[8:9]
	v_fma_f64 v[2:3], -v[2:3], v[118:119], v[10:11]
	s_nop 1
	v_div_fmas_f64 v[2:3], v[2:3], v[8:9], v[118:119]
	v_div_fixup_f64 v[10:11], v[2:3], v[76:77], v[0:1]
	v_add_f64 v[0:1], v[10:11], 0.5
	v_floor_f64_e32 v[8:9], v[0:1]
	v_cmp_ngt_f64_e32 vcc, 0, v[8:9]
	v_mov_b32_e32 v118, 2
	s_and_saveexec_b64 s[0:1], vcc
	s_cbranch_execz .LBB74_26
; %bb.21:                               ;   in Loop: Header=BB74_16 Depth=2
	v_add_u32_e32 v15, 1, v117
	v_pk_mov_b32 v[0:1], v[4:5], v[4:5] op_sel:[0,1]
	v_cmp_eq_u32_e32 vcc, 4, v15
	v_pk_mov_b32 v[2:3], v[6:7], v[6:7] op_sel:[0,1]
	s_and_saveexec_b64 s[2:3], vcc
	s_cbranch_execz .LBB74_23
; %bb.22:                               ;   in Loop: Header=BB74_16 Depth=2
	v_add_co_u32_e32 v96, vcc, 1, v96
	v_cndmask_b32_e64 v0, 0, 1, vcc
	v_addc_co_u32_e32 v97, vcc, 0, v97, vcc
	v_cmp_eq_u32_e32 vcc, 0, v97
	v_cndmask_b32_e32 v0, 0, v0, vcc
	v_add_u32_e32 v115, v0, v115
	v_cmp_eq_u32_e32 vcc, 0, v115
	v_cndmask_b32_e32 v0, 0, v0, vcc
	v_add_u32_e32 v74, v0, v74
	v_mad_u64_u32 v[0:1], vcc, v96, s11, 0
	v_mad_u64_u32 v[2:3], vcc, v115, s8, 0
	v_xor_b32_e32 v1, v1, v73
	v_xor_b32_e32 v3, v3, v72
	v_xor_b32_e32 v1, v74, v1
	v_xor_b32_e32 v3, v97, v3
	v_mad_u64_u32 v[86:87], vcc, v1, s8, 0
	v_mad_u64_u32 v[84:85], vcc, v3, s11, 0
	v_xor_b32_e32 v1, v98, v87
	v_xor_b32_e32 v1, v1, v2
	v_xor_b32_e32 v2, v99, v85
	v_xor_b32_e32 v2, v2, v0
	;; [unrolled: 6-line block ×10, first 2 shown]
	v_mov_b32_e32 v15, 0
	v_mov_b32_e32 v1, v86
	;; [unrolled: 1-line block ×5, first 2 shown]
.LBB74_23:                              ;   in Loop: Header=BB74_16 Depth=2
	s_or_b64 exec, exec, s[2:3]
	v_add_u32_e32 v116, 1, v15
	v_cmp_eq_u32_e32 vcc, 4, v116
	s_and_saveexec_b64 s[2:3], vcc
	s_cbranch_execz .LBB74_25
; %bb.24:                               ;   in Loop: Header=BB74_16 Depth=2
	v_add_co_u32_e32 v96, vcc, 1, v96
	v_cndmask_b32_e64 v84, 0, 1, vcc
	v_addc_co_u32_e32 v97, vcc, 0, v97, vcc
	v_cmp_eq_u32_e32 vcc, 0, v97
	v_cndmask_b32_e32 v84, 0, v84, vcc
	v_add_u32_e32 v115, v84, v115
	v_cmp_eq_u32_e32 vcc, 0, v115
	v_cndmask_b32_e32 v84, 0, v84, vcc
	v_add_u32_e32 v74, v84, v74
	v_mad_u64_u32 v[84:85], vcc, v96, s11, 0
	v_mad_u64_u32 v[86:87], vcc, v115, s8, 0
	v_xor_b32_e32 v85, v85, v73
	v_xor_b32_e32 v87, v87, v72
	v_xor_b32_e32 v85, v74, v85
	v_xor_b32_e32 v87, v97, v87
	v_mad_u64_u32 v[120:121], vcc, v85, s8, 0
	v_mad_u64_u32 v[118:119], vcc, v87, s11, 0
	v_xor_b32_e32 v85, v98, v121
	v_xor_b32_e32 v85, v85, v86
	v_xor_b32_e32 v86, v99, v119
	v_xor_b32_e32 v86, v86, v84
	;; [unrolled: 6-line block ×9, first 2 shown]
	v_mad_u64_u32 v[84:85], vcc, v84, s11, 0
	v_mad_u64_u32 v[86:87], vcc, v86, s8, 0
	v_xor_b32_e32 v87, v87, v124
	v_xor_b32_e32 v85, v85, v122
	v_mov_b32_e32 v116, 0
	v_xor_b32_e32 v87, v105, v87
	v_xor_b32_e32 v85, v95, v85
.LBB74_25:                              ;   in Loop: Header=BB74_16 Depth=2
	s_or_b64 exec, exec, s[2:3]
	v_cmp_eq_u32_e32 vcc, 1, v117
	v_cndmask_b32_e32 v4, v4, v5, vcc
	v_cmp_eq_u32_e32 vcc, 2, v117
	v_cndmask_b32_e32 v4, v4, v6, vcc
	;; [unrolled: 2-line block ×6, first 2 shown]
	v_lshrrev_b32_e32 v0, 11, v0
	v_cvt_f64_u32_e32 v[0:1], v0
	v_ldexp_f64 v[0:1], v[0:1], 32
	v_cvt_f64_u32_e32 v[2:3], v4
	v_add_f64 v[0:1], v[0:1], v[2:3]
	v_mov_b32_e32 v2, 0
	v_mov_b32_e32 v3, 0x3ca00000
	v_fma_f64 v[4:5], -v[76:77], v[10:11], v[78:79]
	v_fmac_f64_e32 v[2:3], 0x3ca00000, v[0:1]
	v_mul_f64 v[0:1], v[4:5], s[54:55]
	v_rndne_f64_e32 v[0:1], v[0:1]
	s_mov_b32 s56, s48
	v_fma_f64 v[6:7], s[56:57], v[0:1], v[4:5]
	s_mov_b32 s58, s50
	v_fmac_f64_e32 v[6:7], s[58:59], v[0:1]
	v_pk_mov_b32 v[10:11], v[30:31], v[30:31] op_sel:[0,1]
	v_fmac_f64_e32 v[10:11], s[60:61], v[6:7]
	v_pk_mov_b32 v[118:119], v[32:33], v[32:33] op_sel:[0,1]
	;; [unrolled: 2-line block ×9, first 2 shown]
	v_fmac_f64_e32 v[10:11], v[6:7], v[118:119]
	v_fma_f64 v[10:11], v[6:7], v[10:11], 1.0
	v_fma_f64 v[6:7], v[6:7], v[10:11], 1.0
	v_cvt_i32_f64_e32 v0, v[0:1]
	v_ldexp_f64 v[0:1], v[6:7], v0
	v_add_f64 v[0:1], v[0:1], 1.0
	v_cmp_nlt_f64_e32 vcc, s[62:63], v[4:5]
	v_cmp_ngt_f64_e64 s[2:3], s[66:67], v[4:5]
	v_cndmask_b32_e32 v1, v93, v1, vcc
	s_and_b64 vcc, s[2:3], vcc
	v_cndmask_b32_e64 v1, v90, v1, s[2:3]
	v_cndmask_b32_e32 v0, 0, v0, vcc
	v_mul_f64 v[0:1], v[0:1], v[0:1]
	v_div_scale_f64 v[6:7], s[2:3], v[0:1], v[0:1], v[2:3]
	v_rcp_f64_e32 v[10:11], v[6:7]
	s_mov_b32 s47, s31
	v_fma_f64 v[118:119], -v[6:7], v[10:11], 1.0
	v_fmac_f64_e32 v[10:11], v[10:11], v[118:119]
	v_fma_f64 v[118:119], -v[6:7], v[10:11], 1.0
	v_fmac_f64_e32 v[10:11], v[10:11], v[118:119]
	v_div_scale_f64 v[118:119], vcc, v[2:3], v[0:1], v[2:3]
	v_mul_f64 v[120:121], v[118:119], v[10:11]
	v_fma_f64 v[6:7], -v[6:7], v[120:121], v[118:119]
	s_nop 1
	v_div_fmas_f64 v[6:7], v[6:7], v[10:11], v[120:121]
	v_div_fixup_f64 v[2:3], v[6:7], v[0:1], v[2:3]
	v_frexp_mant_f64_e32 v[0:1], v[2:3]
	v_cmp_gt_f64_e32 vcc, s[30:31], v[0:1]
	v_cndmask_b32_e64 v15, v90, 2.0, vcc
	v_frexp_exp_i32_f64_e32 v6, v[2:3]
	v_mul_f64 v[0:1], v[0:1], v[14:15]
	v_subbrev_co_u32_e32 v15, vcc, 0, v6, vcc
	v_add_f64 v[6:7], v[0:1], 1.0
	v_rcp_f64_e32 v[10:11], v[6:7]
	v_add_f64 v[120:121], v[6:7], -1.0
	v_add_f64 v[118:119], v[0:1], -1.0
	v_add_f64 v[0:1], v[0:1], -v[120:121]
	v_fma_f64 v[120:121], -v[6:7], v[10:11], 1.0
	v_fmac_f64_e32 v[10:11], v[120:121], v[10:11]
	v_fma_f64 v[120:121], -v[6:7], v[10:11], 1.0
	v_fmac_f64_e32 v[10:11], v[120:121], v[10:11]
	v_mul_f64 v[120:121], v[118:119], v[10:11]
	v_mul_f64 v[122:123], v[6:7], v[120:121]
	v_fma_f64 v[6:7], v[120:121], v[6:7], -v[122:123]
	v_fmac_f64_e32 v[6:7], v[120:121], v[0:1]
	v_add_f64 v[0:1], v[122:123], v[6:7]
	v_add_f64 v[124:125], v[118:119], -v[0:1]
	v_add_f64 v[122:123], v[0:1], -v[122:123]
	;; [unrolled: 1-line block ×5, first 2 shown]
	v_add_f64 v[0:1], v[6:7], v[0:1]
	v_add_f64 v[0:1], v[124:125], v[0:1]
	v_mul_f64 v[0:1], v[10:11], v[0:1]
	v_add_f64 v[6:7], v[120:121], v[0:1]
	v_add_f64 v[10:11], v[6:7], -v[120:121]
	v_add_f64 v[10:11], v[0:1], -v[10:11]
	v_mul_f64 v[118:119], v[6:7], v[6:7]
	v_pk_mov_b32 v[0:1], s[34:35], s[34:35] op_sel:[0,1]
	v_fma_f64 v[120:121], s[36:37], v[118:119], v[0:1]
	v_fma_f64 v[120:121], v[118:119], v[120:121], s[38:39]
	;; [unrolled: 1-line block ×6, first 2 shown]
	v_ldexp_f64 v[122:123], v[6:7], 1
	v_mul_f64 v[6:7], v[6:7], v[118:119]
	v_mul_f64 v[6:7], v[6:7], v[120:121]
	v_add_f64 v[118:119], v[122:123], v[6:7]
	v_add_f64 v[120:121], v[118:119], -v[122:123]
	v_ldexp_f64 v[10:11], v[10:11], 1
	v_add_f64 v[6:7], v[6:7], -v[120:121]
	v_add_f64 v[6:7], v[10:11], v[6:7]
	v_add_f64 v[10:11], v[118:119], v[6:7]
	v_add_f64 v[118:119], v[10:11], -v[118:119]
	v_add_f64 v[6:7], v[6:7], -v[118:119]
	v_cvt_f64_i32_e32 v[118:119], v15
	v_mul_f64 v[120:121], v[118:119], s[48:49]
	v_fma_f64 v[122:123], v[118:119], s[48:49], -v[120:121]
	v_fmac_f64_e32 v[122:123], s[50:51], v[118:119]
	v_add_f64 v[118:119], v[120:121], v[122:123]
	v_add_f64 v[120:121], v[118:119], -v[120:121]
	v_add_f64 v[120:121], v[122:123], -v[120:121]
	v_add_f64 v[122:123], v[118:119], v[10:11]
	v_add_f64 v[124:125], v[122:123], -v[118:119]
	v_add_f64 v[126:127], v[122:123], -v[124:125]
	;; [unrolled: 1-line block ×4, first 2 shown]
	v_add_f64 v[10:11], v[10:11], v[118:119]
	v_add_f64 v[118:119], v[120:121], v[6:7]
	v_add_f64 v[124:125], v[118:119], -v[120:121]
	v_add_f64 v[126:127], v[118:119], -v[124:125]
	v_add_f64 v[10:11], v[118:119], v[10:11]
	v_add_f64 v[120:121], v[120:121], -v[126:127]
	v_add_f64 v[6:7], v[6:7], -v[124:125]
	v_add_f64 v[118:119], v[122:123], v[10:11]
	v_add_f64 v[6:7], v[6:7], v[120:121]
	v_add_f64 v[120:121], v[118:119], -v[122:123]
	v_add_f64 v[10:11], v[10:11], -v[120:121]
	v_add_f64 v[6:7], v[6:7], v[10:11]
	v_add_f64 v[6:7], v[118:119], v[6:7]
	v_cmp_class_f64_e64 vcc, v[2:3], s9
	v_cndmask_b32_e32 v15, v6, v2, vcc
	v_cndmask_b32_e32 v6, v7, v3, vcc
	v_cmp_neq_f64_e32 vcc, 0, v[2:3]
	v_cndmask_b32_e32 v3, v92, v6, vcc
	v_add_f64 v[6:7], v[8:9], 1.0
	v_add_f64 v[6:7], v[6:7], -1.0
	v_add_f64 v[118:119], v[6:7], s[68:69]
	v_div_scale_f64 v[10:11], s[2:3], v[118:119], v[118:119], s[70:71]
	v_rcp_f64_e32 v[120:121], v[10:11]
	v_cndmask_b32_e32 v2, 0, v15, vcc
	v_add_f64 v[2:3], v[4:5], v[2:3]
	v_fma_f64 v[4:5], v[82:83], v[8:9], v[80:81]
	v_fma_f64 v[122:123], -v[10:11], v[120:121], 1.0
	v_fmac_f64_e32 v[120:121], v[120:121], v[122:123]
	v_fma_f64 v[122:123], -v[10:11], v[120:121], 1.0
	v_fmac_f64_e32 v[120:121], v[120:121], v[122:123]
	v_div_scale_f64 v[122:123], vcc, s[70:71], v[118:119], s[70:71]
	v_mul_f64 v[124:125], v[122:123], v[120:121]
	v_fma_f64 v[122:123], -v[10:11], v[124:125], v[122:123]
	v_add_f64 v[10:11], v[6:7], s[72:73]
	v_div_scale_f64 v[126:127], s[2:3], v[10:11], v[10:11], s[74:75]
	v_rcp_f64_e32 v[128:129], v[126:127]
	v_div_fmas_f64 v[120:121], v[122:123], v[120:121], v[124:125]
	v_div_fixup_f64 v[118:119], v[120:121], v[118:119], s[70:71]
	v_add_f64 v[124:125], v[6:7], s[76:77]
	v_fma_f64 v[120:121], -v[126:127], v[128:129], 1.0
	v_fmac_f64_e32 v[128:129], v[128:129], v[120:121]
	v_fma_f64 v[120:121], -v[126:127], v[128:129], 1.0
	v_fmac_f64_e32 v[128:129], v[128:129], v[120:121]
	v_div_scale_f64 v[120:121], vcc, s[74:75], v[10:11], s[74:75]
	v_mul_f64 v[122:123], v[120:121], v[128:129]
	v_fma_f64 v[120:121], -v[126:127], v[122:123], v[120:121]
	v_div_scale_f64 v[126:127], s[2:3], v[124:125], v[124:125], s[78:79]
	v_rcp_f64_e32 v[130:131], v[126:127]
	v_div_fmas_f64 v[120:121], v[120:121], v[128:129], v[122:123]
	v_add_f64 v[118:119], v[118:119], 0
	v_div_fixup_f64 v[120:121], v[120:121], v[10:11], s[74:75]
	v_add_f64 v[118:119], v[120:121], v[118:119]
	v_fma_f64 v[120:121], -v[126:127], v[130:131], 1.0
	v_fmac_f64_e32 v[130:131], v[130:131], v[120:121]
	v_fma_f64 v[120:121], -v[126:127], v[130:131], 1.0
	v_fmac_f64_e32 v[130:131], v[130:131], v[120:121]
	v_div_scale_f64 v[120:121], vcc, s[78:79], v[124:125], s[78:79]
	v_mul_f64 v[122:123], v[120:121], v[130:131]
	v_fma_f64 v[120:121], -v[126:127], v[122:123], v[120:121]
	v_add_f64 v[126:127], v[6:7], s[80:81]
	v_div_scale_f64 v[128:129], s[2:3], v[126:127], v[126:127], s[82:83]
	v_rcp_f64_e32 v[132:133], v[128:129]
	v_div_fmas_f64 v[120:121], v[120:121], v[130:131], v[122:123]
	v_div_fixup_f64 v[120:121], v[120:121], v[124:125], s[78:79]
	v_add_f64 v[118:119], v[118:119], v[120:121]
	v_fma_f64 v[120:121], -v[128:129], v[132:133], 1.0
	v_fmac_f64_e32 v[132:133], v[132:133], v[120:121]
	v_fma_f64 v[120:121], -v[128:129], v[132:133], 1.0
	v_fmac_f64_e32 v[132:133], v[132:133], v[120:121]
	v_div_scale_f64 v[120:121], vcc, s[82:83], v[126:127], s[82:83]
	v_mul_f64 v[122:123], v[120:121], v[132:133]
	v_add_f64 v[124:125], v[6:7], 4.0
	v_fma_f64 v[120:121], -v[128:129], v[122:123], v[120:121]
	v_div_scale_f64 v[128:129], s[2:3], v[124:125], v[124:125], s[84:85]
	v_rcp_f64_e32 v[130:131], v[128:129]
	v_div_fmas_f64 v[120:121], v[120:121], v[132:133], v[122:123]
	v_div_fixup_f64 v[120:121], v[120:121], v[126:127], s[82:83]
	v_add_f64 v[118:119], v[120:121], v[118:119]
	v_fma_f64 v[120:121], -v[128:129], v[130:131], 1.0
	v_fmac_f64_e32 v[130:131], v[130:131], v[120:121]
	v_fma_f64 v[120:121], -v[128:129], v[130:131], 1.0
	v_fmac_f64_e32 v[130:131], v[130:131], v[120:121]
	v_div_scale_f64 v[120:121], vcc, s[84:85], v[124:125], s[84:85]
	v_mul_f64 v[122:123], v[120:121], v[130:131]
	v_add_f64 v[126:127], v[6:7], s[24:25]
	v_fma_f64 v[120:121], -v[128:129], v[122:123], v[120:121]
	v_div_scale_f64 v[128:129], s[2:3], v[126:127], v[126:127], s[86:87]
	v_rcp_f64_e32 v[132:133], v[128:129]
	v_div_fmas_f64 v[120:121], v[120:121], v[130:131], v[122:123]
	v_div_fixup_f64 v[120:121], v[120:121], v[124:125], s[84:85]
	v_add_f64 v[118:119], v[118:119], v[120:121]
	v_fma_f64 v[120:121], -v[128:129], v[132:133], 1.0
	v_fmac_f64_e32 v[132:133], v[132:133], v[120:121]
	v_fma_f64 v[120:121], -v[128:129], v[132:133], 1.0
	v_fmac_f64_e32 v[132:133], v[132:133], v[120:121]
	v_div_scale_f64 v[120:121], vcc, s[86:87], v[126:127], s[86:87]
	v_mul_f64 v[122:123], v[120:121], v[132:133]
	v_add_f64 v[124:125], v[6:7], 2.0
	v_fma_f64 v[120:121], -v[128:129], v[122:123], v[120:121]
	v_div_scale_f64 v[128:129], s[2:3], v[124:125], v[124:125], s[88:89]
	v_rcp_f64_e32 v[130:131], v[128:129]
	v_div_fmas_f64 v[120:121], v[120:121], v[132:133], v[122:123]
	v_div_fixup_f64 v[120:121], v[120:121], v[126:127], s[86:87]
	v_add_f64 v[118:119], v[120:121], v[118:119]
	v_fma_f64 v[120:121], -v[128:129], v[130:131], 1.0
	v_fmac_f64_e32 v[130:131], v[130:131], v[120:121]
	v_fma_f64 v[120:121], -v[128:129], v[130:131], 1.0
	v_fmac_f64_e32 v[130:131], v[130:131], v[120:121]
	v_div_scale_f64 v[120:121], vcc, s[88:89], v[124:125], s[88:89]
	v_mul_f64 v[122:123], v[120:121], v[130:131]
	v_add_f64 v[126:127], v[6:7], 1.0
	v_fma_f64 v[120:121], -v[128:129], v[122:123], v[120:121]
	v_div_scale_f64 v[128:129], s[2:3], v[126:127], v[126:127], s[90:91]
	v_rcp_f64_e32 v[132:133], v[128:129]
	v_div_fmas_f64 v[120:121], v[120:121], v[130:131], v[122:123]
	v_div_fixup_f64 v[120:121], v[120:121], v[124:125], s[88:89]
	v_add_f64 v[118:119], v[118:119], v[120:121]
	v_fma_f64 v[120:121], -v[128:129], v[132:133], 1.0
	v_fmac_f64_e32 v[132:133], v[132:133], v[120:121]
	v_fma_f64 v[120:121], -v[128:129], v[132:133], 1.0
	v_fmac_f64_e32 v[132:133], v[132:133], v[120:121]
	v_div_scale_f64 v[120:121], vcc, s[90:91], v[126:127], s[90:91]
	v_mul_f64 v[122:123], v[120:121], v[132:133]
	v_fma_f64 v[120:121], -v[128:129], v[122:123], v[120:121]
	v_add_f64 v[10:11], v[10:11], 0.5
	s_nop 0
	v_div_fmas_f64 v[120:121], v[120:121], v[132:133], v[122:123]
	v_div_fixup_f64 v[120:121], v[120:121], v[126:127], s[90:91]
	v_add_f64 v[118:119], v[120:121], v[118:119]
	v_add_f64 v[118:119], v[118:119], s[92:93]
	v_frexp_mant_f64_e32 v[120:121], v[118:119]
	v_cmp_gt_f64_e32 vcc, s[30:31], v[120:121]
	v_cndmask_b32_e64 v15, v90, 2.0, vcc
	v_mul_f64 v[120:121], v[120:121], v[14:15]
	v_add_f64 v[122:123], v[120:121], 1.0
	v_rcp_f64_e32 v[124:125], v[122:123]
	v_add_f64 v[128:129], v[122:123], -1.0
	v_add_f64 v[126:127], v[120:121], -1.0
	v_add_f64 v[120:121], v[120:121], -v[128:129]
	v_fma_f64 v[128:129], -v[122:123], v[124:125], 1.0
	v_fmac_f64_e32 v[124:125], v[128:129], v[124:125]
	v_fma_f64 v[128:129], -v[122:123], v[124:125], 1.0
	v_fmac_f64_e32 v[124:125], v[128:129], v[124:125]
	v_mul_f64 v[128:129], v[126:127], v[124:125]
	v_mul_f64 v[130:131], v[122:123], v[128:129]
	v_fma_f64 v[122:123], v[128:129], v[122:123], -v[130:131]
	v_fmac_f64_e32 v[122:123], v[128:129], v[120:121]
	v_add_f64 v[120:121], v[130:131], v[122:123]
	v_add_f64 v[132:133], v[126:127], -v[120:121]
	v_add_f64 v[130:131], v[120:121], -v[130:131]
	;; [unrolled: 1-line block ×5, first 2 shown]
	v_add_f64 v[120:121], v[122:123], v[120:121]
	v_add_f64 v[120:121], v[132:133], v[120:121]
	v_mul_f64 v[120:121], v[124:125], v[120:121]
	v_add_f64 v[122:123], v[128:129], v[120:121]
	v_add_f64 v[124:125], v[122:123], -v[128:129]
	v_add_f64 v[120:121], v[120:121], -v[124:125]
	v_mul_f64 v[124:125], v[122:123], v[122:123]
	v_fma_f64 v[126:127], s[36:37], v[124:125], v[0:1]
	v_fma_f64 v[126:127], v[124:125], v[126:127], s[38:39]
	;; [unrolled: 1-line block ×6, first 2 shown]
	v_ldexp_f64 v[128:129], v[122:123], 1
	v_mul_f64 v[122:123], v[122:123], v[124:125]
	v_mul_f64 v[122:123], v[122:123], v[126:127]
	v_add_f64 v[124:125], v[128:129], v[122:123]
	v_add_f64 v[126:127], v[124:125], -v[128:129]
	v_ldexp_f64 v[120:121], v[120:121], 1
	v_add_f64 v[122:123], v[122:123], -v[126:127]
	v_add_f64 v[120:121], v[120:121], v[122:123]
	v_frexp_exp_i32_f64_e32 v117, v[118:119]
	v_add_f64 v[122:123], v[124:125], v[120:121]
	v_subbrev_co_u32_e32 v15, vcc, 0, v117, vcc
	v_add_f64 v[124:125], v[122:123], -v[124:125]
	v_add_f64 v[120:121], v[120:121], -v[124:125]
	v_cvt_f64_i32_e32 v[124:125], v15
	v_mul_f64 v[126:127], v[124:125], s[48:49]
	v_fma_f64 v[128:129], v[124:125], s[48:49], -v[126:127]
	v_fmac_f64_e32 v[128:129], s[50:51], v[124:125]
	v_add_f64 v[124:125], v[126:127], v[128:129]
	v_add_f64 v[126:127], v[124:125], -v[126:127]
	v_add_f64 v[126:127], v[128:129], -v[126:127]
	v_add_f64 v[128:129], v[124:125], v[122:123]
	v_add_f64 v[130:131], v[128:129], -v[124:125]
	v_add_f64 v[132:133], v[128:129], -v[130:131]
	;; [unrolled: 1-line block ×4, first 2 shown]
	v_add_f64 v[122:123], v[122:123], v[124:125]
	v_add_f64 v[124:125], v[126:127], v[120:121]
	v_add_f64 v[130:131], v[124:125], -v[126:127]
	v_add_f64 v[132:133], v[124:125], -v[130:131]
	v_add_f64 v[122:123], v[124:125], v[122:123]
	v_add_f64 v[126:127], v[126:127], -v[132:133]
	v_add_f64 v[120:121], v[120:121], -v[130:131]
	v_add_f64 v[124:125], v[128:129], v[122:123]
	v_add_f64 v[120:121], v[120:121], v[126:127]
	v_add_f64 v[126:127], v[124:125], -v[128:129]
	v_add_f64 v[122:123], v[122:123], -v[126:127]
	v_add_f64 v[120:121], v[120:121], v[122:123]
	v_add_f64 v[120:121], v[124:125], v[120:121]
	v_cmp_class_f64_e64 vcc, v[118:119], s9
	v_div_scale_f64 v[122:123], s[2:3], s[20:21], s[20:21], v[10:11]
	v_cndmask_b32_e32 v121, v121, v119, vcc
	v_cndmask_b32_e32 v120, v120, v118, vcc
	v_rcp_f64_e32 v[124:125], v[122:123]
	v_add_f64 v[120:121], v[120:121], s[94:95]
	v_add_f64 v[120:121], v[120:121], s[22:23]
	v_cmp_ngt_f64_e32 vcc, 0, v[118:119]
	v_cndmask_b32_e32 v15, v91, v121, vcc
	v_cmp_nge_f64_e32 vcc, 0, v[118:119]
	v_cndmask_b32_e32 v120, 0, v120, vcc
	v_cmp_neq_f64_e32 vcc, 0, v[118:119]
	v_fma_f64 v[118:119], -v[122:123], v[124:125], 1.0
	v_fmac_f64_e32 v[124:125], v[124:125], v[118:119]
	v_fma_f64 v[118:119], -v[122:123], v[124:125], 1.0
	v_cndmask_b32_e32 v121, v92, v15, vcc
	v_fmac_f64_e32 v[124:125], v[124:125], v[118:119]
	v_div_scale_f64 v[118:119], vcc, v[10:11], s[20:21], v[10:11]
	v_mul_f64 v[126:127], v[118:119], v[124:125]
	v_fma_f64 v[118:119], -v[122:123], v[126:127], v[118:119]
	v_add_f64 v[6:7], v[6:7], 0.5
	s_nop 0
	v_div_fmas_f64 v[118:119], v[118:119], v[124:125], v[126:127]
	v_div_fixup_f64 v[10:11], v[118:119], s[20:21], v[10:11]
	v_frexp_mant_f64_e32 v[118:119], v[10:11]
	v_cmp_gt_f64_e32 vcc, s[30:31], v[118:119]
	v_cndmask_b32_e64 v15, v90, 2.0, vcc
	v_mul_f64 v[118:119], v[118:119], v[14:15]
	v_add_f64 v[122:123], v[118:119], 1.0
	v_rcp_f64_e32 v[124:125], v[122:123]
	v_add_f64 v[128:129], v[122:123], -1.0
	v_add_f64 v[126:127], v[118:119], -1.0
	v_add_f64 v[118:119], v[118:119], -v[128:129]
	v_fma_f64 v[128:129], -v[122:123], v[124:125], 1.0
	v_fmac_f64_e32 v[124:125], v[128:129], v[124:125]
	v_fma_f64 v[128:129], -v[122:123], v[124:125], 1.0
	v_fmac_f64_e32 v[124:125], v[128:129], v[124:125]
	v_mul_f64 v[128:129], v[126:127], v[124:125]
	v_mul_f64 v[130:131], v[122:123], v[128:129]
	v_fma_f64 v[122:123], v[128:129], v[122:123], -v[130:131]
	v_fmac_f64_e32 v[122:123], v[128:129], v[118:119]
	v_add_f64 v[118:119], v[130:131], v[122:123]
	v_add_f64 v[132:133], v[126:127], -v[118:119]
	v_add_f64 v[130:131], v[118:119], -v[130:131]
	;; [unrolled: 1-line block ×5, first 2 shown]
	v_add_f64 v[118:119], v[122:123], v[118:119]
	v_add_f64 v[118:119], v[132:133], v[118:119]
	v_mul_f64 v[118:119], v[124:125], v[118:119]
	v_add_f64 v[122:123], v[128:129], v[118:119]
	v_add_f64 v[124:125], v[122:123], -v[128:129]
	v_add_f64 v[118:119], v[118:119], -v[124:125]
	v_mul_f64 v[124:125], v[122:123], v[122:123]
	v_fmac_f64_e32 v[0:1], s[36:37], v[124:125]
	v_fma_f64 v[0:1], v[124:125], v[0:1], s[38:39]
	v_fma_f64 v[0:1], v[124:125], v[0:1], s[40:41]
	;; [unrolled: 1-line block ×5, first 2 shown]
	v_ldexp_f64 v[126:127], v[122:123], 1
	v_mul_f64 v[122:123], v[122:123], v[124:125]
	v_mul_f64 v[0:1], v[122:123], v[0:1]
	v_add_f64 v[122:123], v[126:127], v[0:1]
	v_add_f64 v[124:125], v[122:123], -v[126:127]
	v_ldexp_f64 v[118:119], v[118:119], 1
	v_add_f64 v[0:1], v[0:1], -v[124:125]
	v_add_f64 v[0:1], v[118:119], v[0:1]
	v_frexp_exp_i32_f64_e32 v117, v[10:11]
	v_add_f64 v[118:119], v[122:123], v[0:1]
	v_subbrev_co_u32_e32 v15, vcc, 0, v117, vcc
	v_add_f64 v[122:123], v[118:119], -v[122:123]
	v_add_f64 v[0:1], v[0:1], -v[122:123]
	v_cvt_f64_i32_e32 v[122:123], v15
	v_mul_f64 v[124:125], v[122:123], s[48:49]
	v_fma_f64 v[126:127], v[122:123], s[48:49], -v[124:125]
	v_fmac_f64_e32 v[126:127], s[50:51], v[122:123]
	v_add_f64 v[122:123], v[124:125], v[126:127]
	v_add_f64 v[124:125], v[122:123], -v[124:125]
	v_add_f64 v[124:125], v[126:127], -v[124:125]
	v_add_f64 v[126:127], v[122:123], v[118:119]
	v_add_f64 v[128:129], v[126:127], -v[122:123]
	v_add_f64 v[130:131], v[126:127], -v[128:129]
	;; [unrolled: 1-line block ×4, first 2 shown]
	v_add_f64 v[118:119], v[118:119], v[122:123]
	v_add_f64 v[122:123], v[124:125], v[0:1]
	v_add_f64 v[128:129], v[122:123], -v[124:125]
	v_add_f64 v[130:131], v[122:123], -v[128:129]
	v_add_f64 v[118:119], v[122:123], v[118:119]
	v_add_f64 v[124:125], v[124:125], -v[130:131]
	v_add_f64 v[0:1], v[0:1], -v[128:129]
	v_add_f64 v[122:123], v[126:127], v[118:119]
	v_add_f64 v[0:1], v[0:1], v[124:125]
	v_add_f64 v[124:125], v[122:123], -v[126:127]
	v_add_f64 v[118:119], v[118:119], -v[124:125]
	v_add_f64 v[0:1], v[0:1], v[118:119]
	v_add_f64 v[0:1], v[122:123], v[0:1]
	v_cmp_class_f64_e64 vcc, v[10:11], s9
	v_cndmask_b32_e32 v0, v0, v10, vcc
	v_cndmask_b32_e32 v1, v1, v11, vcc
	v_cmp_ngt_f64_e32 vcc, 0, v[10:11]
	v_cndmask_b32_e32 v1, v91, v1, vcc
	v_cmp_nge_f64_e32 vcc, 0, v[10:11]
	v_cndmask_b32_e32 v0, 0, v0, vcc
	v_cmp_neq_f64_e32 vcc, 0, v[10:11]
	v_cndmask_b32_e32 v1, v92, v1, vcc
	v_fmac_f64_e32 v[120:121], v[6:7], v[0:1]
	v_add_f64 v[0:1], v[4:5], -v[120:121]
	v_cvt_u32_f64_e32 v4, v[8:9]
	v_cmp_le_f64_e32 vcc, v[2:3], v[0:1]
	v_cndmask_b32_e64 v118, 0, 1, vcc
	v_cndmask_b32_e32 v75, v75, v4, vcc
	v_mov_b32_e32 v117, v116
.LBB74_26:                              ;   in Loop: Header=BB74_16 Depth=2
	s_or_b64 exec, exec, s[0:1]
	v_cmp_gt_i32_e32 vcc, 2, v118
	s_or_b64 s[18:19], vcc, s[18:19]
	v_mov_b32_e32 v15, v117
	v_mov_b32_e32 v0, v87
	;; [unrolled: 1-line block ×5, first 2 shown]
	s_andn2_b64 exec, exec, s[18:19]
	s_cbranch_execnz .LBB74_16
; %bb.27:                               ;   in Loop: Header=BB74_16 Depth=2
	s_or_b64 exec, exec, s[18:19]
	v_cmp_ne_u32_e32 vcc, 0, v118
	s_or_b64 s[6:7], vcc, s[6:7]
	s_mov_b64 s[18:19], 0
	v_mov_b32_e32 v15, v117
	v_mov_b32_e32 v0, v87
	;; [unrolled: 1-line block ×5, first 2 shown]
	s_andn2_b64 exec, exec, s[6:7]
	s_cbranch_execnz .LBB74_16
; %bb.28:                               ;   in Loop: Header=BB74_5 Depth=1
	s_or_b64 exec, exec, s[6:7]
	s_mov_b32 s18, s12
	s_mov_b32 s19, s65
                                        ; implicit-def: $vgpr72_vgpr73
                                        ; implicit-def: $vgpr15
                                        ; implicit-def: $vgpr96
                                        ; implicit-def: $vgpr97
                                        ; implicit-def: $vgpr105
                                        ; implicit-def: $vgpr95
                                        ; implicit-def: $vgpr3
                                        ; implicit-def: $vgpr4_vgpr5
                                        ; implicit-def: $vgpr98
                                        ; implicit-def: $vgpr99
                                        ; implicit-def: $vgpr100
                                        ; implicit-def: $vgpr101
                                        ; implicit-def: $vgpr103
                                        ; implicit-def: $vgpr104
                                        ; implicit-def: $vgpr106
                                        ; implicit-def: $vgpr107
                                        ; implicit-def: $vgpr108
                                        ; implicit-def: $vgpr109
                                        ; implicit-def: $vgpr110
                                        ; implicit-def: $vgpr111
                                        ; implicit-def: $vgpr112
                                        ; implicit-def: $vgpr113
                                        ; implicit-def: $vgpr102
                                        ; implicit-def: $vgpr114
.LBB74_29:                              ;   in Loop: Header=BB74_5 Depth=1
	s_andn2_saveexec_b64 s[0:1], s[14:15]
	s_cbranch_execz .LBB74_41
; %bb.30:                               ;   in Loop: Header=BB74_5 Depth=1
	v_add_co_u32_e32 v6, vcc, 1, v96
	v_cndmask_b32_e64 v7, 0, 1, vcc
	v_addc_co_u32_e32 v10, vcc, 0, v97, vcc
	v_cmp_eq_u32_e32 vcc, 0, v10
	v_cndmask_b32_e32 v7, 0, v7, vcc
	v_add_u32_e32 v8, v7, v17
	v_cmp_eq_u32_e32 vcc, 0, v8
	v_cndmask_b32_e32 v11, 0, v7, vcc
	v_mad_u64_u32 v[6:7], s[2:3], v6, s11, 0
	v_mad_u64_u32 v[8:9], s[2:3], v8, s8, 0
	v_xor_b32_e32 v7, v7, v73
	v_xor_b32_e32 v9, v9, v72
	v_xor_b32_e32 v7, v11, v7
	v_xor_b32_e32 v9, v10, v9
	v_mad_u64_u32 v[72:73], s[2:3], v7, s8, 0
	v_mad_u64_u32 v[10:11], s[2:3], v9, s11, 0
	v_xor_b32_e32 v7, v98, v73
	v_xor_b32_e32 v7, v7, v8
	v_xor_b32_e32 v8, v99, v11
	v_xor_b32_e32 v8, v8, v6
	;; [unrolled: 6-line block ×8, first 2 shown]
	v_mad_u64_u32 v[74:75], s[2:3], v7, s11, 0
	v_mad_u64_u32 v[8:9], s[2:3], v6, s8, 0
	v_xor_b32_e32 v6, v114, v75
	v_xor_b32_e32 v6, v6, v10
	v_mad_u64_u32 v[6:7], s[2:3], v6, s8, 0
	v_xor_b32_e32 v7, v7, v8
	v_xor_b32_e32 v10, v105, v7
	v_cmp_lt_i32_e32 vcc, 1, v15
                                        ; implicit-def: $vgpr8
	s_and_saveexec_b64 s[2:3], vcc
	s_xor_b64 s[2:3], exec, s[2:3]
	s_cbranch_execz .LBB74_36
; %bb.31:                               ;   in Loop: Header=BB74_5 Depth=1
	v_cmp_lt_i32_e32 vcc, 2, v15
                                        ; implicit-def: $vgpr8
	s_and_saveexec_b64 s[6:7], vcc
	s_xor_b64 s[6:7], exec, s[6:7]
; %bb.32:                               ;   in Loop: Header=BB74_5 Depth=1
	v_xor_b32_e32 v0, v102, v9
	v_xor_b32_e32 v0, v0, v72
	v_mul_hi_u32 v0, v0, s11
	v_xor_b32_e32 v0, v0, v74
	v_xor_b32_e32 v8, v95, v0
; %bb.33:                               ;   in Loop: Header=BB74_5 Depth=1
	s_andn2_saveexec_b64 s[6:7], s[6:7]
; %bb.34:                               ;   in Loop: Header=BB74_5 Depth=1
	v_mov_b32_e32 v8, v6
	v_mov_b32_e32 v6, v10
	;; [unrolled: 1-line block ×4, first 2 shown]
; %bb.35:                               ;   in Loop: Header=BB74_5 Depth=1
	s_or_b64 exec, exec, s[6:7]
                                        ; implicit-def: $vgpr15
.LBB74_36:                              ;   in Loop: Header=BB74_5 Depth=1
	s_andn2_saveexec_b64 s[2:3], s[2:3]
	s_cbranch_execz .LBB74_40
; %bb.37:                               ;   in Loop: Header=BB74_5 Depth=1
	v_cmp_eq_u32_e32 vcc, 1, v15
	v_mov_b32_e32 v8, v3
	v_mov_b32_e32 v6, v2
	;; [unrolled: 1-line block ×3, first 2 shown]
	s_and_saveexec_b64 s[6:7], vcc
; %bb.38:                               ;   in Loop: Header=BB74_5 Depth=1
	v_mov_b32_e32 v8, v10
	v_mov_b32_e32 v6, v3
	;; [unrolled: 1-line block ×4, first 2 shown]
; %bb.39:                               ;   in Loop: Header=BB74_5 Depth=1
	s_or_b64 exec, exec, s[6:7]
	v_mov_b32_e32 v3, v0
	v_mov_b32_e32 v10, v7
.LBB74_40:                              ;   in Loop: Header=BB74_5 Depth=1
	s_or_b64 exec, exec, s[2:3]
	v_mov_b32_e32 v11, v14
	v_lshlrev_b64 v[0:1], 21, v[10:11]
	v_xor_b32_e32 v2, v0, v3
	v_cvt_f64_u32_e32 v[0:1], v1
	v_ldexp_f64 v[0:1], v[0:1], 32
	v_cvt_f64_u32_e32 v[2:3], v2
	v_add_f64 v[0:1], v[0:1], v[2:3]
	v_mov_b32_e32 v2, 0
	v_mov_b32_e32 v3, 0x3ca00000
	v_fmac_f64_e32 v[2:3], 0x3ca00000, v[0:1]
	v_mov_b32_e32 v9, v14
	v_lshlrev_b64 v[0:1], 21, v[8:9]
	v_frexp_mant_f64_e32 v[8:9], v[2:3]
	v_cmp_gt_f64_e32 vcc, s[30:31], v[8:9]
	v_cndmask_b32_e64 v15, v90, 2.0, vcc
	v_frexp_exp_i32_f64_e32 v10, v[2:3]
	v_mul_f64 v[8:9], v[8:9], v[14:15]
	v_subbrev_co_u32_e32 v15, vcc, 0, v10, vcc
	v_add_f64 v[10:11], v[8:9], 1.0
	v_rcp_f64_e32 v[72:73], v[10:11]
	v_add_f64 v[76:77], v[10:11], -1.0
	v_add_f64 v[74:75], v[8:9], -1.0
	v_add_f64 v[8:9], v[8:9], -v[76:77]
	v_fma_f64 v[76:77], -v[10:11], v[72:73], 1.0
	v_fmac_f64_e32 v[72:73], v[76:77], v[72:73]
	v_fma_f64 v[76:77], -v[10:11], v[72:73], 1.0
	v_fmac_f64_e32 v[72:73], v[76:77], v[72:73]
	v_mul_f64 v[76:77], v[74:75], v[72:73]
	v_mul_f64 v[78:79], v[10:11], v[76:77]
	v_fma_f64 v[10:11], v[76:77], v[10:11], -v[78:79]
	v_fmac_f64_e32 v[10:11], v[76:77], v[8:9]
	v_add_f64 v[8:9], v[78:79], v[10:11]
	v_add_f64 v[80:81], v[74:75], -v[8:9]
	v_add_f64 v[78:79], v[8:9], -v[78:79]
	v_add_f64 v[74:75], v[74:75], -v[80:81]
	v_add_f64 v[8:9], v[74:75], -v[8:9]
	v_add_f64 v[10:11], v[78:79], -v[10:11]
	v_add_f64 v[8:9], v[10:11], v[8:9]
	v_add_f64 v[8:9], v[80:81], v[8:9]
	v_mul_f64 v[8:9], v[72:73], v[8:9]
	v_add_f64 v[10:11], v[76:77], v[8:9]
	v_add_f64 v[72:73], v[10:11], -v[76:77]
	v_add_f64 v[8:9], v[8:9], -v[72:73]
	v_mul_f64 v[72:73], v[10:11], v[10:11]
	v_pk_mov_b32 v[74:75], v[18:19], v[18:19] op_sel:[0,1]
	v_fmac_f64_e32 v[74:75], s[36:37], v[72:73]
	v_pk_mov_b32 v[76:77], v[20:21], v[20:21] op_sel:[0,1]
	v_fmac_f64_e32 v[76:77], v[72:73], v[74:75]
	;; [unrolled: 2-line block ×6, first 2 shown]
	v_ldexp_f64 v[74:75], v[10:11], 1
	v_mul_f64 v[10:11], v[10:11], v[72:73]
	v_mul_f64 v[10:11], v[10:11], v[76:77]
	v_add_f64 v[72:73], v[74:75], v[10:11]
	v_add_f64 v[74:75], v[72:73], -v[74:75]
	v_ldexp_f64 v[8:9], v[8:9], 1
	v_add_f64 v[10:11], v[10:11], -v[74:75]
	v_add_f64 v[8:9], v[8:9], v[10:11]
	v_add_f64 v[10:11], v[72:73], v[8:9]
	v_add_f64 v[72:73], v[10:11], -v[72:73]
	v_add_f64 v[8:9], v[8:9], -v[72:73]
	v_cvt_f64_i32_e32 v[72:73], v15
	v_mul_f64 v[74:75], v[72:73], s[48:49]
	v_fma_f64 v[76:77], v[72:73], s[48:49], -v[74:75]
	v_fmac_f64_e32 v[76:77], s[50:51], v[72:73]
	v_add_f64 v[72:73], v[74:75], v[76:77]
	v_add_f64 v[74:75], v[72:73], -v[74:75]
	v_add_f64 v[74:75], v[76:77], -v[74:75]
	v_add_f64 v[76:77], v[72:73], v[10:11]
	v_add_f64 v[78:79], v[76:77], -v[72:73]
	v_add_f64 v[80:81], v[76:77], -v[78:79]
	;; [unrolled: 1-line block ×4, first 2 shown]
	v_add_f64 v[10:11], v[10:11], v[72:73]
	v_add_f64 v[72:73], v[74:75], v[8:9]
	v_add_f64 v[78:79], v[72:73], -v[74:75]
	v_add_f64 v[80:81], v[72:73], -v[78:79]
	v_add_f64 v[10:11], v[72:73], v[10:11]
	v_add_f64 v[74:75], v[74:75], -v[80:81]
	v_add_f64 v[8:9], v[8:9], -v[78:79]
	v_add_f64 v[72:73], v[76:77], v[10:11]
	v_add_f64 v[8:9], v[8:9], v[74:75]
	v_add_f64 v[74:75], v[72:73], -v[76:77]
	v_add_f64 v[10:11], v[10:11], -v[74:75]
	s_mov_b32 s14, 0
	v_add_f64 v[8:9], v[8:9], v[10:11]
	s_mov_b32 s15, 0x7ff00000
	v_add_f64 v[8:9], v[72:73], v[8:9]
	v_cmp_eq_f64_e32 vcc, s[14:15], v[2:3]
	v_cndmask_b32_e32 v9, v9, v3, vcc
	v_cndmask_b32_e32 v8, v8, v2, vcc
	v_mul_f64 v[8:9], v[8:9], -2.0
	v_cmp_neq_f64_e32 vcc, 0, v[2:3]
	s_mov_b32 s2, 0
	v_cndmask_b32_e32 v3, v93, v9, vcc
	v_cndmask_b32_e32 v2, 0, v8, vcc
	s_brev_b32 s3, 8
	v_cmp_gt_f64_e32 vcc, s[2:3], v[2:3]
	v_cndmask_b32_e64 v8, 0, 1, vcc
	v_lshlrev_b32_e32 v8, 8, v8
	v_ldexp_f64 v[2:3], v[2:3], v8
	v_xor_b32_e32 v6, v0, v6
	v_cvt_f64_u32_e32 v[0:1], v1
	v_rsq_f64_e32 v[8:9], v[2:3]
	v_ldexp_f64 v[0:1], v[0:1], 32
	v_cvt_f64_u32_e32 v[6:7], v6
	v_add_f64 v[0:1], v[0:1], v[6:7]
	v_mov_b32_e32 v6, 0
	v_mov_b32_e32 v7, 0x3cb00000
	v_fmac_f64_e32 v[6:7], 0x3cb00000, v[0:1]
	v_mul_f64 v[0:1], v[2:3], v[8:9]
	v_mul_f64 v[8:9], v[8:9], 0.5
	v_fma_f64 v[10:11], -v[8:9], v[0:1], 0.5
	v_fmac_f64_e32 v[0:1], v[0:1], v[10:11]
	v_fma_f64 v[72:73], -v[0:1], v[0:1], v[2:3]
	v_fmac_f64_e32 v[8:9], v[8:9], v[10:11]
	v_fmac_f64_e32 v[0:1], v[72:73], v[8:9]
	v_fma_f64 v[10:11], -v[0:1], v[0:1], v[2:3]
	v_fmac_f64_e32 v[0:1], v[10:11], v[8:9]
	v_cndmask_b32_e32 v8, 0, v89, vcc
	v_ldexp_f64 v[0:1], v[0:1], v8
	v_cmp_class_f64_e32 vcc, v[2:3], v88
	v_cndmask_b32_e32 v1, v1, v3, vcc
	v_cndmask_b32_e32 v0, v0, v2, vcc
	v_mul_f64 v[2:3], v[6:7], 0.5
	v_fract_f64_e32 v[8:9], v[2:3]
	v_add_f64 v[8:9], v[8:9], v[8:9]
	v_cmp_neq_f64_e32 vcc, s[14:15], v[2:3]
	v_cndmask_b32_e32 v2, 0, v8, vcc
	v_cndmask_b32_e32 v3, 0, v9, vcc
	v_cmp_lt_f64_e32 vcc, 1.0, v[6:7]
	v_cndmask_b32_e32 v3, v7, v3, vcc
	v_cndmask_b32_e32 v2, v6, v2, vcc
	v_add_f64 v[8:9], v[2:3], v[2:3]
	v_rndne_f64_e32 v[8:9], v[8:9]
	v_fmac_f64_e32 v[2:3], -0.5, v[8:9]
	s_mov_b32 s6, 0xf99eb0bb
	v_cvt_i32_f64_e32 v15, v[8:9]
	v_mul_f64 v[8:9], v[2:3], v[2:3]
	v_pk_mov_b32 v[10:11], v[48:49], v[48:49] op_sel:[0,1]
	s_mov_b32 s7, 0x3f3e357e
	v_fmac_f64_e32 v[10:11], s[6:7], v[8:9]
	v_pk_mov_b32 v[72:73], v[50:51], v[50:51] op_sel:[0,1]
	v_fmac_f64_e32 v[72:73], v[8:9], v[10:11]
	v_pk_mov_b32 v[10:11], v[52:53], v[52:53] op_sel:[0,1]
	;; [unrolled: 2-line block ×4, first 2 shown]
	v_fmac_f64_e32 v[10:11], v[8:9], v[72:73]
	v_mul_f64 v[72:73], v[2:3], v[8:9]
	s_mov_b32 s6, 0x54442d18
	v_mul_f64 v[10:11], v[72:73], v[10:11]
	s_mov_b32 s7, 0x400921fb
	v_fmac_f64_e32 v[10:11], s[6:7], v[2:3]
	s_mov_b32 s6, 0x2e21c33
	v_pk_mov_b32 v[2:3], v[58:59], v[58:59] op_sel:[0,1]
	s_mov_b32 s7, 0xbf1b1673
	v_fmac_f64_e32 v[2:3], s[6:7], v[8:9]
	v_pk_mov_b32 v[72:73], v[60:61], v[60:61] op_sel:[0,1]
	v_fmac_f64_e32 v[72:73], v[8:9], v[2:3]
	v_pk_mov_b32 v[2:3], v[62:63], v[62:63] op_sel:[0,1]
	;; [unrolled: 2-line block ×5, first 2 shown]
	v_fmac_f64_e32 v[72:73], v[8:9], v[2:3]
	v_fma_f64 v[2:3], v[8:9], v[72:73], 1.0
	v_and_b32_e32 v9, 1, v15
	v_lshlrev_b32_e32 v8, 30, v15
	v_cmp_eq_u32_e32 vcc, 0, v9
	v_cndmask_b32_e32 v10, v2, v10, vcc
	v_cndmask_b32_e32 v2, v3, v11, vcc
	v_xor_b32_e32 v3, v8, v7
	v_and_b32_e32 v3, 0x80000000, v3
	v_cmp_gt_f64_e32 vcc, s[2:3], v[4:5]
	v_xor_b32_e32 v11, v2, v3
	v_cndmask_b32_e64 v2, 0, 1, vcc
	v_lshlrev_b32_e32 v2, 8, v2
	v_ldexp_f64 v[2:3], v[4:5], v2
	v_rsq_f64_e32 v[8:9], v[2:3]
	v_cmp_lg_f64_e64 s[2:3], s[14:15], v[6:7]
	v_cndmask_b32_e64 v6, 0, v10, s[2:3]
	v_cndmask_b32_e64 v7, v91, v11, s[2:3]
	v_mul_f64 v[0:1], v[0:1], v[6:7]
	v_mul_f64 v[6:7], v[2:3], v[8:9]
	v_mul_f64 v[8:9], v[8:9], 0.5
	v_fma_f64 v[10:11], -v[8:9], v[6:7], 0.5
	v_fmac_f64_e32 v[6:7], v[6:7], v[10:11]
	v_fma_f64 v[72:73], -v[6:7], v[6:7], v[2:3]
	v_fmac_f64_e32 v[8:9], v[8:9], v[10:11]
	v_fmac_f64_e32 v[6:7], v[72:73], v[8:9]
	v_fma_f64 v[10:11], -v[6:7], v[6:7], v[2:3]
	v_fmac_f64_e32 v[6:7], v[10:11], v[8:9]
	v_cndmask_b32_e32 v8, 0, v89, vcc
	v_ldexp_f64 v[6:7], v[6:7], v8
	v_cmp_class_f64_e32 vcc, v[2:3], v88
	v_cndmask_b32_e32 v3, v7, v3, vcc
	v_cndmask_b32_e32 v2, v6, v2, vcc
	v_fmac_f64_e32 v[4:5], v[2:3], v[0:1]
	v_trunc_f64_e32 v[0:1], v[4:5]
	v_add_f64 v[2:3], v[4:5], -v[0:1]
	v_cmp_ge_f64_e64 vcc, |v[2:3]|, 0.5
	v_cndmask_b32_e32 v2, 0, v90, vcc
	s_brev_b32 s2, -2
	v_bfi_b32 v15, s2, v2, v5
	v_add_f64 v[0:1], v[0:1], v[14:15]
	v_cvt_u32_f64_e32 v75, v[0:1]
.LBB74_41:                              ;   in Loop: Header=BB74_5 Depth=1
	s_or_b64 exec, exec, s[0:1]
                                        ; implicit-def: $vgpr6
                                        ; implicit-def: $vgpr72_vgpr73
                                        ; implicit-def: $vgpr15
                                        ; implicit-def: $vgpr96
                                        ; implicit-def: $vgpr97
                                        ; implicit-def: $vgpr105
                                        ; implicit-def: $vgpr95
                                        ; implicit-def: $vgpr3
                                        ; implicit-def: $vgpr4_vgpr5
                                        ; implicit-def: $vgpr98
                                        ; implicit-def: $vgpr99
                                        ; implicit-def: $vgpr100
                                        ; implicit-def: $vgpr101
                                        ; implicit-def: $vgpr103
                                        ; implicit-def: $vgpr104
                                        ; implicit-def: $vgpr106
                                        ; implicit-def: $vgpr107
                                        ; implicit-def: $vgpr108
                                        ; implicit-def: $vgpr109
                                        ; implicit-def: $vgpr110
                                        ; implicit-def: $vgpr111
                                        ; implicit-def: $vgpr112
                                        ; implicit-def: $vgpr113
                                        ; implicit-def: $vgpr102
                                        ; implicit-def: $vgpr114
.LBB74_42:                              ;   in Loop: Header=BB74_5 Depth=1
	s_andn2_saveexec_b64 s[0:1], s[4:5]
	s_cbranch_execz .LBB74_3
; %bb.43:                               ;   in Loop: Header=BB74_5 Depth=1
	s_mov_b32 s12, s54
	v_mul_f64 v[8:9], v[4:5], s[12:13]
	v_rndne_f64_e32 v[10:11], v[8:9]
	s_mov_b32 s56, s48
	v_fma_f64 v[4:5], v[10:11], s[56:57], -v[4:5]
	s_mov_b32 s58, s50
	v_fmac_f64_e32 v[4:5], s[58:59], v[10:11]
	v_pk_mov_b32 v[8:9], v[30:31], v[30:31] op_sel:[0,1]
	v_fmac_f64_e32 v[8:9], s[60:61], v[4:5]
	v_pk_mov_b32 v[74:75], v[32:33], v[32:33] op_sel:[0,1]
	;; [unrolled: 2-line block ×9, first 2 shown]
	v_fmac_f64_e32 v[76:77], v[4:5], v[74:75]
	v_fma_f64 v[74:75], v[4:5], v[76:77], 1.0
	s_mov_b32 s2, 0xc4800000
	v_fma_f64 v[4:5], v[4:5], v[74:75], 1.0
	v_cvt_i32_f64_e32 v7, v[10:11]
	v_cmp_ngt_f32_e32 vcc, s2, v6
	s_mov_b32 s2, 0x44866000
	v_ldexp_f64 v[4:5], v[4:5], v7
	v_cmp_nlt_f32_e64 s[2:3], s2, v6
	v_mov_b32_e32 v8, 0
	v_cndmask_b32_e32 v5, v93, v5, vcc
	s_and_b64 vcc, s[2:3], vcc
	v_mov_b32_e32 v9, 0x3ff00000
	v_mov_b32_e32 v78, 0
	v_cndmask_b32_e64 v11, 0, v5, s[2:3]
	v_cndmask_b32_e32 v10, 0, v4, vcc
	s_mov_b32 s6, -1
	s_mov_b64 s[2:3], 0
	v_mov_b32_e32 v79, v17
	s_branch .LBB74_45
.LBB74_44:                              ;   in Loop: Header=BB74_45 Depth=2
	s_or_b64 exec, exec, s[4:5]
	v_cmp_eq_u32_e32 vcc, 1, v15
	v_cndmask_b32_e32 v0, v0, v1, vcc
	v_cmp_eq_u32_e32 vcc, 2, v15
	v_cndmask_b32_e32 v0, v0, v2, vcc
	;; [unrolled: 2-line block ×6, first 2 shown]
	v_lshrrev_b32_e32 v0, 11, v0
	v_cvt_f64_u32_e32 v[0:1], v0
	v_ldexp_f64 v[0:1], v[0:1], 32
	v_cvt_f64_u32_e32 v[2:3], v2
	v_add_f64 v[0:1], v[0:1], v[2:3]
	v_mov_b32_e32 v2, 0
	v_mov_b32_e32 v3, 0x3ca00000
	v_fmac_f64_e32 v[2:3], 0x3ca00000, v[0:1]
	v_mul_f64 v[8:9], v[8:9], v[2:3]
	v_cmp_ngt_f64_e32 vcc, v[8:9], v[10:11]
	s_add_i32 s6, s6, 1
	s_or_b64 s[2:3], vcc, s[2:3]
	v_mov_b32_e32 v75, s6
	v_mov_b32_e32 v15, v81
	;; [unrolled: 1-line block ×6, first 2 shown]
	s_andn2_b64 exec, exec, s[2:3]
	s_cbranch_execz .LBB74_2
.LBB74_45:                              ;   Parent Loop BB74_5 Depth=1
                                        ; =>  This Inner Loop Header: Depth=2
	v_add_u32_e32 v80, 1, v15
	v_pk_mov_b32 v[6:7], v[2:3], v[2:3] op_sel:[0,1]
	v_cmp_eq_u32_e32 vcc, 4, v80
	v_pk_mov_b32 v[4:5], v[0:1], v[0:1] op_sel:[0,1]
	v_mov_b32_e32 v77, v0
	v_mov_b32_e32 v76, v1
	;; [unrolled: 1-line block ×4, first 2 shown]
	s_and_saveexec_b64 s[4:5], vcc
	s_cbranch_execz .LBB74_47
; %bb.46:                               ;   in Loop: Header=BB74_45 Depth=2
	v_add_co_u32_e32 v96, vcc, 1, v96
	v_cndmask_b32_e64 v4, 0, 1, vcc
	v_addc_co_u32_e32 v97, vcc, 0, v97, vcc
	v_cmp_eq_u32_e32 vcc, 0, v97
	v_cndmask_b32_e32 v4, 0, v4, vcc
	v_add_u32_e32 v79, v4, v79
	v_cmp_eq_u32_e32 vcc, 0, v79
	v_cndmask_b32_e32 v4, 0, v4, vcc
	v_add_u32_e32 v78, v4, v78
	v_mad_u64_u32 v[4:5], s[14:15], v96, s11, 0
	v_mad_u64_u32 v[6:7], s[14:15], v79, s8, 0
	v_xor_b32_e32 v5, v5, v73
	v_xor_b32_e32 v7, v7, v72
	v_xor_b32_e32 v5, v78, v5
	v_xor_b32_e32 v7, v97, v7
	v_mad_u64_u32 v[76:77], s[14:15], v5, s8, 0
	v_mad_u64_u32 v[74:75], s[14:15], v7, s11, 0
	v_xor_b32_e32 v5, v98, v77
	v_xor_b32_e32 v5, v5, v6
	v_xor_b32_e32 v6, v99, v75
	v_xor_b32_e32 v6, v6, v4
	;; [unrolled: 6-line block ×10, first 2 shown]
	v_mov_b32_e32 v80, 0
	v_mov_b32_e32 v5, v76
	;; [unrolled: 1-line block ×5, first 2 shown]
.LBB74_47:                              ;   in Loop: Header=BB74_45 Depth=2
	s_or_b64 exec, exec, s[4:5]
	v_add_u32_e32 v81, 1, v80
	v_cmp_eq_u32_e32 vcc, 4, v81
	s_and_saveexec_b64 s[4:5], vcc
	s_cbranch_execz .LBB74_44
; %bb.48:                               ;   in Loop: Header=BB74_45 Depth=2
	v_add_co_u32_e32 v96, vcc, 1, v96
	v_cndmask_b32_e64 v74, 0, 1, vcc
	v_addc_co_u32_e32 v97, vcc, 0, v97, vcc
	v_cmp_eq_u32_e32 vcc, 0, v97
	v_cndmask_b32_e32 v74, 0, v74, vcc
	v_add_u32_e32 v79, v74, v79
	v_cmp_eq_u32_e32 vcc, 0, v79
	v_cndmask_b32_e32 v74, 0, v74, vcc
	v_add_u32_e32 v78, v74, v78
	v_mad_u64_u32 v[74:75], s[14:15], v96, s11, 0
	v_mad_u64_u32 v[76:77], s[14:15], v79, s8, 0
	v_xor_b32_e32 v75, v75, v73
	v_xor_b32_e32 v77, v77, v72
	v_xor_b32_e32 v75, v78, v75
	v_xor_b32_e32 v77, v97, v77
	v_mad_u64_u32 v[84:85], s[14:15], v75, s8, 0
	v_mad_u64_u32 v[82:83], s[14:15], v77, s11, 0
	v_xor_b32_e32 v75, v98, v85
	v_xor_b32_e32 v75, v75, v76
	v_xor_b32_e32 v76, v99, v83
	v_xor_b32_e32 v76, v76, v74
	;; [unrolled: 6-line block ×9, first 2 shown]
	v_mad_u64_u32 v[74:75], s[14:15], v74, s11, 0
	v_mad_u64_u32 v[76:77], s[14:15], v76, s8, 0
	v_xor_b32_e32 v77, v77, v116
	v_xor_b32_e32 v75, v75, v86
	v_mov_b32_e32 v81, 0
	v_xor_b32_e32 v77, v105, v77
	v_xor_b32_e32 v82, v95, v75
	s_branch .LBB74_44
.LBB74_49:
	s_or_b64 exec, exec, s[16:17]
	s_and_saveexec_b64 s[0:1], s[26:27]
	s_xor_b64 s[0:1], exec, s[0:1]
	s_cbranch_execnz .LBB74_51
.LBB74_50:
	s_endpgm
.LBB74_51:
	s_trap 2
	; divergent unreachable
	s_endpgm
	.section	.rodata,"a",@progbits
	.p2align	6, 0x0
	.amdhsa_kernel _ZN2at4cuda12_GLOBAL__N_121kernelPointwiseApply2IZN12_GLOBAL__N_119poisson_cuda_kernelIfEEvRKNS_10TensorBaseES7_NS_15PhiloxCudaStateEEUlRfRKfE_ffjLin1ELi1ELi1ELi512ELi2EEEvNS0_6detail10TensorInfoIT0_T2_EENSE_IT1_SG_EESG_T_
		.amdhsa_group_segment_fixed_size 0
		.amdhsa_private_segment_fixed_size 0
		.amdhsa_kernarg_size 728
		.amdhsa_user_sgpr_count 6
		.amdhsa_user_sgpr_private_segment_buffer 1
		.amdhsa_user_sgpr_dispatch_ptr 0
		.amdhsa_user_sgpr_queue_ptr 0
		.amdhsa_user_sgpr_kernarg_segment_ptr 1
		.amdhsa_user_sgpr_dispatch_id 0
		.amdhsa_user_sgpr_flat_scratch_init 0
		.amdhsa_user_sgpr_kernarg_preload_length 0
		.amdhsa_user_sgpr_kernarg_preload_offset 0
		.amdhsa_user_sgpr_private_segment_size 0
		.amdhsa_uses_dynamic_stack 0
		.amdhsa_system_sgpr_private_segment_wavefront_offset 0
		.amdhsa_system_sgpr_workgroup_id_x 1
		.amdhsa_system_sgpr_workgroup_id_y 0
		.amdhsa_system_sgpr_workgroup_id_z 0
		.amdhsa_system_sgpr_workgroup_info 0
		.amdhsa_system_vgpr_workitem_id 0
		.amdhsa_next_free_vgpr 135
		.amdhsa_next_free_sgpr 96
		.amdhsa_accum_offset 136
		.amdhsa_reserve_vcc 1
		.amdhsa_reserve_flat_scratch 0
		.amdhsa_float_round_mode_32 0
		.amdhsa_float_round_mode_16_64 0
		.amdhsa_float_denorm_mode_32 3
		.amdhsa_float_denorm_mode_16_64 3
		.amdhsa_dx10_clamp 1
		.amdhsa_ieee_mode 1
		.amdhsa_fp16_overflow 0
		.amdhsa_tg_split 0
		.amdhsa_exception_fp_ieee_invalid_op 0
		.amdhsa_exception_fp_denorm_src 0
		.amdhsa_exception_fp_ieee_div_zero 0
		.amdhsa_exception_fp_ieee_overflow 0
		.amdhsa_exception_fp_ieee_underflow 0
		.amdhsa_exception_fp_ieee_inexact 0
		.amdhsa_exception_int_div_zero 0
	.end_amdhsa_kernel
	.section	.text._ZN2at4cuda12_GLOBAL__N_121kernelPointwiseApply2IZN12_GLOBAL__N_119poisson_cuda_kernelIfEEvRKNS_10TensorBaseES7_NS_15PhiloxCudaStateEEUlRfRKfE_ffjLin1ELi1ELi1ELi512ELi2EEEvNS0_6detail10TensorInfoIT0_T2_EENSE_IT1_SG_EESG_T_,"axG",@progbits,_ZN2at4cuda12_GLOBAL__N_121kernelPointwiseApply2IZN12_GLOBAL__N_119poisson_cuda_kernelIfEEvRKNS_10TensorBaseES7_NS_15PhiloxCudaStateEEUlRfRKfE_ffjLin1ELi1ELi1ELi512ELi2EEEvNS0_6detail10TensorInfoIT0_T2_EENSE_IT1_SG_EESG_T_,comdat
.Lfunc_end74:
	.size	_ZN2at4cuda12_GLOBAL__N_121kernelPointwiseApply2IZN12_GLOBAL__N_119poisson_cuda_kernelIfEEvRKNS_10TensorBaseES7_NS_15PhiloxCudaStateEEUlRfRKfE_ffjLin1ELi1ELi1ELi512ELi2EEEvNS0_6detail10TensorInfoIT0_T2_EENSE_IT1_SG_EESG_T_, .Lfunc_end74-_ZN2at4cuda12_GLOBAL__N_121kernelPointwiseApply2IZN12_GLOBAL__N_119poisson_cuda_kernelIfEEvRKNS_10TensorBaseES7_NS_15PhiloxCudaStateEEUlRfRKfE_ffjLin1ELi1ELi1ELi512ELi2EEEvNS0_6detail10TensorInfoIT0_T2_EENSE_IT1_SG_EESG_T_
                                        ; -- End function
	.section	.AMDGPU.csdata,"",@progbits
; Kernel info:
; codeLenInByte = 13588
; NumSgprs: 100
; NumVgprs: 135
; NumAgprs: 0
; TotalNumVgprs: 135
; ScratchSize: 0
; MemoryBound: 0
; FloatMode: 240
; IeeeMode: 1
; LDSByteSize: 0 bytes/workgroup (compile time only)
; SGPRBlocks: 12
; VGPRBlocks: 16
; NumSGPRsForWavesPerEU: 100
; NumVGPRsForWavesPerEU: 135
; AccumOffset: 136
; Occupancy: 3
; WaveLimiterHint : 1
; COMPUTE_PGM_RSRC2:SCRATCH_EN: 0
; COMPUTE_PGM_RSRC2:USER_SGPR: 6
; COMPUTE_PGM_RSRC2:TRAP_HANDLER: 0
; COMPUTE_PGM_RSRC2:TGID_X_EN: 1
; COMPUTE_PGM_RSRC2:TGID_Y_EN: 0
; COMPUTE_PGM_RSRC2:TGID_Z_EN: 0
; COMPUTE_PGM_RSRC2:TIDIG_COMP_CNT: 0
; COMPUTE_PGM_RSRC3_GFX90A:ACCUM_OFFSET: 33
; COMPUTE_PGM_RSRC3_GFX90A:TG_SPLIT: 0
	.section	.text._ZN2at4cuda12_GLOBAL__N_121kernelPointwiseApply2IZN12_GLOBAL__N_119poisson_cuda_kernelIfEEvRKNS_10TensorBaseES7_NS_15PhiloxCudaStateEEUlRfRKfE_ffjLin1ELi2ELi1ELi512ELi2EEEvNS0_6detail10TensorInfoIT0_T2_EENSE_IT1_SG_EESG_T_,"axG",@progbits,_ZN2at4cuda12_GLOBAL__N_121kernelPointwiseApply2IZN12_GLOBAL__N_119poisson_cuda_kernelIfEEvRKNS_10TensorBaseES7_NS_15PhiloxCudaStateEEUlRfRKfE_ffjLin1ELi2ELi1ELi512ELi2EEEvNS0_6detail10TensorInfoIT0_T2_EENSE_IT1_SG_EESG_T_,comdat
	.globl	_ZN2at4cuda12_GLOBAL__N_121kernelPointwiseApply2IZN12_GLOBAL__N_119poisson_cuda_kernelIfEEvRKNS_10TensorBaseES7_NS_15PhiloxCudaStateEEUlRfRKfE_ffjLin1ELi2ELi1ELi512ELi2EEEvNS0_6detail10TensorInfoIT0_T2_EENSE_IT1_SG_EESG_T_ ; -- Begin function _ZN2at4cuda12_GLOBAL__N_121kernelPointwiseApply2IZN12_GLOBAL__N_119poisson_cuda_kernelIfEEvRKNS_10TensorBaseES7_NS_15PhiloxCudaStateEEUlRfRKfE_ffjLin1ELi2ELi1ELi512ELi2EEEvNS0_6detail10TensorInfoIT0_T2_EENSE_IT1_SG_EESG_T_
	.p2align	8
	.type	_ZN2at4cuda12_GLOBAL__N_121kernelPointwiseApply2IZN12_GLOBAL__N_119poisson_cuda_kernelIfEEvRKNS_10TensorBaseES7_NS_15PhiloxCudaStateEEUlRfRKfE_ffjLin1ELi2ELi1ELi512ELi2EEEvNS0_6detail10TensorInfoIT0_T2_EENSE_IT1_SG_EESG_T_,@function
_ZN2at4cuda12_GLOBAL__N_121kernelPointwiseApply2IZN12_GLOBAL__N_119poisson_cuda_kernelIfEEvRKNS_10TensorBaseES7_NS_15PhiloxCudaStateEEUlRfRKfE_ffjLin1ELi2ELi1ELi512ELi2EEEvNS0_6detail10TensorInfoIT0_T2_EENSE_IT1_SG_EESG_T_: ; @_ZN2at4cuda12_GLOBAL__N_121kernelPointwiseApply2IZN12_GLOBAL__N_119poisson_cuda_kernelIfEEvRKNS_10TensorBaseES7_NS_15PhiloxCudaStateEEUlRfRKfE_ffjLin1ELi2ELi1ELi512ELi2EEEvNS0_6detail10TensorInfoIT0_T2_EENSE_IT1_SG_EESG_T_
; %bb.0:
	s_load_dword s2, s[4:5], 0x1e4
	s_load_dword s33, s[4:5], 0x1b0
	s_add_u32 s0, s4, 0x1d8
	s_addc_u32 s1, s5, 0
	s_waitcnt lgkmcnt(0)
	s_and_b32 s2, s2, 0xffff
	s_mul_i32 s6, s6, s2
	v_add_u32_e32 v17, s6, v0
	v_cmp_gt_u32_e32 vcc, s33, v17
	s_and_saveexec_b64 s[6:7], vcc
	s_cbranch_execz .LBB75_52
; %bb.1:
	s_load_dword s8, s[4:5], 0xe4
	s_load_dwordx2 s[20:21], s[4:5], 0x144
	s_load_dwordx2 s[30:31], s[4:5], 0xd8
	s_load_dword s9, s[4:5], 0xd0
	s_load_dwordx2 s[6:7], s[4:5], 0x1c8
	s_load_dwordx4 s[12:15], s[4:5], 0x1b8
                                        ; implicit-def: $vgpr134 : SGPR spill to VGPR lane
	s_waitcnt lgkmcnt(0)
	v_cvt_f32_u32_e32 v0, s8
	s_mov_b32 s10, 0xcd9e8d57
	s_cmp_gt_i32 s9, 1
	v_writelane_b32 v134, s6, 0
	v_writelane_b32 v134, s7, 1
	;; [unrolled: 1-line block ×6, first 2 shown]
	s_load_dword s11, s[0:1], 0x0
	s_load_dword s3, s[4:5], 0x1d0
	;; [unrolled: 1-line block ×3, first 2 shown]
	v_rcp_iflag_f32_e32 v0, v0
	s_load_dwordx2 s[0:1], s[4:5], 0x0
	s_cselect_b64 s[6:7], -1, 0
	s_waitcnt lgkmcnt(0)
	s_mul_i32 s2, s11, s2
	v_mul_f32_e32 v0, 0x4f7ffffe, v0
	v_cvt_u32_f32_e32 v0, v0
	v_writelane_b32 v134, s0, 6
	v_writelane_b32 v134, s1, 7
	s_getpc_b64 s[0:1]
	s_add_u32 s0, s0, .str@rel32@lo+4
	s_addc_u32 s1, s1, .str@rel32@hi+12
	s_cmp_eq_u64 s[0:1], 0
	s_cselect_b64 s[0:1], -1, 0
	s_bitcmp1_b32 s3, 0
	s_cselect_b64 s[12:13], -1, 0
	v_writelane_b32 v134, s12, 8
	v_writelane_b32 v134, s13, 9
	;; [unrolled: 1-line block ×3, first 2 shown]
	s_sub_i32 s2, 0, s8
	v_mul_lo_u32 v1, s2, v0
	s_add_i32 s2, s9, 1
	s_mov_b32 s3, 0
	v_writelane_b32 v134, s2, 11
	s_add_i32 s2, s9, -1
	s_lshl_b64 s[2:3], s[2:3], 2
	s_add_u32 s2, s2, s4
	s_addc_u32 s3, s3, s5
	s_add_u32 s2, s2, 8
	v_mad_u64_u32 v[12:13], s[12:13], v17, s10, 0
	v_mul_hi_u32 v1, v0, v1
	s_addc_u32 s3, s3, 0
	v_mov_b32_e32 v16, v13
	v_add_u32_e32 v13, v0, v1
	v_writelane_b32 v134, s2, 12
	v_cndmask_b32_e64 v0, 0, 1, s[6:7]
	v_writelane_b32 v134, s3, 13
	v_cmp_ne_u32_e64 s[2:3], 1, v0
	v_writelane_b32 v134, s2, 14
	v_writelane_b32 v134, s3, 15
	s_xor_b64 s[62:63], s[0:1], -1
	s_mov_b32 s1, 0xbff71547
	v_writelane_b32 v134, s0, 16
	s_mov_b32 s26, 0
	s_mov_b32 s34, 0x55555555
	;; [unrolled: 1-line block ×26, first 2 shown]
	s_movk_i32 s94, 0xf950
	s_mov_b32 s24, 0xc864beb5
	s_mov_b32 s22, 0
	;; [unrolled: 1-line block ×3, first 2 shown]
	v_writelane_b32 v134, s1, 17
	s_mov_b64 s[18:19], 0
	v_mov_b32_e32 v14, 0
	s_mov_b32 s11, 0xd2511f53
	s_mov_b32 s27, 0x40080000
	;; [unrolled: 1-line block ×12, first 2 shown]
	s_movk_i32 s9, 0x204
	s_mov_b32 s57, 0x3ff71547
	s_mov_b32 s59, 0xbfe62e42
	;; [unrolled: 1-line block ×3, first 2 shown]
	v_mov_b32_e32 v18, 0x6b47b09a
	v_mov_b32_e32 v20, 0xd7f4df2e
	;; [unrolled: 1-line block ×27, first 2 shown]
	s_mov_b32 s31, s14
	v_mov_b32_e32 v89, 0x260
	v_mov_b32_e32 v90, 0xffffff80
	;; [unrolled: 1-line block ×33, first 2 shown]
	s_mov_b32 s65, 0x3e5ade15
	s_mov_b32 s67, 0x40900000
	;; [unrolled: 1-line block ×19, first 2 shown]
	v_writelane_b32 v134, s20, 18
                                        ; implicit-def: $sgpr14_sgpr15
                                        ; implicit-def: $sgpr54_sgpr55
	v_writelane_b32 v134, s21, 19
	s_branch .LBB75_5
.LBB75_2:                               ;   in Loop: Header=BB75_5 Depth=1
	s_or_b64 exec, exec, s[2:3]
.LBB75_3:                               ;   in Loop: Header=BB75_5 Depth=1
	s_or_b64 exec, exec, s[0:1]
	v_readlane_b32 s0, v134, 6
	v_lshlrev_b64 v[0:1], 2, v[70:71]
	v_readlane_b32 s1, v134, 7
	v_mov_b32_e32 v2, s1
	v_cvt_f32_u32_e32 v3, v75
	v_add_co_u32_e32 v0, vcc, s0, v0
	v_readlane_b32 s0, v134, 10
	v_addc_co_u32_e32 v1, vcc, v2, v1, vcc
	v_add_u32_e32 v95, s0, v95
	v_cmp_le_u32_e32 vcc, s33, v95
	s_andn2_b64 s[54:55], s[54:55], exec
	s_orn2_b64 s[0:1], vcc, exec
	global_store_dword v[0:1], v3, off
.LBB75_4:                               ;   in Loop: Header=BB75_5 Depth=1
	s_or_b64 exec, exec, s[4:5]
	s_and_b64 s[0:1], exec, s[0:1]
	s_or_b64 s[18:19], s[0:1], s[18:19]
	s_andn2_b64 s[0:1], s[14:15], exec
	s_and_b64 s[2:3], s[54:55], exec
	s_or_b64 s[14:15], s[0:1], s[2:3]
	s_andn2_b64 exec, exec, s[18:19]
	s_cbranch_execz .LBB75_51
.LBB75_5:                               ; =>This Loop Header: Depth=1
                                        ;     Child Loop BB75_8 Depth 2
                                        ;     Child Loop BB75_18 Depth 2
	;; [unrolled: 1-line block ×3, first 2 shown]
	v_sub_u32_e32 v0, s33, v95
	v_cmp_lt_i32_e64 s[2:3], 0, v0
	v_pk_mov_b32 v[70:71], 0, 0
	s_and_saveexec_b64 s[0:1], s[2:3]
	s_cbranch_execz .LBB75_10
; %bb.6:                                ;   in Loop: Header=BB75_5 Depth=1
	v_readlane_b32 s4, v134, 14
	v_readlane_b32 s5, v134, 15
	s_and_b64 vcc, exec, s[4:5]
	v_mov_b32_e32 v0, 0
	v_mov_b32_e32 v2, v95
	s_cbranch_vccnz .LBB75_9
; %bb.7:                                ;   in Loop: Header=BB75_5 Depth=1
	v_readlane_b32 s4, v134, 12
	v_mov_b32_e32 v0, 0
	v_readlane_b32 s5, v134, 13
	v_readlane_b32 s6, v134, 11
	v_mov_b32_e32 v2, v95
.LBB75_8:                               ;   Parent Loop BB75_5 Depth=1
                                        ; =>  This Inner Loop Header: Depth=2
	s_load_dword s7, s[4:5], 0x0
	s_load_dword s12, s[4:5], 0x64
	v_mov_b32_e32 v1, v2
	s_add_i32 s6, s6, -1
	s_waitcnt lgkmcnt(0)
	v_cvt_f32_u32_e32 v2, s7
	s_sub_i32 s13, 0, s7
	s_add_u32 s4, s4, -4
	s_addc_u32 s5, s5, -1
	v_rcp_iflag_f32_e32 v2, v2
	s_cmp_gt_u32 s6, 2
	v_mul_f32_e32 v2, 0x4f7ffffe, v2
	v_cvt_u32_f32_e32 v2, v2
	v_mul_lo_u32 v3, s13, v2
	v_mul_hi_u32 v3, v2, v3
	v_add_u32_e32 v2, v2, v3
	v_mul_hi_u32 v2, v1, v2
	v_mul_lo_u32 v3, v2, s7
	v_sub_u32_e32 v3, v1, v3
	v_add_u32_e32 v4, 1, v2
	v_subrev_u32_e32 v5, s7, v3
	v_cmp_le_u32_e32 vcc, s7, v3
	v_cndmask_b32_e32 v2, v2, v4, vcc
	v_cndmask_b32_e32 v3, v3, v5, vcc
	v_add_u32_e32 v4, 1, v2
	v_cmp_le_u32_e32 vcc, s7, v3
	v_cndmask_b32_e32 v2, v2, v4, vcc
	v_mul_lo_u32 v3, v2, s7
	v_sub_u32_e32 v1, v1, v3
	v_mad_u64_u32 v[0:1], s[12:13], s12, v1, v[0:1]
	s_cbranch_scc1 .LBB75_8
.LBB75_9:                               ;   in Loop: Header=BB75_5 Depth=1
	v_mad_u64_u32 v[70:71], s[4:5], s31, v2, v[0:1]
	v_mov_b32_e32 v71, v14
.LBB75_10:                              ;   in Loop: Header=BB75_5 Depth=1
	s_or_b64 exec, exec, s[0:1]
	v_pk_mov_b32 v[0:1], 0, 0
	s_and_saveexec_b64 s[0:1], s[2:3]
	s_cbranch_execz .LBB75_12
; %bb.11:                               ;   in Loop: Header=BB75_5 Depth=1
	v_mul_hi_u32 v0, v95, v13
	v_mul_lo_u32 v1, v0, s8
	v_sub_u32_e32 v1, v95, v1
	v_add_u32_e32 v2, 1, v0
	v_cmp_le_u32_e32 vcc, s8, v1
	v_cndmask_b32_e32 v0, v0, v2, vcc
	v_subrev_u32_e32 v2, s8, v1
	v_cndmask_b32_e32 v1, v1, v2, vcc
	v_add_u32_e32 v2, 1, v0
	v_cmp_le_u32_e32 vcc, s8, v1
	v_cndmask_b32_e32 v1, v0, v2, vcc
	v_mul_lo_u32 v0, v1, s8
	v_sub_u32_e32 v0, v95, v0
	v_mul_lo_u32 v0, v0, s21
	v_mad_u64_u32 v[0:1], s[2:3], v1, s20, v[0:1]
	v_mov_b32_e32 v1, v14
.LBB75_12:                              ;   in Loop: Header=BB75_5 Depth=1
	s_or_b64 exec, exec, s[0:1]
	v_lshlrev_b64 v[0:1], 2, v[0:1]
	v_add_co_u32_e32 v0, vcc, s30, v0
	v_addc_co_u32_e32 v1, vcc, v88, v1, vcc
	global_load_dword v6, v[0:1], off
	s_mov_b64 s[0:1], -1
	s_or_b64 s[54:55], s[54:55], exec
	s_waitcnt vmcnt(0)
	v_cmp_le_f32_e32 vcc, 0, v6
	s_and_b64 s[2:3], s[62:63], vcc
	s_and_saveexec_b64 s[4:5], s[2:3]
	s_cbranch_execz .LBB75_4
; %bb.13:                               ;   in Loop: Header=BB75_5 Depth=1
	v_readlane_b32 s0, v134, 8
	v_readlane_b32 s1, v134, 9
	s_andn2_b64 vcc, exec, s[0:1]
	v_readlane_b32 s0, v134, 2
	v_readlane_b32 s1, v134, 3
	;; [unrolled: 1-line block ×4, first 2 shown]
	v_pk_mov_b32 v[0:1], s[2:3], s[2:3] op_sel:[0,1]
	v_pk_mov_b32 v[72:73], s[0:1], s[0:1] op_sel:[0,1]
	s_cbranch_vccnz .LBB75_15
; %bb.14:                               ;   in Loop: Header=BB75_5 Depth=1
	v_readlane_b32 s0, v134, 2
	v_readlane_b32 s2, v134, 4
	;; [unrolled: 1-line block ×3, first 2 shown]
	v_pk_mov_b32 v[0:1], s[2:3], s[2:3] op_sel:[0,1]
	v_readlane_b32 s1, v134, 3
	flat_load_dwordx2 v[0:1], v[0:1]
	v_pk_mov_b32 v[2:3], s[0:1], s[0:1] op_sel:[0,1]
	flat_load_dwordx2 v[72:73], v[2:3]
	v_readlane_b32 s0, v134, 0
	v_readlane_b32 s1, v134, 1
	v_mov_b32_e32 v2, s1
	s_waitcnt vmcnt(0) lgkmcnt(0)
	v_add_co_u32_e32 v0, vcc, s0, v0
	v_addc_co_u32_e32 v1, vcc, v1, v2, vcc
.LBB75_15:                              ;   in Loop: Header=BB75_5 Depth=1
	v_alignbit_b32 v97, v1, v0, 2
	v_and_b32_e32 v15, 3, v0
	v_lshrrev_b32_e32 v98, 2, v1
	v_mad_u64_u32 v[0:1], s[0:1], v97, s11, 0
	v_xor_b32_e32 v3, v16, v72
	v_mov_b32_e32 v2, v73
	v_xor_b32_e32 v1, v1, v73
	s_mov_b32 s0, 0xbb67ae85
	v_xor_b32_e32 v3, v3, v98
	v_add_co_u32_e32 v100, vcc, s0, v2
	v_mad_u64_u32 v[4:5], s[0:1], v3, s11, 0
	v_mad_u64_u32 v[8:9], s[0:1], v1, s10, 0
	v_add_co_u32_e32 v99, vcc, 0x9e3779b9, v72
	v_xor_b32_e32 v1, v12, v9
	v_xor_b32_e32 v3, v100, v5
	s_mov_b32 s0, 0x3c6ef372
	v_xor_b32_e32 v1, v1, v99
	v_xor_b32_e32 v3, v3, v0
	v_add_co_u32_e32 v101, vcc, s0, v72
	s_mov_b32 s0, 0x76cf5d0a
	v_add_co_u32_e32 v102, vcc, s0, v2
	v_mad_u64_u32 v[0:1], s[0:1], v1, s11, 0
	v_mad_u64_u32 v[10:11], s[0:1], v3, s10, 0
	v_xor_b32_e32 v3, v101, v11
	v_xor_b32_e32 v1, v102, v1
	s_mov_b32 s0, 0xdaa66d2b
	v_xor_b32_e32 v3, v3, v8
	v_xor_b32_e32 v1, v1, v4
	v_add_co_u32_e32 v104, vcc, s0, v72
	s_mov_b32 s0, 0x32370b8f
	v_add_co_u32_e32 v105, vcc, s0, v2
	v_mad_u64_u32 v[4:5], s[0:1], v3, s11, 0
	v_mad_u64_u32 v[8:9], s[0:1], v1, s10, 0
	;; [unrolled: 10-line block ×7, first 2 shown]
	v_xor_b32_e32 v1, v103, v1
	v_xor_b32_e32 v3, v115, v3
	;; [unrolled: 1-line block ×4, first 2 shown]
	v_mad_u64_u32 v[4:5], s[0:1], v1, s11, 0
	v_mad_u64_u32 v[8:9], s[0:1], v7, s10, 0
	v_add_u32_e32 v106, 0x8ff34781, v72
	v_add_u32_e32 v96, 0x96a522ad, v73
	v_xor_b32_e32 v0, v9, v0
	v_xor_b32_e32 v2, v5, v2
	s_mov_b32 s0, 0x42800000
	v_mov_b32_e32 v3, v4
	v_mov_b32_e32 v1, v8
	v_xor_b32_e32 v0, v106, v0
	v_xor_b32_e32 v2, v96, v2
	v_cvt_f64_f32_e32 v[4:5], v6
	v_cmp_ngt_f32_e32 vcc, s0, v6
                                        ; implicit-def: $vgpr75
	s_and_saveexec_b64 s[0:1], vcc
	s_xor_b64 s[6:7], exec, s[0:1]
	s_cbranch_execz .LBB75_44
; %bb.16:                               ;   in Loop: Header=BB75_5 Depth=1
	s_mov_b32 s0, 0x457a0000
	v_cmp_ge_f32_e32 vcc, s0, v6
                                        ; implicit-def: $vgpr75
	s_and_saveexec_b64 s[0:1], vcc
	s_xor_b64 s[16:17], exec, s[0:1]
	s_cbranch_execz .LBB75_31
; %bb.17:                               ;   in Loop: Header=BB75_5 Depth=1
	s_mov_b32 s12, 0xae147ae1
	s_mov_b32 s13, 0xc00ae147
	v_div_scale_f64 v[6:7], s[0:1], v[4:5], v[4:5], s[12:13]
	v_rcp_f64_e32 v[8:9], v[6:7]
	s_mov_b32 s0, 0
	v_mul_f64 v[76:77], v[4:5], s[26:27]
	s_brev_b32 s1, 8
	v_cmp_gt_f64_e64 s[2:3], s[0:1], v[76:77]
	v_cndmask_b32_e64 v78, 0, 1, s[2:3]
	v_fma_f64 v[74:75], -v[6:7], v[8:9], 1.0
	v_lshlrev_b32_e32 v78, 8, v78
	v_fmac_f64_e32 v[8:9], v[8:9], v[74:75]
	v_ldexp_f64 v[76:77], v[76:77], v78
	v_fma_f64 v[74:75], -v[6:7], v[8:9], 1.0
	v_rsq_f64_e32 v[78:79], v[76:77]
	v_div_scale_f64 v[10:11], vcc, s[12:13], v[4:5], s[12:13]
	v_fmac_f64_e32 v[8:9], v[8:9], v[74:75]
	v_mul_f64 v[74:75], v[10:11], v[8:9]
	v_fma_f64 v[6:7], -v[6:7], v[74:75], v[10:11]
	s_nop 0
	v_div_fmas_f64 v[6:7], v[6:7], v[8:9], v[74:75]
	v_mul_f64 v[8:9], v[76:77], v[78:79]
	v_mul_f64 v[10:11], v[78:79], 0.5
	v_fma_f64 v[74:75], -v[10:11], v[8:9], 0.5
	v_fmac_f64_e32 v[8:9], v[8:9], v[74:75]
	v_fma_f64 v[78:79], -v[8:9], v[8:9], v[76:77]
	v_fmac_f64_e32 v[10:11], v[10:11], v[74:75]
	v_fmac_f64_e32 v[8:9], v[78:79], v[10:11]
	v_fma_f64 v[74:75], -v[8:9], v[8:9], v[76:77]
	v_fmac_f64_e32 v[8:9], v[74:75], v[10:11]
	v_cndmask_b32_e64 v10, 0, v90, s[2:3]
	v_ldexp_f64 v[8:9], v[8:9], v10
	v_cmp_class_f64_e32 vcc, v[76:77], v89
	s_mov_b32 s2, 0x54442d18
	v_cndmask_b32_e32 v9, v9, v77, vcc
	v_cndmask_b32_e32 v8, v8, v76, vcc
	s_mov_b32 s3, 0x400921fb
	v_div_scale_f64 v[10:11], s[0:1], v[8:9], v[8:9], s[2:3]
	v_rcp_f64_e32 v[76:77], v[10:11]
	s_mov_b32 s0, 0x95810625
	v_div_fixup_f64 v[6:7], v[6:7], v[4:5], s[12:13]
	s_mov_b32 s1, 0x3fe88b43
	v_fma_f64 v[78:79], -v[10:11], v[76:77], 1.0
	v_fmac_f64_e32 v[76:77], v[76:77], v[78:79]
	v_fma_f64 v[78:79], -v[10:11], v[76:77], 1.0
	v_fmac_f64_e32 v[76:77], v[76:77], v[78:79]
	v_div_scale_f64 v[78:79], vcc, s[2:3], v[8:9], s[2:3]
	v_mul_f64 v[80:81], v[78:79], v[76:77]
	v_fma_f64 v[10:11], -v[10:11], v[80:81], v[78:79]
	v_add_f64 v[6:7], v[6:7], s[0:1]
	s_nop 0
	v_div_fmas_f64 v[10:11], v[10:11], v[76:77], v[80:81]
	v_div_fixup_f64 v[76:77], v[10:11], v[8:9], s[2:3]
	v_frexp_mant_f64_e32 v[8:9], v[6:7]
	v_cmp_gt_f64_e32 vcc, s[34:35], v[8:9]
	v_mov_b32_e32 v74, 0
	v_cndmask_b32_e64 v75, v91, 2.0, vcc
	v_frexp_exp_i32_f64_e32 v10, v[6:7]
	v_mul_f64 v[8:9], v[8:9], v[74:75]
	v_subbrev_co_u32_e32 v75, vcc, 0, v10, vcc
	v_add_f64 v[10:11], v[8:9], 1.0
	v_rcp_f64_e32 v[80:81], v[10:11]
	v_add_f64 v[84:85], v[10:11], -1.0
	v_add_f64 v[82:83], v[8:9], -1.0
	v_add_f64 v[8:9], v[8:9], -v[84:85]
	v_fma_f64 v[84:85], -v[10:11], v[80:81], 1.0
	v_fmac_f64_e32 v[80:81], v[84:85], v[80:81]
	v_fma_f64 v[84:85], -v[10:11], v[80:81], 1.0
	v_fmac_f64_e32 v[80:81], v[84:85], v[80:81]
	v_mul_f64 v[84:85], v[82:83], v[80:81]
	v_mul_f64 v[86:87], v[10:11], v[84:85]
	v_fma_f64 v[10:11], v[84:85], v[10:11], -v[86:87]
	v_fmac_f64_e32 v[10:11], v[84:85], v[8:9]
	v_add_f64 v[8:9], v[86:87], v[10:11]
	v_add_f64 v[116:117], v[82:83], -v[8:9]
	v_add_f64 v[86:87], v[8:9], -v[86:87]
	;; [unrolled: 1-line block ×5, first 2 shown]
	v_add_f64 v[8:9], v[10:11], v[8:9]
	v_add_f64 v[8:9], v[116:117], v[8:9]
	v_mul_f64 v[8:9], v[80:81], v[8:9]
	v_add_f64 v[10:11], v[84:85], v[8:9]
	v_add_f64 v[80:81], v[10:11], -v[84:85]
	v_add_f64 v[8:9], v[8:9], -v[80:81]
	v_mul_f64 v[80:81], v[10:11], v[10:11]
	v_pk_mov_b32 v[82:83], s[36:37], s[36:37] op_sel:[0,1]
	v_fma_f64 v[84:85], s[38:39], v[80:81], v[82:83]
	v_fma_f64 v[84:85], v[80:81], v[84:85], s[40:41]
	;; [unrolled: 1-line block ×5, first 2 shown]
	s_mov_b32 s49, s35
	v_fma_f64 v[84:85], v[80:81], v[84:85], s[48:49]
	v_ldexp_f64 v[86:87], v[10:11], 1
	v_mul_f64 v[10:11], v[10:11], v[80:81]
	v_mul_f64 v[10:11], v[10:11], v[84:85]
	v_add_f64 v[80:81], v[86:87], v[10:11]
	v_add_f64 v[84:85], v[80:81], -v[86:87]
	v_ldexp_f64 v[8:9], v[8:9], 1
	v_add_f64 v[10:11], v[10:11], -v[84:85]
	v_add_f64 v[8:9], v[8:9], v[10:11]
	v_add_f64 v[10:11], v[80:81], v[8:9]
	v_add_f64 v[80:81], v[10:11], -v[80:81]
	v_add_f64 v[8:9], v[8:9], -v[80:81]
	v_cvt_f64_i32_e32 v[80:81], v75
	v_mul_f64 v[84:85], v[80:81], s[50:51]
	v_fma_f64 v[86:87], v[80:81], s[50:51], -v[84:85]
	v_fmac_f64_e32 v[86:87], s[52:53], v[80:81]
	v_add_f64 v[80:81], v[84:85], v[86:87]
	v_add_f64 v[84:85], v[80:81], -v[84:85]
	v_add_f64 v[84:85], v[86:87], -v[84:85]
	v_add_f64 v[86:87], v[80:81], v[10:11]
	v_add_f64 v[116:117], v[86:87], -v[80:81]
	v_add_f64 v[118:119], v[86:87], -v[116:117]
	;; [unrolled: 1-line block ×4, first 2 shown]
	v_add_f64 v[10:11], v[10:11], v[80:81]
	v_add_f64 v[80:81], v[84:85], v[8:9]
	v_add_f64 v[116:117], v[80:81], -v[84:85]
	v_add_f64 v[118:119], v[80:81], -v[116:117]
	v_add_f64 v[10:11], v[80:81], v[10:11]
	v_add_f64 v[84:85], v[84:85], -v[118:119]
	v_add_f64 v[8:9], v[8:9], -v[116:117]
	v_add_f64 v[80:81], v[86:87], v[10:11]
	v_add_f64 v[8:9], v[8:9], v[84:85]
	v_add_f64 v[84:85], v[80:81], -v[86:87]
	v_add_f64 v[10:11], v[10:11], -v[84:85]
	v_add_f64 v[8:9], v[8:9], v[10:11]
	v_add_f64 v[8:9], v[80:81], v[8:9]
	v_cmp_class_f64_e64 vcc, v[6:7], s9
	v_cndmask_b32_e32 v8, v8, v6, vcc
	v_cndmask_b32_e32 v9, v9, v7, vcc
	v_cmp_ngt_f64_e32 vcc, 0, v[6:7]
	v_cndmask_b32_e32 v9, v92, v9, vcc
	v_cmp_nge_f64_e32 vcc, 0, v[6:7]
	v_cndmask_b32_e32 v8, 0, v8, vcc
	v_cmp_neq_f64_e32 vcc, 0, v[6:7]
	v_cndmask_b32_e32 v9, v93, v9, vcc
	v_add_f64 v[6:7], v[8:9], -v[4:5]
	v_frexp_mant_f64_e32 v[8:9], v[76:77]
	v_cmp_gt_f64_e32 vcc, s[34:35], v[8:9]
	v_cndmask_b32_e64 v75, v91, 2.0, vcc
	v_frexp_exp_i32_f64_e32 v10, v[76:77]
	v_mul_f64 v[8:9], v[8:9], v[74:75]
	v_subbrev_co_u32_e32 v75, vcc, 0, v10, vcc
	v_add_f64 v[10:11], v[8:9], 1.0
	v_rcp_f64_e32 v[80:81], v[10:11]
	v_add_f64 v[86:87], v[10:11], -1.0
	v_add_f64 v[84:85], v[8:9], -1.0
	v_add_f64 v[8:9], v[8:9], -v[86:87]
	v_fma_f64 v[86:87], -v[10:11], v[80:81], 1.0
	v_fmac_f64_e32 v[80:81], v[86:87], v[80:81]
	v_fma_f64 v[86:87], -v[10:11], v[80:81], 1.0
	v_fmac_f64_e32 v[80:81], v[86:87], v[80:81]
	v_mul_f64 v[86:87], v[84:85], v[80:81]
	v_mul_f64 v[116:117], v[10:11], v[86:87]
	v_fma_f64 v[10:11], v[86:87], v[10:11], -v[116:117]
	v_fmac_f64_e32 v[10:11], v[86:87], v[8:9]
	v_add_f64 v[8:9], v[116:117], v[10:11]
	v_add_f64 v[118:119], v[84:85], -v[8:9]
	v_add_f64 v[116:117], v[8:9], -v[116:117]
	;; [unrolled: 1-line block ×5, first 2 shown]
	v_add_f64 v[8:9], v[10:11], v[8:9]
	v_add_f64 v[8:9], v[118:119], v[8:9]
	v_mul_f64 v[8:9], v[80:81], v[8:9]
	v_add_f64 v[10:11], v[86:87], v[8:9]
	v_add_f64 v[80:81], v[10:11], -v[86:87]
	v_add_f64 v[8:9], v[8:9], -v[80:81]
	v_mul_f64 v[80:81], v[10:11], v[10:11]
	v_fma_f64 v[84:85], s[38:39], v[80:81], v[82:83]
	v_fma_f64 v[84:85], v[80:81], v[84:85], s[40:41]
	;; [unrolled: 1-line block ×6, first 2 shown]
	v_ldexp_f64 v[86:87], v[10:11], 1
	v_mul_f64 v[10:11], v[10:11], v[80:81]
	v_mul_f64 v[10:11], v[10:11], v[84:85]
	v_add_f64 v[80:81], v[86:87], v[10:11]
	v_add_f64 v[84:85], v[80:81], -v[86:87]
	v_ldexp_f64 v[8:9], v[8:9], 1
	v_add_f64 v[10:11], v[10:11], -v[84:85]
	v_add_f64 v[8:9], v[8:9], v[10:11]
	v_add_f64 v[10:11], v[80:81], v[8:9]
	v_add_f64 v[80:81], v[10:11], -v[80:81]
	v_add_f64 v[8:9], v[8:9], -v[80:81]
	v_cvt_f64_i32_e32 v[80:81], v75
	v_mul_f64 v[84:85], v[80:81], s[50:51]
	v_fma_f64 v[86:87], v[80:81], s[50:51], -v[84:85]
	v_fmac_f64_e32 v[86:87], s[52:53], v[80:81]
	v_add_f64 v[80:81], v[84:85], v[86:87]
	v_add_f64 v[84:85], v[80:81], -v[84:85]
	v_add_f64 v[84:85], v[86:87], -v[84:85]
	v_add_f64 v[86:87], v[80:81], v[10:11]
	v_add_f64 v[116:117], v[86:87], -v[80:81]
	v_add_f64 v[118:119], v[86:87], -v[116:117]
	;; [unrolled: 1-line block ×4, first 2 shown]
	v_add_f64 v[10:11], v[10:11], v[80:81]
	v_add_f64 v[80:81], v[84:85], v[8:9]
	v_add_f64 v[116:117], v[80:81], -v[84:85]
	v_add_f64 v[118:119], v[80:81], -v[116:117]
	v_add_f64 v[10:11], v[80:81], v[10:11]
	v_add_f64 v[84:85], v[84:85], -v[118:119]
	v_add_f64 v[8:9], v[8:9], -v[116:117]
	v_add_f64 v[80:81], v[86:87], v[10:11]
	v_add_f64 v[8:9], v[8:9], v[84:85]
	v_add_f64 v[84:85], v[80:81], -v[86:87]
	v_add_f64 v[10:11], v[10:11], -v[84:85]
	s_mov_b32 s0, 0
	v_add_f64 v[8:9], v[8:9], v[10:11]
	s_mov_b32 s1, 0x7ff00000
	v_add_f64 v[8:9], v[80:81], v[8:9]
	v_cmp_eq_f64_e32 vcc, s[0:1], v[76:77]
	v_cndmask_b32_e32 v8, v8, v76, vcc
	v_cndmask_b32_e32 v9, v9, v77, vcc
	v_cmp_neq_f64_e32 vcc, 0, v[76:77]
	v_cndmask_b32_e32 v9, v93, v9, vcc
	v_cndmask_b32_e32 v8, 0, v8, vcc
	v_mul_f64 v[78:79], v[76:77], v[4:5]
	v_add_f64 v[80:81], v[6:7], -v[8:9]
	v_frexp_exp_i32_f64_e32 v6, v[4:5]
	v_frexp_mant_f64_e32 v[4:5], v[4:5]
	v_cmp_gt_f64_e32 vcc, s[34:35], v[4:5]
	v_cndmask_b32_e64 v75, v91, 2.0, vcc
	v_mul_f64 v[4:5], v[4:5], v[74:75]
	v_subbrev_co_u32_e32 v75, vcc, 0, v6, vcc
	v_add_f64 v[6:7], v[4:5], 1.0
	v_rcp_f64_e32 v[8:9], v[6:7]
	v_add_f64 v[84:85], v[6:7], -1.0
	v_add_f64 v[10:11], v[4:5], -1.0
	v_add_f64 v[4:5], v[4:5], -v[84:85]
	v_fma_f64 v[84:85], -v[6:7], v[8:9], 1.0
	v_fmac_f64_e32 v[8:9], v[84:85], v[8:9]
	v_fma_f64 v[84:85], -v[6:7], v[8:9], 1.0
	v_fmac_f64_e32 v[8:9], v[84:85], v[8:9]
	v_mul_f64 v[84:85], v[10:11], v[8:9]
	v_mul_f64 v[86:87], v[6:7], v[84:85]
	v_fma_f64 v[6:7], v[84:85], v[6:7], -v[86:87]
	v_fmac_f64_e32 v[6:7], v[84:85], v[4:5]
	v_add_f64 v[4:5], v[86:87], v[6:7]
	v_add_f64 v[116:117], v[10:11], -v[4:5]
	v_add_f64 v[86:87], v[4:5], -v[86:87]
	v_add_f64 v[10:11], v[10:11], -v[116:117]
	v_add_f64 v[4:5], v[10:11], -v[4:5]
	v_add_f64 v[6:7], v[86:87], -v[6:7]
	v_add_f64 v[4:5], v[6:7], v[4:5]
	v_add_f64 v[4:5], v[116:117], v[4:5]
	v_mul_f64 v[4:5], v[8:9], v[4:5]
	v_add_f64 v[6:7], v[84:85], v[4:5]
	v_add_f64 v[8:9], v[6:7], -v[84:85]
	v_add_f64 v[4:5], v[4:5], -v[8:9]
	v_mul_f64 v[8:9], v[6:7], v[6:7]
	v_fmac_f64_e32 v[82:83], s[38:39], v[8:9]
	v_fma_f64 v[10:11], v[8:9], v[82:83], s[40:41]
	v_fma_f64 v[10:11], v[8:9], v[10:11], s[42:43]
	;; [unrolled: 1-line block ×5, first 2 shown]
	v_ldexp_f64 v[82:83], v[6:7], 1
	v_mul_f64 v[6:7], v[6:7], v[8:9]
	v_mul_f64 v[6:7], v[6:7], v[10:11]
	v_add_f64 v[8:9], v[82:83], v[6:7]
	v_add_f64 v[10:11], v[8:9], -v[82:83]
	v_ldexp_f64 v[4:5], v[4:5], 1
	v_add_f64 v[6:7], v[6:7], -v[10:11]
	v_add_f64 v[4:5], v[4:5], v[6:7]
	v_add_f64 v[6:7], v[8:9], v[4:5]
	v_add_f64 v[8:9], v[6:7], -v[8:9]
	v_add_f64 v[4:5], v[4:5], -v[8:9]
	v_cvt_f64_i32_e32 v[8:9], v75
	v_mul_f64 v[10:11], v[8:9], s[50:51]
	v_fma_f64 v[82:83], v[8:9], s[50:51], -v[10:11]
	v_fmac_f64_e32 v[82:83], s[52:53], v[8:9]
	v_add_f64 v[8:9], v[10:11], v[82:83]
	v_add_f64 v[10:11], v[8:9], -v[10:11]
	v_add_f64 v[10:11], v[82:83], -v[10:11]
	v_add_f64 v[82:83], v[8:9], v[6:7]
	v_add_f64 v[84:85], v[82:83], -v[8:9]
	v_add_f64 v[86:87], v[82:83], -v[84:85]
	v_add_f64 v[8:9], v[8:9], -v[86:87]
	v_add_f64 v[6:7], v[6:7], -v[84:85]
	v_add_f64 v[6:7], v[6:7], v[8:9]
	v_add_f64 v[8:9], v[10:11], v[4:5]
	v_add_f64 v[84:85], v[8:9], -v[10:11]
	v_add_f64 v[86:87], v[8:9], -v[84:85]
	v_add_f64 v[6:7], v[8:9], v[6:7]
	v_add_f64 v[10:11], v[10:11], -v[86:87]
	v_add_f64 v[4:5], v[4:5], -v[84:85]
	v_add_f64 v[8:9], v[82:83], v[6:7]
	v_add_f64 v[4:5], v[4:5], v[10:11]
	v_add_f64 v[10:11], v[8:9], -v[82:83]
	v_add_f64 v[6:7], v[6:7], -v[10:11]
	v_add_f64 v[4:5], v[4:5], v[6:7]
	v_add_f64 v[82:83], v[8:9], v[4:5]
	s_mov_b64 s[12:13], 0
	s_mov_b64 s[20:21], 0
	v_mov_b32_e32 v116, v17
                                        ; implicit-def: $vgpr75
.LBB75_18:                              ;   Parent Loop BB75_5 Depth=1
                                        ; =>  This Inner Loop Header: Depth=2
	v_add_u32_e32 v117, 1, v15
	v_pk_mov_b32 v[10:11], v[2:3], v[2:3] op_sel:[0,1]
	v_cmp_eq_u32_e32 vcc, 4, v117
	v_pk_mov_b32 v[8:9], v[0:1], v[0:1] op_sel:[0,1]
	v_mov_b32_e32 v87, v0
	v_mov_b32_e32 v86, v1
	;; [unrolled: 1-line block ×4, first 2 shown]
	s_and_saveexec_b64 s[0:1], vcc
	s_cbranch_execz .LBB75_20
; %bb.19:                               ;   in Loop: Header=BB75_18 Depth=2
	v_add_co_u32_e32 v97, vcc, 1, v97
	v_cndmask_b32_e64 v4, 0, 1, vcc
	v_addc_co_u32_e32 v98, vcc, 0, v98, vcc
	v_cmp_eq_u32_e32 vcc, 0, v98
	v_cndmask_b32_e32 v4, 0, v4, vcc
	v_add_u32_e32 v116, v4, v116
	v_cmp_eq_u32_e32 vcc, 0, v116
	v_cndmask_b32_e32 v4, 0, v4, vcc
	v_add_u32_e32 v74, v4, v74
	v_mad_u64_u32 v[4:5], s[2:3], v97, s11, 0
	v_mad_u64_u32 v[6:7], s[2:3], v116, s10, 0
	v_xor_b32_e32 v5, v5, v73
	v_xor_b32_e32 v7, v7, v72
	v_xor_b32_e32 v5, v74, v5
	v_xor_b32_e32 v7, v98, v7
	v_mad_u64_u32 v[10:11], s[2:3], v5, s10, 0
	v_mad_u64_u32 v[8:9], s[2:3], v7, s11, 0
	v_xor_b32_e32 v5, v99, v11
	v_xor_b32_e32 v5, v5, v6
	v_xor_b32_e32 v6, v100, v9
	v_xor_b32_e32 v6, v6, v4
	;; [unrolled: 6-line block ×10, first 2 shown]
	v_mov_b32_e32 v117, 0
	v_mov_b32_e32 v9, v86
	;; [unrolled: 1-line block ×5, first 2 shown]
.LBB75_20:                              ;   in Loop: Header=BB75_18 Depth=2
	s_or_b64 exec, exec, s[0:1]
	v_add_u32_e32 v118, 1, v117
	v_pk_mov_b32 v[4:5], v[8:9], v[8:9] op_sel:[0,1]
	v_cmp_eq_u32_e32 vcc, 4, v118
	v_pk_mov_b32 v[6:7], v[10:11], v[10:11] op_sel:[0,1]
	s_and_saveexec_b64 s[0:1], vcc
	s_cbranch_execz .LBB75_22
; %bb.21:                               ;   in Loop: Header=BB75_18 Depth=2
	v_add_co_u32_e32 v97, vcc, 1, v97
	v_cndmask_b32_e64 v4, 0, 1, vcc
	v_addc_co_u32_e32 v98, vcc, 0, v98, vcc
	v_cmp_eq_u32_e32 vcc, 0, v98
	v_cndmask_b32_e32 v4, 0, v4, vcc
	v_add_u32_e32 v116, v4, v116
	v_cmp_eq_u32_e32 vcc, 0, v116
	v_cndmask_b32_e32 v4, 0, v4, vcc
	v_add_u32_e32 v74, v4, v74
	v_mad_u64_u32 v[4:5], s[2:3], v97, s11, 0
	v_mad_u64_u32 v[6:7], s[2:3], v116, s10, 0
	v_xor_b32_e32 v5, v5, v73
	v_xor_b32_e32 v7, v7, v72
	v_xor_b32_e32 v5, v74, v5
	v_xor_b32_e32 v7, v98, v7
	v_mad_u64_u32 v[86:87], s[2:3], v5, s10, 0
	v_mad_u64_u32 v[84:85], s[2:3], v7, s11, 0
	v_xor_b32_e32 v5, v99, v87
	v_xor_b32_e32 v5, v5, v6
	v_xor_b32_e32 v6, v100, v85
	v_xor_b32_e32 v6, v6, v4
	;; [unrolled: 6-line block ×10, first 2 shown]
	v_mov_b32_e32 v118, 0
	v_mov_b32_e32 v5, v86
	;; [unrolled: 1-line block ×5, first 2 shown]
.LBB75_22:                              ;   in Loop: Header=BB75_18 Depth=2
	s_or_b64 exec, exec, s[0:1]
	v_cmp_eq_u32_e32 vcc, 1, v15
	v_cndmask_b32_e32 v0, v0, v1, vcc
	v_cmp_eq_u32_e32 vcc, 2, v15
	v_cndmask_b32_e32 v0, v0, v2, vcc
	;; [unrolled: 2-line block ×6, first 2 shown]
	v_lshrrev_b32_e32 v0, 11, v0
	v_cvt_f64_u32_e32 v[0:1], v0
	v_ldexp_f64 v[0:1], v[0:1], 32
	v_cvt_f64_u32_e32 v[2:3], v2
	v_add_f64 v[0:1], v[0:1], v[2:3]
	v_mov_b32_e32 v2, 0
	v_mov_b32_e32 v3, 0x3ca00000
	v_fmac_f64_e32 v[2:3], 0x3ca00000, v[0:1]
	v_add_f64 v[0:1], -v[2:3], 1.0
	v_div_scale_f64 v[8:9], s[0:1], v[2:3], v[2:3], v[0:1]
	v_rcp_f64_e32 v[10:11], v[8:9]
	v_mov_b32_e32 v119, 2
	v_fma_f64 v[120:121], -v[8:9], v[10:11], 1.0
	v_fmac_f64_e32 v[10:11], v[10:11], v[120:121]
	v_fma_f64 v[120:121], -v[8:9], v[10:11], 1.0
	v_fmac_f64_e32 v[10:11], v[10:11], v[120:121]
	v_div_scale_f64 v[120:121], vcc, v[0:1], v[2:3], v[0:1]
	v_mul_f64 v[122:123], v[120:121], v[10:11]
	v_fma_f64 v[8:9], -v[8:9], v[122:123], v[120:121]
	s_nop 1
	v_div_fmas_f64 v[8:9], v[8:9], v[10:11], v[122:123]
	v_div_fixup_f64 v[0:1], v[8:9], v[2:3], v[0:1]
	v_frexp_mant_f64_e32 v[2:3], v[0:1]
	v_cmp_gt_f64_e32 vcc, s[34:35], v[2:3]
	v_cndmask_b32_e64 v15, v91, 2.0, vcc
	v_frexp_exp_i32_f64_e32 v8, v[0:1]
	v_mul_f64 v[2:3], v[2:3], v[14:15]
	v_subbrev_co_u32_e32 v15, vcc, 0, v8, vcc
	v_add_f64 v[8:9], v[2:3], 1.0
	v_rcp_f64_e32 v[10:11], v[8:9]
	v_add_f64 v[122:123], v[8:9], -1.0
	v_add_f64 v[120:121], v[2:3], -1.0
	v_add_f64 v[2:3], v[2:3], -v[122:123]
	v_fma_f64 v[122:123], -v[8:9], v[10:11], 1.0
	v_fmac_f64_e32 v[10:11], v[122:123], v[10:11]
	v_fma_f64 v[122:123], -v[8:9], v[10:11], 1.0
	v_fmac_f64_e32 v[10:11], v[122:123], v[10:11]
	v_mul_f64 v[122:123], v[120:121], v[10:11]
	v_mul_f64 v[124:125], v[8:9], v[122:123]
	v_fma_f64 v[8:9], v[122:123], v[8:9], -v[124:125]
	v_fmac_f64_e32 v[8:9], v[122:123], v[2:3]
	v_add_f64 v[2:3], v[124:125], v[8:9]
	v_add_f64 v[126:127], v[120:121], -v[2:3]
	v_add_f64 v[124:125], v[2:3], -v[124:125]
	;; [unrolled: 1-line block ×5, first 2 shown]
	v_add_f64 v[2:3], v[8:9], v[2:3]
	v_add_f64 v[2:3], v[126:127], v[2:3]
	v_mul_f64 v[2:3], v[10:11], v[2:3]
	v_add_f64 v[8:9], v[122:123], v[2:3]
	v_add_f64 v[10:11], v[8:9], -v[122:123]
	v_add_f64 v[2:3], v[2:3], -v[10:11]
	v_mul_f64 v[10:11], v[8:9], v[8:9]
	v_pk_mov_b32 v[120:121], v[18:19], v[18:19] op_sel:[0,1]
	v_fmac_f64_e32 v[120:121], s[38:39], v[10:11]
	v_pk_mov_b32 v[122:123], v[20:21], v[20:21] op_sel:[0,1]
	v_fmac_f64_e32 v[122:123], v[10:11], v[120:121]
	;; [unrolled: 2-line block ×6, first 2 shown]
	v_ldexp_f64 v[120:121], v[8:9], 1
	v_mul_f64 v[8:9], v[8:9], v[10:11]
	v_mul_f64 v[8:9], v[8:9], v[122:123]
	v_add_f64 v[10:11], v[120:121], v[8:9]
	v_add_f64 v[120:121], v[10:11], -v[120:121]
	v_ldexp_f64 v[2:3], v[2:3], 1
	v_add_f64 v[8:9], v[8:9], -v[120:121]
	v_add_f64 v[2:3], v[2:3], v[8:9]
	v_add_f64 v[8:9], v[10:11], v[2:3]
	v_add_f64 v[10:11], v[8:9], -v[10:11]
	v_add_f64 v[2:3], v[2:3], -v[10:11]
	v_cvt_f64_i32_e32 v[10:11], v15
	v_mul_f64 v[120:121], v[10:11], s[50:51]
	v_fma_f64 v[122:123], v[10:11], s[50:51], -v[120:121]
	v_fmac_f64_e32 v[122:123], s[52:53], v[10:11]
	v_add_f64 v[10:11], v[120:121], v[122:123]
	v_add_f64 v[120:121], v[10:11], -v[120:121]
	v_add_f64 v[120:121], v[122:123], -v[120:121]
	v_add_f64 v[122:123], v[10:11], v[8:9]
	v_add_f64 v[124:125], v[122:123], -v[10:11]
	v_add_f64 v[126:127], v[122:123], -v[124:125]
	;; [unrolled: 1-line block ×4, first 2 shown]
	v_add_f64 v[8:9], v[8:9], v[10:11]
	v_add_f64 v[10:11], v[120:121], v[2:3]
	v_add_f64 v[124:125], v[10:11], -v[120:121]
	v_add_f64 v[126:127], v[10:11], -v[124:125]
	v_add_f64 v[8:9], v[10:11], v[8:9]
	v_add_f64 v[120:121], v[120:121], -v[126:127]
	v_add_f64 v[2:3], v[2:3], -v[124:125]
	v_add_f64 v[10:11], v[122:123], v[8:9]
	v_add_f64 v[2:3], v[2:3], v[120:121]
	v_add_f64 v[120:121], v[10:11], -v[122:123]
	v_add_f64 v[8:9], v[8:9], -v[120:121]
	v_add_f64 v[2:3], v[2:3], v[8:9]
	v_add_f64 v[2:3], v[10:11], v[2:3]
	v_cmp_class_f64_e64 vcc, v[0:1], s9
	v_cndmask_b32_e32 v2, v2, v0, vcc
	v_cndmask_b32_e32 v3, v3, v1, vcc
	v_cmp_ngt_f64_e32 vcc, 0, v[0:1]
	v_cndmask_b32_e32 v3, v92, v3, vcc
	v_cmp_nge_f64_e32 vcc, 0, v[0:1]
	v_cndmask_b32_e32 v2, 0, v2, vcc
	v_cmp_neq_f64_e32 vcc, 0, v[0:1]
	v_cndmask_b32_e32 v3, v93, v3, vcc
	v_add_f64 v[0:1], v[78:79], -v[2:3]
	v_div_scale_f64 v[2:3], s[0:1], v[76:77], v[76:77], v[0:1]
	v_rcp_f64_e32 v[8:9], v[2:3]
	v_fma_f64 v[10:11], -v[2:3], v[8:9], 1.0
	v_fmac_f64_e32 v[8:9], v[8:9], v[10:11]
	v_fma_f64 v[10:11], -v[2:3], v[8:9], 1.0
	v_fmac_f64_e32 v[8:9], v[8:9], v[10:11]
	v_div_scale_f64 v[10:11], vcc, v[0:1], v[76:77], v[0:1]
	v_mul_f64 v[120:121], v[10:11], v[8:9]
	v_fma_f64 v[2:3], -v[2:3], v[120:121], v[10:11]
	s_nop 1
	v_div_fmas_f64 v[2:3], v[2:3], v[8:9], v[120:121]
	v_div_fixup_f64 v[10:11], v[2:3], v[76:77], v[0:1]
	v_add_f64 v[0:1], v[10:11], 0.5
	v_floor_f64_e32 v[8:9], v[0:1]
	v_cmp_ngt_f64_e32 vcc, 0, v[8:9]
	s_and_saveexec_b64 s[0:1], vcc
	s_cbranch_execz .LBB75_28
; %bb.23:                               ;   in Loop: Header=BB75_18 Depth=2
	v_add_u32_e32 v15, 1, v118
	v_pk_mov_b32 v[0:1], v[4:5], v[4:5] op_sel:[0,1]
	v_cmp_eq_u32_e32 vcc, 4, v15
	v_pk_mov_b32 v[2:3], v[6:7], v[6:7] op_sel:[0,1]
	s_and_saveexec_b64 s[2:3], vcc
	s_cbranch_execz .LBB75_25
; %bb.24:                               ;   in Loop: Header=BB75_18 Depth=2
	v_add_co_u32_e32 v97, vcc, 1, v97
	v_cndmask_b32_e64 v0, 0, 1, vcc
	v_addc_co_u32_e32 v98, vcc, 0, v98, vcc
	v_cmp_eq_u32_e32 vcc, 0, v98
	v_cndmask_b32_e32 v0, 0, v0, vcc
	v_add_u32_e32 v116, v0, v116
	v_cmp_eq_u32_e32 vcc, 0, v116
	v_cndmask_b32_e32 v0, 0, v0, vcc
	v_add_u32_e32 v74, v0, v74
	v_mad_u64_u32 v[0:1], vcc, v97, s11, 0
	v_mad_u64_u32 v[2:3], vcc, v116, s10, 0
	v_xor_b32_e32 v1, v1, v73
	v_xor_b32_e32 v3, v3, v72
	v_xor_b32_e32 v1, v74, v1
	v_xor_b32_e32 v3, v98, v3
	v_mad_u64_u32 v[86:87], vcc, v1, s10, 0
	v_mad_u64_u32 v[84:85], vcc, v3, s11, 0
	v_xor_b32_e32 v1, v99, v87
	v_xor_b32_e32 v1, v1, v2
	v_xor_b32_e32 v2, v100, v85
	v_xor_b32_e32 v2, v2, v0
	;; [unrolled: 6-line block ×10, first 2 shown]
	v_mov_b32_e32 v15, 0
	v_mov_b32_e32 v1, v86
	;; [unrolled: 1-line block ×5, first 2 shown]
.LBB75_25:                              ;   in Loop: Header=BB75_18 Depth=2
	s_or_b64 exec, exec, s[2:3]
	v_add_u32_e32 v117, 1, v15
	v_cmp_eq_u32_e32 vcc, 4, v117
	s_and_saveexec_b64 s[2:3], vcc
	s_cbranch_execz .LBB75_27
; %bb.26:                               ;   in Loop: Header=BB75_18 Depth=2
	v_add_co_u32_e32 v97, vcc, 1, v97
	v_cndmask_b32_e64 v84, 0, 1, vcc
	v_addc_co_u32_e32 v98, vcc, 0, v98, vcc
	v_cmp_eq_u32_e32 vcc, 0, v98
	v_cndmask_b32_e32 v84, 0, v84, vcc
	v_add_u32_e32 v116, v84, v116
	v_cmp_eq_u32_e32 vcc, 0, v116
	v_cndmask_b32_e32 v84, 0, v84, vcc
	v_add_u32_e32 v74, v84, v74
	v_mad_u64_u32 v[84:85], vcc, v97, s11, 0
	v_mad_u64_u32 v[86:87], vcc, v116, s10, 0
	v_xor_b32_e32 v85, v85, v73
	v_xor_b32_e32 v87, v87, v72
	v_xor_b32_e32 v85, v74, v85
	v_xor_b32_e32 v87, v98, v87
	v_mad_u64_u32 v[122:123], vcc, v85, s10, 0
	v_mad_u64_u32 v[120:121], vcc, v87, s11, 0
	v_xor_b32_e32 v85, v99, v123
	v_xor_b32_e32 v85, v85, v86
	v_xor_b32_e32 v86, v100, v121
	v_xor_b32_e32 v86, v86, v84
	v_mad_u64_u32 v[84:85], vcc, v85, s11, 0
	v_mad_u64_u32 v[86:87], vcc, v86, s10, 0
	v_xor_b32_e32 v85, v102, v85
	v_xor_b32_e32 v87, v101, v87
	v_xor_b32_e32 v85, v85, v120
	v_xor_b32_e32 v87, v87, v122
	v_mad_u64_u32 v[122:123], vcc, v85, s10, 0
	v_mad_u64_u32 v[120:121], vcc, v87, s11, 0
	v_xor_b32_e32 v85, v104, v123
	v_xor_b32_e32 v85, v85, v86
	v_xor_b32_e32 v86, v105, v121
	v_xor_b32_e32 v86, v86, v84
	v_mad_u64_u32 v[84:85], vcc, v85, s11, 0
	v_mad_u64_u32 v[86:87], vcc, v86, s10, 0
	v_xor_b32_e32 v85, v108, v85
	v_xor_b32_e32 v87, v107, v87
	v_xor_b32_e32 v85, v85, v120
	v_xor_b32_e32 v87, v87, v122
	v_mad_u64_u32 v[122:123], vcc, v85, s10, 0
	v_mad_u64_u32 v[120:121], vcc, v87, s11, 0
	v_xor_b32_e32 v85, v109, v123
	v_xor_b32_e32 v85, v85, v86
	v_xor_b32_e32 v86, v110, v121
	v_xor_b32_e32 v86, v86, v84
	v_mad_u64_u32 v[84:85], vcc, v85, s11, 0
	v_mad_u64_u32 v[86:87], vcc, v86, s10, 0
	v_xor_b32_e32 v85, v112, v85
	v_xor_b32_e32 v87, v111, v87
	v_xor_b32_e32 v85, v85, v120
	v_xor_b32_e32 v87, v87, v122
	v_mad_u64_u32 v[122:123], vcc, v85, s10, 0
	v_mad_u64_u32 v[120:121], vcc, v87, s11, 0
	v_xor_b32_e32 v85, v113, v123
	v_xor_b32_e32 v85, v85, v86
	v_xor_b32_e32 v86, v114, v121
	v_xor_b32_e32 v84, v86, v84
	v_mad_u64_u32 v[124:125], vcc, v85, s11, 0
	v_mad_u64_u32 v[126:127], vcc, v84, s10, 0
	v_xor_b32_e32 v84, v103, v127
	v_xor_b32_e32 v85, v115, v125
	v_xor_b32_e32 v84, v84, v122
	v_xor_b32_e32 v86, v85, v120
	v_mad_u64_u32 v[84:85], vcc, v84, s11, 0
	v_mad_u64_u32 v[86:87], vcc, v86, s10, 0
	v_xor_b32_e32 v87, v87, v126
	v_xor_b32_e32 v85, v85, v124
	v_mov_b32_e32 v117, 0
	v_xor_b32_e32 v87, v106, v87
	v_xor_b32_e32 v85, v96, v85
.LBB75_27:                              ;   in Loop: Header=BB75_18 Depth=2
	s_or_b64 exec, exec, s[2:3]
	v_cmp_eq_u32_e32 vcc, 1, v118
	v_cndmask_b32_e32 v4, v4, v5, vcc
	v_cmp_eq_u32_e32 vcc, 2, v118
	v_cndmask_b32_e32 v4, v4, v6, vcc
	;; [unrolled: 2-line block ×6, first 2 shown]
	v_lshrrev_b32_e32 v0, 11, v0
	v_cvt_f64_u32_e32 v[0:1], v0
	v_ldexp_f64 v[0:1], v[0:1], 32
	v_cvt_f64_u32_e32 v[2:3], v4
	v_add_f64 v[0:1], v[0:1], v[2:3]
	v_mov_b32_e32 v2, 0
	v_mov_b32_e32 v3, 0x3ca00000
	v_fma_f64 v[4:5], -v[76:77], v[10:11], v[78:79]
	v_fmac_f64_e32 v[2:3], 0x3ca00000, v[0:1]
	v_mul_f64 v[0:1], v[4:5], s[56:57]
	v_rndne_f64_e32 v[0:1], v[0:1]
	s_mov_b32 s58, s50
	v_fma_f64 v[6:7], s[58:59], v[0:1], v[4:5]
	s_mov_b32 s60, s52
	v_fmac_f64_e32 v[6:7], s[60:61], v[0:1]
	v_pk_mov_b32 v[10:11], v[30:31], v[30:31] op_sel:[0,1]
	v_fmac_f64_e32 v[10:11], s[64:65], v[6:7]
	v_pk_mov_b32 v[118:119], v[32:33], v[32:33] op_sel:[0,1]
	;; [unrolled: 2-line block ×9, first 2 shown]
	v_fmac_f64_e32 v[10:11], v[6:7], v[118:119]
	v_fma_f64 v[10:11], v[6:7], v[10:11], 1.0
	v_fma_f64 v[6:7], v[6:7], v[10:11], 1.0
	v_cvt_i32_f64_e32 v0, v[0:1]
	v_ldexp_f64 v[0:1], v[6:7], v0
	v_add_f64 v[0:1], v[0:1], 1.0
	v_cmp_nlt_f64_e32 vcc, s[66:67], v[4:5]
	v_cmp_ngt_f64_e64 s[2:3], s[68:69], v[4:5]
	v_cndmask_b32_e32 v1, v94, v1, vcc
	s_and_b64 vcc, s[2:3], vcc
	v_cndmask_b32_e64 v1, v91, v1, s[2:3]
	v_cndmask_b32_e32 v0, 0, v0, vcc
	v_mul_f64 v[0:1], v[0:1], v[0:1]
	v_div_scale_f64 v[6:7], s[2:3], v[0:1], v[0:1], v[2:3]
	v_rcp_f64_e32 v[10:11], v[6:7]
	s_mov_b32 s49, s35
	v_fma_f64 v[118:119], -v[6:7], v[10:11], 1.0
	v_fmac_f64_e32 v[10:11], v[10:11], v[118:119]
	v_fma_f64 v[118:119], -v[6:7], v[10:11], 1.0
	v_fmac_f64_e32 v[10:11], v[10:11], v[118:119]
	v_div_scale_f64 v[118:119], vcc, v[2:3], v[0:1], v[2:3]
	v_mul_f64 v[120:121], v[118:119], v[10:11]
	v_fma_f64 v[6:7], -v[6:7], v[120:121], v[118:119]
	s_nop 1
	v_div_fmas_f64 v[6:7], v[6:7], v[10:11], v[120:121]
	v_div_fixup_f64 v[2:3], v[6:7], v[0:1], v[2:3]
	v_frexp_mant_f64_e32 v[0:1], v[2:3]
	v_cmp_gt_f64_e32 vcc, s[34:35], v[0:1]
	v_cndmask_b32_e64 v15, v91, 2.0, vcc
	v_frexp_exp_i32_f64_e32 v6, v[2:3]
	v_mul_f64 v[0:1], v[0:1], v[14:15]
	v_subbrev_co_u32_e32 v15, vcc, 0, v6, vcc
	v_add_f64 v[6:7], v[0:1], 1.0
	v_rcp_f64_e32 v[10:11], v[6:7]
	v_add_f64 v[120:121], v[6:7], -1.0
	v_add_f64 v[118:119], v[0:1], -1.0
	v_add_f64 v[0:1], v[0:1], -v[120:121]
	v_fma_f64 v[120:121], -v[6:7], v[10:11], 1.0
	v_fmac_f64_e32 v[10:11], v[120:121], v[10:11]
	v_fma_f64 v[120:121], -v[6:7], v[10:11], 1.0
	v_fmac_f64_e32 v[10:11], v[120:121], v[10:11]
	v_mul_f64 v[120:121], v[118:119], v[10:11]
	v_mul_f64 v[122:123], v[6:7], v[120:121]
	v_fma_f64 v[6:7], v[120:121], v[6:7], -v[122:123]
	v_fmac_f64_e32 v[6:7], v[120:121], v[0:1]
	v_add_f64 v[0:1], v[122:123], v[6:7]
	v_add_f64 v[124:125], v[118:119], -v[0:1]
	v_add_f64 v[122:123], v[0:1], -v[122:123]
	v_add_f64 v[118:119], v[118:119], -v[124:125]
	v_add_f64 v[0:1], v[118:119], -v[0:1]
	v_add_f64 v[6:7], v[122:123], -v[6:7]
	v_add_f64 v[0:1], v[6:7], v[0:1]
	v_add_f64 v[0:1], v[124:125], v[0:1]
	v_mul_f64 v[0:1], v[10:11], v[0:1]
	v_add_f64 v[6:7], v[120:121], v[0:1]
	v_add_f64 v[10:11], v[6:7], -v[120:121]
	v_add_f64 v[10:11], v[0:1], -v[10:11]
	v_mul_f64 v[118:119], v[6:7], v[6:7]
	v_pk_mov_b32 v[0:1], s[36:37], s[36:37] op_sel:[0,1]
	v_fma_f64 v[120:121], s[38:39], v[118:119], v[0:1]
	v_fma_f64 v[120:121], v[118:119], v[120:121], s[40:41]
	;; [unrolled: 1-line block ×6, first 2 shown]
	v_ldexp_f64 v[122:123], v[6:7], 1
	v_mul_f64 v[6:7], v[6:7], v[118:119]
	v_mul_f64 v[6:7], v[6:7], v[120:121]
	v_add_f64 v[118:119], v[122:123], v[6:7]
	v_add_f64 v[120:121], v[118:119], -v[122:123]
	v_ldexp_f64 v[10:11], v[10:11], 1
	v_add_f64 v[6:7], v[6:7], -v[120:121]
	v_add_f64 v[6:7], v[10:11], v[6:7]
	v_add_f64 v[10:11], v[118:119], v[6:7]
	v_add_f64 v[118:119], v[10:11], -v[118:119]
	v_add_f64 v[6:7], v[6:7], -v[118:119]
	v_cvt_f64_i32_e32 v[118:119], v15
	v_mul_f64 v[120:121], v[118:119], s[50:51]
	v_fma_f64 v[122:123], v[118:119], s[50:51], -v[120:121]
	v_fmac_f64_e32 v[122:123], s[52:53], v[118:119]
	v_add_f64 v[118:119], v[120:121], v[122:123]
	v_add_f64 v[120:121], v[118:119], -v[120:121]
	v_add_f64 v[120:121], v[122:123], -v[120:121]
	v_add_f64 v[122:123], v[118:119], v[10:11]
	v_add_f64 v[124:125], v[122:123], -v[118:119]
	v_add_f64 v[126:127], v[122:123], -v[124:125]
	;; [unrolled: 1-line block ×4, first 2 shown]
	v_add_f64 v[10:11], v[10:11], v[118:119]
	v_add_f64 v[118:119], v[120:121], v[6:7]
	v_add_f64 v[124:125], v[118:119], -v[120:121]
	v_add_f64 v[126:127], v[118:119], -v[124:125]
	v_add_f64 v[10:11], v[118:119], v[10:11]
	v_add_f64 v[120:121], v[120:121], -v[126:127]
	v_add_f64 v[6:7], v[6:7], -v[124:125]
	v_add_f64 v[118:119], v[122:123], v[10:11]
	v_add_f64 v[6:7], v[6:7], v[120:121]
	v_add_f64 v[120:121], v[118:119], -v[122:123]
	v_add_f64 v[10:11], v[10:11], -v[120:121]
	v_add_f64 v[6:7], v[6:7], v[10:11]
	v_add_f64 v[6:7], v[118:119], v[6:7]
	v_cmp_class_f64_e64 vcc, v[2:3], s9
	v_cndmask_b32_e32 v15, v6, v2, vcc
	v_cndmask_b32_e32 v6, v7, v3, vcc
	v_cmp_neq_f64_e32 vcc, 0, v[2:3]
	v_cndmask_b32_e32 v3, v93, v6, vcc
	v_add_f64 v[6:7], v[8:9], 1.0
	v_add_f64 v[6:7], v[6:7], -1.0
	v_add_f64 v[118:119], v[6:7], s[70:71]
	v_div_scale_f64 v[10:11], s[2:3], v[118:119], v[118:119], s[72:73]
	v_rcp_f64_e32 v[120:121], v[10:11]
	v_cndmask_b32_e32 v2, 0, v15, vcc
	v_add_f64 v[2:3], v[4:5], v[2:3]
	v_fma_f64 v[4:5], v[82:83], v[8:9], v[80:81]
	v_fma_f64 v[122:123], -v[10:11], v[120:121], 1.0
	v_fmac_f64_e32 v[120:121], v[120:121], v[122:123]
	v_fma_f64 v[122:123], -v[10:11], v[120:121], 1.0
	v_fmac_f64_e32 v[120:121], v[120:121], v[122:123]
	v_div_scale_f64 v[122:123], vcc, s[72:73], v[118:119], s[72:73]
	v_mul_f64 v[124:125], v[122:123], v[120:121]
	v_fma_f64 v[122:123], -v[10:11], v[124:125], v[122:123]
	v_add_f64 v[10:11], v[6:7], s[74:75]
	v_div_scale_f64 v[126:127], s[2:3], v[10:11], v[10:11], s[76:77]
	v_rcp_f64_e32 v[128:129], v[126:127]
	v_div_fmas_f64 v[120:121], v[122:123], v[120:121], v[124:125]
	v_div_fixup_f64 v[118:119], v[120:121], v[118:119], s[72:73]
	v_add_f64 v[124:125], v[6:7], s[78:79]
	v_fma_f64 v[120:121], -v[126:127], v[128:129], 1.0
	v_fmac_f64_e32 v[128:129], v[128:129], v[120:121]
	v_fma_f64 v[120:121], -v[126:127], v[128:129], 1.0
	v_fmac_f64_e32 v[128:129], v[128:129], v[120:121]
	v_div_scale_f64 v[120:121], vcc, s[76:77], v[10:11], s[76:77]
	v_mul_f64 v[122:123], v[120:121], v[128:129]
	v_fma_f64 v[120:121], -v[126:127], v[122:123], v[120:121]
	v_div_scale_f64 v[126:127], s[2:3], v[124:125], v[124:125], s[80:81]
	v_rcp_f64_e32 v[130:131], v[126:127]
	v_div_fmas_f64 v[120:121], v[120:121], v[128:129], v[122:123]
	v_add_f64 v[118:119], v[118:119], 0
	v_div_fixup_f64 v[120:121], v[120:121], v[10:11], s[76:77]
	v_add_f64 v[118:119], v[120:121], v[118:119]
	v_fma_f64 v[120:121], -v[126:127], v[130:131], 1.0
	v_fmac_f64_e32 v[130:131], v[130:131], v[120:121]
	v_fma_f64 v[120:121], -v[126:127], v[130:131], 1.0
	v_fmac_f64_e32 v[130:131], v[130:131], v[120:121]
	v_div_scale_f64 v[120:121], vcc, s[80:81], v[124:125], s[80:81]
	v_mul_f64 v[122:123], v[120:121], v[130:131]
	v_fma_f64 v[120:121], -v[126:127], v[122:123], v[120:121]
	v_add_f64 v[126:127], v[6:7], s[82:83]
	v_div_scale_f64 v[128:129], s[2:3], v[126:127], v[126:127], s[84:85]
	v_rcp_f64_e32 v[132:133], v[128:129]
	v_div_fmas_f64 v[120:121], v[120:121], v[130:131], v[122:123]
	v_div_fixup_f64 v[120:121], v[120:121], v[124:125], s[80:81]
	v_add_f64 v[118:119], v[118:119], v[120:121]
	v_fma_f64 v[120:121], -v[128:129], v[132:133], 1.0
	v_fmac_f64_e32 v[132:133], v[132:133], v[120:121]
	v_fma_f64 v[120:121], -v[128:129], v[132:133], 1.0
	v_fmac_f64_e32 v[132:133], v[132:133], v[120:121]
	v_div_scale_f64 v[120:121], vcc, s[84:85], v[126:127], s[84:85]
	v_mul_f64 v[122:123], v[120:121], v[132:133]
	v_add_f64 v[124:125], v[6:7], 4.0
	v_fma_f64 v[120:121], -v[128:129], v[122:123], v[120:121]
	v_div_scale_f64 v[128:129], s[2:3], v[124:125], v[124:125], s[86:87]
	v_rcp_f64_e32 v[130:131], v[128:129]
	v_div_fmas_f64 v[120:121], v[120:121], v[132:133], v[122:123]
	v_div_fixup_f64 v[120:121], v[120:121], v[126:127], s[84:85]
	v_add_f64 v[118:119], v[120:121], v[118:119]
	v_fma_f64 v[120:121], -v[128:129], v[130:131], 1.0
	v_fmac_f64_e32 v[130:131], v[130:131], v[120:121]
	v_fma_f64 v[120:121], -v[128:129], v[130:131], 1.0
	v_fmac_f64_e32 v[130:131], v[130:131], v[120:121]
	v_div_scale_f64 v[120:121], vcc, s[86:87], v[124:125], s[86:87]
	v_mul_f64 v[122:123], v[120:121], v[130:131]
	v_add_f64 v[126:127], v[6:7], s[26:27]
	v_fma_f64 v[120:121], -v[128:129], v[122:123], v[120:121]
	v_div_scale_f64 v[128:129], s[2:3], v[126:127], v[126:127], s[88:89]
	v_rcp_f64_e32 v[132:133], v[128:129]
	v_div_fmas_f64 v[120:121], v[120:121], v[130:131], v[122:123]
	v_div_fixup_f64 v[120:121], v[120:121], v[124:125], s[86:87]
	v_add_f64 v[118:119], v[118:119], v[120:121]
	v_fma_f64 v[120:121], -v[128:129], v[132:133], 1.0
	v_fmac_f64_e32 v[132:133], v[132:133], v[120:121]
	v_fma_f64 v[120:121], -v[128:129], v[132:133], 1.0
	v_fmac_f64_e32 v[132:133], v[132:133], v[120:121]
	v_div_scale_f64 v[120:121], vcc, s[88:89], v[126:127], s[88:89]
	v_mul_f64 v[122:123], v[120:121], v[132:133]
	v_add_f64 v[124:125], v[6:7], 2.0
	v_fma_f64 v[120:121], -v[128:129], v[122:123], v[120:121]
	v_div_scale_f64 v[128:129], s[2:3], v[124:125], v[124:125], s[90:91]
	v_rcp_f64_e32 v[130:131], v[128:129]
	v_div_fmas_f64 v[120:121], v[120:121], v[132:133], v[122:123]
	v_div_fixup_f64 v[120:121], v[120:121], v[126:127], s[88:89]
	v_add_f64 v[118:119], v[120:121], v[118:119]
	v_fma_f64 v[120:121], -v[128:129], v[130:131], 1.0
	v_fmac_f64_e32 v[130:131], v[130:131], v[120:121]
	v_fma_f64 v[120:121], -v[128:129], v[130:131], 1.0
	v_fmac_f64_e32 v[130:131], v[130:131], v[120:121]
	v_div_scale_f64 v[120:121], vcc, s[90:91], v[124:125], s[90:91]
	v_mul_f64 v[122:123], v[120:121], v[130:131]
	v_add_f64 v[126:127], v[6:7], 1.0
	v_fma_f64 v[120:121], -v[128:129], v[122:123], v[120:121]
	v_div_scale_f64 v[128:129], s[2:3], v[126:127], v[126:127], s[92:93]
	v_rcp_f64_e32 v[132:133], v[128:129]
	v_div_fmas_f64 v[120:121], v[120:121], v[130:131], v[122:123]
	v_div_fixup_f64 v[120:121], v[120:121], v[124:125], s[90:91]
	v_add_f64 v[118:119], v[118:119], v[120:121]
	v_fma_f64 v[120:121], -v[128:129], v[132:133], 1.0
	v_fmac_f64_e32 v[132:133], v[132:133], v[120:121]
	v_fma_f64 v[120:121], -v[128:129], v[132:133], 1.0
	v_fmac_f64_e32 v[132:133], v[132:133], v[120:121]
	v_div_scale_f64 v[120:121], vcc, s[92:93], v[126:127], s[92:93]
	v_mul_f64 v[122:123], v[120:121], v[132:133]
	v_fma_f64 v[120:121], -v[128:129], v[122:123], v[120:121]
	v_add_f64 v[10:11], v[10:11], 0.5
	s_nop 0
	v_div_fmas_f64 v[120:121], v[120:121], v[132:133], v[122:123]
	v_div_fixup_f64 v[120:121], v[120:121], v[126:127], s[92:93]
	v_add_f64 v[118:119], v[120:121], v[118:119]
	v_add_f64 v[118:119], v[118:119], s[94:95]
	v_frexp_mant_f64_e32 v[120:121], v[118:119]
	v_cmp_gt_f64_e32 vcc, s[34:35], v[120:121]
	v_cndmask_b32_e64 v15, v91, 2.0, vcc
	v_frexp_exp_i32_f64_e32 v122, v[118:119]
	v_mul_f64 v[120:121], v[120:121], v[14:15]
	v_subbrev_co_u32_e32 v15, vcc, 0, v122, vcc
	v_add_f64 v[122:123], v[120:121], 1.0
	v_rcp_f64_e32 v[124:125], v[122:123]
	v_add_f64 v[128:129], v[122:123], -1.0
	v_add_f64 v[126:127], v[120:121], -1.0
	v_add_f64 v[120:121], v[120:121], -v[128:129]
	v_fma_f64 v[128:129], -v[122:123], v[124:125], 1.0
	v_fmac_f64_e32 v[124:125], v[128:129], v[124:125]
	v_fma_f64 v[128:129], -v[122:123], v[124:125], 1.0
	v_fmac_f64_e32 v[124:125], v[128:129], v[124:125]
	v_mul_f64 v[128:129], v[126:127], v[124:125]
	v_mul_f64 v[130:131], v[122:123], v[128:129]
	v_fma_f64 v[122:123], v[128:129], v[122:123], -v[130:131]
	v_fmac_f64_e32 v[122:123], v[128:129], v[120:121]
	v_add_f64 v[120:121], v[130:131], v[122:123]
	v_add_f64 v[132:133], v[126:127], -v[120:121]
	v_add_f64 v[130:131], v[120:121], -v[130:131]
	;; [unrolled: 1-line block ×5, first 2 shown]
	v_add_f64 v[120:121], v[122:123], v[120:121]
	v_add_f64 v[120:121], v[132:133], v[120:121]
	v_mul_f64 v[120:121], v[124:125], v[120:121]
	v_add_f64 v[122:123], v[128:129], v[120:121]
	v_add_f64 v[124:125], v[122:123], -v[128:129]
	v_add_f64 v[120:121], v[120:121], -v[124:125]
	v_mul_f64 v[124:125], v[122:123], v[122:123]
	v_fma_f64 v[126:127], s[38:39], v[124:125], v[0:1]
	v_fma_f64 v[126:127], v[124:125], v[126:127], s[40:41]
	;; [unrolled: 1-line block ×6, first 2 shown]
	v_ldexp_f64 v[128:129], v[122:123], 1
	v_mul_f64 v[122:123], v[122:123], v[124:125]
	v_mul_f64 v[122:123], v[122:123], v[126:127]
	v_add_f64 v[124:125], v[128:129], v[122:123]
	v_add_f64 v[126:127], v[124:125], -v[128:129]
	v_ldexp_f64 v[120:121], v[120:121], 1
	v_add_f64 v[122:123], v[122:123], -v[126:127]
	v_add_f64 v[120:121], v[120:121], v[122:123]
	v_add_f64 v[122:123], v[124:125], v[120:121]
	v_add_f64 v[124:125], v[122:123], -v[124:125]
	v_add_f64 v[120:121], v[120:121], -v[124:125]
	v_cvt_f64_i32_e32 v[124:125], v15
	v_mul_f64 v[126:127], v[124:125], s[50:51]
	v_fma_f64 v[128:129], v[124:125], s[50:51], -v[126:127]
	v_fmac_f64_e32 v[128:129], s[52:53], v[124:125]
	v_add_f64 v[124:125], v[126:127], v[128:129]
	v_add_f64 v[126:127], v[124:125], -v[126:127]
	v_add_f64 v[126:127], v[128:129], -v[126:127]
	v_add_f64 v[128:129], v[124:125], v[122:123]
	v_add_f64 v[130:131], v[128:129], -v[124:125]
	v_add_f64 v[132:133], v[128:129], -v[130:131]
	;; [unrolled: 1-line block ×4, first 2 shown]
	v_add_f64 v[122:123], v[122:123], v[124:125]
	v_add_f64 v[124:125], v[126:127], v[120:121]
	v_add_f64 v[130:131], v[124:125], -v[126:127]
	v_add_f64 v[132:133], v[124:125], -v[130:131]
	v_add_f64 v[122:123], v[124:125], v[122:123]
	v_add_f64 v[126:127], v[126:127], -v[132:133]
	v_add_f64 v[120:121], v[120:121], -v[130:131]
	v_add_f64 v[124:125], v[128:129], v[122:123]
	v_add_f64 v[120:121], v[120:121], v[126:127]
	v_add_f64 v[126:127], v[124:125], -v[128:129]
	v_add_f64 v[122:123], v[122:123], -v[126:127]
	v_add_f64 v[120:121], v[120:121], v[122:123]
	v_add_f64 v[120:121], v[124:125], v[120:121]
	v_cmp_class_f64_e64 vcc, v[118:119], s9
	v_div_scale_f64 v[122:123], s[2:3], s[28:29], s[28:29], v[10:11]
	v_cndmask_b32_e32 v121, v121, v119, vcc
	v_cndmask_b32_e32 v120, v120, v118, vcc
	v_rcp_f64_e32 v[124:125], v[122:123]
	v_add_f64 v[120:121], v[120:121], s[24:25]
	v_add_f64 v[120:121], v[120:121], s[22:23]
	v_cmp_ngt_f64_e32 vcc, 0, v[118:119]
	v_cndmask_b32_e32 v15, v92, v121, vcc
	v_cmp_nge_f64_e32 vcc, 0, v[118:119]
	v_cndmask_b32_e32 v120, 0, v120, vcc
	v_cmp_neq_f64_e32 vcc, 0, v[118:119]
	v_fma_f64 v[118:119], -v[122:123], v[124:125], 1.0
	v_fmac_f64_e32 v[124:125], v[124:125], v[118:119]
	v_fma_f64 v[118:119], -v[122:123], v[124:125], 1.0
	v_cndmask_b32_e32 v121, v93, v15, vcc
	v_fmac_f64_e32 v[124:125], v[124:125], v[118:119]
	v_div_scale_f64 v[118:119], vcc, v[10:11], s[28:29], v[10:11]
	v_mul_f64 v[126:127], v[118:119], v[124:125]
	v_fma_f64 v[118:119], -v[122:123], v[126:127], v[118:119]
	v_add_f64 v[6:7], v[6:7], 0.5
	s_nop 0
	v_div_fmas_f64 v[118:119], v[118:119], v[124:125], v[126:127]
	v_div_fixup_f64 v[10:11], v[118:119], s[28:29], v[10:11]
	v_frexp_mant_f64_e32 v[118:119], v[10:11]
	v_cmp_gt_f64_e32 vcc, s[34:35], v[118:119]
	v_cndmask_b32_e64 v15, v91, 2.0, vcc
	v_frexp_exp_i32_f64_e32 v122, v[10:11]
	v_mul_f64 v[118:119], v[118:119], v[14:15]
	v_subbrev_co_u32_e32 v15, vcc, 0, v122, vcc
	v_add_f64 v[122:123], v[118:119], 1.0
	v_rcp_f64_e32 v[124:125], v[122:123]
	v_add_f64 v[128:129], v[122:123], -1.0
	v_add_f64 v[126:127], v[118:119], -1.0
	v_add_f64 v[118:119], v[118:119], -v[128:129]
	v_fma_f64 v[128:129], -v[122:123], v[124:125], 1.0
	v_fmac_f64_e32 v[124:125], v[128:129], v[124:125]
	v_fma_f64 v[128:129], -v[122:123], v[124:125], 1.0
	v_fmac_f64_e32 v[124:125], v[128:129], v[124:125]
	v_mul_f64 v[128:129], v[126:127], v[124:125]
	v_mul_f64 v[130:131], v[122:123], v[128:129]
	v_fma_f64 v[122:123], v[128:129], v[122:123], -v[130:131]
	v_fmac_f64_e32 v[122:123], v[128:129], v[118:119]
	v_add_f64 v[118:119], v[130:131], v[122:123]
	v_add_f64 v[132:133], v[126:127], -v[118:119]
	v_add_f64 v[130:131], v[118:119], -v[130:131]
	v_add_f64 v[126:127], v[126:127], -v[132:133]
	v_add_f64 v[118:119], v[126:127], -v[118:119]
	v_add_f64 v[122:123], v[130:131], -v[122:123]
	v_add_f64 v[118:119], v[122:123], v[118:119]
	v_add_f64 v[118:119], v[132:133], v[118:119]
	v_mul_f64 v[118:119], v[124:125], v[118:119]
	v_add_f64 v[122:123], v[128:129], v[118:119]
	v_add_f64 v[124:125], v[122:123], -v[128:129]
	v_add_f64 v[118:119], v[118:119], -v[124:125]
	v_mul_f64 v[124:125], v[122:123], v[122:123]
	v_fmac_f64_e32 v[0:1], s[38:39], v[124:125]
	v_fma_f64 v[0:1], v[124:125], v[0:1], s[40:41]
	v_fma_f64 v[0:1], v[124:125], v[0:1], s[42:43]
	v_fma_f64 v[0:1], v[124:125], v[0:1], s[44:45]
	v_fma_f64 v[0:1], v[124:125], v[0:1], s[46:47]
	v_fma_f64 v[0:1], v[124:125], v[0:1], s[48:49]
	v_ldexp_f64 v[126:127], v[122:123], 1
	v_mul_f64 v[122:123], v[122:123], v[124:125]
	v_mul_f64 v[0:1], v[122:123], v[0:1]
	v_add_f64 v[122:123], v[126:127], v[0:1]
	v_add_f64 v[124:125], v[122:123], -v[126:127]
	v_ldexp_f64 v[118:119], v[118:119], 1
	v_add_f64 v[0:1], v[0:1], -v[124:125]
	v_add_f64 v[0:1], v[118:119], v[0:1]
	v_add_f64 v[118:119], v[122:123], v[0:1]
	v_add_f64 v[122:123], v[118:119], -v[122:123]
	v_add_f64 v[0:1], v[0:1], -v[122:123]
	v_cvt_f64_i32_e32 v[122:123], v15
	v_mul_f64 v[124:125], v[122:123], s[50:51]
	v_fma_f64 v[126:127], v[122:123], s[50:51], -v[124:125]
	v_fmac_f64_e32 v[126:127], s[52:53], v[122:123]
	v_add_f64 v[122:123], v[124:125], v[126:127]
	v_add_f64 v[124:125], v[122:123], -v[124:125]
	v_add_f64 v[124:125], v[126:127], -v[124:125]
	v_add_f64 v[126:127], v[122:123], v[118:119]
	v_add_f64 v[128:129], v[126:127], -v[122:123]
	v_add_f64 v[130:131], v[126:127], -v[128:129]
	v_add_f64 v[122:123], v[122:123], -v[130:131]
	v_add_f64 v[118:119], v[118:119], -v[128:129]
	v_add_f64 v[118:119], v[118:119], v[122:123]
	v_add_f64 v[122:123], v[124:125], v[0:1]
	v_add_f64 v[128:129], v[122:123], -v[124:125]
	v_add_f64 v[130:131], v[122:123], -v[128:129]
	v_add_f64 v[118:119], v[122:123], v[118:119]
	v_add_f64 v[124:125], v[124:125], -v[130:131]
	v_add_f64 v[0:1], v[0:1], -v[128:129]
	v_add_f64 v[122:123], v[126:127], v[118:119]
	v_add_f64 v[0:1], v[0:1], v[124:125]
	v_add_f64 v[124:125], v[122:123], -v[126:127]
	v_add_f64 v[118:119], v[118:119], -v[124:125]
	v_add_f64 v[0:1], v[0:1], v[118:119]
	v_add_f64 v[0:1], v[122:123], v[0:1]
	v_cmp_class_f64_e64 vcc, v[10:11], s9
	v_cndmask_b32_e32 v0, v0, v10, vcc
	v_cndmask_b32_e32 v1, v1, v11, vcc
	v_cmp_ngt_f64_e32 vcc, 0, v[10:11]
	v_cndmask_b32_e32 v1, v92, v1, vcc
	v_cmp_nge_f64_e32 vcc, 0, v[10:11]
	v_cndmask_b32_e32 v0, 0, v0, vcc
	v_cmp_neq_f64_e32 vcc, 0, v[10:11]
	v_cndmask_b32_e32 v1, v93, v1, vcc
	v_fmac_f64_e32 v[120:121], v[6:7], v[0:1]
	v_add_f64 v[0:1], v[4:5], -v[120:121]
	v_cvt_u32_f64_e32 v4, v[8:9]
	v_cmp_le_f64_e32 vcc, v[2:3], v[0:1]
	v_cndmask_b32_e64 v119, 0, 1, vcc
	v_cndmask_b32_e32 v75, v75, v4, vcc
	v_mov_b32_e32 v118, v117
.LBB75_28:                              ;   in Loop: Header=BB75_18 Depth=2
	s_or_b64 exec, exec, s[0:1]
	v_cmp_gt_i32_e32 vcc, 2, v119
	s_or_b64 s[20:21], vcc, s[20:21]
	v_mov_b32_e32 v15, v118
	v_mov_b32_e32 v0, v87
	;; [unrolled: 1-line block ×5, first 2 shown]
	s_andn2_b64 exec, exec, s[20:21]
	s_cbranch_execnz .LBB75_18
; %bb.29:                               ;   in Loop: Header=BB75_18 Depth=2
	s_or_b64 exec, exec, s[20:21]
	v_cmp_ne_u32_e32 vcc, 0, v119
	s_or_b64 s[12:13], vcc, s[12:13]
	s_mov_b64 s[20:21], 0
	v_mov_b32_e32 v15, v118
	v_mov_b32_e32 v0, v87
	;; [unrolled: 1-line block ×5, first 2 shown]
	s_andn2_b64 exec, exec, s[12:13]
	s_cbranch_execnz .LBB75_18
; %bb.30:                               ;   in Loop: Header=BB75_5 Depth=1
	s_or_b64 exec, exec, s[12:13]
	v_readlane_b32 s20, v134, 18
	v_readlane_b32 s21, v134, 19
                                        ; implicit-def: $vgpr72_vgpr73
                                        ; implicit-def: $vgpr15
                                        ; implicit-def: $vgpr97
                                        ; implicit-def: $vgpr98
                                        ; implicit-def: $vgpr106
                                        ; implicit-def: $vgpr96
                                        ; implicit-def: $vgpr3
                                        ; implicit-def: $vgpr4_vgpr5
                                        ; implicit-def: $vgpr99
                                        ; implicit-def: $vgpr100
                                        ; implicit-def: $vgpr101
                                        ; implicit-def: $vgpr102
                                        ; implicit-def: $vgpr104
                                        ; implicit-def: $vgpr105
                                        ; implicit-def: $vgpr107
                                        ; implicit-def: $vgpr108
                                        ; implicit-def: $vgpr109
                                        ; implicit-def: $vgpr110
                                        ; implicit-def: $vgpr111
                                        ; implicit-def: $vgpr112
                                        ; implicit-def: $vgpr113
                                        ; implicit-def: $vgpr114
                                        ; implicit-def: $vgpr103
                                        ; implicit-def: $vgpr115
.LBB75_31:                              ;   in Loop: Header=BB75_5 Depth=1
	s_andn2_saveexec_b64 s[0:1], s[16:17]
	s_cbranch_execz .LBB75_43
; %bb.32:                               ;   in Loop: Header=BB75_5 Depth=1
	v_add_co_u32_e32 v6, vcc, 1, v97
	v_cndmask_b32_e64 v7, 0, 1, vcc
	v_addc_co_u32_e32 v10, vcc, 0, v98, vcc
	v_cmp_eq_u32_e32 vcc, 0, v10
	v_cndmask_b32_e32 v7, 0, v7, vcc
	v_add_u32_e32 v8, v7, v17
	v_cmp_eq_u32_e32 vcc, 0, v8
	v_cndmask_b32_e32 v11, 0, v7, vcc
	v_mad_u64_u32 v[6:7], s[2:3], v6, s11, 0
	v_mad_u64_u32 v[8:9], s[2:3], v8, s10, 0
	v_xor_b32_e32 v7, v7, v73
	v_xor_b32_e32 v9, v9, v72
	v_xor_b32_e32 v7, v11, v7
	v_xor_b32_e32 v9, v10, v9
	v_mad_u64_u32 v[72:73], s[2:3], v7, s10, 0
	v_mad_u64_u32 v[10:11], s[2:3], v9, s11, 0
	v_xor_b32_e32 v7, v99, v73
	v_xor_b32_e32 v7, v7, v8
	v_xor_b32_e32 v8, v100, v11
	v_xor_b32_e32 v8, v8, v6
	;; [unrolled: 6-line block ×8, first 2 shown]
	v_mad_u64_u32 v[74:75], s[2:3], v7, s11, 0
	v_mad_u64_u32 v[8:9], s[2:3], v6, s10, 0
	v_xor_b32_e32 v6, v115, v75
	v_xor_b32_e32 v6, v6, v10
	v_mad_u64_u32 v[6:7], s[2:3], v6, s10, 0
	v_xor_b32_e32 v7, v7, v8
	v_xor_b32_e32 v10, v106, v7
	v_cmp_lt_i32_e32 vcc, 1, v15
                                        ; implicit-def: $vgpr8
	s_and_saveexec_b64 s[2:3], vcc
	s_xor_b64 s[2:3], exec, s[2:3]
	s_cbranch_execz .LBB75_38
; %bb.33:                               ;   in Loop: Header=BB75_5 Depth=1
	v_cmp_lt_i32_e32 vcc, 2, v15
                                        ; implicit-def: $vgpr8
	s_and_saveexec_b64 s[12:13], vcc
	s_xor_b64 s[12:13], exec, s[12:13]
; %bb.34:                               ;   in Loop: Header=BB75_5 Depth=1
	v_xor_b32_e32 v0, v103, v9
	v_xor_b32_e32 v0, v0, v72
	v_mul_hi_u32 v0, v0, s11
	v_xor_b32_e32 v0, v0, v74
	v_xor_b32_e32 v8, v96, v0
; %bb.35:                               ;   in Loop: Header=BB75_5 Depth=1
	s_andn2_saveexec_b64 s[12:13], s[12:13]
; %bb.36:                               ;   in Loop: Header=BB75_5 Depth=1
	v_mov_b32_e32 v8, v6
	v_mov_b32_e32 v6, v10
	;; [unrolled: 1-line block ×4, first 2 shown]
; %bb.37:                               ;   in Loop: Header=BB75_5 Depth=1
	s_or_b64 exec, exec, s[12:13]
                                        ; implicit-def: $vgpr15
.LBB75_38:                              ;   in Loop: Header=BB75_5 Depth=1
	s_andn2_saveexec_b64 s[2:3], s[2:3]
	s_cbranch_execz .LBB75_42
; %bb.39:                               ;   in Loop: Header=BB75_5 Depth=1
	v_cmp_eq_u32_e32 vcc, 1, v15
	v_mov_b32_e32 v8, v3
	v_mov_b32_e32 v6, v2
	;; [unrolled: 1-line block ×3, first 2 shown]
	s_and_saveexec_b64 s[12:13], vcc
; %bb.40:                               ;   in Loop: Header=BB75_5 Depth=1
	v_mov_b32_e32 v8, v10
	v_mov_b32_e32 v6, v3
	;; [unrolled: 1-line block ×4, first 2 shown]
; %bb.41:                               ;   in Loop: Header=BB75_5 Depth=1
	s_or_b64 exec, exec, s[12:13]
	v_mov_b32_e32 v3, v0
	v_mov_b32_e32 v10, v7
.LBB75_42:                              ;   in Loop: Header=BB75_5 Depth=1
	s_or_b64 exec, exec, s[2:3]
	v_mov_b32_e32 v11, v14
	v_lshlrev_b64 v[0:1], 21, v[10:11]
	v_xor_b32_e32 v2, v0, v3
	v_cvt_f64_u32_e32 v[0:1], v1
	v_ldexp_f64 v[0:1], v[0:1], 32
	v_cvt_f64_u32_e32 v[2:3], v2
	v_add_f64 v[0:1], v[0:1], v[2:3]
	v_mov_b32_e32 v2, 0
	v_mov_b32_e32 v3, 0x3ca00000
	v_fmac_f64_e32 v[2:3], 0x3ca00000, v[0:1]
	v_mov_b32_e32 v9, v14
	v_lshlrev_b64 v[0:1], 21, v[8:9]
	v_frexp_mant_f64_e32 v[8:9], v[2:3]
	v_cmp_gt_f64_e32 vcc, s[34:35], v[8:9]
	v_cndmask_b32_e64 v15, v91, 2.0, vcc
	v_frexp_exp_i32_f64_e32 v10, v[2:3]
	v_mul_f64 v[8:9], v[8:9], v[14:15]
	v_subbrev_co_u32_e32 v15, vcc, 0, v10, vcc
	v_add_f64 v[10:11], v[8:9], 1.0
	v_rcp_f64_e32 v[72:73], v[10:11]
	v_add_f64 v[76:77], v[10:11], -1.0
	v_add_f64 v[74:75], v[8:9], -1.0
	v_add_f64 v[8:9], v[8:9], -v[76:77]
	v_fma_f64 v[76:77], -v[10:11], v[72:73], 1.0
	v_fmac_f64_e32 v[72:73], v[76:77], v[72:73]
	v_fma_f64 v[76:77], -v[10:11], v[72:73], 1.0
	v_fmac_f64_e32 v[72:73], v[76:77], v[72:73]
	v_mul_f64 v[76:77], v[74:75], v[72:73]
	v_mul_f64 v[78:79], v[10:11], v[76:77]
	v_fma_f64 v[10:11], v[76:77], v[10:11], -v[78:79]
	v_fmac_f64_e32 v[10:11], v[76:77], v[8:9]
	v_add_f64 v[8:9], v[78:79], v[10:11]
	v_add_f64 v[80:81], v[74:75], -v[8:9]
	v_add_f64 v[78:79], v[8:9], -v[78:79]
	;; [unrolled: 1-line block ×5, first 2 shown]
	v_add_f64 v[8:9], v[10:11], v[8:9]
	v_add_f64 v[8:9], v[80:81], v[8:9]
	v_mul_f64 v[8:9], v[72:73], v[8:9]
	v_add_f64 v[10:11], v[76:77], v[8:9]
	v_add_f64 v[72:73], v[10:11], -v[76:77]
	v_add_f64 v[8:9], v[8:9], -v[72:73]
	v_mul_f64 v[72:73], v[10:11], v[10:11]
	v_pk_mov_b32 v[74:75], v[18:19], v[18:19] op_sel:[0,1]
	v_fmac_f64_e32 v[74:75], s[38:39], v[72:73]
	v_pk_mov_b32 v[76:77], v[20:21], v[20:21] op_sel:[0,1]
	v_fmac_f64_e32 v[76:77], v[72:73], v[74:75]
	;; [unrolled: 2-line block ×6, first 2 shown]
	v_ldexp_f64 v[74:75], v[10:11], 1
	v_mul_f64 v[10:11], v[10:11], v[72:73]
	v_mul_f64 v[10:11], v[10:11], v[76:77]
	v_add_f64 v[72:73], v[74:75], v[10:11]
	v_add_f64 v[74:75], v[72:73], -v[74:75]
	v_ldexp_f64 v[8:9], v[8:9], 1
	v_add_f64 v[10:11], v[10:11], -v[74:75]
	v_add_f64 v[8:9], v[8:9], v[10:11]
	v_add_f64 v[10:11], v[72:73], v[8:9]
	v_add_f64 v[72:73], v[10:11], -v[72:73]
	v_add_f64 v[8:9], v[8:9], -v[72:73]
	v_cvt_f64_i32_e32 v[72:73], v15
	v_mul_f64 v[74:75], v[72:73], s[50:51]
	v_fma_f64 v[76:77], v[72:73], s[50:51], -v[74:75]
	v_fmac_f64_e32 v[76:77], s[52:53], v[72:73]
	v_add_f64 v[72:73], v[74:75], v[76:77]
	v_add_f64 v[74:75], v[72:73], -v[74:75]
	v_add_f64 v[74:75], v[76:77], -v[74:75]
	v_add_f64 v[76:77], v[72:73], v[10:11]
	v_add_f64 v[78:79], v[76:77], -v[72:73]
	v_add_f64 v[80:81], v[76:77], -v[78:79]
	;; [unrolled: 1-line block ×4, first 2 shown]
	v_add_f64 v[10:11], v[10:11], v[72:73]
	v_add_f64 v[72:73], v[74:75], v[8:9]
	v_add_f64 v[78:79], v[72:73], -v[74:75]
	v_add_f64 v[80:81], v[72:73], -v[78:79]
	v_add_f64 v[10:11], v[72:73], v[10:11]
	v_add_f64 v[74:75], v[74:75], -v[80:81]
	v_add_f64 v[8:9], v[8:9], -v[78:79]
	v_add_f64 v[72:73], v[76:77], v[10:11]
	v_add_f64 v[8:9], v[8:9], v[74:75]
	v_add_f64 v[74:75], v[72:73], -v[76:77]
	v_add_f64 v[10:11], v[10:11], -v[74:75]
	s_mov_b32 s16, 0
	v_add_f64 v[8:9], v[8:9], v[10:11]
	s_mov_b32 s17, 0x7ff00000
	v_add_f64 v[8:9], v[72:73], v[8:9]
	v_cmp_eq_f64_e32 vcc, s[16:17], v[2:3]
	v_cndmask_b32_e32 v9, v9, v3, vcc
	v_cndmask_b32_e32 v8, v8, v2, vcc
	v_mul_f64 v[8:9], v[8:9], -2.0
	v_cmp_neq_f64_e32 vcc, 0, v[2:3]
	s_mov_b32 s2, 0
	v_cndmask_b32_e32 v3, v94, v9, vcc
	v_cndmask_b32_e32 v2, 0, v8, vcc
	s_brev_b32 s3, 8
	v_cmp_gt_f64_e32 vcc, s[2:3], v[2:3]
	v_cndmask_b32_e64 v8, 0, 1, vcc
	v_lshlrev_b32_e32 v8, 8, v8
	v_ldexp_f64 v[2:3], v[2:3], v8
	v_xor_b32_e32 v6, v0, v6
	v_cvt_f64_u32_e32 v[0:1], v1
	v_rsq_f64_e32 v[8:9], v[2:3]
	v_ldexp_f64 v[0:1], v[0:1], 32
	v_cvt_f64_u32_e32 v[6:7], v6
	v_add_f64 v[0:1], v[0:1], v[6:7]
	v_mov_b32_e32 v6, 0
	v_mov_b32_e32 v7, 0x3cb00000
	v_fmac_f64_e32 v[6:7], 0x3cb00000, v[0:1]
	v_mul_f64 v[0:1], v[2:3], v[8:9]
	v_mul_f64 v[8:9], v[8:9], 0.5
	v_fma_f64 v[10:11], -v[8:9], v[0:1], 0.5
	v_fmac_f64_e32 v[0:1], v[0:1], v[10:11]
	v_fma_f64 v[72:73], -v[0:1], v[0:1], v[2:3]
	v_fmac_f64_e32 v[8:9], v[8:9], v[10:11]
	v_fmac_f64_e32 v[0:1], v[72:73], v[8:9]
	v_fma_f64 v[10:11], -v[0:1], v[0:1], v[2:3]
	v_fmac_f64_e32 v[0:1], v[10:11], v[8:9]
	v_cndmask_b32_e32 v8, 0, v90, vcc
	v_ldexp_f64 v[0:1], v[0:1], v8
	v_cmp_class_f64_e32 vcc, v[2:3], v89
	v_cndmask_b32_e32 v1, v1, v3, vcc
	v_cndmask_b32_e32 v0, v0, v2, vcc
	v_mul_f64 v[2:3], v[6:7], 0.5
	v_fract_f64_e32 v[8:9], v[2:3]
	v_add_f64 v[8:9], v[8:9], v[8:9]
	v_cmp_neq_f64_e32 vcc, s[16:17], v[2:3]
	v_cndmask_b32_e32 v2, 0, v8, vcc
	v_cndmask_b32_e32 v3, 0, v9, vcc
	v_cmp_lt_f64_e32 vcc, 1.0, v[6:7]
	v_cndmask_b32_e32 v3, v7, v3, vcc
	v_cndmask_b32_e32 v2, v6, v2, vcc
	v_add_f64 v[8:9], v[2:3], v[2:3]
	v_rndne_f64_e32 v[8:9], v[8:9]
	v_fmac_f64_e32 v[2:3], -0.5, v[8:9]
	s_mov_b32 s12, 0xf99eb0bb
	v_cvt_i32_f64_e32 v15, v[8:9]
	v_mul_f64 v[8:9], v[2:3], v[2:3]
	v_pk_mov_b32 v[10:11], v[48:49], v[48:49] op_sel:[0,1]
	s_mov_b32 s13, 0x3f3e357e
	v_fmac_f64_e32 v[10:11], s[12:13], v[8:9]
	v_pk_mov_b32 v[72:73], v[50:51], v[50:51] op_sel:[0,1]
	v_fmac_f64_e32 v[72:73], v[8:9], v[10:11]
	v_pk_mov_b32 v[10:11], v[52:53], v[52:53] op_sel:[0,1]
	;; [unrolled: 2-line block ×4, first 2 shown]
	v_fmac_f64_e32 v[10:11], v[8:9], v[72:73]
	v_mul_f64 v[72:73], v[2:3], v[8:9]
	s_mov_b32 s12, 0x54442d18
	v_mul_f64 v[10:11], v[72:73], v[10:11]
	s_mov_b32 s13, 0x400921fb
	v_fmac_f64_e32 v[10:11], s[12:13], v[2:3]
	s_mov_b32 s12, 0x2e21c33
	v_pk_mov_b32 v[2:3], v[58:59], v[58:59] op_sel:[0,1]
	s_mov_b32 s13, 0xbf1b1673
	v_fmac_f64_e32 v[2:3], s[12:13], v[8:9]
	v_pk_mov_b32 v[72:73], v[60:61], v[60:61] op_sel:[0,1]
	v_fmac_f64_e32 v[72:73], v[8:9], v[2:3]
	v_pk_mov_b32 v[2:3], v[62:63], v[62:63] op_sel:[0,1]
	v_fmac_f64_e32 v[2:3], v[8:9], v[72:73]
	v_pk_mov_b32 v[72:73], v[64:65], v[64:65] op_sel:[0,1]
	v_fmac_f64_e32 v[72:73], v[8:9], v[2:3]
	v_pk_mov_b32 v[2:3], v[66:67], v[66:67] op_sel:[0,1]
	v_fmac_f64_e32 v[2:3], v[8:9], v[72:73]
	v_pk_mov_b32 v[72:73], v[68:69], v[68:69] op_sel:[0,1]
	v_fmac_f64_e32 v[72:73], v[8:9], v[2:3]
	v_fma_f64 v[2:3], v[8:9], v[72:73], 1.0
	v_and_b32_e32 v9, 1, v15
	v_lshlrev_b32_e32 v8, 30, v15
	v_cmp_eq_u32_e32 vcc, 0, v9
	v_cndmask_b32_e32 v10, v2, v10, vcc
	v_cndmask_b32_e32 v2, v3, v11, vcc
	v_xor_b32_e32 v3, v8, v7
	v_and_b32_e32 v3, 0x80000000, v3
	v_cmp_gt_f64_e32 vcc, s[2:3], v[4:5]
	v_xor_b32_e32 v11, v2, v3
	v_cndmask_b32_e64 v2, 0, 1, vcc
	v_lshlrev_b32_e32 v2, 8, v2
	v_ldexp_f64 v[2:3], v[4:5], v2
	v_rsq_f64_e32 v[8:9], v[2:3]
	v_cmp_lg_f64_e64 s[2:3], s[16:17], v[6:7]
	v_cndmask_b32_e64 v6, 0, v10, s[2:3]
	v_cndmask_b32_e64 v7, v92, v11, s[2:3]
	v_mul_f64 v[0:1], v[0:1], v[6:7]
	v_mul_f64 v[6:7], v[2:3], v[8:9]
	v_mul_f64 v[8:9], v[8:9], 0.5
	v_fma_f64 v[10:11], -v[8:9], v[6:7], 0.5
	v_fmac_f64_e32 v[6:7], v[6:7], v[10:11]
	v_fma_f64 v[72:73], -v[6:7], v[6:7], v[2:3]
	v_fmac_f64_e32 v[8:9], v[8:9], v[10:11]
	v_fmac_f64_e32 v[6:7], v[72:73], v[8:9]
	v_fma_f64 v[10:11], -v[6:7], v[6:7], v[2:3]
	v_fmac_f64_e32 v[6:7], v[10:11], v[8:9]
	v_cndmask_b32_e32 v8, 0, v90, vcc
	v_ldexp_f64 v[6:7], v[6:7], v8
	v_cmp_class_f64_e32 vcc, v[2:3], v89
	v_cndmask_b32_e32 v3, v7, v3, vcc
	v_cndmask_b32_e32 v2, v6, v2, vcc
	v_fmac_f64_e32 v[4:5], v[2:3], v[0:1]
	v_trunc_f64_e32 v[0:1], v[4:5]
	v_add_f64 v[2:3], v[4:5], -v[0:1]
	v_cmp_ge_f64_e64 vcc, |v[2:3]|, 0.5
	v_cndmask_b32_e32 v2, 0, v91, vcc
	s_brev_b32 s2, -2
	v_bfi_b32 v15, s2, v2, v5
	v_add_f64 v[0:1], v[0:1], v[14:15]
	v_cvt_u32_f64_e32 v75, v[0:1]
.LBB75_43:                              ;   in Loop: Header=BB75_5 Depth=1
	s_or_b64 exec, exec, s[0:1]
                                        ; implicit-def: $vgpr6
                                        ; implicit-def: $vgpr72_vgpr73
                                        ; implicit-def: $vgpr15
                                        ; implicit-def: $vgpr97
                                        ; implicit-def: $vgpr98
                                        ; implicit-def: $vgpr106
                                        ; implicit-def: $vgpr96
                                        ; implicit-def: $vgpr3
                                        ; implicit-def: $vgpr4_vgpr5
                                        ; implicit-def: $vgpr99
                                        ; implicit-def: $vgpr100
                                        ; implicit-def: $vgpr101
                                        ; implicit-def: $vgpr102
                                        ; implicit-def: $vgpr104
                                        ; implicit-def: $vgpr105
                                        ; implicit-def: $vgpr107
                                        ; implicit-def: $vgpr108
                                        ; implicit-def: $vgpr109
                                        ; implicit-def: $vgpr110
                                        ; implicit-def: $vgpr111
                                        ; implicit-def: $vgpr112
                                        ; implicit-def: $vgpr113
                                        ; implicit-def: $vgpr114
                                        ; implicit-def: $vgpr103
                                        ; implicit-def: $vgpr115
.LBB75_44:                              ;   in Loop: Header=BB75_5 Depth=1
	s_andn2_saveexec_b64 s[0:1], s[6:7]
	s_cbranch_execz .LBB75_3
; %bb.45:                               ;   in Loop: Header=BB75_5 Depth=1
	v_readlane_b32 s2, v134, 16
	v_readlane_b32 s3, v134, 17
	s_mov_b32 s2, s56
	v_mul_f64 v[8:9], v[4:5], s[2:3]
	v_rndne_f64_e32 v[10:11], v[8:9]
	s_mov_b32 s58, s50
	v_fma_f64 v[4:5], v[10:11], s[58:59], -v[4:5]
	s_mov_b32 s60, s52
	v_fmac_f64_e32 v[4:5], s[60:61], v[10:11]
	v_pk_mov_b32 v[8:9], v[30:31], v[30:31] op_sel:[0,1]
	v_fmac_f64_e32 v[8:9], s[64:65], v[4:5]
	v_pk_mov_b32 v[74:75], v[32:33], v[32:33] op_sel:[0,1]
	;; [unrolled: 2-line block ×9, first 2 shown]
	v_fmac_f64_e32 v[76:77], v[4:5], v[74:75]
	v_fma_f64 v[74:75], v[4:5], v[76:77], 1.0
	s_mov_b32 s2, 0xc4800000
	v_fma_f64 v[4:5], v[4:5], v[74:75], 1.0
	v_cvt_i32_f64_e32 v7, v[10:11]
	v_cmp_ngt_f32_e32 vcc, s2, v6
	s_mov_b32 s2, 0x44866000
	s_mov_b32 s7, s3
	v_ldexp_f64 v[4:5], v[4:5], v7
	v_cmp_nlt_f32_e64 s[2:3], s2, v6
	v_mov_b32_e32 v8, 0
	v_cndmask_b32_e32 v5, v94, v5, vcc
	s_and_b64 vcc, s[2:3], vcc
	v_writelane_b32 v134, s6, 16
	v_mov_b32_e32 v9, 0x3ff00000
	v_mov_b32_e32 v78, 0
	v_cndmask_b32_e64 v11, 0, v5, s[2:3]
	v_cndmask_b32_e32 v10, 0, v4, vcc
	s_mov_b32 s12, -1
	s_mov_b64 s[2:3], 0
	v_mov_b32_e32 v79, v17
	v_writelane_b32 v134, s7, 17
	s_branch .LBB75_47
.LBB75_46:                              ;   in Loop: Header=BB75_47 Depth=2
	s_or_b64 exec, exec, s[6:7]
	v_cmp_eq_u32_e32 vcc, 1, v15
	v_cndmask_b32_e32 v0, v0, v1, vcc
	v_cmp_eq_u32_e32 vcc, 2, v15
	v_cndmask_b32_e32 v0, v0, v2, vcc
	;; [unrolled: 2-line block ×6, first 2 shown]
	v_lshrrev_b32_e32 v0, 11, v0
	v_cvt_f64_u32_e32 v[0:1], v0
	v_ldexp_f64 v[0:1], v[0:1], 32
	v_cvt_f64_u32_e32 v[2:3], v2
	v_add_f64 v[0:1], v[0:1], v[2:3]
	v_mov_b32_e32 v2, 0
	v_mov_b32_e32 v3, 0x3ca00000
	v_fmac_f64_e32 v[2:3], 0x3ca00000, v[0:1]
	v_mul_f64 v[8:9], v[8:9], v[2:3]
	v_cmp_ngt_f64_e32 vcc, v[8:9], v[10:11]
	s_add_i32 s12, s12, 1
	s_or_b64 s[2:3], vcc, s[2:3]
	v_mov_b32_e32 v75, s12
	v_mov_b32_e32 v15, v81
	;; [unrolled: 1-line block ×6, first 2 shown]
	s_andn2_b64 exec, exec, s[2:3]
	s_cbranch_execz .LBB75_2
.LBB75_47:                              ;   Parent Loop BB75_5 Depth=1
                                        ; =>  This Inner Loop Header: Depth=2
	v_add_u32_e32 v80, 1, v15
	v_pk_mov_b32 v[6:7], v[2:3], v[2:3] op_sel:[0,1]
	v_cmp_eq_u32_e32 vcc, 4, v80
	v_pk_mov_b32 v[4:5], v[0:1], v[0:1] op_sel:[0,1]
	v_mov_b32_e32 v77, v0
	v_mov_b32_e32 v76, v1
	;; [unrolled: 1-line block ×4, first 2 shown]
	s_and_saveexec_b64 s[6:7], vcc
	s_cbranch_execz .LBB75_49
; %bb.48:                               ;   in Loop: Header=BB75_47 Depth=2
	v_add_co_u32_e32 v97, vcc, 1, v97
	v_cndmask_b32_e64 v4, 0, 1, vcc
	v_addc_co_u32_e32 v98, vcc, 0, v98, vcc
	v_cmp_eq_u32_e32 vcc, 0, v98
	v_cndmask_b32_e32 v4, 0, v4, vcc
	v_add_u32_e32 v79, v4, v79
	v_cmp_eq_u32_e32 vcc, 0, v79
	v_cndmask_b32_e32 v4, 0, v4, vcc
	v_add_u32_e32 v78, v4, v78
	v_mad_u64_u32 v[4:5], s[16:17], v97, s11, 0
	v_mad_u64_u32 v[6:7], s[16:17], v79, s10, 0
	v_xor_b32_e32 v5, v5, v73
	v_xor_b32_e32 v7, v7, v72
	v_xor_b32_e32 v5, v78, v5
	v_xor_b32_e32 v7, v98, v7
	v_mad_u64_u32 v[76:77], s[16:17], v5, s10, 0
	v_mad_u64_u32 v[74:75], s[16:17], v7, s11, 0
	v_xor_b32_e32 v5, v99, v77
	v_xor_b32_e32 v5, v5, v6
	v_xor_b32_e32 v6, v100, v75
	v_xor_b32_e32 v6, v6, v4
	;; [unrolled: 6-line block ×10, first 2 shown]
	v_mov_b32_e32 v80, 0
	v_mov_b32_e32 v5, v76
	;; [unrolled: 1-line block ×5, first 2 shown]
.LBB75_49:                              ;   in Loop: Header=BB75_47 Depth=2
	s_or_b64 exec, exec, s[6:7]
	v_add_u32_e32 v81, 1, v80
	v_cmp_eq_u32_e32 vcc, 4, v81
	s_and_saveexec_b64 s[6:7], vcc
	s_cbranch_execz .LBB75_46
; %bb.50:                               ;   in Loop: Header=BB75_47 Depth=2
	v_add_co_u32_e32 v97, vcc, 1, v97
	v_cndmask_b32_e64 v74, 0, 1, vcc
	v_addc_co_u32_e32 v98, vcc, 0, v98, vcc
	v_cmp_eq_u32_e32 vcc, 0, v98
	v_cndmask_b32_e32 v74, 0, v74, vcc
	v_add_u32_e32 v79, v74, v79
	v_cmp_eq_u32_e32 vcc, 0, v79
	v_cndmask_b32_e32 v74, 0, v74, vcc
	v_add_u32_e32 v78, v74, v78
	v_mad_u64_u32 v[74:75], s[16:17], v97, s11, 0
	v_mad_u64_u32 v[76:77], s[16:17], v79, s10, 0
	v_xor_b32_e32 v75, v75, v73
	v_xor_b32_e32 v77, v77, v72
	v_xor_b32_e32 v75, v78, v75
	v_xor_b32_e32 v77, v98, v77
	v_mad_u64_u32 v[84:85], s[16:17], v75, s10, 0
	v_mad_u64_u32 v[82:83], s[16:17], v77, s11, 0
	v_xor_b32_e32 v75, v99, v85
	v_xor_b32_e32 v75, v75, v76
	v_xor_b32_e32 v76, v100, v83
	v_xor_b32_e32 v76, v76, v74
	;; [unrolled: 6-line block ×9, first 2 shown]
	v_mad_u64_u32 v[74:75], s[16:17], v74, s11, 0
	v_mad_u64_u32 v[76:77], s[16:17], v76, s10, 0
	v_xor_b32_e32 v77, v77, v116
	v_xor_b32_e32 v75, v75, v86
	v_mov_b32_e32 v81, 0
	v_xor_b32_e32 v77, v106, v77
	v_xor_b32_e32 v82, v96, v75
	s_branch .LBB75_46
.LBB75_51:
	s_or_b64 exec, exec, s[18:19]
	s_and_saveexec_b64 s[0:1], s[14:15]
	s_xor_b64 s[0:1], exec, s[0:1]
	s_cbranch_execnz .LBB75_53
.LBB75_52:
	s_endpgm
.LBB75_53:
	s_trap 2
	; divergent unreachable
	s_endpgm
	.section	.rodata,"a",@progbits
	.p2align	6, 0x0
	.amdhsa_kernel _ZN2at4cuda12_GLOBAL__N_121kernelPointwiseApply2IZN12_GLOBAL__N_119poisson_cuda_kernelIfEEvRKNS_10TensorBaseES7_NS_15PhiloxCudaStateEEUlRfRKfE_ffjLin1ELi2ELi1ELi512ELi2EEEvNS0_6detail10TensorInfoIT0_T2_EENSE_IT1_SG_EESG_T_
		.amdhsa_group_segment_fixed_size 0
		.amdhsa_private_segment_fixed_size 0
		.amdhsa_kernarg_size 728
		.amdhsa_user_sgpr_count 6
		.amdhsa_user_sgpr_private_segment_buffer 1
		.amdhsa_user_sgpr_dispatch_ptr 0
		.amdhsa_user_sgpr_queue_ptr 0
		.amdhsa_user_sgpr_kernarg_segment_ptr 1
		.amdhsa_user_sgpr_dispatch_id 0
		.amdhsa_user_sgpr_flat_scratch_init 0
		.amdhsa_user_sgpr_kernarg_preload_length 0
		.amdhsa_user_sgpr_kernarg_preload_offset 0
		.amdhsa_user_sgpr_private_segment_size 0
		.amdhsa_uses_dynamic_stack 0
		.amdhsa_system_sgpr_private_segment_wavefront_offset 0
		.amdhsa_system_sgpr_workgroup_id_x 1
		.amdhsa_system_sgpr_workgroup_id_y 0
		.amdhsa_system_sgpr_workgroup_id_z 0
		.amdhsa_system_sgpr_workgroup_info 0
		.amdhsa_system_vgpr_workitem_id 0
		.amdhsa_next_free_vgpr 135
		.amdhsa_next_free_sgpr 96
		.amdhsa_accum_offset 136
		.amdhsa_reserve_vcc 1
		.amdhsa_reserve_flat_scratch 0
		.amdhsa_float_round_mode_32 0
		.amdhsa_float_round_mode_16_64 0
		.amdhsa_float_denorm_mode_32 3
		.amdhsa_float_denorm_mode_16_64 3
		.amdhsa_dx10_clamp 1
		.amdhsa_ieee_mode 1
		.amdhsa_fp16_overflow 0
		.amdhsa_tg_split 0
		.amdhsa_exception_fp_ieee_invalid_op 0
		.amdhsa_exception_fp_denorm_src 0
		.amdhsa_exception_fp_ieee_div_zero 0
		.amdhsa_exception_fp_ieee_overflow 0
		.amdhsa_exception_fp_ieee_underflow 0
		.amdhsa_exception_fp_ieee_inexact 0
		.amdhsa_exception_int_div_zero 0
	.end_amdhsa_kernel
	.section	.text._ZN2at4cuda12_GLOBAL__N_121kernelPointwiseApply2IZN12_GLOBAL__N_119poisson_cuda_kernelIfEEvRKNS_10TensorBaseES7_NS_15PhiloxCudaStateEEUlRfRKfE_ffjLin1ELi2ELi1ELi512ELi2EEEvNS0_6detail10TensorInfoIT0_T2_EENSE_IT1_SG_EESG_T_,"axG",@progbits,_ZN2at4cuda12_GLOBAL__N_121kernelPointwiseApply2IZN12_GLOBAL__N_119poisson_cuda_kernelIfEEvRKNS_10TensorBaseES7_NS_15PhiloxCudaStateEEUlRfRKfE_ffjLin1ELi2ELi1ELi512ELi2EEEvNS0_6detail10TensorInfoIT0_T2_EENSE_IT1_SG_EESG_T_,comdat
.Lfunc_end75:
	.size	_ZN2at4cuda12_GLOBAL__N_121kernelPointwiseApply2IZN12_GLOBAL__N_119poisson_cuda_kernelIfEEvRKNS_10TensorBaseES7_NS_15PhiloxCudaStateEEUlRfRKfE_ffjLin1ELi2ELi1ELi512ELi2EEEvNS0_6detail10TensorInfoIT0_T2_EENSE_IT1_SG_EESG_T_, .Lfunc_end75-_ZN2at4cuda12_GLOBAL__N_121kernelPointwiseApply2IZN12_GLOBAL__N_119poisson_cuda_kernelIfEEvRKNS_10TensorBaseES7_NS_15PhiloxCudaStateEEUlRfRKfE_ffjLin1ELi2ELi1ELi512ELi2EEEvNS0_6detail10TensorInfoIT0_T2_EENSE_IT1_SG_EESG_T_
                                        ; -- End function
	.section	.AMDGPU.csdata,"",@progbits
; Kernel info:
; codeLenInByte = 13772
; NumSgprs: 100
; NumVgprs: 135
; NumAgprs: 0
; TotalNumVgprs: 135
; ScratchSize: 0
; MemoryBound: 0
; FloatMode: 240
; IeeeMode: 1
; LDSByteSize: 0 bytes/workgroup (compile time only)
; SGPRBlocks: 12
; VGPRBlocks: 16
; NumSGPRsForWavesPerEU: 100
; NumVGPRsForWavesPerEU: 135
; AccumOffset: 136
; Occupancy: 3
; WaveLimiterHint : 1
; COMPUTE_PGM_RSRC2:SCRATCH_EN: 0
; COMPUTE_PGM_RSRC2:USER_SGPR: 6
; COMPUTE_PGM_RSRC2:TRAP_HANDLER: 0
; COMPUTE_PGM_RSRC2:TGID_X_EN: 1
; COMPUTE_PGM_RSRC2:TGID_Y_EN: 0
; COMPUTE_PGM_RSRC2:TGID_Z_EN: 0
; COMPUTE_PGM_RSRC2:TIDIG_COMP_CNT: 0
; COMPUTE_PGM_RSRC3_GFX90A:ACCUM_OFFSET: 33
; COMPUTE_PGM_RSRC3_GFX90A:TG_SPLIT: 0
	.section	.text._ZN2at4cuda12_GLOBAL__N_121kernelPointwiseApply2IZN12_GLOBAL__N_119poisson_cuda_kernelIfEEvRKNS_10TensorBaseES7_NS_15PhiloxCudaStateEEUlRfRKfE_ffjLin1ELin1ELi1ELi512ELi2EEEvNS0_6detail10TensorInfoIT0_T2_EENSE_IT1_SG_EESG_T_,"axG",@progbits,_ZN2at4cuda12_GLOBAL__N_121kernelPointwiseApply2IZN12_GLOBAL__N_119poisson_cuda_kernelIfEEvRKNS_10TensorBaseES7_NS_15PhiloxCudaStateEEUlRfRKfE_ffjLin1ELin1ELi1ELi512ELi2EEEvNS0_6detail10TensorInfoIT0_T2_EENSE_IT1_SG_EESG_T_,comdat
	.globl	_ZN2at4cuda12_GLOBAL__N_121kernelPointwiseApply2IZN12_GLOBAL__N_119poisson_cuda_kernelIfEEvRKNS_10TensorBaseES7_NS_15PhiloxCudaStateEEUlRfRKfE_ffjLin1ELin1ELi1ELi512ELi2EEEvNS0_6detail10TensorInfoIT0_T2_EENSE_IT1_SG_EESG_T_ ; -- Begin function _ZN2at4cuda12_GLOBAL__N_121kernelPointwiseApply2IZN12_GLOBAL__N_119poisson_cuda_kernelIfEEvRKNS_10TensorBaseES7_NS_15PhiloxCudaStateEEUlRfRKfE_ffjLin1ELin1ELi1ELi512ELi2EEEvNS0_6detail10TensorInfoIT0_T2_EENSE_IT1_SG_EESG_T_
	.p2align	8
	.type	_ZN2at4cuda12_GLOBAL__N_121kernelPointwiseApply2IZN12_GLOBAL__N_119poisson_cuda_kernelIfEEvRKNS_10TensorBaseES7_NS_15PhiloxCudaStateEEUlRfRKfE_ffjLin1ELin1ELi1ELi512ELi2EEEvNS0_6detail10TensorInfoIT0_T2_EENSE_IT1_SG_EESG_T_,@function
_ZN2at4cuda12_GLOBAL__N_121kernelPointwiseApply2IZN12_GLOBAL__N_119poisson_cuda_kernelIfEEvRKNS_10TensorBaseES7_NS_15PhiloxCudaStateEEUlRfRKfE_ffjLin1ELin1ELi1ELi512ELi2EEEvNS0_6detail10TensorInfoIT0_T2_EENSE_IT1_SG_EESG_T_: ; @_ZN2at4cuda12_GLOBAL__N_121kernelPointwiseApply2IZN12_GLOBAL__N_119poisson_cuda_kernelIfEEvRKNS_10TensorBaseES7_NS_15PhiloxCudaStateEEUlRfRKfE_ffjLin1ELin1ELi1ELi512ELi2EEEvNS0_6detail10TensorInfoIT0_T2_EENSE_IT1_SG_EESG_T_
; %bb.0:
	s_load_dword s2, s[4:5], 0x1e4
	s_load_dword s33, s[4:5], 0x1b0
	s_add_u32 s0, s4, 0x1d8
	s_addc_u32 s1, s5, 0
	s_waitcnt lgkmcnt(0)
	s_and_b32 s2, s2, 0xffff
	s_mul_i32 s6, s6, s2
	v_add_u32_e32 v17, s6, v0
	v_cmp_gt_u32_e32 vcc, s33, v17
	s_and_saveexec_b64 s[6:7], vcc
	s_cbranch_execz .LBB76_55
; %bb.1:
	s_load_dword s3, s[0:1], 0x0
	s_load_dword s6, s[4:5], 0x1d0
	;; [unrolled: 1-line block ×3, first 2 shown]
	s_load_dwordx2 s[20:21], s[4:5], 0x1c8
	s_load_dwordx4 s[12:15], s[4:5], 0x1b8
                                        ; implicit-def: $vgpr134 : SGPR spill to VGPR lane
	s_add_u32 s9, s4, 0xd8
	s_addc_u32 s10, s5, 0
	s_waitcnt lgkmcnt(0)
	s_cmp_gt_i32 s11, 1
                                        ; kill: killed $sgpr0 killed $sgpr1
	s_cselect_b64 s[0:1], -1, 0
	v_writelane_b32 v134, s12, 0
	v_writelane_b32 v134, s13, 1
	;; [unrolled: 1-line block ×6, first 2 shown]
	s_load_dword s0, s[4:5], 0x144
	s_load_dword s12, s[4:5], 0x1a8
	s_load_dwordx2 s[56:57], s[4:5], 0xd8
	s_load_dword s13, s[4:5], 0x6c
	s_mul_i32 s2, s3, s2
	s_mov_b32 s8, 0xcd9e8d57
	s_waitcnt lgkmcnt(0)
	s_cmp_gt_i32 s12, 1
	v_writelane_b32 v134, s0, 6
	s_cselect_b64 s[0:1], -1, 0
	v_writelane_b32 v134, s0, 7
	v_writelane_b32 v134, s1, 8
	s_load_dwordx2 s[0:1], s[4:5], 0x0
	s_mov_b32 s3, 0
	s_mov_b32 s28, 0
	s_mov_b32 s36, 0x55555555
	s_mov_b32 s38, 0x6b47b09a
	s_waitcnt lgkmcnt(0)
	v_writelane_b32 v134, s0, 9
	v_writelane_b32 v134, s1, 10
	s_getpc_b64 s[0:1]
	s_add_u32 s0, s0, .str@rel32@lo+4
	s_addc_u32 s1, s1, .str@rel32@hi+12
	s_cmp_eq_u64 s[0:1], 0
	s_cselect_b64 s[0:1], -1, 0
	s_bitcmp1_b32 s6, 0
	s_cselect_b64 s[6:7], -1, 0
	v_writelane_b32 v134, s6, 11
	v_writelane_b32 v134, s7, 12
	;; [unrolled: 1-line block ×3, first 2 shown]
	s_add_i32 s2, s11, 1
	v_mad_u64_u32 v[12:13], s[6:7], v17, s8, 0
	v_writelane_b32 v134, s2, 14
	s_add_i32 s2, s11, -1
	s_lshl_b64 s[6:7], s[2:3], 2
	s_add_u32 s2, s6, s4
	s_addc_u32 s4, s7, s5
	s_add_u32 s6, s2, 8
	s_addc_u32 s7, s4, 0
	s_add_i32 s2, s12, -1
	s_add_i32 s11, s12, 1
	s_lshl_b64 s[2:3], s[2:3], 2
	s_add_u32 s2, s2, s9
	s_addc_u32 s3, s3, s10
	v_writelane_b32 v134, s6, 15
	s_add_u32 s2, s2, 8
	v_writelane_b32 v134, s7, 16
	s_addc_u32 s3, s3, 0
	v_writelane_b32 v134, s2, 17
	v_writelane_b32 v134, s3, 18
	s_xor_b64 s[64:65], s[0:1], -1
	s_mov_b32 s1, 0xbff71547
	v_writelane_b32 v134, s0, 19
	s_mov_b32 s40, 0xbf559e2b
	s_mov_b32 s42, 0xd7f4df2e
	;; [unrolled: 1-line block ×23, first 2 shown]
	s_movk_i32 s26, 0xf950
	s_mov_b32 s24, 0xc864beb5
	s_mov_b32 s30, 0
	;; [unrolled: 1-line block ×3, first 2 shown]
	v_writelane_b32 v134, s1, 20
	s_mov_b64 s[18:19], 0
	v_mov_b32_e32 v14, 0
	v_mov_b32_e32 v16, v13
	s_mov_b32 s9, 0xd2511f53
	s_mov_b32 s29, 0x40080000
	;; [unrolled: 1-line block ×12, first 2 shown]
	s_movk_i32 s10, 0x204
	s_mov_b32 s59, 0x3ff71547
	s_mov_b32 s61, 0xbfe62e42
	;; [unrolled: 1-line block ×3, first 2 shown]
	v_mov_b32_e32 v18, 0x6b47b09a
	v_mov_b32_e32 v20, 0xd7f4df2e
	;; [unrolled: 1-line block ×27, first 2 shown]
	s_mov_b32 s57, s13
	v_mov_b32_e32 v88, 0x260
	v_mov_b32_e32 v89, 0xffffff80
	;; [unrolled: 1-line block ×33, first 2 shown]
	s_mov_b32 s67, 0x3e5ade15
	s_mov_b32 s69, 0x40900000
	;; [unrolled: 1-line block ×19, first 2 shown]
	v_writelane_b32 v134, s20, 21
                                        ; implicit-def: $sgpr34_sgpr35
                                        ; implicit-def: $sgpr4_sgpr5
	v_writelane_b32 v134, s21, 22
	s_branch .LBB76_5
.LBB76_2:                               ;   in Loop: Header=BB76_5 Depth=1
	s_or_b64 exec, exec, s[0:1]
.LBB76_3:                               ;   in Loop: Header=BB76_5 Depth=1
	s_or_b64 exec, exec, s[6:7]
	v_readlane_b32 s0, v134, 9
	v_lshlrev_b64 v[0:1], 2, v[70:71]
	v_readlane_b32 s1, v134, 10
	v_mov_b32_e32 v2, s1
	v_cvt_f32_u32_e32 v3, v75
	v_add_co_u32_e32 v0, vcc, s0, v0
	v_readlane_b32 s0, v134, 13
	v_addc_co_u32_e32 v1, vcc, v2, v1, vcc
	v_add_u32_e32 v94, s0, v94
	v_cmp_le_u32_e32 vcc, s33, v94
	s_andn2_b64 s[4:5], s[4:5], exec
	s_orn2_b64 s[0:1], vcc, exec
	global_store_dword v[0:1], v3, off
.LBB76_4:                               ;   in Loop: Header=BB76_5 Depth=1
	s_or_b64 exec, exec, s[22:23]
	s_and_b64 s[0:1], exec, s[0:1]
	s_or_b64 s[18:19], s[0:1], s[18:19]
	s_andn2_b64 s[0:1], s[34:35], exec
	s_and_b64 s[6:7], s[4:5], exec
	s_or_b64 s[34:35], s[0:1], s[6:7]
	s_andn2_b64 exec, exec, s[18:19]
	s_cbranch_execz .LBB76_54
.LBB76_5:                               ; =>This Loop Header: Depth=1
                                        ;     Child Loop BB76_8 Depth 2
                                        ;     Child Loop BB76_13 Depth 2
	;; [unrolled: 1-line block ×4, first 2 shown]
	v_sub_u32_e32 v0, s33, v94
	v_cmp_lt_i32_e64 s[0:1], 0, v0
	v_pk_mov_b32 v[70:71], 0, 0
	s_and_saveexec_b64 s[6:7], s[0:1]
	s_cbranch_execz .LBB76_10
; %bb.6:                                ;   in Loop: Header=BB76_5 Depth=1
	v_readlane_b32 s12, v134, 4
	v_readlane_b32 s13, v134, 5
	s_andn2_b64 vcc, exec, s[12:13]
	v_mov_b32_e32 v0, 0
	v_mov_b32_e32 v2, v94
	s_cbranch_vccnz .LBB76_9
; %bb.7:                                ;   in Loop: Header=BB76_5 Depth=1
	v_readlane_b32 s12, v134, 15
	v_mov_b32_e32 v0, 0
	v_readlane_b32 s13, v134, 16
	v_readlane_b32 s14, v134, 14
	v_mov_b32_e32 v2, v94
.LBB76_8:                               ;   Parent Loop BB76_5 Depth=1
                                        ; =>  This Inner Loop Header: Depth=2
	s_load_dword s15, s[12:13], 0x0
	s_load_dword s16, s[12:13], 0x64
	v_mov_b32_e32 v1, v2
	s_add_i32 s14, s14, -1
	s_waitcnt lgkmcnt(0)
	v_cvt_f32_u32_e32 v2, s15
	s_sub_i32 s17, 0, s15
	s_add_u32 s12, s12, -4
	s_addc_u32 s13, s13, -1
	v_rcp_iflag_f32_e32 v2, v2
	s_cmp_gt_u32 s14, 2
	v_mul_f32_e32 v2, 0x4f7ffffe, v2
	v_cvt_u32_f32_e32 v2, v2
	v_mul_lo_u32 v3, s17, v2
	v_mul_hi_u32 v3, v2, v3
	v_add_u32_e32 v2, v2, v3
	v_mul_hi_u32 v2, v1, v2
	v_mul_lo_u32 v3, v2, s15
	v_sub_u32_e32 v3, v1, v3
	v_add_u32_e32 v4, 1, v2
	v_subrev_u32_e32 v5, s15, v3
	v_cmp_le_u32_e32 vcc, s15, v3
	v_cndmask_b32_e32 v2, v2, v4, vcc
	v_cndmask_b32_e32 v3, v3, v5, vcc
	v_add_u32_e32 v4, 1, v2
	v_cmp_le_u32_e32 vcc, s15, v3
	v_cndmask_b32_e32 v2, v2, v4, vcc
	v_mul_lo_u32 v3, v2, s15
	v_sub_u32_e32 v1, v1, v3
	v_mad_u64_u32 v[0:1], s[16:17], s16, v1, v[0:1]
	s_cbranch_scc1 .LBB76_8
.LBB76_9:                               ;   in Loop: Header=BB76_5 Depth=1
	v_mad_u64_u32 v[70:71], s[12:13], s57, v2, v[0:1]
	v_mov_b32_e32 v71, v14
.LBB76_10:                              ;   in Loop: Header=BB76_5 Depth=1
	s_or_b64 exec, exec, s[6:7]
	v_pk_mov_b32 v[0:1], 0, 0
	s_and_saveexec_b64 s[6:7], s[0:1]
	s_cbranch_execz .LBB76_15
; %bb.11:                               ;   in Loop: Header=BB76_5 Depth=1
	v_readlane_b32 s0, v134, 7
	v_readlane_b32 s1, v134, 8
	s_andn2_b64 vcc, exec, s[0:1]
	v_mov_b32_e32 v0, 0
	v_mov_b32_e32 v2, v94
	s_cbranch_vccnz .LBB76_14
; %bb.12:                               ;   in Loop: Header=BB76_5 Depth=1
	v_readlane_b32 s0, v134, 17
	v_mov_b32_e32 v0, 0
	v_readlane_b32 s1, v134, 18
	s_mov_b32 s12, s11
	v_mov_b32_e32 v2, v94
.LBB76_13:                              ;   Parent Loop BB76_5 Depth=1
                                        ; =>  This Inner Loop Header: Depth=2
	s_load_dword s13, s[0:1], 0x0
	s_load_dword s14, s[0:1], 0x64
	v_mov_b32_e32 v1, v2
	s_add_i32 s12, s12, -1
	s_waitcnt lgkmcnt(0)
	v_cvt_f32_u32_e32 v2, s13
	s_sub_i32 s15, 0, s13
	s_add_u32 s0, s0, -4
	s_addc_u32 s1, s1, -1
	v_rcp_iflag_f32_e32 v2, v2
	s_cmp_gt_u32 s12, 2
	v_mul_f32_e32 v2, 0x4f7ffffe, v2
	v_cvt_u32_f32_e32 v2, v2
	v_mul_lo_u32 v3, s15, v2
	v_mul_hi_u32 v3, v2, v3
	v_add_u32_e32 v2, v2, v3
	v_mul_hi_u32 v2, v1, v2
	v_mul_lo_u32 v3, v2, s13
	v_sub_u32_e32 v3, v1, v3
	v_add_u32_e32 v4, 1, v2
	v_subrev_u32_e32 v5, s13, v3
	v_cmp_le_u32_e32 vcc, s13, v3
	v_cndmask_b32_e32 v2, v2, v4, vcc
	v_cndmask_b32_e32 v3, v3, v5, vcc
	v_add_u32_e32 v4, 1, v2
	v_cmp_le_u32_e32 vcc, s13, v3
	v_cndmask_b32_e32 v2, v2, v4, vcc
	v_mul_lo_u32 v3, v2, s13
	v_sub_u32_e32 v1, v1, v3
	v_mad_u64_u32 v[0:1], s[14:15], s14, v1, v[0:1]
	s_cbranch_scc1 .LBB76_13
.LBB76_14:                              ;   in Loop: Header=BB76_5 Depth=1
	v_readlane_b32 s0, v134, 6
	v_mad_u64_u32 v[0:1], s[0:1], s0, v2, v[0:1]
	v_mov_b32_e32 v1, v14
.LBB76_15:                              ;   in Loop: Header=BB76_5 Depth=1
	s_or_b64 exec, exec, s[6:7]
	v_lshlrev_b64 v[0:1], 2, v[0:1]
	v_add_co_u32_e32 v0, vcc, s56, v0
	v_addc_co_u32_e32 v1, vcc, v13, v1, vcc
	global_load_dword v6, v[0:1], off
	s_mov_b64 s[0:1], -1
	s_or_b64 s[4:5], s[4:5], exec
	s_waitcnt vmcnt(0)
	v_cmp_le_f32_e32 vcc, 0, v6
	s_and_b64 s[6:7], s[64:65], vcc
	s_and_saveexec_b64 s[22:23], s[6:7]
	s_cbranch_execz .LBB76_4
; %bb.16:                               ;   in Loop: Header=BB76_5 Depth=1
	v_readlane_b32 s0, v134, 11
	v_readlane_b32 s12, v134, 0
	;; [unrolled: 1-line block ×6, first 2 shown]
	s_andn2_b64 vcc, exec, s[0:1]
	v_pk_mov_b32 v[0:1], s[14:15], s[14:15] op_sel:[0,1]
	v_pk_mov_b32 v[72:73], s[12:13], s[12:13] op_sel:[0,1]
	s_cbranch_vccnz .LBB76_18
; %bb.17:                               ;   in Loop: Header=BB76_5 Depth=1
	v_readlane_b32 s12, v134, 0
	v_readlane_b32 s14, v134, 2
	;; [unrolled: 1-line block ×3, first 2 shown]
	v_pk_mov_b32 v[0:1], s[14:15], s[14:15] op_sel:[0,1]
	v_readlane_b32 s13, v134, 1
	flat_load_dwordx2 v[0:1], v[0:1]
	v_pk_mov_b32 v[2:3], s[12:13], s[12:13] op_sel:[0,1]
	flat_load_dwordx2 v[72:73], v[2:3]
	v_mov_b32_e32 v2, s21
	s_waitcnt vmcnt(0) lgkmcnt(0)
	v_add_co_u32_e32 v0, vcc, s20, v0
	v_addc_co_u32_e32 v1, vcc, v1, v2, vcc
.LBB76_18:                              ;   in Loop: Header=BB76_5 Depth=1
	v_alignbit_b32 v96, v1, v0, 2
	v_and_b32_e32 v15, 3, v0
	v_lshrrev_b32_e32 v97, 2, v1
	v_mad_u64_u32 v[0:1], s[0:1], v96, s9, 0
	v_xor_b32_e32 v3, v16, v72
	v_mov_b32_e32 v2, v73
	v_xor_b32_e32 v1, v1, v73
	s_mov_b32 s0, 0xbb67ae85
	v_xor_b32_e32 v3, v3, v97
	v_add_co_u32_e32 v99, vcc, s0, v2
	v_mad_u64_u32 v[4:5], s[0:1], v3, s9, 0
	v_mad_u64_u32 v[8:9], s[0:1], v1, s8, 0
	v_add_co_u32_e32 v98, vcc, 0x9e3779b9, v72
	v_xor_b32_e32 v1, v12, v9
	v_xor_b32_e32 v3, v99, v5
	s_mov_b32 s0, 0x3c6ef372
	v_xor_b32_e32 v1, v1, v98
	v_xor_b32_e32 v3, v3, v0
	v_add_co_u32_e32 v100, vcc, s0, v72
	s_mov_b32 s0, 0x76cf5d0a
	v_add_co_u32_e32 v101, vcc, s0, v2
	v_mad_u64_u32 v[0:1], s[0:1], v1, s9, 0
	v_mad_u64_u32 v[10:11], s[0:1], v3, s8, 0
	v_xor_b32_e32 v3, v100, v11
	v_xor_b32_e32 v1, v101, v1
	s_mov_b32 s0, 0xdaa66d2b
	v_xor_b32_e32 v3, v3, v8
	v_xor_b32_e32 v1, v1, v4
	v_add_co_u32_e32 v103, vcc, s0, v72
	s_mov_b32 s0, 0x32370b8f
	v_add_co_u32_e32 v104, vcc, s0, v2
	v_mad_u64_u32 v[4:5], s[0:1], v3, s9, 0
	v_mad_u64_u32 v[8:9], s[0:1], v1, s8, 0
	;; [unrolled: 10-line block ×7, first 2 shown]
	v_xor_b32_e32 v1, v102, v1
	v_xor_b32_e32 v3, v114, v3
	;; [unrolled: 1-line block ×4, first 2 shown]
	v_mad_u64_u32 v[4:5], s[0:1], v1, s9, 0
	v_mad_u64_u32 v[8:9], s[0:1], v7, s8, 0
	v_add_u32_e32 v105, 0x8ff34781, v72
	v_add_u32_e32 v95, 0x96a522ad, v73
	v_xor_b32_e32 v0, v9, v0
	v_xor_b32_e32 v2, v5, v2
	s_mov_b32 s0, 0x42800000
	v_mov_b32_e32 v3, v4
	v_mov_b32_e32 v1, v8
	v_xor_b32_e32 v0, v105, v0
	v_xor_b32_e32 v2, v95, v2
	v_cvt_f64_f32_e32 v[4:5], v6
	v_cmp_ngt_f32_e32 vcc, s0, v6
                                        ; implicit-def: $vgpr75
	s_and_saveexec_b64 s[0:1], vcc
	s_xor_b64 s[16:17], exec, s[0:1]
	s_cbranch_execz .LBB76_47
; %bb.19:                               ;   in Loop: Header=BB76_5 Depth=1
	s_mov_b32 s0, 0x457a0000
	v_cmp_ge_f32_e32 vcc, s0, v6
                                        ; implicit-def: $vgpr75
	s_and_saveexec_b64 s[0:1], vcc
	s_xor_b64 s[6:7], exec, s[0:1]
	s_cbranch_execz .LBB76_34
; %bb.20:                               ;   in Loop: Header=BB76_5 Depth=1
	s_mov_b32 s12, 0xae147ae1
	s_mov_b32 s13, 0xc00ae147
	v_div_scale_f64 v[6:7], s[0:1], v[4:5], v[4:5], s[12:13]
	v_rcp_f64_e32 v[8:9], v[6:7]
	s_mov_b32 s0, 0
	v_mul_f64 v[76:77], v[4:5], s[28:29]
	s_brev_b32 s1, 8
	v_cmp_gt_f64_e64 s[0:1], s[0:1], v[76:77]
	v_cndmask_b32_e64 v78, 0, 1, s[0:1]
	v_fma_f64 v[74:75], -v[6:7], v[8:9], 1.0
	v_lshlrev_b32_e32 v78, 8, v78
	v_fmac_f64_e32 v[8:9], v[8:9], v[74:75]
	v_ldexp_f64 v[76:77], v[76:77], v78
	v_fma_f64 v[74:75], -v[6:7], v[8:9], 1.0
	v_rsq_f64_e32 v[78:79], v[76:77]
	v_div_scale_f64 v[10:11], vcc, s[12:13], v[4:5], s[12:13]
	v_fmac_f64_e32 v[8:9], v[8:9], v[74:75]
	v_mul_f64 v[74:75], v[10:11], v[8:9]
	v_fma_f64 v[6:7], -v[6:7], v[74:75], v[10:11]
	s_nop 0
	v_div_fmas_f64 v[6:7], v[6:7], v[8:9], v[74:75]
	v_mul_f64 v[8:9], v[76:77], v[78:79]
	v_mul_f64 v[10:11], v[78:79], 0.5
	v_fma_f64 v[74:75], -v[10:11], v[8:9], 0.5
	v_fmac_f64_e32 v[8:9], v[8:9], v[74:75]
	v_fma_f64 v[78:79], -v[8:9], v[8:9], v[76:77]
	v_fmac_f64_e32 v[10:11], v[10:11], v[74:75]
	v_fmac_f64_e32 v[8:9], v[78:79], v[10:11]
	v_fma_f64 v[74:75], -v[8:9], v[8:9], v[76:77]
	v_fmac_f64_e32 v[8:9], v[74:75], v[10:11]
	v_cndmask_b32_e64 v10, 0, v89, s[0:1]
	v_ldexp_f64 v[8:9], v[8:9], v10
	v_cmp_class_f64_e32 vcc, v[76:77], v88
	s_mov_b32 s14, 0x54442d18
	v_cndmask_b32_e32 v9, v9, v77, vcc
	v_cndmask_b32_e32 v8, v8, v76, vcc
	s_mov_b32 s15, 0x400921fb
	v_div_scale_f64 v[10:11], s[0:1], v[8:9], v[8:9], s[14:15]
	v_rcp_f64_e32 v[76:77], v[10:11]
	s_mov_b32 s0, 0x95810625
	v_div_fixup_f64 v[6:7], v[6:7], v[4:5], s[12:13]
	s_mov_b32 s1, 0x3fe88b43
	v_fma_f64 v[78:79], -v[10:11], v[76:77], 1.0
	v_fmac_f64_e32 v[76:77], v[76:77], v[78:79]
	v_fma_f64 v[78:79], -v[10:11], v[76:77], 1.0
	v_fmac_f64_e32 v[76:77], v[76:77], v[78:79]
	v_div_scale_f64 v[78:79], vcc, s[14:15], v[8:9], s[14:15]
	v_mul_f64 v[80:81], v[78:79], v[76:77]
	v_fma_f64 v[10:11], -v[10:11], v[80:81], v[78:79]
	v_add_f64 v[6:7], v[6:7], s[0:1]
	s_nop 0
	v_div_fmas_f64 v[10:11], v[10:11], v[76:77], v[80:81]
	v_div_fixup_f64 v[76:77], v[10:11], v[8:9], s[14:15]
	v_frexp_mant_f64_e32 v[8:9], v[6:7]
	v_cmp_gt_f64_e32 vcc, s[36:37], v[8:9]
	v_mov_b32_e32 v74, 0
	v_cndmask_b32_e64 v75, v90, 2.0, vcc
	v_frexp_exp_i32_f64_e32 v10, v[6:7]
	v_mul_f64 v[8:9], v[8:9], v[74:75]
	v_subbrev_co_u32_e32 v75, vcc, 0, v10, vcc
	v_add_f64 v[10:11], v[8:9], 1.0
	v_rcp_f64_e32 v[80:81], v[10:11]
	v_add_f64 v[84:85], v[10:11], -1.0
	v_add_f64 v[82:83], v[8:9], -1.0
	v_add_f64 v[8:9], v[8:9], -v[84:85]
	v_fma_f64 v[84:85], -v[10:11], v[80:81], 1.0
	v_fmac_f64_e32 v[80:81], v[84:85], v[80:81]
	v_fma_f64 v[84:85], -v[10:11], v[80:81], 1.0
	v_fmac_f64_e32 v[80:81], v[84:85], v[80:81]
	v_mul_f64 v[84:85], v[82:83], v[80:81]
	v_mul_f64 v[86:87], v[10:11], v[84:85]
	v_fma_f64 v[10:11], v[84:85], v[10:11], -v[86:87]
	v_fmac_f64_e32 v[10:11], v[84:85], v[8:9]
	v_add_f64 v[8:9], v[86:87], v[10:11]
	v_add_f64 v[116:117], v[82:83], -v[8:9]
	v_add_f64 v[86:87], v[8:9], -v[86:87]
	;; [unrolled: 1-line block ×5, first 2 shown]
	v_add_f64 v[8:9], v[10:11], v[8:9]
	v_add_f64 v[8:9], v[116:117], v[8:9]
	v_mul_f64 v[8:9], v[80:81], v[8:9]
	v_add_f64 v[10:11], v[84:85], v[8:9]
	v_add_f64 v[80:81], v[10:11], -v[84:85]
	v_add_f64 v[8:9], v[8:9], -v[80:81]
	v_mul_f64 v[80:81], v[10:11], v[10:11]
	v_pk_mov_b32 v[82:83], s[38:39], s[38:39] op_sel:[0,1]
	v_fma_f64 v[84:85], s[40:41], v[80:81], v[82:83]
	v_fma_f64 v[84:85], v[80:81], v[84:85], s[42:43]
	;; [unrolled: 1-line block ×5, first 2 shown]
	s_mov_b32 s51, s37
	v_fma_f64 v[84:85], v[80:81], v[84:85], s[50:51]
	v_ldexp_f64 v[86:87], v[10:11], 1
	v_mul_f64 v[10:11], v[10:11], v[80:81]
	v_mul_f64 v[10:11], v[10:11], v[84:85]
	v_add_f64 v[80:81], v[86:87], v[10:11]
	v_add_f64 v[84:85], v[80:81], -v[86:87]
	v_ldexp_f64 v[8:9], v[8:9], 1
	v_add_f64 v[10:11], v[10:11], -v[84:85]
	v_add_f64 v[8:9], v[8:9], v[10:11]
	v_add_f64 v[10:11], v[80:81], v[8:9]
	v_add_f64 v[80:81], v[10:11], -v[80:81]
	v_add_f64 v[8:9], v[8:9], -v[80:81]
	v_cvt_f64_i32_e32 v[80:81], v75
	v_mul_f64 v[84:85], v[80:81], s[52:53]
	v_fma_f64 v[86:87], v[80:81], s[52:53], -v[84:85]
	v_fmac_f64_e32 v[86:87], s[54:55], v[80:81]
	v_add_f64 v[80:81], v[84:85], v[86:87]
	v_add_f64 v[84:85], v[80:81], -v[84:85]
	v_add_f64 v[84:85], v[86:87], -v[84:85]
	v_add_f64 v[86:87], v[80:81], v[10:11]
	v_add_f64 v[116:117], v[86:87], -v[80:81]
	v_add_f64 v[118:119], v[86:87], -v[116:117]
	;; [unrolled: 1-line block ×4, first 2 shown]
	v_add_f64 v[10:11], v[10:11], v[80:81]
	v_add_f64 v[80:81], v[84:85], v[8:9]
	v_add_f64 v[116:117], v[80:81], -v[84:85]
	v_add_f64 v[118:119], v[80:81], -v[116:117]
	v_add_f64 v[10:11], v[80:81], v[10:11]
	v_add_f64 v[84:85], v[84:85], -v[118:119]
	v_add_f64 v[8:9], v[8:9], -v[116:117]
	v_add_f64 v[80:81], v[86:87], v[10:11]
	v_add_f64 v[8:9], v[8:9], v[84:85]
	v_add_f64 v[84:85], v[80:81], -v[86:87]
	v_add_f64 v[10:11], v[10:11], -v[84:85]
	v_add_f64 v[8:9], v[8:9], v[10:11]
	v_add_f64 v[8:9], v[80:81], v[8:9]
	v_cmp_class_f64_e64 vcc, v[6:7], s10
	v_cndmask_b32_e32 v8, v8, v6, vcc
	v_cndmask_b32_e32 v9, v9, v7, vcc
	v_cmp_ngt_f64_e32 vcc, 0, v[6:7]
	v_cndmask_b32_e32 v9, v91, v9, vcc
	v_cmp_nge_f64_e32 vcc, 0, v[6:7]
	v_cndmask_b32_e32 v8, 0, v8, vcc
	v_cmp_neq_f64_e32 vcc, 0, v[6:7]
	v_cndmask_b32_e32 v9, v92, v9, vcc
	v_add_f64 v[6:7], v[8:9], -v[4:5]
	v_frexp_mant_f64_e32 v[8:9], v[76:77]
	v_cmp_gt_f64_e32 vcc, s[36:37], v[8:9]
	v_cndmask_b32_e64 v75, v90, 2.0, vcc
	v_frexp_exp_i32_f64_e32 v10, v[76:77]
	v_mul_f64 v[8:9], v[8:9], v[74:75]
	v_subbrev_co_u32_e32 v75, vcc, 0, v10, vcc
	v_add_f64 v[10:11], v[8:9], 1.0
	v_rcp_f64_e32 v[80:81], v[10:11]
	v_add_f64 v[86:87], v[10:11], -1.0
	v_add_f64 v[84:85], v[8:9], -1.0
	v_add_f64 v[8:9], v[8:9], -v[86:87]
	v_fma_f64 v[86:87], -v[10:11], v[80:81], 1.0
	v_fmac_f64_e32 v[80:81], v[86:87], v[80:81]
	v_fma_f64 v[86:87], -v[10:11], v[80:81], 1.0
	v_fmac_f64_e32 v[80:81], v[86:87], v[80:81]
	v_mul_f64 v[86:87], v[84:85], v[80:81]
	v_mul_f64 v[116:117], v[10:11], v[86:87]
	v_fma_f64 v[10:11], v[86:87], v[10:11], -v[116:117]
	v_fmac_f64_e32 v[10:11], v[86:87], v[8:9]
	v_add_f64 v[8:9], v[116:117], v[10:11]
	v_add_f64 v[118:119], v[84:85], -v[8:9]
	v_add_f64 v[116:117], v[8:9], -v[116:117]
	v_add_f64 v[84:85], v[84:85], -v[118:119]
	v_add_f64 v[8:9], v[84:85], -v[8:9]
	v_add_f64 v[10:11], v[116:117], -v[10:11]
	v_add_f64 v[8:9], v[10:11], v[8:9]
	v_add_f64 v[8:9], v[118:119], v[8:9]
	v_mul_f64 v[8:9], v[80:81], v[8:9]
	v_add_f64 v[10:11], v[86:87], v[8:9]
	v_add_f64 v[80:81], v[10:11], -v[86:87]
	v_add_f64 v[8:9], v[8:9], -v[80:81]
	v_mul_f64 v[80:81], v[10:11], v[10:11]
	v_fma_f64 v[84:85], s[40:41], v[80:81], v[82:83]
	v_fma_f64 v[84:85], v[80:81], v[84:85], s[42:43]
	;; [unrolled: 1-line block ×6, first 2 shown]
	v_ldexp_f64 v[86:87], v[10:11], 1
	v_mul_f64 v[10:11], v[10:11], v[80:81]
	v_mul_f64 v[10:11], v[10:11], v[84:85]
	v_add_f64 v[80:81], v[86:87], v[10:11]
	v_add_f64 v[84:85], v[80:81], -v[86:87]
	v_ldexp_f64 v[8:9], v[8:9], 1
	v_add_f64 v[10:11], v[10:11], -v[84:85]
	v_add_f64 v[8:9], v[8:9], v[10:11]
	v_add_f64 v[10:11], v[80:81], v[8:9]
	v_add_f64 v[80:81], v[10:11], -v[80:81]
	v_add_f64 v[8:9], v[8:9], -v[80:81]
	v_cvt_f64_i32_e32 v[80:81], v75
	v_mul_f64 v[84:85], v[80:81], s[52:53]
	v_fma_f64 v[86:87], v[80:81], s[52:53], -v[84:85]
	v_fmac_f64_e32 v[86:87], s[54:55], v[80:81]
	v_add_f64 v[80:81], v[84:85], v[86:87]
	v_add_f64 v[84:85], v[80:81], -v[84:85]
	v_add_f64 v[84:85], v[86:87], -v[84:85]
	v_add_f64 v[86:87], v[80:81], v[10:11]
	v_add_f64 v[116:117], v[86:87], -v[80:81]
	v_add_f64 v[118:119], v[86:87], -v[116:117]
	v_add_f64 v[80:81], v[80:81], -v[118:119]
	v_add_f64 v[10:11], v[10:11], -v[116:117]
	v_add_f64 v[10:11], v[10:11], v[80:81]
	v_add_f64 v[80:81], v[84:85], v[8:9]
	v_add_f64 v[116:117], v[80:81], -v[84:85]
	v_add_f64 v[118:119], v[80:81], -v[116:117]
	v_add_f64 v[10:11], v[80:81], v[10:11]
	v_add_f64 v[84:85], v[84:85], -v[118:119]
	v_add_f64 v[8:9], v[8:9], -v[116:117]
	v_add_f64 v[80:81], v[86:87], v[10:11]
	v_add_f64 v[8:9], v[8:9], v[84:85]
	v_add_f64 v[84:85], v[80:81], -v[86:87]
	v_add_f64 v[10:11], v[10:11], -v[84:85]
	s_mov_b32 s0, 0
	v_add_f64 v[8:9], v[8:9], v[10:11]
	s_mov_b32 s1, 0x7ff00000
	v_add_f64 v[8:9], v[80:81], v[8:9]
	v_cmp_eq_f64_e32 vcc, s[0:1], v[76:77]
	v_cndmask_b32_e32 v8, v8, v76, vcc
	v_cndmask_b32_e32 v9, v9, v77, vcc
	v_cmp_neq_f64_e32 vcc, 0, v[76:77]
	v_cndmask_b32_e32 v9, v92, v9, vcc
	v_cndmask_b32_e32 v8, 0, v8, vcc
	v_mul_f64 v[78:79], v[76:77], v[4:5]
	v_add_f64 v[80:81], v[6:7], -v[8:9]
	v_frexp_exp_i32_f64_e32 v6, v[4:5]
	v_frexp_mant_f64_e32 v[4:5], v[4:5]
	v_cmp_gt_f64_e32 vcc, s[36:37], v[4:5]
	v_cndmask_b32_e64 v75, v90, 2.0, vcc
	v_mul_f64 v[4:5], v[4:5], v[74:75]
	v_subbrev_co_u32_e32 v75, vcc, 0, v6, vcc
	v_add_f64 v[6:7], v[4:5], 1.0
	v_rcp_f64_e32 v[8:9], v[6:7]
	v_add_f64 v[84:85], v[6:7], -1.0
	v_add_f64 v[10:11], v[4:5], -1.0
	v_add_f64 v[4:5], v[4:5], -v[84:85]
	v_fma_f64 v[84:85], -v[6:7], v[8:9], 1.0
	v_fmac_f64_e32 v[8:9], v[84:85], v[8:9]
	v_fma_f64 v[84:85], -v[6:7], v[8:9], 1.0
	v_fmac_f64_e32 v[8:9], v[84:85], v[8:9]
	v_mul_f64 v[84:85], v[10:11], v[8:9]
	v_mul_f64 v[86:87], v[6:7], v[84:85]
	v_fma_f64 v[6:7], v[84:85], v[6:7], -v[86:87]
	v_fmac_f64_e32 v[6:7], v[84:85], v[4:5]
	v_add_f64 v[4:5], v[86:87], v[6:7]
	v_add_f64 v[116:117], v[10:11], -v[4:5]
	v_add_f64 v[86:87], v[4:5], -v[86:87]
	;; [unrolled: 1-line block ×5, first 2 shown]
	v_add_f64 v[4:5], v[6:7], v[4:5]
	v_add_f64 v[4:5], v[116:117], v[4:5]
	v_mul_f64 v[4:5], v[8:9], v[4:5]
	v_add_f64 v[6:7], v[84:85], v[4:5]
	v_add_f64 v[8:9], v[6:7], -v[84:85]
	v_add_f64 v[4:5], v[4:5], -v[8:9]
	v_mul_f64 v[8:9], v[6:7], v[6:7]
	v_fmac_f64_e32 v[82:83], s[40:41], v[8:9]
	v_fma_f64 v[10:11], v[8:9], v[82:83], s[42:43]
	v_fma_f64 v[10:11], v[8:9], v[10:11], s[44:45]
	;; [unrolled: 1-line block ×5, first 2 shown]
	v_ldexp_f64 v[82:83], v[6:7], 1
	v_mul_f64 v[6:7], v[6:7], v[8:9]
	v_mul_f64 v[6:7], v[6:7], v[10:11]
	v_add_f64 v[8:9], v[82:83], v[6:7]
	v_add_f64 v[10:11], v[8:9], -v[82:83]
	v_ldexp_f64 v[4:5], v[4:5], 1
	v_add_f64 v[6:7], v[6:7], -v[10:11]
	v_add_f64 v[4:5], v[4:5], v[6:7]
	v_add_f64 v[6:7], v[8:9], v[4:5]
	v_add_f64 v[8:9], v[6:7], -v[8:9]
	v_add_f64 v[4:5], v[4:5], -v[8:9]
	v_cvt_f64_i32_e32 v[8:9], v75
	v_mul_f64 v[10:11], v[8:9], s[52:53]
	v_fma_f64 v[82:83], v[8:9], s[52:53], -v[10:11]
	v_fmac_f64_e32 v[82:83], s[54:55], v[8:9]
	v_add_f64 v[8:9], v[10:11], v[82:83]
	v_add_f64 v[10:11], v[8:9], -v[10:11]
	v_add_f64 v[10:11], v[82:83], -v[10:11]
	v_add_f64 v[82:83], v[8:9], v[6:7]
	v_add_f64 v[84:85], v[82:83], -v[8:9]
	v_add_f64 v[86:87], v[82:83], -v[84:85]
	v_add_f64 v[8:9], v[8:9], -v[86:87]
	v_add_f64 v[6:7], v[6:7], -v[84:85]
	v_add_f64 v[6:7], v[6:7], v[8:9]
	v_add_f64 v[8:9], v[10:11], v[4:5]
	v_add_f64 v[84:85], v[8:9], -v[10:11]
	v_add_f64 v[86:87], v[8:9], -v[84:85]
	v_add_f64 v[6:7], v[8:9], v[6:7]
	v_add_f64 v[10:11], v[10:11], -v[86:87]
	v_add_f64 v[4:5], v[4:5], -v[84:85]
	v_add_f64 v[8:9], v[82:83], v[6:7]
	v_add_f64 v[4:5], v[4:5], v[10:11]
	v_add_f64 v[10:11], v[8:9], -v[82:83]
	v_add_f64 v[6:7], v[6:7], -v[10:11]
	v_add_f64 v[4:5], v[4:5], v[6:7]
	v_add_f64 v[82:83], v[8:9], v[4:5]
	s_mov_b64 s[12:13], 0
	s_mov_b64 s[14:15], 0
	v_mov_b32_e32 v115, v17
                                        ; implicit-def: $vgpr75
.LBB76_21:                              ;   Parent Loop BB76_5 Depth=1
                                        ; =>  This Inner Loop Header: Depth=2
	v_add_u32_e32 v116, 1, v15
	v_pk_mov_b32 v[10:11], v[2:3], v[2:3] op_sel:[0,1]
	v_cmp_eq_u32_e32 vcc, 4, v116
	v_pk_mov_b32 v[8:9], v[0:1], v[0:1] op_sel:[0,1]
	v_mov_b32_e32 v87, v0
	v_mov_b32_e32 v86, v1
	;; [unrolled: 1-line block ×4, first 2 shown]
	s_and_saveexec_b64 s[0:1], vcc
	s_cbranch_execz .LBB76_23
; %bb.22:                               ;   in Loop: Header=BB76_21 Depth=2
	v_add_co_u32_e32 v96, vcc, 1, v96
	v_cndmask_b32_e64 v4, 0, 1, vcc
	v_addc_co_u32_e32 v97, vcc, 0, v97, vcc
	v_cmp_eq_u32_e32 vcc, 0, v97
	v_cndmask_b32_e32 v4, 0, v4, vcc
	v_add_u32_e32 v115, v4, v115
	v_cmp_eq_u32_e32 vcc, 0, v115
	v_cndmask_b32_e32 v4, 0, v4, vcc
	v_add_u32_e32 v74, v4, v74
	v_mad_u64_u32 v[4:5], s[20:21], v96, s9, 0
	v_mad_u64_u32 v[6:7], s[20:21], v115, s8, 0
	v_xor_b32_e32 v5, v5, v73
	v_xor_b32_e32 v7, v7, v72
	v_xor_b32_e32 v5, v74, v5
	v_xor_b32_e32 v7, v97, v7
	v_mad_u64_u32 v[10:11], s[20:21], v5, s8, 0
	v_mad_u64_u32 v[8:9], s[20:21], v7, s9, 0
	v_xor_b32_e32 v5, v98, v11
	v_xor_b32_e32 v5, v5, v6
	v_xor_b32_e32 v6, v99, v9
	v_xor_b32_e32 v6, v6, v4
	;; [unrolled: 6-line block ×10, first 2 shown]
	v_mov_b32_e32 v116, 0
	v_mov_b32_e32 v9, v86
	;; [unrolled: 1-line block ×5, first 2 shown]
.LBB76_23:                              ;   in Loop: Header=BB76_21 Depth=2
	s_or_b64 exec, exec, s[0:1]
	v_add_u32_e32 v117, 1, v116
	v_pk_mov_b32 v[4:5], v[8:9], v[8:9] op_sel:[0,1]
	v_cmp_eq_u32_e32 vcc, 4, v117
	v_pk_mov_b32 v[6:7], v[10:11], v[10:11] op_sel:[0,1]
	s_and_saveexec_b64 s[0:1], vcc
	s_cbranch_execz .LBB76_25
; %bb.24:                               ;   in Loop: Header=BB76_21 Depth=2
	v_add_co_u32_e32 v96, vcc, 1, v96
	v_cndmask_b32_e64 v4, 0, 1, vcc
	v_addc_co_u32_e32 v97, vcc, 0, v97, vcc
	v_cmp_eq_u32_e32 vcc, 0, v97
	v_cndmask_b32_e32 v4, 0, v4, vcc
	v_add_u32_e32 v115, v4, v115
	v_cmp_eq_u32_e32 vcc, 0, v115
	v_cndmask_b32_e32 v4, 0, v4, vcc
	v_add_u32_e32 v74, v4, v74
	v_mad_u64_u32 v[4:5], s[20:21], v96, s9, 0
	v_mad_u64_u32 v[6:7], s[20:21], v115, s8, 0
	v_xor_b32_e32 v5, v5, v73
	v_xor_b32_e32 v7, v7, v72
	v_xor_b32_e32 v5, v74, v5
	v_xor_b32_e32 v7, v97, v7
	v_mad_u64_u32 v[86:87], s[20:21], v5, s8, 0
	v_mad_u64_u32 v[84:85], s[20:21], v7, s9, 0
	v_xor_b32_e32 v5, v98, v87
	v_xor_b32_e32 v5, v5, v6
	v_xor_b32_e32 v6, v99, v85
	v_xor_b32_e32 v6, v6, v4
	;; [unrolled: 6-line block ×10, first 2 shown]
	v_mov_b32_e32 v117, 0
	v_mov_b32_e32 v5, v86
	;; [unrolled: 1-line block ×5, first 2 shown]
.LBB76_25:                              ;   in Loop: Header=BB76_21 Depth=2
	s_or_b64 exec, exec, s[0:1]
	v_cmp_eq_u32_e32 vcc, 1, v15
	v_cndmask_b32_e32 v0, v0, v1, vcc
	v_cmp_eq_u32_e32 vcc, 2, v15
	v_cndmask_b32_e32 v0, v0, v2, vcc
	;; [unrolled: 2-line block ×6, first 2 shown]
	v_lshrrev_b32_e32 v0, 11, v0
	v_cvt_f64_u32_e32 v[0:1], v0
	v_ldexp_f64 v[0:1], v[0:1], 32
	v_cvt_f64_u32_e32 v[2:3], v2
	v_add_f64 v[0:1], v[0:1], v[2:3]
	v_mov_b32_e32 v2, 0
	v_mov_b32_e32 v3, 0x3ca00000
	v_fmac_f64_e32 v[2:3], 0x3ca00000, v[0:1]
	v_add_f64 v[0:1], -v[2:3], 1.0
	v_div_scale_f64 v[8:9], s[0:1], v[2:3], v[2:3], v[0:1]
	v_rcp_f64_e32 v[10:11], v[8:9]
	v_fma_f64 v[118:119], -v[8:9], v[10:11], 1.0
	v_fmac_f64_e32 v[10:11], v[10:11], v[118:119]
	v_fma_f64 v[118:119], -v[8:9], v[10:11], 1.0
	v_fmac_f64_e32 v[10:11], v[10:11], v[118:119]
	v_div_scale_f64 v[118:119], vcc, v[0:1], v[2:3], v[0:1]
	v_mul_f64 v[120:121], v[118:119], v[10:11]
	v_fma_f64 v[8:9], -v[8:9], v[120:121], v[118:119]
	s_nop 1
	v_div_fmas_f64 v[8:9], v[8:9], v[10:11], v[120:121]
	v_div_fixup_f64 v[0:1], v[8:9], v[2:3], v[0:1]
	v_frexp_mant_f64_e32 v[2:3], v[0:1]
	v_cmp_gt_f64_e32 vcc, s[36:37], v[2:3]
	v_cndmask_b32_e64 v15, v90, 2.0, vcc
	v_frexp_exp_i32_f64_e32 v8, v[0:1]
	v_mul_f64 v[2:3], v[2:3], v[14:15]
	v_subbrev_co_u32_e32 v15, vcc, 0, v8, vcc
	v_add_f64 v[8:9], v[2:3], 1.0
	v_rcp_f64_e32 v[10:11], v[8:9]
	v_add_f64 v[120:121], v[8:9], -1.0
	v_add_f64 v[118:119], v[2:3], -1.0
	v_add_f64 v[2:3], v[2:3], -v[120:121]
	v_fma_f64 v[120:121], -v[8:9], v[10:11], 1.0
	v_fmac_f64_e32 v[10:11], v[120:121], v[10:11]
	v_fma_f64 v[120:121], -v[8:9], v[10:11], 1.0
	v_fmac_f64_e32 v[10:11], v[120:121], v[10:11]
	v_mul_f64 v[120:121], v[118:119], v[10:11]
	v_mul_f64 v[122:123], v[8:9], v[120:121]
	v_fma_f64 v[8:9], v[120:121], v[8:9], -v[122:123]
	v_fmac_f64_e32 v[8:9], v[120:121], v[2:3]
	v_add_f64 v[2:3], v[122:123], v[8:9]
	v_add_f64 v[124:125], v[118:119], -v[2:3]
	v_add_f64 v[122:123], v[2:3], -v[122:123]
	;; [unrolled: 1-line block ×5, first 2 shown]
	v_add_f64 v[2:3], v[8:9], v[2:3]
	v_add_f64 v[2:3], v[124:125], v[2:3]
	v_mul_f64 v[2:3], v[10:11], v[2:3]
	v_add_f64 v[8:9], v[120:121], v[2:3]
	v_add_f64 v[10:11], v[8:9], -v[120:121]
	v_add_f64 v[2:3], v[2:3], -v[10:11]
	v_mul_f64 v[10:11], v[8:9], v[8:9]
	v_pk_mov_b32 v[118:119], v[18:19], v[18:19] op_sel:[0,1]
	v_fmac_f64_e32 v[118:119], s[40:41], v[10:11]
	v_pk_mov_b32 v[120:121], v[20:21], v[20:21] op_sel:[0,1]
	v_fmac_f64_e32 v[120:121], v[10:11], v[118:119]
	;; [unrolled: 2-line block ×6, first 2 shown]
	v_ldexp_f64 v[118:119], v[8:9], 1
	v_mul_f64 v[8:9], v[8:9], v[10:11]
	v_mul_f64 v[8:9], v[8:9], v[120:121]
	v_add_f64 v[10:11], v[118:119], v[8:9]
	v_add_f64 v[118:119], v[10:11], -v[118:119]
	v_ldexp_f64 v[2:3], v[2:3], 1
	v_add_f64 v[8:9], v[8:9], -v[118:119]
	v_add_f64 v[2:3], v[2:3], v[8:9]
	v_add_f64 v[8:9], v[10:11], v[2:3]
	v_add_f64 v[10:11], v[8:9], -v[10:11]
	v_add_f64 v[2:3], v[2:3], -v[10:11]
	v_cvt_f64_i32_e32 v[10:11], v15
	v_mul_f64 v[118:119], v[10:11], s[52:53]
	v_fma_f64 v[120:121], v[10:11], s[52:53], -v[118:119]
	v_fmac_f64_e32 v[120:121], s[54:55], v[10:11]
	v_add_f64 v[10:11], v[118:119], v[120:121]
	v_add_f64 v[118:119], v[10:11], -v[118:119]
	v_add_f64 v[118:119], v[120:121], -v[118:119]
	v_add_f64 v[120:121], v[10:11], v[8:9]
	v_add_f64 v[122:123], v[120:121], -v[10:11]
	v_add_f64 v[124:125], v[120:121], -v[122:123]
	v_add_f64 v[10:11], v[10:11], -v[124:125]
	v_add_f64 v[8:9], v[8:9], -v[122:123]
	v_add_f64 v[8:9], v[8:9], v[10:11]
	v_add_f64 v[10:11], v[118:119], v[2:3]
	v_add_f64 v[122:123], v[10:11], -v[118:119]
	v_add_f64 v[124:125], v[10:11], -v[122:123]
	v_add_f64 v[8:9], v[10:11], v[8:9]
	v_add_f64 v[118:119], v[118:119], -v[124:125]
	v_add_f64 v[2:3], v[2:3], -v[122:123]
	v_add_f64 v[10:11], v[120:121], v[8:9]
	v_add_f64 v[2:3], v[2:3], v[118:119]
	v_add_f64 v[118:119], v[10:11], -v[120:121]
	v_add_f64 v[8:9], v[8:9], -v[118:119]
	v_add_f64 v[2:3], v[2:3], v[8:9]
	v_add_f64 v[2:3], v[10:11], v[2:3]
	v_cmp_class_f64_e64 vcc, v[0:1], s10
	v_cndmask_b32_e32 v2, v2, v0, vcc
	v_cndmask_b32_e32 v3, v3, v1, vcc
	v_cmp_ngt_f64_e32 vcc, 0, v[0:1]
	v_cndmask_b32_e32 v3, v91, v3, vcc
	v_cmp_nge_f64_e32 vcc, 0, v[0:1]
	v_cndmask_b32_e32 v2, 0, v2, vcc
	v_cmp_neq_f64_e32 vcc, 0, v[0:1]
	v_cndmask_b32_e32 v3, v92, v3, vcc
	v_add_f64 v[0:1], v[78:79], -v[2:3]
	v_div_scale_f64 v[2:3], s[0:1], v[76:77], v[76:77], v[0:1]
	v_rcp_f64_e32 v[8:9], v[2:3]
	v_fma_f64 v[10:11], -v[2:3], v[8:9], 1.0
	v_fmac_f64_e32 v[8:9], v[8:9], v[10:11]
	v_fma_f64 v[10:11], -v[2:3], v[8:9], 1.0
	v_fmac_f64_e32 v[8:9], v[8:9], v[10:11]
	v_div_scale_f64 v[10:11], vcc, v[0:1], v[76:77], v[0:1]
	v_mul_f64 v[118:119], v[10:11], v[8:9]
	v_fma_f64 v[2:3], -v[2:3], v[118:119], v[10:11]
	s_nop 1
	v_div_fmas_f64 v[2:3], v[2:3], v[8:9], v[118:119]
	v_div_fixup_f64 v[10:11], v[2:3], v[76:77], v[0:1]
	v_add_f64 v[0:1], v[10:11], 0.5
	v_floor_f64_e32 v[8:9], v[0:1]
	v_cmp_ngt_f64_e32 vcc, 0, v[8:9]
	v_mov_b32_e32 v118, 2
	s_and_saveexec_b64 s[20:21], vcc
	s_cbranch_execz .LBB76_31
; %bb.26:                               ;   in Loop: Header=BB76_21 Depth=2
	v_add_u32_e32 v15, 1, v117
	v_pk_mov_b32 v[0:1], v[4:5], v[4:5] op_sel:[0,1]
	v_cmp_eq_u32_e32 vcc, 4, v15
	v_pk_mov_b32 v[2:3], v[6:7], v[6:7] op_sel:[0,1]
	s_and_saveexec_b64 s[0:1], vcc
	s_cbranch_execz .LBB76_28
; %bb.27:                               ;   in Loop: Header=BB76_21 Depth=2
	v_add_co_u32_e32 v96, vcc, 1, v96
	v_cndmask_b32_e64 v0, 0, 1, vcc
	v_addc_co_u32_e32 v97, vcc, 0, v97, vcc
	v_cmp_eq_u32_e32 vcc, 0, v97
	v_cndmask_b32_e32 v0, 0, v0, vcc
	v_add_u32_e32 v115, v0, v115
	v_cmp_eq_u32_e32 vcc, 0, v115
	v_cndmask_b32_e32 v0, 0, v0, vcc
	v_add_u32_e32 v74, v0, v74
	v_mad_u64_u32 v[0:1], vcc, v96, s9, 0
	v_mad_u64_u32 v[2:3], vcc, v115, s8, 0
	v_xor_b32_e32 v1, v1, v73
	v_xor_b32_e32 v3, v3, v72
	v_xor_b32_e32 v1, v74, v1
	v_xor_b32_e32 v3, v97, v3
	v_mad_u64_u32 v[86:87], vcc, v1, s8, 0
	v_mad_u64_u32 v[84:85], vcc, v3, s9, 0
	v_xor_b32_e32 v1, v98, v87
	v_xor_b32_e32 v1, v1, v2
	v_xor_b32_e32 v2, v99, v85
	v_xor_b32_e32 v2, v2, v0
	v_mad_u64_u32 v[0:1], vcc, v1, s9, 0
	v_mad_u64_u32 v[2:3], vcc, v2, s8, 0
	v_xor_b32_e32 v1, v101, v1
	v_xor_b32_e32 v3, v100, v3
	v_xor_b32_e32 v1, v1, v84
	v_xor_b32_e32 v3, v3, v86
	v_mad_u64_u32 v[86:87], vcc, v1, s8, 0
	v_mad_u64_u32 v[84:85], vcc, v3, s9, 0
	v_xor_b32_e32 v1, v103, v87
	v_xor_b32_e32 v1, v1, v2
	v_xor_b32_e32 v2, v104, v85
	v_xor_b32_e32 v2, v2, v0
	v_mad_u64_u32 v[0:1], vcc, v1, s9, 0
	v_mad_u64_u32 v[2:3], vcc, v2, s8, 0
	v_xor_b32_e32 v1, v107, v1
	v_xor_b32_e32 v3, v106, v3
	v_xor_b32_e32 v1, v1, v84
	v_xor_b32_e32 v3, v3, v86
	v_mad_u64_u32 v[86:87], vcc, v1, s8, 0
	v_mad_u64_u32 v[84:85], vcc, v3, s9, 0
	v_xor_b32_e32 v1, v108, v87
	v_xor_b32_e32 v1, v1, v2
	v_xor_b32_e32 v2, v109, v85
	v_xor_b32_e32 v2, v2, v0
	v_mad_u64_u32 v[0:1], vcc, v1, s9, 0
	v_mad_u64_u32 v[2:3], vcc, v2, s8, 0
	v_xor_b32_e32 v1, v111, v1
	v_xor_b32_e32 v3, v110, v3
	v_xor_b32_e32 v1, v1, v84
	v_xor_b32_e32 v3, v3, v86
	v_mad_u64_u32 v[86:87], vcc, v1, s8, 0
	v_mad_u64_u32 v[84:85], vcc, v3, s9, 0
	v_xor_b32_e32 v1, v112, v87
	v_xor_b32_e32 v1, v1, v2
	v_xor_b32_e32 v2, v113, v85
	v_xor_b32_e32 v0, v2, v0
	v_mad_u64_u32 v[2:3], vcc, v1, s9, 0
	v_mad_u64_u32 v[0:1], vcc, v0, s8, 0
	v_xor_b32_e32 v1, v102, v1
	v_xor_b32_e32 v3, v114, v3
	v_xor_b32_e32 v1, v1, v86
	v_xor_b32_e32 v3, v3, v84
	v_mad_u64_u32 v[84:85], vcc, v1, s9, 0
	v_mad_u64_u32 v[86:87], vcc, v3, s8, 0
	v_xor_b32_e32 v0, v87, v0
	v_xor_b32_e32 v1, v85, v2
	v_xor_b32_e32 v0, v105, v0
	v_xor_b32_e32 v2, v95, v1
	v_mov_b32_e32 v15, 0
	v_mov_b32_e32 v1, v86
	;; [unrolled: 1-line block ×5, first 2 shown]
.LBB76_28:                              ;   in Loop: Header=BB76_21 Depth=2
	s_or_b64 exec, exec, s[0:1]
	v_add_u32_e32 v116, 1, v15
	v_cmp_eq_u32_e32 vcc, 4, v116
	s_and_saveexec_b64 s[0:1], vcc
	s_cbranch_execz .LBB76_30
; %bb.29:                               ;   in Loop: Header=BB76_21 Depth=2
	v_add_co_u32_e32 v96, vcc, 1, v96
	v_cndmask_b32_e64 v84, 0, 1, vcc
	v_addc_co_u32_e32 v97, vcc, 0, v97, vcc
	v_cmp_eq_u32_e32 vcc, 0, v97
	v_cndmask_b32_e32 v84, 0, v84, vcc
	v_add_u32_e32 v115, v84, v115
	v_cmp_eq_u32_e32 vcc, 0, v115
	v_cndmask_b32_e32 v84, 0, v84, vcc
	v_add_u32_e32 v74, v84, v74
	v_mad_u64_u32 v[84:85], vcc, v96, s9, 0
	v_mad_u64_u32 v[86:87], vcc, v115, s8, 0
	v_xor_b32_e32 v85, v85, v73
	v_xor_b32_e32 v87, v87, v72
	v_xor_b32_e32 v85, v74, v85
	v_xor_b32_e32 v87, v97, v87
	v_mad_u64_u32 v[120:121], vcc, v85, s8, 0
	v_mad_u64_u32 v[118:119], vcc, v87, s9, 0
	v_xor_b32_e32 v85, v98, v121
	v_xor_b32_e32 v85, v85, v86
	v_xor_b32_e32 v86, v99, v119
	v_xor_b32_e32 v86, v86, v84
	;; [unrolled: 6-line block ×9, first 2 shown]
	v_mad_u64_u32 v[84:85], vcc, v84, s9, 0
	v_mad_u64_u32 v[86:87], vcc, v86, s8, 0
	v_xor_b32_e32 v87, v87, v124
	v_xor_b32_e32 v85, v85, v122
	v_mov_b32_e32 v116, 0
	v_xor_b32_e32 v87, v105, v87
	v_xor_b32_e32 v85, v95, v85
.LBB76_30:                              ;   in Loop: Header=BB76_21 Depth=2
	s_or_b64 exec, exec, s[0:1]
	v_cmp_eq_u32_e32 vcc, 1, v117
	v_cndmask_b32_e32 v4, v4, v5, vcc
	v_cmp_eq_u32_e32 vcc, 2, v117
	v_cndmask_b32_e32 v4, v4, v6, vcc
	;; [unrolled: 2-line block ×6, first 2 shown]
	v_lshrrev_b32_e32 v0, 11, v0
	v_cvt_f64_u32_e32 v[0:1], v0
	v_ldexp_f64 v[0:1], v[0:1], 32
	v_cvt_f64_u32_e32 v[2:3], v4
	v_add_f64 v[0:1], v[0:1], v[2:3]
	v_mov_b32_e32 v2, 0
	v_mov_b32_e32 v3, 0x3ca00000
	v_fma_f64 v[4:5], -v[76:77], v[10:11], v[78:79]
	v_fmac_f64_e32 v[2:3], 0x3ca00000, v[0:1]
	v_mul_f64 v[0:1], v[4:5], s[58:59]
	v_rndne_f64_e32 v[0:1], v[0:1]
	s_mov_b32 s60, s52
	v_fma_f64 v[6:7], s[60:61], v[0:1], v[4:5]
	s_mov_b32 s62, s54
	v_fmac_f64_e32 v[6:7], s[62:63], v[0:1]
	v_pk_mov_b32 v[10:11], v[30:31], v[30:31] op_sel:[0,1]
	v_fmac_f64_e32 v[10:11], s[66:67], v[6:7]
	v_pk_mov_b32 v[118:119], v[32:33], v[32:33] op_sel:[0,1]
	;; [unrolled: 2-line block ×9, first 2 shown]
	v_fmac_f64_e32 v[10:11], v[6:7], v[118:119]
	v_fma_f64 v[10:11], v[6:7], v[10:11], 1.0
	v_fma_f64 v[6:7], v[6:7], v[10:11], 1.0
	v_cvt_i32_f64_e32 v0, v[0:1]
	v_ldexp_f64 v[0:1], v[6:7], v0
	v_add_f64 v[0:1], v[0:1], 1.0
	v_cmp_nlt_f64_e32 vcc, s[68:69], v[4:5]
	v_cmp_ngt_f64_e64 s[0:1], s[70:71], v[4:5]
	v_cndmask_b32_e32 v1, v93, v1, vcc
	s_and_b64 vcc, s[0:1], vcc
	v_cndmask_b32_e64 v1, v90, v1, s[0:1]
	v_cndmask_b32_e32 v0, 0, v0, vcc
	v_mul_f64 v[0:1], v[0:1], v[0:1]
	v_div_scale_f64 v[6:7], s[0:1], v[0:1], v[0:1], v[2:3]
	v_rcp_f64_e32 v[10:11], v[6:7]
	s_mov_b32 s51, s37
	v_fma_f64 v[118:119], -v[6:7], v[10:11], 1.0
	v_fmac_f64_e32 v[10:11], v[10:11], v[118:119]
	v_fma_f64 v[118:119], -v[6:7], v[10:11], 1.0
	v_fmac_f64_e32 v[10:11], v[10:11], v[118:119]
	v_div_scale_f64 v[118:119], vcc, v[2:3], v[0:1], v[2:3]
	v_mul_f64 v[120:121], v[118:119], v[10:11]
	v_fma_f64 v[6:7], -v[6:7], v[120:121], v[118:119]
	s_nop 1
	v_div_fmas_f64 v[6:7], v[6:7], v[10:11], v[120:121]
	v_div_fixup_f64 v[2:3], v[6:7], v[0:1], v[2:3]
	v_frexp_mant_f64_e32 v[0:1], v[2:3]
	v_cmp_gt_f64_e32 vcc, s[36:37], v[0:1]
	v_cndmask_b32_e64 v15, v90, 2.0, vcc
	v_frexp_exp_i32_f64_e32 v6, v[2:3]
	v_mul_f64 v[0:1], v[0:1], v[14:15]
	v_subbrev_co_u32_e32 v15, vcc, 0, v6, vcc
	v_add_f64 v[6:7], v[0:1], 1.0
	v_rcp_f64_e32 v[10:11], v[6:7]
	v_add_f64 v[120:121], v[6:7], -1.0
	v_add_f64 v[118:119], v[0:1], -1.0
	v_add_f64 v[0:1], v[0:1], -v[120:121]
	v_fma_f64 v[120:121], -v[6:7], v[10:11], 1.0
	v_fmac_f64_e32 v[10:11], v[120:121], v[10:11]
	v_fma_f64 v[120:121], -v[6:7], v[10:11], 1.0
	v_fmac_f64_e32 v[10:11], v[120:121], v[10:11]
	v_mul_f64 v[120:121], v[118:119], v[10:11]
	v_mul_f64 v[122:123], v[6:7], v[120:121]
	v_fma_f64 v[6:7], v[120:121], v[6:7], -v[122:123]
	v_fmac_f64_e32 v[6:7], v[120:121], v[0:1]
	v_add_f64 v[0:1], v[122:123], v[6:7]
	v_add_f64 v[124:125], v[118:119], -v[0:1]
	v_add_f64 v[122:123], v[0:1], -v[122:123]
	;; [unrolled: 1-line block ×5, first 2 shown]
	v_add_f64 v[0:1], v[6:7], v[0:1]
	v_add_f64 v[0:1], v[124:125], v[0:1]
	v_mul_f64 v[0:1], v[10:11], v[0:1]
	v_add_f64 v[6:7], v[120:121], v[0:1]
	v_add_f64 v[10:11], v[6:7], -v[120:121]
	v_add_f64 v[10:11], v[0:1], -v[10:11]
	v_mul_f64 v[118:119], v[6:7], v[6:7]
	v_pk_mov_b32 v[0:1], s[38:39], s[38:39] op_sel:[0,1]
	v_fma_f64 v[120:121], s[40:41], v[118:119], v[0:1]
	v_fma_f64 v[120:121], v[118:119], v[120:121], s[42:43]
	;; [unrolled: 1-line block ×6, first 2 shown]
	v_ldexp_f64 v[122:123], v[6:7], 1
	v_mul_f64 v[6:7], v[6:7], v[118:119]
	v_mul_f64 v[6:7], v[6:7], v[120:121]
	v_add_f64 v[118:119], v[122:123], v[6:7]
	v_add_f64 v[120:121], v[118:119], -v[122:123]
	v_ldexp_f64 v[10:11], v[10:11], 1
	v_add_f64 v[6:7], v[6:7], -v[120:121]
	v_add_f64 v[6:7], v[10:11], v[6:7]
	v_add_f64 v[10:11], v[118:119], v[6:7]
	v_add_f64 v[118:119], v[10:11], -v[118:119]
	v_add_f64 v[6:7], v[6:7], -v[118:119]
	v_cvt_f64_i32_e32 v[118:119], v15
	v_mul_f64 v[120:121], v[118:119], s[52:53]
	v_fma_f64 v[122:123], v[118:119], s[52:53], -v[120:121]
	v_fmac_f64_e32 v[122:123], s[54:55], v[118:119]
	v_add_f64 v[118:119], v[120:121], v[122:123]
	v_add_f64 v[120:121], v[118:119], -v[120:121]
	v_add_f64 v[120:121], v[122:123], -v[120:121]
	v_add_f64 v[122:123], v[118:119], v[10:11]
	v_add_f64 v[124:125], v[122:123], -v[118:119]
	v_add_f64 v[126:127], v[122:123], -v[124:125]
	;; [unrolled: 1-line block ×4, first 2 shown]
	v_add_f64 v[10:11], v[10:11], v[118:119]
	v_add_f64 v[118:119], v[120:121], v[6:7]
	v_add_f64 v[124:125], v[118:119], -v[120:121]
	v_add_f64 v[126:127], v[118:119], -v[124:125]
	v_add_f64 v[10:11], v[118:119], v[10:11]
	v_add_f64 v[120:121], v[120:121], -v[126:127]
	v_add_f64 v[6:7], v[6:7], -v[124:125]
	v_add_f64 v[118:119], v[122:123], v[10:11]
	v_add_f64 v[6:7], v[6:7], v[120:121]
	v_add_f64 v[120:121], v[118:119], -v[122:123]
	v_add_f64 v[10:11], v[10:11], -v[120:121]
	v_add_f64 v[6:7], v[6:7], v[10:11]
	v_add_f64 v[6:7], v[118:119], v[6:7]
	v_cmp_class_f64_e64 vcc, v[2:3], s10
	v_cndmask_b32_e32 v15, v6, v2, vcc
	v_cndmask_b32_e32 v6, v7, v3, vcc
	v_cmp_neq_f64_e32 vcc, 0, v[2:3]
	v_cndmask_b32_e32 v3, v92, v6, vcc
	v_add_f64 v[6:7], v[8:9], 1.0
	v_add_f64 v[6:7], v[6:7], -1.0
	v_add_f64 v[118:119], v[6:7], s[72:73]
	v_div_scale_f64 v[10:11], s[0:1], v[118:119], v[118:119], s[74:75]
	v_rcp_f64_e32 v[120:121], v[10:11]
	v_cndmask_b32_e32 v2, 0, v15, vcc
	v_add_f64 v[2:3], v[4:5], v[2:3]
	v_fma_f64 v[4:5], v[82:83], v[8:9], v[80:81]
	v_fma_f64 v[122:123], -v[10:11], v[120:121], 1.0
	v_fmac_f64_e32 v[120:121], v[120:121], v[122:123]
	v_fma_f64 v[122:123], -v[10:11], v[120:121], 1.0
	v_fmac_f64_e32 v[120:121], v[120:121], v[122:123]
	v_div_scale_f64 v[122:123], vcc, s[74:75], v[118:119], s[74:75]
	v_mul_f64 v[124:125], v[122:123], v[120:121]
	v_fma_f64 v[122:123], -v[10:11], v[124:125], v[122:123]
	v_add_f64 v[10:11], v[6:7], s[76:77]
	v_div_scale_f64 v[126:127], s[0:1], v[10:11], v[10:11], s[78:79]
	v_rcp_f64_e32 v[128:129], v[126:127]
	v_div_fmas_f64 v[120:121], v[122:123], v[120:121], v[124:125]
	v_div_fixup_f64 v[118:119], v[120:121], v[118:119], s[74:75]
	v_add_f64 v[124:125], v[6:7], s[80:81]
	v_fma_f64 v[120:121], -v[126:127], v[128:129], 1.0
	v_fmac_f64_e32 v[128:129], v[128:129], v[120:121]
	v_fma_f64 v[120:121], -v[126:127], v[128:129], 1.0
	v_fmac_f64_e32 v[128:129], v[128:129], v[120:121]
	v_div_scale_f64 v[120:121], vcc, s[78:79], v[10:11], s[78:79]
	v_mul_f64 v[122:123], v[120:121], v[128:129]
	v_fma_f64 v[120:121], -v[126:127], v[122:123], v[120:121]
	v_div_scale_f64 v[126:127], s[0:1], v[124:125], v[124:125], s[82:83]
	v_rcp_f64_e32 v[130:131], v[126:127]
	v_div_fmas_f64 v[120:121], v[120:121], v[128:129], v[122:123]
	v_add_f64 v[118:119], v[118:119], 0
	v_div_fixup_f64 v[120:121], v[120:121], v[10:11], s[78:79]
	v_add_f64 v[118:119], v[120:121], v[118:119]
	v_fma_f64 v[120:121], -v[126:127], v[130:131], 1.0
	v_fmac_f64_e32 v[130:131], v[130:131], v[120:121]
	v_fma_f64 v[120:121], -v[126:127], v[130:131], 1.0
	v_fmac_f64_e32 v[130:131], v[130:131], v[120:121]
	v_div_scale_f64 v[120:121], vcc, s[82:83], v[124:125], s[82:83]
	v_mul_f64 v[122:123], v[120:121], v[130:131]
	v_fma_f64 v[120:121], -v[126:127], v[122:123], v[120:121]
	v_add_f64 v[126:127], v[6:7], s[84:85]
	v_div_scale_f64 v[128:129], s[0:1], v[126:127], v[126:127], s[86:87]
	v_rcp_f64_e32 v[132:133], v[128:129]
	v_div_fmas_f64 v[120:121], v[120:121], v[130:131], v[122:123]
	v_div_fixup_f64 v[120:121], v[120:121], v[124:125], s[82:83]
	v_add_f64 v[118:119], v[118:119], v[120:121]
	v_fma_f64 v[120:121], -v[128:129], v[132:133], 1.0
	v_fmac_f64_e32 v[132:133], v[132:133], v[120:121]
	v_fma_f64 v[120:121], -v[128:129], v[132:133], 1.0
	v_fmac_f64_e32 v[132:133], v[132:133], v[120:121]
	v_div_scale_f64 v[120:121], vcc, s[86:87], v[126:127], s[86:87]
	v_mul_f64 v[122:123], v[120:121], v[132:133]
	v_add_f64 v[124:125], v[6:7], 4.0
	v_fma_f64 v[120:121], -v[128:129], v[122:123], v[120:121]
	v_div_scale_f64 v[128:129], s[0:1], v[124:125], v[124:125], s[88:89]
	v_rcp_f64_e32 v[130:131], v[128:129]
	v_div_fmas_f64 v[120:121], v[120:121], v[132:133], v[122:123]
	v_div_fixup_f64 v[120:121], v[120:121], v[126:127], s[86:87]
	v_add_f64 v[118:119], v[120:121], v[118:119]
	v_fma_f64 v[120:121], -v[128:129], v[130:131], 1.0
	v_fmac_f64_e32 v[130:131], v[130:131], v[120:121]
	v_fma_f64 v[120:121], -v[128:129], v[130:131], 1.0
	v_fmac_f64_e32 v[130:131], v[130:131], v[120:121]
	v_div_scale_f64 v[120:121], vcc, s[88:89], v[124:125], s[88:89]
	v_mul_f64 v[122:123], v[120:121], v[130:131]
	v_add_f64 v[126:127], v[6:7], s[28:29]
	v_fma_f64 v[120:121], -v[128:129], v[122:123], v[120:121]
	v_div_scale_f64 v[128:129], s[0:1], v[126:127], v[126:127], s[90:91]
	v_rcp_f64_e32 v[132:133], v[128:129]
	v_div_fmas_f64 v[120:121], v[120:121], v[130:131], v[122:123]
	v_div_fixup_f64 v[120:121], v[120:121], v[124:125], s[88:89]
	v_add_f64 v[118:119], v[118:119], v[120:121]
	v_fma_f64 v[120:121], -v[128:129], v[132:133], 1.0
	v_fmac_f64_e32 v[132:133], v[132:133], v[120:121]
	v_fma_f64 v[120:121], -v[128:129], v[132:133], 1.0
	v_fmac_f64_e32 v[132:133], v[132:133], v[120:121]
	v_div_scale_f64 v[120:121], vcc, s[90:91], v[126:127], s[90:91]
	v_mul_f64 v[122:123], v[120:121], v[132:133]
	v_add_f64 v[124:125], v[6:7], 2.0
	v_fma_f64 v[120:121], -v[128:129], v[122:123], v[120:121]
	v_div_scale_f64 v[128:129], s[0:1], v[124:125], v[124:125], s[92:93]
	v_rcp_f64_e32 v[130:131], v[128:129]
	v_div_fmas_f64 v[120:121], v[120:121], v[132:133], v[122:123]
	v_div_fixup_f64 v[120:121], v[120:121], v[126:127], s[90:91]
	v_add_f64 v[118:119], v[120:121], v[118:119]
	v_fma_f64 v[120:121], -v[128:129], v[130:131], 1.0
	v_fmac_f64_e32 v[130:131], v[130:131], v[120:121]
	v_fma_f64 v[120:121], -v[128:129], v[130:131], 1.0
	v_fmac_f64_e32 v[130:131], v[130:131], v[120:121]
	v_div_scale_f64 v[120:121], vcc, s[92:93], v[124:125], s[92:93]
	v_mul_f64 v[122:123], v[120:121], v[130:131]
	v_add_f64 v[126:127], v[6:7], 1.0
	v_fma_f64 v[120:121], -v[128:129], v[122:123], v[120:121]
	v_div_scale_f64 v[128:129], s[0:1], v[126:127], v[126:127], s[94:95]
	v_rcp_f64_e32 v[132:133], v[128:129]
	v_div_fmas_f64 v[120:121], v[120:121], v[130:131], v[122:123]
	v_div_fixup_f64 v[120:121], v[120:121], v[124:125], s[92:93]
	v_add_f64 v[118:119], v[118:119], v[120:121]
	v_fma_f64 v[120:121], -v[128:129], v[132:133], 1.0
	v_fmac_f64_e32 v[132:133], v[132:133], v[120:121]
	v_fma_f64 v[120:121], -v[128:129], v[132:133], 1.0
	v_fmac_f64_e32 v[132:133], v[132:133], v[120:121]
	v_div_scale_f64 v[120:121], vcc, s[94:95], v[126:127], s[94:95]
	v_mul_f64 v[122:123], v[120:121], v[132:133]
	v_fma_f64 v[120:121], -v[128:129], v[122:123], v[120:121]
	v_add_f64 v[10:11], v[10:11], 0.5
	s_nop 0
	v_div_fmas_f64 v[120:121], v[120:121], v[132:133], v[122:123]
	v_div_fixup_f64 v[120:121], v[120:121], v[126:127], s[94:95]
	v_add_f64 v[118:119], v[120:121], v[118:119]
	v_add_f64 v[118:119], v[118:119], s[26:27]
	v_frexp_mant_f64_e32 v[120:121], v[118:119]
	v_cmp_gt_f64_e32 vcc, s[36:37], v[120:121]
	v_cndmask_b32_e64 v15, v90, 2.0, vcc
	v_mul_f64 v[120:121], v[120:121], v[14:15]
	v_add_f64 v[122:123], v[120:121], 1.0
	v_rcp_f64_e32 v[124:125], v[122:123]
	v_add_f64 v[128:129], v[122:123], -1.0
	v_add_f64 v[126:127], v[120:121], -1.0
	v_add_f64 v[120:121], v[120:121], -v[128:129]
	v_fma_f64 v[128:129], -v[122:123], v[124:125], 1.0
	v_fmac_f64_e32 v[124:125], v[128:129], v[124:125]
	v_fma_f64 v[128:129], -v[122:123], v[124:125], 1.0
	v_fmac_f64_e32 v[124:125], v[128:129], v[124:125]
	v_mul_f64 v[128:129], v[126:127], v[124:125]
	v_mul_f64 v[130:131], v[122:123], v[128:129]
	v_fma_f64 v[122:123], v[128:129], v[122:123], -v[130:131]
	v_fmac_f64_e32 v[122:123], v[128:129], v[120:121]
	v_add_f64 v[120:121], v[130:131], v[122:123]
	v_add_f64 v[132:133], v[126:127], -v[120:121]
	v_add_f64 v[130:131], v[120:121], -v[130:131]
	;; [unrolled: 1-line block ×5, first 2 shown]
	v_add_f64 v[120:121], v[122:123], v[120:121]
	v_add_f64 v[120:121], v[132:133], v[120:121]
	v_mul_f64 v[120:121], v[124:125], v[120:121]
	v_add_f64 v[122:123], v[128:129], v[120:121]
	v_add_f64 v[124:125], v[122:123], -v[128:129]
	v_add_f64 v[120:121], v[120:121], -v[124:125]
	v_mul_f64 v[124:125], v[122:123], v[122:123]
	v_fma_f64 v[126:127], s[40:41], v[124:125], v[0:1]
	v_fma_f64 v[126:127], v[124:125], v[126:127], s[42:43]
	;; [unrolled: 1-line block ×6, first 2 shown]
	v_ldexp_f64 v[128:129], v[122:123], 1
	v_mul_f64 v[122:123], v[122:123], v[124:125]
	v_mul_f64 v[122:123], v[122:123], v[126:127]
	v_add_f64 v[124:125], v[128:129], v[122:123]
	v_add_f64 v[126:127], v[124:125], -v[128:129]
	v_ldexp_f64 v[120:121], v[120:121], 1
	v_add_f64 v[122:123], v[122:123], -v[126:127]
	v_add_f64 v[120:121], v[120:121], v[122:123]
	v_frexp_exp_i32_f64_e32 v117, v[118:119]
	v_add_f64 v[122:123], v[124:125], v[120:121]
	v_subbrev_co_u32_e32 v15, vcc, 0, v117, vcc
	v_add_f64 v[124:125], v[122:123], -v[124:125]
	v_add_f64 v[120:121], v[120:121], -v[124:125]
	v_cvt_f64_i32_e32 v[124:125], v15
	v_mul_f64 v[126:127], v[124:125], s[52:53]
	v_fma_f64 v[128:129], v[124:125], s[52:53], -v[126:127]
	v_fmac_f64_e32 v[128:129], s[54:55], v[124:125]
	v_add_f64 v[124:125], v[126:127], v[128:129]
	v_add_f64 v[126:127], v[124:125], -v[126:127]
	v_add_f64 v[126:127], v[128:129], -v[126:127]
	v_add_f64 v[128:129], v[124:125], v[122:123]
	v_add_f64 v[130:131], v[128:129], -v[124:125]
	v_add_f64 v[132:133], v[128:129], -v[130:131]
	;; [unrolled: 1-line block ×4, first 2 shown]
	v_add_f64 v[122:123], v[122:123], v[124:125]
	v_add_f64 v[124:125], v[126:127], v[120:121]
	v_add_f64 v[130:131], v[124:125], -v[126:127]
	v_add_f64 v[132:133], v[124:125], -v[130:131]
	v_add_f64 v[122:123], v[124:125], v[122:123]
	v_add_f64 v[126:127], v[126:127], -v[132:133]
	v_add_f64 v[120:121], v[120:121], -v[130:131]
	v_add_f64 v[124:125], v[128:129], v[122:123]
	v_add_f64 v[120:121], v[120:121], v[126:127]
	v_add_f64 v[126:127], v[124:125], -v[128:129]
	v_add_f64 v[122:123], v[122:123], -v[126:127]
	v_add_f64 v[120:121], v[120:121], v[122:123]
	v_add_f64 v[120:121], v[124:125], v[120:121]
	v_cmp_class_f64_e64 vcc, v[118:119], s10
	v_div_scale_f64 v[122:123], s[0:1], s[2:3], s[2:3], v[10:11]
	v_cndmask_b32_e32 v121, v121, v119, vcc
	v_cndmask_b32_e32 v120, v120, v118, vcc
	v_rcp_f64_e32 v[124:125], v[122:123]
	v_add_f64 v[120:121], v[120:121], s[24:25]
	v_add_f64 v[120:121], v[120:121], s[30:31]
	v_cmp_ngt_f64_e32 vcc, 0, v[118:119]
	v_cndmask_b32_e32 v15, v91, v121, vcc
	v_cmp_nge_f64_e32 vcc, 0, v[118:119]
	v_cndmask_b32_e32 v120, 0, v120, vcc
	v_cmp_neq_f64_e32 vcc, 0, v[118:119]
	v_fma_f64 v[118:119], -v[122:123], v[124:125], 1.0
	v_fmac_f64_e32 v[124:125], v[124:125], v[118:119]
	v_fma_f64 v[118:119], -v[122:123], v[124:125], 1.0
	v_cndmask_b32_e32 v121, v92, v15, vcc
	v_fmac_f64_e32 v[124:125], v[124:125], v[118:119]
	v_div_scale_f64 v[118:119], vcc, v[10:11], s[2:3], v[10:11]
	v_mul_f64 v[126:127], v[118:119], v[124:125]
	v_fma_f64 v[118:119], -v[122:123], v[126:127], v[118:119]
	v_add_f64 v[6:7], v[6:7], 0.5
	s_nop 0
	v_div_fmas_f64 v[118:119], v[118:119], v[124:125], v[126:127]
	v_div_fixup_f64 v[10:11], v[118:119], s[2:3], v[10:11]
	v_frexp_mant_f64_e32 v[118:119], v[10:11]
	v_cmp_gt_f64_e32 vcc, s[36:37], v[118:119]
	v_cndmask_b32_e64 v15, v90, 2.0, vcc
	v_mul_f64 v[118:119], v[118:119], v[14:15]
	v_add_f64 v[122:123], v[118:119], 1.0
	v_rcp_f64_e32 v[124:125], v[122:123]
	v_add_f64 v[128:129], v[122:123], -1.0
	v_add_f64 v[126:127], v[118:119], -1.0
	v_add_f64 v[118:119], v[118:119], -v[128:129]
	v_fma_f64 v[128:129], -v[122:123], v[124:125], 1.0
	v_fmac_f64_e32 v[124:125], v[128:129], v[124:125]
	v_fma_f64 v[128:129], -v[122:123], v[124:125], 1.0
	v_fmac_f64_e32 v[124:125], v[128:129], v[124:125]
	v_mul_f64 v[128:129], v[126:127], v[124:125]
	v_mul_f64 v[130:131], v[122:123], v[128:129]
	v_fma_f64 v[122:123], v[128:129], v[122:123], -v[130:131]
	v_fmac_f64_e32 v[122:123], v[128:129], v[118:119]
	v_add_f64 v[118:119], v[130:131], v[122:123]
	v_add_f64 v[132:133], v[126:127], -v[118:119]
	v_add_f64 v[130:131], v[118:119], -v[130:131]
	;; [unrolled: 1-line block ×5, first 2 shown]
	v_add_f64 v[118:119], v[122:123], v[118:119]
	v_add_f64 v[118:119], v[132:133], v[118:119]
	v_mul_f64 v[118:119], v[124:125], v[118:119]
	v_add_f64 v[122:123], v[128:129], v[118:119]
	v_add_f64 v[124:125], v[122:123], -v[128:129]
	v_add_f64 v[118:119], v[118:119], -v[124:125]
	v_mul_f64 v[124:125], v[122:123], v[122:123]
	v_fmac_f64_e32 v[0:1], s[40:41], v[124:125]
	v_fma_f64 v[0:1], v[124:125], v[0:1], s[42:43]
	v_fma_f64 v[0:1], v[124:125], v[0:1], s[44:45]
	;; [unrolled: 1-line block ×5, first 2 shown]
	v_ldexp_f64 v[126:127], v[122:123], 1
	v_mul_f64 v[122:123], v[122:123], v[124:125]
	v_mul_f64 v[0:1], v[122:123], v[0:1]
	v_add_f64 v[122:123], v[126:127], v[0:1]
	v_add_f64 v[124:125], v[122:123], -v[126:127]
	v_ldexp_f64 v[118:119], v[118:119], 1
	v_add_f64 v[0:1], v[0:1], -v[124:125]
	v_add_f64 v[0:1], v[118:119], v[0:1]
	v_frexp_exp_i32_f64_e32 v117, v[10:11]
	v_add_f64 v[118:119], v[122:123], v[0:1]
	v_subbrev_co_u32_e32 v15, vcc, 0, v117, vcc
	v_add_f64 v[122:123], v[118:119], -v[122:123]
	v_add_f64 v[0:1], v[0:1], -v[122:123]
	v_cvt_f64_i32_e32 v[122:123], v15
	v_mul_f64 v[124:125], v[122:123], s[52:53]
	v_fma_f64 v[126:127], v[122:123], s[52:53], -v[124:125]
	v_fmac_f64_e32 v[126:127], s[54:55], v[122:123]
	v_add_f64 v[122:123], v[124:125], v[126:127]
	v_add_f64 v[124:125], v[122:123], -v[124:125]
	v_add_f64 v[124:125], v[126:127], -v[124:125]
	v_add_f64 v[126:127], v[122:123], v[118:119]
	v_add_f64 v[128:129], v[126:127], -v[122:123]
	v_add_f64 v[130:131], v[126:127], -v[128:129]
	;; [unrolled: 1-line block ×4, first 2 shown]
	v_add_f64 v[118:119], v[118:119], v[122:123]
	v_add_f64 v[122:123], v[124:125], v[0:1]
	v_add_f64 v[128:129], v[122:123], -v[124:125]
	v_add_f64 v[130:131], v[122:123], -v[128:129]
	v_add_f64 v[118:119], v[122:123], v[118:119]
	v_add_f64 v[124:125], v[124:125], -v[130:131]
	v_add_f64 v[0:1], v[0:1], -v[128:129]
	v_add_f64 v[122:123], v[126:127], v[118:119]
	v_add_f64 v[0:1], v[0:1], v[124:125]
	v_add_f64 v[124:125], v[122:123], -v[126:127]
	v_add_f64 v[118:119], v[118:119], -v[124:125]
	v_add_f64 v[0:1], v[0:1], v[118:119]
	v_add_f64 v[0:1], v[122:123], v[0:1]
	v_cmp_class_f64_e64 vcc, v[10:11], s10
	v_cndmask_b32_e32 v0, v0, v10, vcc
	v_cndmask_b32_e32 v1, v1, v11, vcc
	v_cmp_ngt_f64_e32 vcc, 0, v[10:11]
	v_cndmask_b32_e32 v1, v91, v1, vcc
	v_cmp_nge_f64_e32 vcc, 0, v[10:11]
	v_cndmask_b32_e32 v0, 0, v0, vcc
	v_cmp_neq_f64_e32 vcc, 0, v[10:11]
	v_cndmask_b32_e32 v1, v92, v1, vcc
	v_fmac_f64_e32 v[120:121], v[6:7], v[0:1]
	v_add_f64 v[0:1], v[4:5], -v[120:121]
	v_cvt_u32_f64_e32 v4, v[8:9]
	v_cmp_le_f64_e32 vcc, v[2:3], v[0:1]
	v_cndmask_b32_e64 v118, 0, 1, vcc
	v_cndmask_b32_e32 v75, v75, v4, vcc
	v_mov_b32_e32 v117, v116
.LBB76_31:                              ;   in Loop: Header=BB76_21 Depth=2
	s_or_b64 exec, exec, s[20:21]
	v_cmp_gt_i32_e32 vcc, 2, v118
	s_or_b64 s[14:15], vcc, s[14:15]
	v_mov_b32_e32 v15, v117
	v_mov_b32_e32 v0, v87
	;; [unrolled: 1-line block ×5, first 2 shown]
	s_andn2_b64 exec, exec, s[14:15]
	s_cbranch_execnz .LBB76_21
; %bb.32:                               ;   in Loop: Header=BB76_21 Depth=2
	s_or_b64 exec, exec, s[14:15]
	v_cmp_ne_u32_e32 vcc, 0, v118
	s_or_b64 s[12:13], vcc, s[12:13]
	s_mov_b64 s[14:15], 0
	v_mov_b32_e32 v15, v117
	v_mov_b32_e32 v0, v87
	;; [unrolled: 1-line block ×5, first 2 shown]
	s_andn2_b64 exec, exec, s[12:13]
	s_cbranch_execnz .LBB76_21
; %bb.33:                               ;   in Loop: Header=BB76_5 Depth=1
	s_or_b64 exec, exec, s[12:13]
	v_readlane_b32 s20, v134, 21
	v_readlane_b32 s21, v134, 22
                                        ; implicit-def: $vgpr72_vgpr73
                                        ; implicit-def: $vgpr15
                                        ; implicit-def: $vgpr96
                                        ; implicit-def: $vgpr97
                                        ; implicit-def: $vgpr105
                                        ; implicit-def: $vgpr95
                                        ; implicit-def: $vgpr3
                                        ; implicit-def: $vgpr4_vgpr5
                                        ; implicit-def: $vgpr98
                                        ; implicit-def: $vgpr99
                                        ; implicit-def: $vgpr100
                                        ; implicit-def: $vgpr101
                                        ; implicit-def: $vgpr103
                                        ; implicit-def: $vgpr104
                                        ; implicit-def: $vgpr106
                                        ; implicit-def: $vgpr107
                                        ; implicit-def: $vgpr108
                                        ; implicit-def: $vgpr109
                                        ; implicit-def: $vgpr110
                                        ; implicit-def: $vgpr111
                                        ; implicit-def: $vgpr112
                                        ; implicit-def: $vgpr113
                                        ; implicit-def: $vgpr102
                                        ; implicit-def: $vgpr114
.LBB76_34:                              ;   in Loop: Header=BB76_5 Depth=1
	s_andn2_saveexec_b64 s[6:7], s[6:7]
	s_cbranch_execz .LBB76_46
; %bb.35:                               ;   in Loop: Header=BB76_5 Depth=1
	v_add_co_u32_e32 v6, vcc, 1, v96
	v_cndmask_b32_e64 v7, 0, 1, vcc
	v_addc_co_u32_e32 v10, vcc, 0, v97, vcc
	v_cmp_eq_u32_e32 vcc, 0, v10
	v_cndmask_b32_e32 v7, 0, v7, vcc
	v_add_u32_e32 v8, v7, v17
	v_cmp_eq_u32_e32 vcc, 0, v8
	v_cndmask_b32_e32 v11, 0, v7, vcc
	v_mad_u64_u32 v[6:7], s[0:1], v6, s9, 0
	v_mad_u64_u32 v[8:9], s[0:1], v8, s8, 0
	v_xor_b32_e32 v7, v7, v73
	v_xor_b32_e32 v9, v9, v72
	v_xor_b32_e32 v7, v11, v7
	v_xor_b32_e32 v9, v10, v9
	v_mad_u64_u32 v[72:73], s[0:1], v7, s8, 0
	v_mad_u64_u32 v[10:11], s[0:1], v9, s9, 0
	v_xor_b32_e32 v7, v98, v73
	v_xor_b32_e32 v7, v7, v8
	v_xor_b32_e32 v8, v99, v11
	v_xor_b32_e32 v8, v8, v6
	;; [unrolled: 6-line block ×8, first 2 shown]
	v_mad_u64_u32 v[74:75], s[0:1], v7, s9, 0
	v_mad_u64_u32 v[8:9], s[0:1], v6, s8, 0
	v_xor_b32_e32 v6, v114, v75
	v_xor_b32_e32 v6, v6, v10
	v_mad_u64_u32 v[6:7], s[0:1], v6, s8, 0
	v_xor_b32_e32 v7, v7, v8
	v_xor_b32_e32 v10, v105, v7
	v_cmp_lt_i32_e32 vcc, 1, v15
                                        ; implicit-def: $vgpr8
	s_and_saveexec_b64 s[0:1], vcc
	s_xor_b64 s[0:1], exec, s[0:1]
	s_cbranch_execz .LBB76_41
; %bb.36:                               ;   in Loop: Header=BB76_5 Depth=1
	v_cmp_lt_i32_e32 vcc, 2, v15
                                        ; implicit-def: $vgpr8
	s_and_saveexec_b64 s[12:13], vcc
	s_xor_b64 s[12:13], exec, s[12:13]
; %bb.37:                               ;   in Loop: Header=BB76_5 Depth=1
	v_xor_b32_e32 v0, v102, v9
	v_xor_b32_e32 v0, v0, v72
	v_mul_hi_u32 v0, v0, s9
	v_xor_b32_e32 v0, v0, v74
	v_xor_b32_e32 v8, v95, v0
; %bb.38:                               ;   in Loop: Header=BB76_5 Depth=1
	s_andn2_saveexec_b64 s[12:13], s[12:13]
; %bb.39:                               ;   in Loop: Header=BB76_5 Depth=1
	v_mov_b32_e32 v8, v6
	v_mov_b32_e32 v6, v10
	;; [unrolled: 1-line block ×4, first 2 shown]
; %bb.40:                               ;   in Loop: Header=BB76_5 Depth=1
	s_or_b64 exec, exec, s[12:13]
                                        ; implicit-def: $vgpr15
.LBB76_41:                              ;   in Loop: Header=BB76_5 Depth=1
	s_andn2_saveexec_b64 s[0:1], s[0:1]
	s_cbranch_execz .LBB76_45
; %bb.42:                               ;   in Loop: Header=BB76_5 Depth=1
	v_cmp_eq_u32_e32 vcc, 1, v15
	v_mov_b32_e32 v8, v3
	v_mov_b32_e32 v6, v2
	;; [unrolled: 1-line block ×3, first 2 shown]
	s_and_saveexec_b64 s[12:13], vcc
; %bb.43:                               ;   in Loop: Header=BB76_5 Depth=1
	v_mov_b32_e32 v8, v10
	v_mov_b32_e32 v6, v3
	;; [unrolled: 1-line block ×4, first 2 shown]
; %bb.44:                               ;   in Loop: Header=BB76_5 Depth=1
	s_or_b64 exec, exec, s[12:13]
	v_mov_b32_e32 v3, v0
	v_mov_b32_e32 v10, v7
.LBB76_45:                              ;   in Loop: Header=BB76_5 Depth=1
	s_or_b64 exec, exec, s[0:1]
	v_mov_b32_e32 v11, v14
	v_lshlrev_b64 v[0:1], 21, v[10:11]
	v_xor_b32_e32 v2, v0, v3
	v_cvt_f64_u32_e32 v[0:1], v1
	v_ldexp_f64 v[0:1], v[0:1], 32
	v_cvt_f64_u32_e32 v[2:3], v2
	v_add_f64 v[0:1], v[0:1], v[2:3]
	v_mov_b32_e32 v2, 0
	v_mov_b32_e32 v3, 0x3ca00000
	v_fmac_f64_e32 v[2:3], 0x3ca00000, v[0:1]
	v_mov_b32_e32 v9, v14
	v_lshlrev_b64 v[0:1], 21, v[8:9]
	v_frexp_mant_f64_e32 v[8:9], v[2:3]
	v_cmp_gt_f64_e32 vcc, s[36:37], v[8:9]
	v_cndmask_b32_e64 v15, v90, 2.0, vcc
	v_frexp_exp_i32_f64_e32 v10, v[2:3]
	v_mul_f64 v[8:9], v[8:9], v[14:15]
	v_subbrev_co_u32_e32 v15, vcc, 0, v10, vcc
	v_add_f64 v[10:11], v[8:9], 1.0
	v_rcp_f64_e32 v[72:73], v[10:11]
	v_add_f64 v[76:77], v[10:11], -1.0
	v_add_f64 v[74:75], v[8:9], -1.0
	v_add_f64 v[8:9], v[8:9], -v[76:77]
	v_fma_f64 v[76:77], -v[10:11], v[72:73], 1.0
	v_fmac_f64_e32 v[72:73], v[76:77], v[72:73]
	v_fma_f64 v[76:77], -v[10:11], v[72:73], 1.0
	v_fmac_f64_e32 v[72:73], v[76:77], v[72:73]
	v_mul_f64 v[76:77], v[74:75], v[72:73]
	v_mul_f64 v[78:79], v[10:11], v[76:77]
	v_fma_f64 v[10:11], v[76:77], v[10:11], -v[78:79]
	v_fmac_f64_e32 v[10:11], v[76:77], v[8:9]
	v_add_f64 v[8:9], v[78:79], v[10:11]
	v_add_f64 v[80:81], v[74:75], -v[8:9]
	v_add_f64 v[78:79], v[8:9], -v[78:79]
	;; [unrolled: 1-line block ×5, first 2 shown]
	v_add_f64 v[8:9], v[10:11], v[8:9]
	v_add_f64 v[8:9], v[80:81], v[8:9]
	v_mul_f64 v[8:9], v[72:73], v[8:9]
	v_add_f64 v[10:11], v[76:77], v[8:9]
	v_add_f64 v[72:73], v[10:11], -v[76:77]
	v_add_f64 v[8:9], v[8:9], -v[72:73]
	v_mul_f64 v[72:73], v[10:11], v[10:11]
	v_pk_mov_b32 v[74:75], v[18:19], v[18:19] op_sel:[0,1]
	v_fmac_f64_e32 v[74:75], s[40:41], v[72:73]
	v_pk_mov_b32 v[76:77], v[20:21], v[20:21] op_sel:[0,1]
	v_fmac_f64_e32 v[76:77], v[72:73], v[74:75]
	;; [unrolled: 2-line block ×6, first 2 shown]
	v_ldexp_f64 v[74:75], v[10:11], 1
	v_mul_f64 v[10:11], v[10:11], v[72:73]
	v_mul_f64 v[10:11], v[10:11], v[76:77]
	v_add_f64 v[72:73], v[74:75], v[10:11]
	v_add_f64 v[74:75], v[72:73], -v[74:75]
	v_ldexp_f64 v[8:9], v[8:9], 1
	v_add_f64 v[10:11], v[10:11], -v[74:75]
	v_add_f64 v[8:9], v[8:9], v[10:11]
	v_add_f64 v[10:11], v[72:73], v[8:9]
	v_add_f64 v[72:73], v[10:11], -v[72:73]
	v_add_f64 v[8:9], v[8:9], -v[72:73]
	v_cvt_f64_i32_e32 v[72:73], v15
	v_mul_f64 v[74:75], v[72:73], s[52:53]
	v_fma_f64 v[76:77], v[72:73], s[52:53], -v[74:75]
	v_fmac_f64_e32 v[76:77], s[54:55], v[72:73]
	v_add_f64 v[72:73], v[74:75], v[76:77]
	v_add_f64 v[74:75], v[72:73], -v[74:75]
	v_add_f64 v[74:75], v[76:77], -v[74:75]
	v_add_f64 v[76:77], v[72:73], v[10:11]
	v_add_f64 v[78:79], v[76:77], -v[72:73]
	v_add_f64 v[80:81], v[76:77], -v[78:79]
	;; [unrolled: 1-line block ×4, first 2 shown]
	v_add_f64 v[10:11], v[10:11], v[72:73]
	v_add_f64 v[72:73], v[74:75], v[8:9]
	v_add_f64 v[78:79], v[72:73], -v[74:75]
	v_add_f64 v[80:81], v[72:73], -v[78:79]
	v_add_f64 v[10:11], v[72:73], v[10:11]
	v_add_f64 v[74:75], v[74:75], -v[80:81]
	v_add_f64 v[8:9], v[8:9], -v[78:79]
	v_add_f64 v[72:73], v[76:77], v[10:11]
	v_add_f64 v[8:9], v[8:9], v[74:75]
	v_add_f64 v[74:75], v[72:73], -v[76:77]
	v_add_f64 v[10:11], v[10:11], -v[74:75]
	s_mov_b32 s14, 0
	v_add_f64 v[8:9], v[8:9], v[10:11]
	s_mov_b32 s15, 0x7ff00000
	v_add_f64 v[8:9], v[72:73], v[8:9]
	v_cmp_eq_f64_e32 vcc, s[14:15], v[2:3]
	v_cndmask_b32_e32 v9, v9, v3, vcc
	v_cndmask_b32_e32 v8, v8, v2, vcc
	v_mul_f64 v[8:9], v[8:9], -2.0
	v_cmp_neq_f64_e32 vcc, 0, v[2:3]
	s_mov_b32 s0, 0
	v_cndmask_b32_e32 v3, v93, v9, vcc
	v_cndmask_b32_e32 v2, 0, v8, vcc
	s_brev_b32 s1, 8
	v_cmp_gt_f64_e32 vcc, s[0:1], v[2:3]
	v_cndmask_b32_e64 v8, 0, 1, vcc
	v_lshlrev_b32_e32 v8, 8, v8
	v_ldexp_f64 v[2:3], v[2:3], v8
	v_xor_b32_e32 v6, v0, v6
	v_cvt_f64_u32_e32 v[0:1], v1
	v_rsq_f64_e32 v[8:9], v[2:3]
	v_ldexp_f64 v[0:1], v[0:1], 32
	v_cvt_f64_u32_e32 v[6:7], v6
	v_add_f64 v[0:1], v[0:1], v[6:7]
	v_mov_b32_e32 v6, 0
	v_mov_b32_e32 v7, 0x3cb00000
	v_fmac_f64_e32 v[6:7], 0x3cb00000, v[0:1]
	v_mul_f64 v[0:1], v[2:3], v[8:9]
	v_mul_f64 v[8:9], v[8:9], 0.5
	v_fma_f64 v[10:11], -v[8:9], v[0:1], 0.5
	v_fmac_f64_e32 v[0:1], v[0:1], v[10:11]
	v_fma_f64 v[72:73], -v[0:1], v[0:1], v[2:3]
	v_fmac_f64_e32 v[8:9], v[8:9], v[10:11]
	v_fmac_f64_e32 v[0:1], v[72:73], v[8:9]
	v_fma_f64 v[10:11], -v[0:1], v[0:1], v[2:3]
	v_fmac_f64_e32 v[0:1], v[10:11], v[8:9]
	v_cndmask_b32_e32 v8, 0, v89, vcc
	v_ldexp_f64 v[0:1], v[0:1], v8
	v_cmp_class_f64_e32 vcc, v[2:3], v88
	v_cndmask_b32_e32 v1, v1, v3, vcc
	v_cndmask_b32_e32 v0, v0, v2, vcc
	v_mul_f64 v[2:3], v[6:7], 0.5
	v_fract_f64_e32 v[8:9], v[2:3]
	v_add_f64 v[8:9], v[8:9], v[8:9]
	v_cmp_neq_f64_e32 vcc, s[14:15], v[2:3]
	v_cndmask_b32_e32 v2, 0, v8, vcc
	v_cndmask_b32_e32 v3, 0, v9, vcc
	v_cmp_lt_f64_e32 vcc, 1.0, v[6:7]
	v_cndmask_b32_e32 v3, v7, v3, vcc
	v_cndmask_b32_e32 v2, v6, v2, vcc
	v_add_f64 v[8:9], v[2:3], v[2:3]
	v_rndne_f64_e32 v[8:9], v[8:9]
	v_fmac_f64_e32 v[2:3], -0.5, v[8:9]
	s_mov_b32 s12, 0xf99eb0bb
	v_cvt_i32_f64_e32 v15, v[8:9]
	v_mul_f64 v[8:9], v[2:3], v[2:3]
	v_pk_mov_b32 v[10:11], v[48:49], v[48:49] op_sel:[0,1]
	s_mov_b32 s13, 0x3f3e357e
	v_fmac_f64_e32 v[10:11], s[12:13], v[8:9]
	v_pk_mov_b32 v[72:73], v[50:51], v[50:51] op_sel:[0,1]
	v_fmac_f64_e32 v[72:73], v[8:9], v[10:11]
	v_pk_mov_b32 v[10:11], v[52:53], v[52:53] op_sel:[0,1]
	v_fmac_f64_e32 v[10:11], v[8:9], v[72:73]
	v_pk_mov_b32 v[72:73], v[54:55], v[54:55] op_sel:[0,1]
	v_fmac_f64_e32 v[72:73], v[8:9], v[10:11]
	v_pk_mov_b32 v[10:11], v[56:57], v[56:57] op_sel:[0,1]
	v_fmac_f64_e32 v[10:11], v[8:9], v[72:73]
	v_mul_f64 v[72:73], v[2:3], v[8:9]
	s_mov_b32 s12, 0x54442d18
	v_mul_f64 v[10:11], v[72:73], v[10:11]
	s_mov_b32 s13, 0x400921fb
	v_fmac_f64_e32 v[10:11], s[12:13], v[2:3]
	s_mov_b32 s12, 0x2e21c33
	v_pk_mov_b32 v[2:3], v[58:59], v[58:59] op_sel:[0,1]
	s_mov_b32 s13, 0xbf1b1673
	v_fmac_f64_e32 v[2:3], s[12:13], v[8:9]
	v_pk_mov_b32 v[72:73], v[60:61], v[60:61] op_sel:[0,1]
	v_fmac_f64_e32 v[72:73], v[8:9], v[2:3]
	v_pk_mov_b32 v[2:3], v[62:63], v[62:63] op_sel:[0,1]
	;; [unrolled: 2-line block ×5, first 2 shown]
	v_fmac_f64_e32 v[72:73], v[8:9], v[2:3]
	v_fma_f64 v[2:3], v[8:9], v[72:73], 1.0
	v_and_b32_e32 v9, 1, v15
	v_lshlrev_b32_e32 v8, 30, v15
	v_cmp_eq_u32_e32 vcc, 0, v9
	v_cndmask_b32_e32 v10, v2, v10, vcc
	v_cndmask_b32_e32 v2, v3, v11, vcc
	v_xor_b32_e32 v3, v8, v7
	v_and_b32_e32 v3, 0x80000000, v3
	v_cmp_gt_f64_e32 vcc, s[0:1], v[4:5]
	v_xor_b32_e32 v11, v2, v3
	v_cndmask_b32_e64 v2, 0, 1, vcc
	v_lshlrev_b32_e32 v2, 8, v2
	v_ldexp_f64 v[2:3], v[4:5], v2
	v_rsq_f64_e32 v[8:9], v[2:3]
	v_cmp_lg_f64_e64 s[0:1], s[14:15], v[6:7]
	v_cndmask_b32_e64 v6, 0, v10, s[0:1]
	v_cndmask_b32_e64 v7, v91, v11, s[0:1]
	v_mul_f64 v[0:1], v[0:1], v[6:7]
	v_mul_f64 v[6:7], v[2:3], v[8:9]
	v_mul_f64 v[8:9], v[8:9], 0.5
	v_fma_f64 v[10:11], -v[8:9], v[6:7], 0.5
	v_fmac_f64_e32 v[6:7], v[6:7], v[10:11]
	v_fma_f64 v[72:73], -v[6:7], v[6:7], v[2:3]
	v_fmac_f64_e32 v[8:9], v[8:9], v[10:11]
	v_fmac_f64_e32 v[6:7], v[72:73], v[8:9]
	v_fma_f64 v[10:11], -v[6:7], v[6:7], v[2:3]
	v_fmac_f64_e32 v[6:7], v[10:11], v[8:9]
	v_cndmask_b32_e32 v8, 0, v89, vcc
	v_ldexp_f64 v[6:7], v[6:7], v8
	v_cmp_class_f64_e32 vcc, v[2:3], v88
	v_cndmask_b32_e32 v3, v7, v3, vcc
	v_cndmask_b32_e32 v2, v6, v2, vcc
	v_fmac_f64_e32 v[4:5], v[2:3], v[0:1]
	v_trunc_f64_e32 v[0:1], v[4:5]
	v_add_f64 v[2:3], v[4:5], -v[0:1]
	v_cmp_ge_f64_e64 vcc, |v[2:3]|, 0.5
	v_cndmask_b32_e32 v2, 0, v90, vcc
	s_brev_b32 s0, -2
	v_bfi_b32 v15, s0, v2, v5
	v_add_f64 v[0:1], v[0:1], v[14:15]
	v_cvt_u32_f64_e32 v75, v[0:1]
.LBB76_46:                              ;   in Loop: Header=BB76_5 Depth=1
	s_or_b64 exec, exec, s[6:7]
                                        ; implicit-def: $vgpr6
                                        ; implicit-def: $vgpr72_vgpr73
                                        ; implicit-def: $vgpr15
                                        ; implicit-def: $vgpr96
                                        ; implicit-def: $vgpr97
                                        ; implicit-def: $vgpr105
                                        ; implicit-def: $vgpr95
                                        ; implicit-def: $vgpr3
                                        ; implicit-def: $vgpr4_vgpr5
                                        ; implicit-def: $vgpr98
                                        ; implicit-def: $vgpr99
                                        ; implicit-def: $vgpr100
                                        ; implicit-def: $vgpr101
                                        ; implicit-def: $vgpr103
                                        ; implicit-def: $vgpr104
                                        ; implicit-def: $vgpr106
                                        ; implicit-def: $vgpr107
                                        ; implicit-def: $vgpr108
                                        ; implicit-def: $vgpr109
                                        ; implicit-def: $vgpr110
                                        ; implicit-def: $vgpr111
                                        ; implicit-def: $vgpr112
                                        ; implicit-def: $vgpr113
                                        ; implicit-def: $vgpr102
                                        ; implicit-def: $vgpr114
.LBB76_47:                              ;   in Loop: Header=BB76_5 Depth=1
	s_andn2_saveexec_b64 s[6:7], s[16:17]
	s_cbranch_execz .LBB76_3
; %bb.48:                               ;   in Loop: Header=BB76_5 Depth=1
	v_readlane_b32 s0, v134, 19
	v_readlane_b32 s1, v134, 20
	s_mov_b32 s0, s58
	v_mul_f64 v[8:9], v[4:5], s[0:1]
	v_rndne_f64_e32 v[10:11], v[8:9]
	s_mov_b32 s60, s52
	v_fma_f64 v[4:5], v[10:11], s[60:61], -v[4:5]
	s_mov_b32 s62, s54
	v_fmac_f64_e32 v[4:5], s[62:63], v[10:11]
	v_pk_mov_b32 v[8:9], v[30:31], v[30:31] op_sel:[0,1]
	v_fmac_f64_e32 v[8:9], s[66:67], v[4:5]
	v_pk_mov_b32 v[74:75], v[32:33], v[32:33] op_sel:[0,1]
	;; [unrolled: 2-line block ×9, first 2 shown]
	v_fmac_f64_e32 v[76:77], v[4:5], v[74:75]
	v_fma_f64 v[74:75], v[4:5], v[76:77], 1.0
	s_mov_b32 s0, 0xc4800000
	v_fma_f64 v[4:5], v[4:5], v[74:75], 1.0
	v_cvt_i32_f64_e32 v7, v[10:11]
	v_cmp_ngt_f32_e32 vcc, s0, v6
	s_mov_b32 s0, 0x44866000
	s_mov_b32 s13, s1
	v_ldexp_f64 v[4:5], v[4:5], v7
	v_cmp_nlt_f32_e64 s[0:1], s0, v6
	v_mov_b32_e32 v8, 0
	v_cndmask_b32_e32 v5, v93, v5, vcc
	s_and_b64 vcc, s[0:1], vcc
	v_writelane_b32 v134, s12, 19
	v_mov_b32_e32 v9, 0x3ff00000
	v_mov_b32_e32 v78, 0
	v_cndmask_b32_e64 v11, 0, v5, s[0:1]
	v_cndmask_b32_e32 v10, 0, v4, vcc
	s_mov_b32 s14, -1
	s_mov_b64 s[0:1], 0
	v_mov_b32_e32 v79, v17
	v_writelane_b32 v134, s13, 20
	s_branch .LBB76_50
.LBB76_49:                              ;   in Loop: Header=BB76_50 Depth=2
	s_or_b64 exec, exec, s[12:13]
	v_cmp_eq_u32_e32 vcc, 1, v15
	v_cndmask_b32_e32 v0, v0, v1, vcc
	v_cmp_eq_u32_e32 vcc, 2, v15
	v_cndmask_b32_e32 v0, v0, v2, vcc
	;; [unrolled: 2-line block ×6, first 2 shown]
	v_lshrrev_b32_e32 v0, 11, v0
	v_cvt_f64_u32_e32 v[0:1], v0
	v_ldexp_f64 v[0:1], v[0:1], 32
	v_cvt_f64_u32_e32 v[2:3], v2
	v_add_f64 v[0:1], v[0:1], v[2:3]
	v_mov_b32_e32 v2, 0
	v_mov_b32_e32 v3, 0x3ca00000
	v_fmac_f64_e32 v[2:3], 0x3ca00000, v[0:1]
	v_mul_f64 v[8:9], v[8:9], v[2:3]
	v_cmp_ngt_f64_e32 vcc, v[8:9], v[10:11]
	s_add_i32 s14, s14, 1
	s_or_b64 s[0:1], vcc, s[0:1]
	v_mov_b32_e32 v75, s14
	v_mov_b32_e32 v15, v81
	;; [unrolled: 1-line block ×6, first 2 shown]
	s_andn2_b64 exec, exec, s[0:1]
	s_cbranch_execz .LBB76_2
.LBB76_50:                              ;   Parent Loop BB76_5 Depth=1
                                        ; =>  This Inner Loop Header: Depth=2
	v_add_u32_e32 v80, 1, v15
	v_pk_mov_b32 v[6:7], v[2:3], v[2:3] op_sel:[0,1]
	v_cmp_eq_u32_e32 vcc, 4, v80
	v_pk_mov_b32 v[4:5], v[0:1], v[0:1] op_sel:[0,1]
	v_mov_b32_e32 v77, v0
	v_mov_b32_e32 v76, v1
	;; [unrolled: 1-line block ×4, first 2 shown]
	s_and_saveexec_b64 s[12:13], vcc
	s_cbranch_execz .LBB76_52
; %bb.51:                               ;   in Loop: Header=BB76_50 Depth=2
	v_add_co_u32_e32 v96, vcc, 1, v96
	v_cndmask_b32_e64 v4, 0, 1, vcc
	v_addc_co_u32_e32 v97, vcc, 0, v97, vcc
	v_cmp_eq_u32_e32 vcc, 0, v97
	v_cndmask_b32_e32 v4, 0, v4, vcc
	v_add_u32_e32 v79, v4, v79
	v_cmp_eq_u32_e32 vcc, 0, v79
	v_cndmask_b32_e32 v4, 0, v4, vcc
	v_add_u32_e32 v78, v4, v78
	v_mad_u64_u32 v[4:5], s[16:17], v96, s9, 0
	v_mad_u64_u32 v[6:7], s[16:17], v79, s8, 0
	v_xor_b32_e32 v5, v5, v73
	v_xor_b32_e32 v7, v7, v72
	v_xor_b32_e32 v5, v78, v5
	v_xor_b32_e32 v7, v97, v7
	v_mad_u64_u32 v[76:77], s[16:17], v5, s8, 0
	v_mad_u64_u32 v[74:75], s[16:17], v7, s9, 0
	v_xor_b32_e32 v5, v98, v77
	v_xor_b32_e32 v5, v5, v6
	v_xor_b32_e32 v6, v99, v75
	v_xor_b32_e32 v6, v6, v4
	;; [unrolled: 6-line block ×10, first 2 shown]
	v_mov_b32_e32 v80, 0
	v_mov_b32_e32 v5, v76
	;; [unrolled: 1-line block ×5, first 2 shown]
.LBB76_52:                              ;   in Loop: Header=BB76_50 Depth=2
	s_or_b64 exec, exec, s[12:13]
	v_add_u32_e32 v81, 1, v80
	v_cmp_eq_u32_e32 vcc, 4, v81
	s_and_saveexec_b64 s[12:13], vcc
	s_cbranch_execz .LBB76_49
; %bb.53:                               ;   in Loop: Header=BB76_50 Depth=2
	v_add_co_u32_e32 v96, vcc, 1, v96
	v_cndmask_b32_e64 v74, 0, 1, vcc
	v_addc_co_u32_e32 v97, vcc, 0, v97, vcc
	v_cmp_eq_u32_e32 vcc, 0, v97
	v_cndmask_b32_e32 v74, 0, v74, vcc
	v_add_u32_e32 v79, v74, v79
	v_cmp_eq_u32_e32 vcc, 0, v79
	v_cndmask_b32_e32 v74, 0, v74, vcc
	v_add_u32_e32 v78, v74, v78
	v_mad_u64_u32 v[74:75], s[16:17], v96, s9, 0
	v_mad_u64_u32 v[76:77], s[16:17], v79, s8, 0
	v_xor_b32_e32 v75, v75, v73
	v_xor_b32_e32 v77, v77, v72
	v_xor_b32_e32 v75, v78, v75
	v_xor_b32_e32 v77, v97, v77
	v_mad_u64_u32 v[84:85], s[16:17], v75, s8, 0
	v_mad_u64_u32 v[82:83], s[16:17], v77, s9, 0
	v_xor_b32_e32 v75, v98, v85
	v_xor_b32_e32 v75, v75, v76
	v_xor_b32_e32 v76, v99, v83
	v_xor_b32_e32 v76, v76, v74
	;; [unrolled: 6-line block ×9, first 2 shown]
	v_mad_u64_u32 v[74:75], s[16:17], v74, s9, 0
	v_mad_u64_u32 v[76:77], s[16:17], v76, s8, 0
	v_xor_b32_e32 v77, v77, v116
	v_xor_b32_e32 v75, v75, v86
	v_mov_b32_e32 v81, 0
	v_xor_b32_e32 v77, v105, v77
	v_xor_b32_e32 v82, v95, v75
	s_branch .LBB76_49
.LBB76_54:
	s_or_b64 exec, exec, s[18:19]
	s_and_saveexec_b64 s[0:1], s[34:35]
	s_xor_b64 s[0:1], exec, s[0:1]
	s_cbranch_execnz .LBB76_56
.LBB76_55:
	s_endpgm
.LBB76_56:
	s_trap 2
	; divergent unreachable
	s_endpgm
	.section	.rodata,"a",@progbits
	.p2align	6, 0x0
	.amdhsa_kernel _ZN2at4cuda12_GLOBAL__N_121kernelPointwiseApply2IZN12_GLOBAL__N_119poisson_cuda_kernelIfEEvRKNS_10TensorBaseES7_NS_15PhiloxCudaStateEEUlRfRKfE_ffjLin1ELin1ELi1ELi512ELi2EEEvNS0_6detail10TensorInfoIT0_T2_EENSE_IT1_SG_EESG_T_
		.amdhsa_group_segment_fixed_size 0
		.amdhsa_private_segment_fixed_size 0
		.amdhsa_kernarg_size 728
		.amdhsa_user_sgpr_count 6
		.amdhsa_user_sgpr_private_segment_buffer 1
		.amdhsa_user_sgpr_dispatch_ptr 0
		.amdhsa_user_sgpr_queue_ptr 0
		.amdhsa_user_sgpr_kernarg_segment_ptr 1
		.amdhsa_user_sgpr_dispatch_id 0
		.amdhsa_user_sgpr_flat_scratch_init 0
		.amdhsa_user_sgpr_kernarg_preload_length 0
		.amdhsa_user_sgpr_kernarg_preload_offset 0
		.amdhsa_user_sgpr_private_segment_size 0
		.amdhsa_uses_dynamic_stack 0
		.amdhsa_system_sgpr_private_segment_wavefront_offset 0
		.amdhsa_system_sgpr_workgroup_id_x 1
		.amdhsa_system_sgpr_workgroup_id_y 0
		.amdhsa_system_sgpr_workgroup_id_z 0
		.amdhsa_system_sgpr_workgroup_info 0
		.amdhsa_system_vgpr_workitem_id 0
		.amdhsa_next_free_vgpr 135
		.amdhsa_next_free_sgpr 96
		.amdhsa_accum_offset 136
		.amdhsa_reserve_vcc 1
		.amdhsa_reserve_flat_scratch 0
		.amdhsa_float_round_mode_32 0
		.amdhsa_float_round_mode_16_64 0
		.amdhsa_float_denorm_mode_32 3
		.amdhsa_float_denorm_mode_16_64 3
		.amdhsa_dx10_clamp 1
		.amdhsa_ieee_mode 1
		.amdhsa_fp16_overflow 0
		.amdhsa_tg_split 0
		.amdhsa_exception_fp_ieee_invalid_op 0
		.amdhsa_exception_fp_denorm_src 0
		.amdhsa_exception_fp_ieee_div_zero 0
		.amdhsa_exception_fp_ieee_overflow 0
		.amdhsa_exception_fp_ieee_underflow 0
		.amdhsa_exception_fp_ieee_inexact 0
		.amdhsa_exception_int_div_zero 0
	.end_amdhsa_kernel
	.section	.text._ZN2at4cuda12_GLOBAL__N_121kernelPointwiseApply2IZN12_GLOBAL__N_119poisson_cuda_kernelIfEEvRKNS_10TensorBaseES7_NS_15PhiloxCudaStateEEUlRfRKfE_ffjLin1ELin1ELi1ELi512ELi2EEEvNS0_6detail10TensorInfoIT0_T2_EENSE_IT1_SG_EESG_T_,"axG",@progbits,_ZN2at4cuda12_GLOBAL__N_121kernelPointwiseApply2IZN12_GLOBAL__N_119poisson_cuda_kernelIfEEvRKNS_10TensorBaseES7_NS_15PhiloxCudaStateEEUlRfRKfE_ffjLin1ELin1ELi1ELi512ELi2EEEvNS0_6detail10TensorInfoIT0_T2_EENSE_IT1_SG_EESG_T_,comdat
.Lfunc_end76:
	.size	_ZN2at4cuda12_GLOBAL__N_121kernelPointwiseApply2IZN12_GLOBAL__N_119poisson_cuda_kernelIfEEvRKNS_10TensorBaseES7_NS_15PhiloxCudaStateEEUlRfRKfE_ffjLin1ELin1ELi1ELi512ELi2EEEvNS0_6detail10TensorInfoIT0_T2_EENSE_IT1_SG_EESG_T_, .Lfunc_end76-_ZN2at4cuda12_GLOBAL__N_121kernelPointwiseApply2IZN12_GLOBAL__N_119poisson_cuda_kernelIfEEvRKNS_10TensorBaseES7_NS_15PhiloxCudaStateEEUlRfRKfE_ffjLin1ELin1ELi1ELi512ELi2EEEvNS0_6detail10TensorInfoIT0_T2_EENSE_IT1_SG_EESG_T_
                                        ; -- End function
	.section	.AMDGPU.csdata,"",@progbits
; Kernel info:
; codeLenInByte = 13928
; NumSgprs: 100
; NumVgprs: 135
; NumAgprs: 0
; TotalNumVgprs: 135
; ScratchSize: 0
; MemoryBound: 0
; FloatMode: 240
; IeeeMode: 1
; LDSByteSize: 0 bytes/workgroup (compile time only)
; SGPRBlocks: 12
; VGPRBlocks: 16
; NumSGPRsForWavesPerEU: 100
; NumVGPRsForWavesPerEU: 135
; AccumOffset: 136
; Occupancy: 3
; WaveLimiterHint : 1
; COMPUTE_PGM_RSRC2:SCRATCH_EN: 0
; COMPUTE_PGM_RSRC2:USER_SGPR: 6
; COMPUTE_PGM_RSRC2:TRAP_HANDLER: 0
; COMPUTE_PGM_RSRC2:TGID_X_EN: 1
; COMPUTE_PGM_RSRC2:TGID_Y_EN: 0
; COMPUTE_PGM_RSRC2:TGID_Z_EN: 0
; COMPUTE_PGM_RSRC2:TIDIG_COMP_CNT: 0
; COMPUTE_PGM_RSRC3_GFX90A:ACCUM_OFFSET: 33
; COMPUTE_PGM_RSRC3_GFX90A:TG_SPLIT: 0
	.section	.text._ZN2at4cuda12_GLOBAL__N_121kernelPointwiseApply2IZN12_GLOBAL__N_119poisson_cuda_kernelIfEEvRKNS_10TensorBaseES7_NS_15PhiloxCudaStateEEUlRfRKfE_ffmLi1ELi1ELi1ELi512ELi2EEEvNS0_6detail10TensorInfoIT0_T2_EENSE_IT1_SG_EESG_T_,"axG",@progbits,_ZN2at4cuda12_GLOBAL__N_121kernelPointwiseApply2IZN12_GLOBAL__N_119poisson_cuda_kernelIfEEvRKNS_10TensorBaseES7_NS_15PhiloxCudaStateEEUlRfRKfE_ffmLi1ELi1ELi1ELi512ELi2EEEvNS0_6detail10TensorInfoIT0_T2_EENSE_IT1_SG_EESG_T_,comdat
	.globl	_ZN2at4cuda12_GLOBAL__N_121kernelPointwiseApply2IZN12_GLOBAL__N_119poisson_cuda_kernelIfEEvRKNS_10TensorBaseES7_NS_15PhiloxCudaStateEEUlRfRKfE_ffmLi1ELi1ELi1ELi512ELi2EEEvNS0_6detail10TensorInfoIT0_T2_EENSE_IT1_SG_EESG_T_ ; -- Begin function _ZN2at4cuda12_GLOBAL__N_121kernelPointwiseApply2IZN12_GLOBAL__N_119poisson_cuda_kernelIfEEvRKNS_10TensorBaseES7_NS_15PhiloxCudaStateEEUlRfRKfE_ffmLi1ELi1ELi1ELi512ELi2EEEvNS0_6detail10TensorInfoIT0_T2_EENSE_IT1_SG_EESG_T_
	.p2align	8
	.type	_ZN2at4cuda12_GLOBAL__N_121kernelPointwiseApply2IZN12_GLOBAL__N_119poisson_cuda_kernelIfEEvRKNS_10TensorBaseES7_NS_15PhiloxCudaStateEEUlRfRKfE_ffmLi1ELi1ELi1ELi512ELi2EEEvNS0_6detail10TensorInfoIT0_T2_EENSE_IT1_SG_EESG_T_,@function
_ZN2at4cuda12_GLOBAL__N_121kernelPointwiseApply2IZN12_GLOBAL__N_119poisson_cuda_kernelIfEEvRKNS_10TensorBaseES7_NS_15PhiloxCudaStateEEUlRfRKfE_ffmLi1ELi1ELi1ELi512ELi2EEEvNS0_6detail10TensorInfoIT0_T2_EENSE_IT1_SG_EESG_T_: ; @_ZN2at4cuda12_GLOBAL__N_121kernelPointwiseApply2IZN12_GLOBAL__N_119poisson_cuda_kernelIfEEvRKNS_10TensorBaseES7_NS_15PhiloxCudaStateEEUlRfRKfE_ffmLi1ELi1ELi1ELi512ELi2EEEvNS0_6detail10TensorInfoIT0_T2_EENSE_IT1_SG_EESG_T_
; %bb.0:
	s_load_dword s2, s[4:5], 0x374
	s_load_dwordx8 s[8:15], s[4:5], 0x340
                                        ; implicit-def: $vgpr132 : SGPR spill to VGPR lane
	s_add_u32 s0, s4, 0x368
	s_addc_u32 s1, s5, 0
	v_mov_b32_e32 v13, 0
	s_waitcnt lgkmcnt(0)
	s_and_b32 s2, s2, 0xffff
	v_writelane_b32 v132, s8, 0
	v_writelane_b32 v132, s9, 1
	;; [unrolled: 1-line block ×4, first 2 shown]
	s_mul_i32 s6, s6, s2
	v_writelane_b32 v132, s12, 4
	v_add_u32_e32 v12, s6, v0
	v_writelane_b32 v132, s13, 5
	v_writelane_b32 v132, s14, 6
	v_cmp_gt_u64_e32 vcc, s[8:9], v[12:13]
	v_writelane_b32 v132, s15, 7
	s_and_saveexec_b64 s[6:7], vcc
	s_cbranch_execz .LBB77_46
; %bb.1:
	s_getpc_b64 s[6:7]
	s_add_u32 s6, s6, .str@rel32@lo+4
	s_addc_u32 s7, s7, .str@rel32@hi+12
	s_cmp_eq_u64 s[6:7], 0
	s_mov_b64 s[6:7], 0
	s_cbranch_scc1 .LBB77_47
; %bb.2:
	s_load_dword s3, s[4:5], 0x360
	s_load_dwordx2 s[8:9], s[4:5], 0x0
	s_mov_b32 s33, 0xcd9e8d57
                                        ; kill: killed $sgpr0 killed $sgpr1
	s_mov_b32 s14, 0
	s_mov_b32 s36, 0x55555555
	s_waitcnt lgkmcnt(0)
	s_bitcmp1_b32 s3, 0
	v_writelane_b32 v132, s8, 8
	v_writelane_b32 v132, s9, 9
	s_load_dwordx2 s[8:9], s[4:5], 0xd0
	s_mov_b32 s38, 0x6b47b09a
	s_mov_b32 s40, 0xbf559e2b
	;; [unrolled: 1-line block ×4, first 2 shown]
	s_waitcnt lgkmcnt(0)
	v_writelane_b32 v132, s8, 10
	v_writelane_b32 v132, s9, 11
	s_load_dwordx2 s[12:13], s[4:5], 0x1a0
	s_load_dwordx2 s[8:9], s[4:5], 0x270
	s_mov_b32 s46, 0x9b27acf1
	s_mov_b32 s48, 0x998ef7b6
	;; [unrolled: 1-line block ×4, first 2 shown]
	s_waitcnt lgkmcnt(0)
	v_writelane_b32 v132, s8, 12
	v_writelane_b32 v132, s9, 13
	s_load_dword s8, s[0:1], 0x0
	v_mad_u64_u32 v[14:15], s[0:1], v12, s33, 0
	s_mov_b32 s58, 0x652b82fe
	s_mov_b32 s64, 0x6a5dcb37
	s_waitcnt lgkmcnt(0)
	s_mul_i32 s0, s8, s2
	v_writelane_b32 v132, s0, 14
	s_cselect_b64 s[0:1], -1, 0
	v_cndmask_b32_e64 v0, 0, 1, s[0:1]
	v_writelane_b32 v132, s12, 15
	v_writelane_b32 v132, s13, 16
	v_cmp_ne_u32_e64 s[0:1], 1, v0
	v_writelane_b32 v132, s0, 17
	s_mov_b32 s70, 0
	s_mov_b32 s72, 0x8f3faeef
	;; [unrolled: 1-line block ×4, first 2 shown]
	v_pk_mov_b32 v[72:73], v[12:13], v[12:13] op_sel:[0,1]
	v_mov_b32_e32 v13, s13
	s_mov_b32 s78, 0
	v_writelane_b32 v132, s1, 18
	s_mov_b32 s80, 0x992b2855
	s_mov_b32 s82, 0
	;; [unrolled: 1-line block ×7, first 2 shown]
	s_movk_i32 s12, 0xf950
	s_mov_b32 s66, 0xc864beb5
	s_mov_b32 s68, 0
	;; [unrolled: 1-line block ×4, first 2 shown]
	v_mov_b32_e32 v16, 0
	v_mov_b32_e32 v18, v15
	s_mov_b32 s8, 0xd2511f53
	s_mov_b32 s15, 0x40080000
	;; [unrolled: 1-line block ×12, first 2 shown]
	s_movk_i32 s11, 0x204
	s_mov_b32 s59, 0x3ff71547
	s_mov_b32 s61, 0xbfe62e42
	;; [unrolled: 1-line block ×8, first 2 shown]
	v_mov_b32_e32 v20, 0x6b47b09a
	v_mov_b32_e32 v22, 0xd7f4df2e
	;; [unrolled: 1-line block ×28, first 2 shown]
	s_mov_b32 s10, 0x646e171e
	v_mov_b32_e32 v90, 0x3ff00000
	v_mov_b32_e32 v91, 0x7ff80000
	s_mov_b32 s9, 0x1fd5c5a3
	v_mov_b32_e32 v92, 0xfff00000
	v_mov_b32_e32 v93, 0x7ff00000
	;; [unrolled: 1-line block ×28, first 2 shown]
	s_mov_b32 s79, 0x40180000
	s_mov_b32 s81, 0xbfc1bcb2
	;; [unrolled: 1-line block ×12, first 2 shown]
	v_writelane_b32 v132, s0, 19
                                        ; kill: killed $sgpr4 killed $sgpr5
	v_writelane_b32 v132, s1, 20
                                        ; implicit-def: $sgpr94_sgpr95
                                        ; implicit-def: $sgpr20_sgpr21
                                        ; implicit-def: $sgpr16_sgpr17
	s_branch .LBB77_6
.LBB77_3:                               ;   in Loop: Header=BB77_6 Depth=1
	s_or_b64 exec, exec, s[18:19]
.LBB77_4:                               ;   in Loop: Header=BB77_6 Depth=1
	s_or_b64 exec, exec, s[4:5]
	v_readlane_b32 s4, v132, 10
	v_readlane_b32 s5, v132, 11
	v_mul_lo_u32 v2, v73, s4
	v_mul_lo_u32 v3, v72, s5
	v_mad_u64_u32 v[0:1], s[4:5], v72, s4, 0
	v_add3_u32 v1, v1, v3, v2
	v_cndmask_b32_e64 v1, 0, v1, s[2:3]
	v_cndmask_b32_e64 v0, 0, v0, s[2:3]
	v_readlane_b32 s2, v132, 8
	v_cvt_f32_u32_e32 v3, v77
	v_lshlrev_b64 v[0:1], 2, v[0:1]
	v_readlane_b32 s3, v132, 9
	v_mov_b32_e32 v2, s3
	v_add_co_u32_e32 v0, vcc, s2, v0
	v_addc_co_u32_e32 v1, vcc, v2, v1, vcc
	s_mov_b32 s2, 0
	global_store_dword v[0:1], v3, off
	v_mov_b32_e32 v0, s2
	v_readlane_b32 s2, v132, 14
	v_add_co_u32_e32 v72, vcc, s2, v72
	v_readlane_b32 s24, v132, 0
	v_addc_co_u32_e32 v73, vcc, v73, v0, vcc
	v_readlane_b32 s25, v132, 1
	v_cmp_le_u64_e32 vcc, s[24:25], v[72:73]
	s_andn2_b64 s[2:3], s[20:21], exec
	s_and_b64 s[4:5], vcc, exec
	s_andn2_b64 s[16:17], s[16:17], exec
	s_or_b64 s[20:21], s[2:3], s[4:5]
	v_readlane_b32 s26, v132, 2
	v_readlane_b32 s27, v132, 3
	v_readlane_b32 s28, v132, 4
	v_readlane_b32 s29, v132, 5
	v_readlane_b32 s30, v132, 6
	v_readlane_b32 s31, v132, 7
.LBB77_5:                               ;   in Loop: Header=BB77_6 Depth=1
	s_or_b64 exec, exec, s[0:1]
	s_and_b64 s[0:1], exec, s[20:21]
	s_or_b64 s[6:7], s[0:1], s[6:7]
	s_andn2_b64 s[0:1], s[94:95], exec
	s_and_b64 s[2:3], s[16:17], exec
	s_or_b64 s[94:95], s[0:1], s[2:3]
	s_andn2_b64 exec, exec, s[6:7]
	s_cbranch_execz .LBB77_45
.LBB77_6:                               ; =>This Loop Header: Depth=1
                                        ;     Child Loop BB77_12 Depth 2
                                        ;     Child Loop BB77_41 Depth 2
	v_readlane_b32 s0, v132, 12
	v_readlane_b32 s24, v132, 0
	;; [unrolled: 1-line block ×3, first 2 shown]
	v_sub_u32_e32 v2, s24, v72
	v_mul_lo_u32 v3, v73, s0
	v_mul_lo_u32 v4, v72, s1
	v_mad_u64_u32 v[0:1], s[0:1], v72, s0, 0
	v_add3_u32 v1, v1, v4, v3
	v_cmp_lt_i32_e64 s[2:3], 0, v2
	v_cndmask_b32_e64 v1, 0, v1, s[2:3]
	v_cndmask_b32_e64 v0, 0, v0, s[2:3]
	v_lshlrev_b64 v[0:1], 2, v[0:1]
	v_readlane_b32 s0, v132, 15
	v_add_co_u32_e32 v0, vcc, s0, v0
	v_addc_co_u32_e32 v1, vcc, v13, v1, vcc
	global_load_dword v6, v[0:1], off
	v_readlane_b32 s1, v132, 16
	s_or_b64 s[16:17], s[16:17], exec
	s_or_b64 s[20:21], s[20:21], exec
	v_readlane_b32 s25, v132, 1
	v_readlane_b32 s26, v132, 2
	;; [unrolled: 1-line block ×7, first 2 shown]
	s_waitcnt vmcnt(0)
	v_cmp_le_f32_e32 vcc, 0, v6
	s_and_saveexec_b64 s[0:1], vcc
	s_cbranch_execz .LBB77_5
; %bb.7:                                ;   in Loop: Header=BB77_6 Depth=1
	v_readlane_b32 s4, v132, 17
	v_readlane_b32 s24, v132, 0
	;; [unrolled: 1-line block ×7, first 2 shown]
	s_and_b64 vcc, exec, s[4:5]
	v_pk_mov_b32 v[0:1], s[28:29], s[28:29] op_sel:[0,1]
	v_pk_mov_b32 v[74:75], s[26:27], s[26:27] op_sel:[0,1]
	v_readlane_b32 s25, v132, 1
	v_readlane_b32 s30, v132, 6
	;; [unrolled: 1-line block ×3, first 2 shown]
	s_cbranch_vccnz .LBB77_9
; %bb.8:                                ;   in Loop: Header=BB77_6 Depth=1
	v_readlane_b32 s24, v132, 0
	v_readlane_b32 s28, v132, 4
	;; [unrolled: 1-line block ×3, first 2 shown]
	v_pk_mov_b32 v[0:1], s[28:29], s[28:29] op_sel:[0,1]
	v_readlane_b32 s26, v132, 2
	v_readlane_b32 s27, v132, 3
	flat_load_dwordx2 v[0:1], v[0:1]
	v_pk_mov_b32 v[2:3], s[26:27], s[26:27] op_sel:[0,1]
	flat_load_dwordx2 v[74:75], v[2:3]
	v_readlane_b32 s30, v132, 6
	v_readlane_b32 s31, v132, 7
	v_mov_b32_e32 v2, s31
	v_readlane_b32 s25, v132, 1
	s_waitcnt vmcnt(0) lgkmcnt(0)
	v_add_co_u32_e32 v0, vcc, s30, v0
	v_addc_co_u32_e32 v1, vcc, v1, v2, vcc
.LBB77_9:                               ;   in Loop: Header=BB77_6 Depth=1
	v_alignbit_b32 v95, v1, v0, 2
	v_and_b32_e32 v17, 3, v0
	v_lshrrev_b32_e32 v96, 2, v1
	v_mad_u64_u32 v[0:1], s[4:5], v95, s8, 0
	v_xor_b32_e32 v3, v18, v74
	v_mov_b32_e32 v2, v75
	v_xor_b32_e32 v1, v1, v75
	s_mov_b32 s4, 0xbb67ae85
	v_xor_b32_e32 v3, v3, v96
	v_add_co_u32_e32 v98, vcc, s4, v2
	v_mad_u64_u32 v[4:5], s[4:5], v3, s8, 0
	v_mad_u64_u32 v[8:9], s[4:5], v1, s33, 0
	v_add_co_u32_e32 v97, vcc, 0x9e3779b9, v74
	v_xor_b32_e32 v1, v14, v9
	v_xor_b32_e32 v3, v98, v5
	s_mov_b32 s4, 0x3c6ef372
	v_xor_b32_e32 v1, v1, v97
	v_xor_b32_e32 v3, v3, v0
	v_add_co_u32_e32 v99, vcc, s4, v74
	s_mov_b32 s4, 0x76cf5d0a
	v_add_co_u32_e32 v100, vcc, s4, v2
	v_mad_u64_u32 v[0:1], s[4:5], v1, s8, 0
	v_mad_u64_u32 v[10:11], s[4:5], v3, s33, 0
	v_xor_b32_e32 v3, v99, v11
	v_xor_b32_e32 v1, v100, v1
	s_mov_b32 s4, 0xdaa66d2b
	v_xor_b32_e32 v3, v3, v8
	v_xor_b32_e32 v1, v1, v4
	v_add_co_u32_e32 v102, vcc, s4, v74
	s_mov_b32 s4, 0x32370b8f
	v_add_co_u32_e32 v104, vcc, s4, v2
	v_mad_u64_u32 v[4:5], s[4:5], v3, s8, 0
	v_mad_u64_u32 v[8:9], s[4:5], v1, s33, 0
	;; [unrolled: 10-line block ×4, first 2 shown]
	v_xor_b32_e32 v1, v107, v9
	v_xor_b32_e32 v3, v108, v5
	;; [unrolled: 1-line block ×4, first 2 shown]
	s_mov_b32 s4, 0xb54cda56
	v_add_co_u32_e32 v109, vcc, s4, v74
	v_add_co_u32_e32 v110, vcc, s10, v2
	v_mad_u64_u32 v[0:1], s[4:5], v1, s8, 0
	v_mad_u64_u32 v[10:11], s[4:5], v3, s33, 0
	v_xor_b32_e32 v3, v109, v11
	v_xor_b32_e32 v1, v110, v1
	;; [unrolled: 1-line block ×4, first 2 shown]
	s_mov_b32 s4, 0x5384540f
	v_add_co_u32_e32 v111, vcc, s4, v74
	v_add_co_u32_e32 v112, vcc, s9, v2
	v_mad_u64_u32 v[4:5], s[4:5], v3, s8, 0
	v_mad_u64_u32 v[8:9], s[4:5], v1, s33, 0
	v_xor_b32_e32 v1, v111, v9
	v_xor_b32_e32 v3, v112, v5
	s_mov_b32 s4, 0xf1bbcdc8
	v_xor_b32_e32 v1, v1, v10
	v_xor_b32_e32 v0, v3, v0
	v_add_co_u32_e32 v101, vcc, s4, v74
	s_mov_b32 s4, 0xdb3d7428
	v_add_co_u32_e32 v113, vcc, s4, v2
	v_mad_u64_u32 v[2:3], s[4:5], v1, s8, 0
	v_mad_u64_u32 v[0:1], s[4:5], v0, s33, 0
	v_xor_b32_e32 v1, v101, v1
	v_xor_b32_e32 v3, v113, v3
	;; [unrolled: 1-line block ×4, first 2 shown]
	v_mad_u64_u32 v[4:5], s[4:5], v1, s8, 0
	v_mad_u64_u32 v[8:9], s[4:5], v7, s33, 0
	v_add_u32_e32 v103, 0x8ff34781, v74
	v_add_u32_e32 v94, 0x96a522ad, v75
	v_xor_b32_e32 v0, v9, v0
	v_xor_b32_e32 v2, v5, v2
	s_mov_b32 s4, 0x42800000
	v_mov_b32_e32 v3, v4
	v_mov_b32_e32 v1, v8
	v_xor_b32_e32 v0, v103, v0
	v_xor_b32_e32 v2, v94, v2
	v_cvt_f64_f32_e32 v[4:5], v6
	v_cmp_ngt_f32_e32 vcc, s4, v6
                                        ; implicit-def: $vgpr77
	s_and_saveexec_b64 s[4:5], vcc
	s_xor_b64 s[26:27], exec, s[4:5]
	s_cbranch_execz .LBB77_38
; %bb.10:                               ;   in Loop: Header=BB77_6 Depth=1
	s_mov_b32 s4, 0x457a0000
	v_cmp_ge_f32_e32 vcc, s4, v6
                                        ; implicit-def: $vgpr77
	s_and_saveexec_b64 s[4:5], vcc
	s_xor_b64 s[24:25], exec, s[4:5]
	s_cbranch_execz .LBB77_25
; %bb.11:                               ;   in Loop: Header=BB77_6 Depth=1
	s_mov_b32 s18, 0xae147ae1
	s_mov_b32 s19, 0xc00ae147
	v_div_scale_f64 v[6:7], s[4:5], v[4:5], v[4:5], s[18:19]
	v_rcp_f64_e32 v[8:9], v[6:7]
	s_mov_b32 s4, 0
	v_mul_f64 v[78:79], v[4:5], s[14:15]
	s_brev_b32 s5, 8
	v_cmp_gt_f64_e64 s[4:5], s[4:5], v[78:79]
	v_cndmask_b32_e64 v80, 0, 1, s[4:5]
	v_fma_f64 v[76:77], -v[6:7], v[8:9], 1.0
	v_lshlrev_b32_e32 v80, 8, v80
	v_fmac_f64_e32 v[8:9], v[8:9], v[76:77]
	v_ldexp_f64 v[78:79], v[78:79], v80
	v_fma_f64 v[76:77], -v[6:7], v[8:9], 1.0
	v_rsq_f64_e32 v[80:81], v[78:79]
	v_div_scale_f64 v[10:11], vcc, s[18:19], v[4:5], s[18:19]
	v_fmac_f64_e32 v[8:9], v[8:9], v[76:77]
	v_mul_f64 v[76:77], v[10:11], v[8:9]
	v_fma_f64 v[6:7], -v[6:7], v[76:77], v[10:11]
	s_nop 0
	v_div_fmas_f64 v[6:7], v[6:7], v[8:9], v[76:77]
	v_mul_f64 v[8:9], v[78:79], v[80:81]
	v_mul_f64 v[10:11], v[80:81], 0.5
	v_fma_f64 v[76:77], -v[10:11], v[8:9], 0.5
	v_fmac_f64_e32 v[8:9], v[8:9], v[76:77]
	v_fma_f64 v[80:81], -v[8:9], v[8:9], v[78:79]
	v_fmac_f64_e32 v[10:11], v[10:11], v[76:77]
	v_fmac_f64_e32 v[8:9], v[80:81], v[10:11]
	v_fma_f64 v[76:77], -v[8:9], v[8:9], v[78:79]
	v_fmac_f64_e32 v[8:9], v[76:77], v[10:11]
	v_cndmask_b32_e64 v10, 0, v19, s[4:5]
	v_ldexp_f64 v[8:9], v[8:9], v10
	v_cmp_class_f64_e32 vcc, v[78:79], v15
	s_mov_b32 s22, 0x54442d18
	v_cndmask_b32_e32 v9, v9, v79, vcc
	v_cndmask_b32_e32 v8, v8, v78, vcc
	s_mov_b32 s23, 0x400921fb
	v_div_scale_f64 v[10:11], s[4:5], v[8:9], v[8:9], s[22:23]
	v_rcp_f64_e32 v[78:79], v[10:11]
	s_mov_b32 s4, 0x95810625
	v_div_fixup_f64 v[6:7], v[6:7], v[4:5], s[18:19]
	s_mov_b32 s5, 0x3fe88b43
	v_fma_f64 v[80:81], -v[10:11], v[78:79], 1.0
	v_fmac_f64_e32 v[78:79], v[78:79], v[80:81]
	v_fma_f64 v[80:81], -v[10:11], v[78:79], 1.0
	v_fmac_f64_e32 v[78:79], v[78:79], v[80:81]
	v_div_scale_f64 v[80:81], vcc, s[22:23], v[8:9], s[22:23]
	v_mul_f64 v[82:83], v[80:81], v[78:79]
	v_fma_f64 v[10:11], -v[10:11], v[82:83], v[80:81]
	v_add_f64 v[6:7], v[6:7], s[4:5]
	s_nop 0
	v_div_fmas_f64 v[10:11], v[10:11], v[78:79], v[82:83]
	v_div_fixup_f64 v[78:79], v[10:11], v[8:9], s[22:23]
	v_frexp_mant_f64_e32 v[8:9], v[6:7]
	v_cmp_gt_f64_e32 vcc, s[36:37], v[8:9]
	v_mov_b32_e32 v76, 0
	v_cndmask_b32_e64 v77, v90, 2.0, vcc
	v_frexp_exp_i32_f64_e32 v10, v[6:7]
	v_mul_f64 v[8:9], v[8:9], v[76:77]
	v_subbrev_co_u32_e32 v77, vcc, 0, v10, vcc
	v_add_f64 v[10:11], v[8:9], 1.0
	v_rcp_f64_e32 v[82:83], v[10:11]
	v_add_f64 v[86:87], v[10:11], -1.0
	v_add_f64 v[84:85], v[8:9], -1.0
	v_add_f64 v[8:9], v[8:9], -v[86:87]
	v_fma_f64 v[86:87], -v[10:11], v[82:83], 1.0
	v_fmac_f64_e32 v[82:83], v[86:87], v[82:83]
	v_fma_f64 v[86:87], -v[10:11], v[82:83], 1.0
	v_fmac_f64_e32 v[82:83], v[86:87], v[82:83]
	v_mul_f64 v[86:87], v[84:85], v[82:83]
	v_mul_f64 v[88:89], v[10:11], v[86:87]
	v_fma_f64 v[10:11], v[86:87], v[10:11], -v[88:89]
	v_fmac_f64_e32 v[10:11], v[86:87], v[8:9]
	v_add_f64 v[8:9], v[88:89], v[10:11]
	v_add_f64 v[114:115], v[84:85], -v[8:9]
	v_add_f64 v[88:89], v[8:9], -v[88:89]
	;; [unrolled: 1-line block ×5, first 2 shown]
	v_add_f64 v[8:9], v[10:11], v[8:9]
	v_add_f64 v[8:9], v[114:115], v[8:9]
	v_mul_f64 v[8:9], v[82:83], v[8:9]
	v_add_f64 v[10:11], v[86:87], v[8:9]
	v_add_f64 v[82:83], v[10:11], -v[86:87]
	v_add_f64 v[8:9], v[8:9], -v[82:83]
	v_mul_f64 v[82:83], v[10:11], v[10:11]
	v_pk_mov_b32 v[84:85], s[38:39], s[38:39] op_sel:[0,1]
	v_fma_f64 v[86:87], s[40:41], v[82:83], v[84:85]
	v_fma_f64 v[86:87], v[82:83], v[86:87], s[42:43]
	;; [unrolled: 1-line block ×5, first 2 shown]
	s_mov_b32 s51, s37
	v_fma_f64 v[86:87], v[82:83], v[86:87], s[50:51]
	v_ldexp_f64 v[88:89], v[10:11], 1
	v_mul_f64 v[10:11], v[10:11], v[82:83]
	v_mul_f64 v[10:11], v[10:11], v[86:87]
	v_add_f64 v[82:83], v[88:89], v[10:11]
	v_add_f64 v[86:87], v[82:83], -v[88:89]
	v_ldexp_f64 v[8:9], v[8:9], 1
	v_add_f64 v[10:11], v[10:11], -v[86:87]
	v_add_f64 v[8:9], v[8:9], v[10:11]
	v_add_f64 v[10:11], v[82:83], v[8:9]
	v_add_f64 v[82:83], v[10:11], -v[82:83]
	v_add_f64 v[8:9], v[8:9], -v[82:83]
	v_cvt_f64_i32_e32 v[82:83], v77
	v_mul_f64 v[86:87], v[82:83], s[52:53]
	v_fma_f64 v[88:89], v[82:83], s[52:53], -v[86:87]
	v_fmac_f64_e32 v[88:89], s[54:55], v[82:83]
	v_add_f64 v[82:83], v[86:87], v[88:89]
	v_add_f64 v[86:87], v[82:83], -v[86:87]
	v_add_f64 v[86:87], v[88:89], -v[86:87]
	v_add_f64 v[88:89], v[82:83], v[10:11]
	v_add_f64 v[114:115], v[88:89], -v[82:83]
	v_add_f64 v[116:117], v[88:89], -v[114:115]
	v_add_f64 v[82:83], v[82:83], -v[116:117]
	v_add_f64 v[10:11], v[10:11], -v[114:115]
	v_add_f64 v[10:11], v[10:11], v[82:83]
	v_add_f64 v[82:83], v[86:87], v[8:9]
	v_add_f64 v[114:115], v[82:83], -v[86:87]
	v_add_f64 v[116:117], v[82:83], -v[114:115]
	v_add_f64 v[10:11], v[82:83], v[10:11]
	v_add_f64 v[86:87], v[86:87], -v[116:117]
	v_add_f64 v[8:9], v[8:9], -v[114:115]
	v_add_f64 v[82:83], v[88:89], v[10:11]
	v_add_f64 v[8:9], v[8:9], v[86:87]
	v_add_f64 v[86:87], v[82:83], -v[88:89]
	v_add_f64 v[10:11], v[10:11], -v[86:87]
	v_add_f64 v[8:9], v[8:9], v[10:11]
	v_add_f64 v[8:9], v[82:83], v[8:9]
	v_cmp_class_f64_e64 vcc, v[6:7], s11
	v_cndmask_b32_e32 v8, v8, v6, vcc
	v_cndmask_b32_e32 v9, v9, v7, vcc
	v_cmp_ngt_f64_e32 vcc, 0, v[6:7]
	v_cndmask_b32_e32 v9, v91, v9, vcc
	v_cmp_nge_f64_e32 vcc, 0, v[6:7]
	v_cndmask_b32_e32 v8, 0, v8, vcc
	v_cmp_neq_f64_e32 vcc, 0, v[6:7]
	v_cndmask_b32_e32 v9, v92, v9, vcc
	v_add_f64 v[6:7], v[8:9], -v[4:5]
	v_frexp_mant_f64_e32 v[8:9], v[78:79]
	v_cmp_gt_f64_e32 vcc, s[36:37], v[8:9]
	v_cndmask_b32_e64 v77, v90, 2.0, vcc
	v_frexp_exp_i32_f64_e32 v10, v[78:79]
	v_mul_f64 v[8:9], v[8:9], v[76:77]
	v_subbrev_co_u32_e32 v77, vcc, 0, v10, vcc
	v_add_f64 v[10:11], v[8:9], 1.0
	v_rcp_f64_e32 v[82:83], v[10:11]
	v_add_f64 v[88:89], v[10:11], -1.0
	v_add_f64 v[86:87], v[8:9], -1.0
	v_add_f64 v[8:9], v[8:9], -v[88:89]
	v_fma_f64 v[88:89], -v[10:11], v[82:83], 1.0
	v_fmac_f64_e32 v[82:83], v[88:89], v[82:83]
	v_fma_f64 v[88:89], -v[10:11], v[82:83], 1.0
	v_fmac_f64_e32 v[82:83], v[88:89], v[82:83]
	v_mul_f64 v[88:89], v[86:87], v[82:83]
	v_mul_f64 v[114:115], v[10:11], v[88:89]
	v_fma_f64 v[10:11], v[88:89], v[10:11], -v[114:115]
	v_fmac_f64_e32 v[10:11], v[88:89], v[8:9]
	v_add_f64 v[8:9], v[114:115], v[10:11]
	v_add_f64 v[116:117], v[86:87], -v[8:9]
	v_add_f64 v[114:115], v[8:9], -v[114:115]
	;; [unrolled: 1-line block ×5, first 2 shown]
	v_add_f64 v[8:9], v[10:11], v[8:9]
	v_add_f64 v[8:9], v[116:117], v[8:9]
	v_mul_f64 v[8:9], v[82:83], v[8:9]
	v_add_f64 v[10:11], v[88:89], v[8:9]
	v_add_f64 v[82:83], v[10:11], -v[88:89]
	v_add_f64 v[8:9], v[8:9], -v[82:83]
	v_mul_f64 v[82:83], v[10:11], v[10:11]
	v_fma_f64 v[86:87], s[40:41], v[82:83], v[84:85]
	v_fma_f64 v[86:87], v[82:83], v[86:87], s[42:43]
	v_fma_f64 v[86:87], v[82:83], v[86:87], s[44:45]
	v_fma_f64 v[86:87], v[82:83], v[86:87], s[46:47]
	v_fma_f64 v[86:87], v[82:83], v[86:87], s[48:49]
	v_fma_f64 v[86:87], v[82:83], v[86:87], s[50:51]
	v_ldexp_f64 v[88:89], v[10:11], 1
	v_mul_f64 v[10:11], v[10:11], v[82:83]
	v_mul_f64 v[10:11], v[10:11], v[86:87]
	v_add_f64 v[82:83], v[88:89], v[10:11]
	v_add_f64 v[86:87], v[82:83], -v[88:89]
	v_ldexp_f64 v[8:9], v[8:9], 1
	v_add_f64 v[10:11], v[10:11], -v[86:87]
	v_add_f64 v[8:9], v[8:9], v[10:11]
	v_add_f64 v[10:11], v[82:83], v[8:9]
	v_add_f64 v[82:83], v[10:11], -v[82:83]
	v_add_f64 v[8:9], v[8:9], -v[82:83]
	v_cvt_f64_i32_e32 v[82:83], v77
	v_mul_f64 v[86:87], v[82:83], s[52:53]
	v_fma_f64 v[88:89], v[82:83], s[52:53], -v[86:87]
	v_fmac_f64_e32 v[88:89], s[54:55], v[82:83]
	v_add_f64 v[82:83], v[86:87], v[88:89]
	v_add_f64 v[86:87], v[82:83], -v[86:87]
	v_add_f64 v[86:87], v[88:89], -v[86:87]
	v_add_f64 v[88:89], v[82:83], v[10:11]
	v_add_f64 v[114:115], v[88:89], -v[82:83]
	v_add_f64 v[116:117], v[88:89], -v[114:115]
	;; [unrolled: 1-line block ×4, first 2 shown]
	v_add_f64 v[10:11], v[10:11], v[82:83]
	v_add_f64 v[82:83], v[86:87], v[8:9]
	v_add_f64 v[114:115], v[82:83], -v[86:87]
	v_add_f64 v[116:117], v[82:83], -v[114:115]
	v_add_f64 v[10:11], v[82:83], v[10:11]
	v_add_f64 v[86:87], v[86:87], -v[116:117]
	v_add_f64 v[8:9], v[8:9], -v[114:115]
	v_add_f64 v[82:83], v[88:89], v[10:11]
	v_add_f64 v[8:9], v[8:9], v[86:87]
	v_add_f64 v[86:87], v[82:83], -v[88:89]
	v_add_f64 v[10:11], v[10:11], -v[86:87]
	s_mov_b32 s4, 0
	v_add_f64 v[8:9], v[8:9], v[10:11]
	s_mov_b32 s5, 0x7ff00000
	v_add_f64 v[8:9], v[82:83], v[8:9]
	v_cmp_eq_f64_e32 vcc, s[4:5], v[78:79]
	v_cndmask_b32_e32 v8, v8, v78, vcc
	v_cndmask_b32_e32 v9, v9, v79, vcc
	v_cmp_neq_f64_e32 vcc, 0, v[78:79]
	v_cndmask_b32_e32 v9, v92, v9, vcc
	v_cndmask_b32_e32 v8, 0, v8, vcc
	v_mul_f64 v[80:81], v[78:79], v[4:5]
	v_add_f64 v[82:83], v[6:7], -v[8:9]
	v_frexp_exp_i32_f64_e32 v6, v[4:5]
	v_frexp_mant_f64_e32 v[4:5], v[4:5]
	v_cmp_gt_f64_e32 vcc, s[36:37], v[4:5]
	v_cndmask_b32_e64 v77, v90, 2.0, vcc
	v_mul_f64 v[4:5], v[4:5], v[76:77]
	v_subbrev_co_u32_e32 v77, vcc, 0, v6, vcc
	v_add_f64 v[6:7], v[4:5], 1.0
	v_rcp_f64_e32 v[8:9], v[6:7]
	v_add_f64 v[86:87], v[6:7], -1.0
	v_add_f64 v[10:11], v[4:5], -1.0
	v_add_f64 v[4:5], v[4:5], -v[86:87]
	v_fma_f64 v[86:87], -v[6:7], v[8:9], 1.0
	v_fmac_f64_e32 v[8:9], v[86:87], v[8:9]
	v_fma_f64 v[86:87], -v[6:7], v[8:9], 1.0
	v_fmac_f64_e32 v[8:9], v[86:87], v[8:9]
	v_mul_f64 v[86:87], v[10:11], v[8:9]
	v_mul_f64 v[88:89], v[6:7], v[86:87]
	v_fma_f64 v[6:7], v[86:87], v[6:7], -v[88:89]
	v_fmac_f64_e32 v[6:7], v[86:87], v[4:5]
	v_add_f64 v[4:5], v[88:89], v[6:7]
	v_add_f64 v[114:115], v[10:11], -v[4:5]
	v_add_f64 v[88:89], v[4:5], -v[88:89]
	;; [unrolled: 1-line block ×5, first 2 shown]
	v_add_f64 v[4:5], v[6:7], v[4:5]
	v_add_f64 v[4:5], v[114:115], v[4:5]
	v_mul_f64 v[4:5], v[8:9], v[4:5]
	v_add_f64 v[6:7], v[86:87], v[4:5]
	v_add_f64 v[8:9], v[6:7], -v[86:87]
	v_add_f64 v[4:5], v[4:5], -v[8:9]
	v_mul_f64 v[8:9], v[6:7], v[6:7]
	v_fmac_f64_e32 v[84:85], s[40:41], v[8:9]
	v_fma_f64 v[10:11], v[8:9], v[84:85], s[42:43]
	v_fma_f64 v[10:11], v[8:9], v[10:11], s[44:45]
	v_fma_f64 v[10:11], v[8:9], v[10:11], s[46:47]
	v_fma_f64 v[10:11], v[8:9], v[10:11], s[48:49]
	v_fma_f64 v[10:11], v[8:9], v[10:11], s[50:51]
	v_ldexp_f64 v[84:85], v[6:7], 1
	v_mul_f64 v[6:7], v[6:7], v[8:9]
	v_mul_f64 v[6:7], v[6:7], v[10:11]
	v_add_f64 v[8:9], v[84:85], v[6:7]
	v_add_f64 v[10:11], v[8:9], -v[84:85]
	v_ldexp_f64 v[4:5], v[4:5], 1
	v_add_f64 v[6:7], v[6:7], -v[10:11]
	v_add_f64 v[4:5], v[4:5], v[6:7]
	v_add_f64 v[6:7], v[8:9], v[4:5]
	v_add_f64 v[8:9], v[6:7], -v[8:9]
	v_add_f64 v[4:5], v[4:5], -v[8:9]
	v_cvt_f64_i32_e32 v[8:9], v77
	v_mul_f64 v[10:11], v[8:9], s[52:53]
	v_fma_f64 v[84:85], v[8:9], s[52:53], -v[10:11]
	v_fmac_f64_e32 v[84:85], s[54:55], v[8:9]
	v_add_f64 v[8:9], v[10:11], v[84:85]
	v_add_f64 v[10:11], v[8:9], -v[10:11]
	v_add_f64 v[10:11], v[84:85], -v[10:11]
	v_add_f64 v[84:85], v[8:9], v[6:7]
	v_add_f64 v[86:87], v[84:85], -v[8:9]
	v_add_f64 v[88:89], v[84:85], -v[86:87]
	;; [unrolled: 1-line block ×4, first 2 shown]
	v_add_f64 v[6:7], v[6:7], v[8:9]
	v_add_f64 v[8:9], v[10:11], v[4:5]
	v_add_f64 v[86:87], v[8:9], -v[10:11]
	v_add_f64 v[88:89], v[8:9], -v[86:87]
	v_add_f64 v[6:7], v[8:9], v[6:7]
	v_add_f64 v[10:11], v[10:11], -v[88:89]
	v_add_f64 v[4:5], v[4:5], -v[86:87]
	v_add_f64 v[8:9], v[84:85], v[6:7]
	v_add_f64 v[4:5], v[4:5], v[10:11]
	v_add_f64 v[10:11], v[8:9], -v[84:85]
	v_add_f64 v[6:7], v[6:7], -v[10:11]
	v_add_f64 v[4:5], v[4:5], v[6:7]
	v_add_f64 v[84:85], v[8:9], v[4:5]
	s_mov_b64 s[56:57], 0
	s_mov_b64 s[18:19], 0
	v_mov_b32_e32 v114, v12
                                        ; implicit-def: $vgpr77
.LBB77_12:                              ;   Parent Loop BB77_6 Depth=1
                                        ; =>  This Inner Loop Header: Depth=2
	v_add_u32_e32 v115, 1, v17
	v_pk_mov_b32 v[10:11], v[2:3], v[2:3] op_sel:[0,1]
	v_cmp_eq_u32_e32 vcc, 4, v115
	v_pk_mov_b32 v[8:9], v[0:1], v[0:1] op_sel:[0,1]
	v_mov_b32_e32 v89, v0
	v_mov_b32_e32 v88, v1
	;; [unrolled: 1-line block ×4, first 2 shown]
	s_and_saveexec_b64 s[4:5], vcc
	s_cbranch_execz .LBB77_14
; %bb.13:                               ;   in Loop: Header=BB77_12 Depth=2
	v_add_co_u32_e32 v95, vcc, 1, v95
	v_cndmask_b32_e64 v4, 0, 1, vcc
	v_addc_co_u32_e32 v96, vcc, 0, v96, vcc
	v_cmp_eq_u32_e32 vcc, 0, v96
	v_cndmask_b32_e32 v4, 0, v4, vcc
	v_add_u32_e32 v114, v4, v114
	v_cmp_eq_u32_e32 vcc, 0, v114
	v_cndmask_b32_e32 v4, 0, v4, vcc
	v_add_u32_e32 v76, v4, v76
	v_mad_u64_u32 v[4:5], s[22:23], v95, s8, 0
	v_mad_u64_u32 v[6:7], s[22:23], v114, s33, 0
	v_xor_b32_e32 v5, v5, v75
	v_xor_b32_e32 v7, v7, v74
	v_xor_b32_e32 v5, v76, v5
	v_xor_b32_e32 v7, v96, v7
	v_mad_u64_u32 v[10:11], s[22:23], v5, s33, 0
	v_mad_u64_u32 v[8:9], s[22:23], v7, s8, 0
	v_xor_b32_e32 v5, v97, v11
	v_xor_b32_e32 v5, v5, v6
	v_xor_b32_e32 v6, v98, v9
	v_xor_b32_e32 v6, v6, v4
	v_mad_u64_u32 v[4:5], s[22:23], v5, s8, 0
	v_mad_u64_u32 v[6:7], s[22:23], v6, s33, 0
	v_xor_b32_e32 v5, v100, v5
	v_xor_b32_e32 v7, v99, v7
	v_xor_b32_e32 v5, v5, v8
	v_xor_b32_e32 v7, v7, v10
	v_mad_u64_u32 v[10:11], s[22:23], v5, s33, 0
	v_mad_u64_u32 v[8:9], s[22:23], v7, s8, 0
	v_xor_b32_e32 v5, v102, v11
	v_xor_b32_e32 v5, v5, v6
	v_xor_b32_e32 v6, v104, v9
	v_xor_b32_e32 v6, v6, v4
	v_mad_u64_u32 v[4:5], s[22:23], v5, s8, 0
	v_mad_u64_u32 v[6:7], s[22:23], v6, s33, 0
	v_xor_b32_e32 v5, v106, v5
	v_xor_b32_e32 v7, v105, v7
	v_xor_b32_e32 v5, v5, v8
	v_xor_b32_e32 v7, v7, v10
	v_mad_u64_u32 v[10:11], s[22:23], v5, s33, 0
	v_mad_u64_u32 v[8:9], s[22:23], v7, s8, 0
	v_xor_b32_e32 v5, v107, v11
	v_xor_b32_e32 v5, v5, v6
	v_xor_b32_e32 v6, v108, v9
	v_xor_b32_e32 v6, v6, v4
	v_mad_u64_u32 v[4:5], s[22:23], v5, s8, 0
	v_mad_u64_u32 v[6:7], s[22:23], v6, s33, 0
	v_xor_b32_e32 v5, v110, v5
	v_xor_b32_e32 v7, v109, v7
	v_xor_b32_e32 v5, v5, v8
	v_xor_b32_e32 v7, v7, v10
	v_mad_u64_u32 v[10:11], s[22:23], v5, s33, 0
	v_mad_u64_u32 v[8:9], s[22:23], v7, s8, 0
	v_xor_b32_e32 v5, v111, v11
	v_xor_b32_e32 v5, v5, v6
	v_xor_b32_e32 v6, v112, v9
	v_xor_b32_e32 v6, v6, v4
	v_mad_u64_u32 v[4:5], s[22:23], v5, s8, 0
	v_mad_u64_u32 v[6:7], s[22:23], v6, s33, 0
	v_xor_b32_e32 v7, v101, v7
	v_xor_b32_e32 v5, v113, v5
	v_xor_b32_e32 v7, v7, v10
	v_xor_b32_e32 v5, v5, v8
	v_mad_u64_u32 v[86:87], s[22:23], v7, s8, 0
	v_mad_u64_u32 v[88:89], s[22:23], v5, s33, 0
	v_xor_b32_e32 v5, v89, v6
	v_xor_b32_e32 v4, v87, v4
	v_xor_b32_e32 v8, v103, v5
	v_xor_b32_e32 v10, v94, v4
	v_mov_b32_e32 v115, 0
	v_mov_b32_e32 v9, v88
	;; [unrolled: 1-line block ×5, first 2 shown]
.LBB77_14:                              ;   in Loop: Header=BB77_12 Depth=2
	s_or_b64 exec, exec, s[4:5]
	v_add_u32_e32 v116, 1, v115
	v_pk_mov_b32 v[4:5], v[8:9], v[8:9] op_sel:[0,1]
	v_cmp_eq_u32_e32 vcc, 4, v116
	v_pk_mov_b32 v[6:7], v[10:11], v[10:11] op_sel:[0,1]
	s_and_saveexec_b64 s[4:5], vcc
	s_cbranch_execz .LBB77_16
; %bb.15:                               ;   in Loop: Header=BB77_12 Depth=2
	v_add_co_u32_e32 v95, vcc, 1, v95
	v_cndmask_b32_e64 v4, 0, 1, vcc
	v_addc_co_u32_e32 v96, vcc, 0, v96, vcc
	v_cmp_eq_u32_e32 vcc, 0, v96
	v_cndmask_b32_e32 v4, 0, v4, vcc
	v_add_u32_e32 v114, v4, v114
	v_cmp_eq_u32_e32 vcc, 0, v114
	v_cndmask_b32_e32 v4, 0, v4, vcc
	v_add_u32_e32 v76, v4, v76
	v_mad_u64_u32 v[4:5], s[22:23], v95, s8, 0
	v_mad_u64_u32 v[6:7], s[22:23], v114, s33, 0
	v_xor_b32_e32 v5, v5, v75
	v_xor_b32_e32 v7, v7, v74
	v_xor_b32_e32 v5, v76, v5
	v_xor_b32_e32 v7, v96, v7
	v_mad_u64_u32 v[88:89], s[22:23], v5, s33, 0
	v_mad_u64_u32 v[86:87], s[22:23], v7, s8, 0
	v_xor_b32_e32 v5, v97, v89
	v_xor_b32_e32 v5, v5, v6
	v_xor_b32_e32 v6, v98, v87
	v_xor_b32_e32 v6, v6, v4
	;; [unrolled: 6-line block ×10, first 2 shown]
	v_mov_b32_e32 v116, 0
	v_mov_b32_e32 v5, v88
	;; [unrolled: 1-line block ×5, first 2 shown]
.LBB77_16:                              ;   in Loop: Header=BB77_12 Depth=2
	s_or_b64 exec, exec, s[4:5]
	v_cmp_eq_u32_e32 vcc, 1, v17
	v_cndmask_b32_e32 v0, v0, v1, vcc
	v_cmp_eq_u32_e32 vcc, 2, v17
	v_cndmask_b32_e32 v0, v0, v2, vcc
	;; [unrolled: 2-line block ×6, first 2 shown]
	v_lshrrev_b32_e32 v0, 11, v0
	v_cvt_f64_u32_e32 v[0:1], v0
	v_ldexp_f64 v[0:1], v[0:1], 32
	v_cvt_f64_u32_e32 v[2:3], v2
	v_add_f64 v[0:1], v[0:1], v[2:3]
	v_mov_b32_e32 v2, 0
	v_mov_b32_e32 v3, 0x3ca00000
	v_fmac_f64_e32 v[2:3], 0x3ca00000, v[0:1]
	v_add_f64 v[0:1], -v[2:3], 1.0
	v_div_scale_f64 v[8:9], s[4:5], v[2:3], v[2:3], v[0:1]
	v_rcp_f64_e32 v[10:11], v[8:9]
	v_mov_b32_e32 v117, 2
	v_fma_f64 v[118:119], -v[8:9], v[10:11], 1.0
	v_fmac_f64_e32 v[10:11], v[10:11], v[118:119]
	v_fma_f64 v[118:119], -v[8:9], v[10:11], 1.0
	v_fmac_f64_e32 v[10:11], v[10:11], v[118:119]
	v_div_scale_f64 v[118:119], vcc, v[0:1], v[2:3], v[0:1]
	v_mul_f64 v[120:121], v[118:119], v[10:11]
	v_fma_f64 v[8:9], -v[8:9], v[120:121], v[118:119]
	s_nop 1
	v_div_fmas_f64 v[8:9], v[8:9], v[10:11], v[120:121]
	v_div_fixup_f64 v[0:1], v[8:9], v[2:3], v[0:1]
	v_frexp_mant_f64_e32 v[2:3], v[0:1]
	v_cmp_gt_f64_e32 vcc, s[36:37], v[2:3]
	v_cndmask_b32_e64 v17, v90, 2.0, vcc
	v_frexp_exp_i32_f64_e32 v8, v[0:1]
	v_mul_f64 v[2:3], v[2:3], v[16:17]
	v_subbrev_co_u32_e32 v17, vcc, 0, v8, vcc
	v_add_f64 v[8:9], v[2:3], 1.0
	v_rcp_f64_e32 v[10:11], v[8:9]
	v_add_f64 v[120:121], v[8:9], -1.0
	v_add_f64 v[118:119], v[2:3], -1.0
	v_add_f64 v[2:3], v[2:3], -v[120:121]
	v_fma_f64 v[120:121], -v[8:9], v[10:11], 1.0
	v_fmac_f64_e32 v[10:11], v[120:121], v[10:11]
	v_fma_f64 v[120:121], -v[8:9], v[10:11], 1.0
	v_fmac_f64_e32 v[10:11], v[120:121], v[10:11]
	v_mul_f64 v[120:121], v[118:119], v[10:11]
	v_mul_f64 v[122:123], v[8:9], v[120:121]
	v_fma_f64 v[8:9], v[120:121], v[8:9], -v[122:123]
	v_fmac_f64_e32 v[8:9], v[120:121], v[2:3]
	v_add_f64 v[2:3], v[122:123], v[8:9]
	v_add_f64 v[124:125], v[118:119], -v[2:3]
	v_add_f64 v[122:123], v[2:3], -v[122:123]
	;; [unrolled: 1-line block ×5, first 2 shown]
	v_add_f64 v[2:3], v[8:9], v[2:3]
	v_add_f64 v[2:3], v[124:125], v[2:3]
	v_mul_f64 v[2:3], v[10:11], v[2:3]
	v_add_f64 v[8:9], v[120:121], v[2:3]
	v_add_f64 v[10:11], v[8:9], -v[120:121]
	v_add_f64 v[2:3], v[2:3], -v[10:11]
	v_mul_f64 v[10:11], v[8:9], v[8:9]
	v_pk_mov_b32 v[118:119], v[20:21], v[20:21] op_sel:[0,1]
	v_fmac_f64_e32 v[118:119], s[40:41], v[10:11]
	v_pk_mov_b32 v[120:121], v[22:23], v[22:23] op_sel:[0,1]
	v_fmac_f64_e32 v[120:121], v[10:11], v[118:119]
	;; [unrolled: 2-line block ×6, first 2 shown]
	v_ldexp_f64 v[118:119], v[8:9], 1
	v_mul_f64 v[8:9], v[8:9], v[10:11]
	v_mul_f64 v[8:9], v[8:9], v[120:121]
	v_add_f64 v[10:11], v[118:119], v[8:9]
	v_add_f64 v[118:119], v[10:11], -v[118:119]
	v_ldexp_f64 v[2:3], v[2:3], 1
	v_add_f64 v[8:9], v[8:9], -v[118:119]
	v_add_f64 v[2:3], v[2:3], v[8:9]
	v_add_f64 v[8:9], v[10:11], v[2:3]
	v_add_f64 v[10:11], v[8:9], -v[10:11]
	v_add_f64 v[2:3], v[2:3], -v[10:11]
	v_cvt_f64_i32_e32 v[10:11], v17
	v_mul_f64 v[118:119], v[10:11], s[52:53]
	v_fma_f64 v[120:121], v[10:11], s[52:53], -v[118:119]
	v_fmac_f64_e32 v[120:121], s[54:55], v[10:11]
	v_add_f64 v[10:11], v[118:119], v[120:121]
	v_add_f64 v[118:119], v[10:11], -v[118:119]
	v_add_f64 v[118:119], v[120:121], -v[118:119]
	v_add_f64 v[120:121], v[10:11], v[8:9]
	v_add_f64 v[122:123], v[120:121], -v[10:11]
	v_add_f64 v[124:125], v[120:121], -v[122:123]
	;; [unrolled: 1-line block ×4, first 2 shown]
	v_add_f64 v[8:9], v[8:9], v[10:11]
	v_add_f64 v[10:11], v[118:119], v[2:3]
	v_add_f64 v[122:123], v[10:11], -v[118:119]
	v_add_f64 v[124:125], v[10:11], -v[122:123]
	v_add_f64 v[8:9], v[10:11], v[8:9]
	v_add_f64 v[118:119], v[118:119], -v[124:125]
	v_add_f64 v[2:3], v[2:3], -v[122:123]
	v_add_f64 v[10:11], v[120:121], v[8:9]
	v_add_f64 v[2:3], v[2:3], v[118:119]
	v_add_f64 v[118:119], v[10:11], -v[120:121]
	v_add_f64 v[8:9], v[8:9], -v[118:119]
	v_add_f64 v[2:3], v[2:3], v[8:9]
	v_add_f64 v[2:3], v[10:11], v[2:3]
	v_cmp_class_f64_e64 vcc, v[0:1], s11
	v_cndmask_b32_e32 v2, v2, v0, vcc
	v_cndmask_b32_e32 v3, v3, v1, vcc
	v_cmp_ngt_f64_e32 vcc, 0, v[0:1]
	v_cndmask_b32_e32 v3, v91, v3, vcc
	v_cmp_nge_f64_e32 vcc, 0, v[0:1]
	v_cndmask_b32_e32 v2, 0, v2, vcc
	v_cmp_neq_f64_e32 vcc, 0, v[0:1]
	v_cndmask_b32_e32 v3, v92, v3, vcc
	v_add_f64 v[0:1], v[80:81], -v[2:3]
	v_div_scale_f64 v[2:3], s[4:5], v[78:79], v[78:79], v[0:1]
	v_rcp_f64_e32 v[8:9], v[2:3]
	v_fma_f64 v[10:11], -v[2:3], v[8:9], 1.0
	v_fmac_f64_e32 v[8:9], v[8:9], v[10:11]
	v_fma_f64 v[10:11], -v[2:3], v[8:9], 1.0
	v_fmac_f64_e32 v[8:9], v[8:9], v[10:11]
	v_div_scale_f64 v[10:11], vcc, v[0:1], v[78:79], v[0:1]
	v_mul_f64 v[118:119], v[10:11], v[8:9]
	v_fma_f64 v[2:3], -v[2:3], v[118:119], v[10:11]
	s_nop 1
	v_div_fmas_f64 v[2:3], v[2:3], v[8:9], v[118:119]
	v_div_fixup_f64 v[10:11], v[2:3], v[78:79], v[0:1]
	v_add_f64 v[0:1], v[10:11], 0.5
	v_floor_f64_e32 v[8:9], v[0:1]
	v_cmp_ngt_f64_e32 vcc, 0, v[8:9]
	s_and_saveexec_b64 s[22:23], vcc
	s_cbranch_execz .LBB77_22
; %bb.17:                               ;   in Loop: Header=BB77_12 Depth=2
	v_add_u32_e32 v17, 1, v116
	v_pk_mov_b32 v[0:1], v[4:5], v[4:5] op_sel:[0,1]
	v_cmp_eq_u32_e32 vcc, 4, v17
	v_pk_mov_b32 v[2:3], v[6:7], v[6:7] op_sel:[0,1]
	s_and_saveexec_b64 s[4:5], vcc
	s_cbranch_execz .LBB77_19
; %bb.18:                               ;   in Loop: Header=BB77_12 Depth=2
	v_add_co_u32_e32 v95, vcc, 1, v95
	v_cndmask_b32_e64 v0, 0, 1, vcc
	v_addc_co_u32_e32 v96, vcc, 0, v96, vcc
	v_cmp_eq_u32_e32 vcc, 0, v96
	v_cndmask_b32_e32 v0, 0, v0, vcc
	v_add_u32_e32 v114, v0, v114
	v_cmp_eq_u32_e32 vcc, 0, v114
	v_cndmask_b32_e32 v0, 0, v0, vcc
	v_add_u32_e32 v76, v0, v76
	v_mad_u64_u32 v[0:1], vcc, v95, s8, 0
	v_mad_u64_u32 v[2:3], vcc, v114, s33, 0
	v_xor_b32_e32 v1, v1, v75
	v_xor_b32_e32 v3, v3, v74
	v_xor_b32_e32 v1, v76, v1
	v_xor_b32_e32 v3, v96, v3
	v_mad_u64_u32 v[88:89], vcc, v1, s33, 0
	v_mad_u64_u32 v[86:87], vcc, v3, s8, 0
	v_xor_b32_e32 v1, v97, v89
	v_xor_b32_e32 v1, v1, v2
	v_xor_b32_e32 v2, v98, v87
	v_xor_b32_e32 v2, v2, v0
	;; [unrolled: 6-line block ×10, first 2 shown]
	v_mov_b32_e32 v17, 0
	v_mov_b32_e32 v1, v88
	;; [unrolled: 1-line block ×5, first 2 shown]
.LBB77_19:                              ;   in Loop: Header=BB77_12 Depth=2
	s_or_b64 exec, exec, s[4:5]
	v_add_u32_e32 v115, 1, v17
	v_cmp_eq_u32_e32 vcc, 4, v115
	s_and_saveexec_b64 s[4:5], vcc
	s_cbranch_execz .LBB77_21
; %bb.20:                               ;   in Loop: Header=BB77_12 Depth=2
	v_add_co_u32_e32 v95, vcc, 1, v95
	v_cndmask_b32_e64 v86, 0, 1, vcc
	v_addc_co_u32_e32 v96, vcc, 0, v96, vcc
	v_cmp_eq_u32_e32 vcc, 0, v96
	v_cndmask_b32_e32 v86, 0, v86, vcc
	v_add_u32_e32 v114, v86, v114
	v_cmp_eq_u32_e32 vcc, 0, v114
	v_cndmask_b32_e32 v86, 0, v86, vcc
	v_add_u32_e32 v76, v86, v76
	v_mad_u64_u32 v[86:87], vcc, v95, s8, 0
	v_mad_u64_u32 v[88:89], vcc, v114, s33, 0
	v_xor_b32_e32 v87, v87, v75
	v_xor_b32_e32 v89, v89, v74
	v_xor_b32_e32 v87, v76, v87
	v_xor_b32_e32 v89, v96, v89
	v_mad_u64_u32 v[120:121], vcc, v87, s33, 0
	v_mad_u64_u32 v[118:119], vcc, v89, s8, 0
	v_xor_b32_e32 v87, v97, v121
	v_xor_b32_e32 v87, v87, v88
	v_xor_b32_e32 v88, v98, v119
	v_xor_b32_e32 v88, v88, v86
	;; [unrolled: 6-line block ×9, first 2 shown]
	v_mad_u64_u32 v[86:87], vcc, v86, s8, 0
	v_mad_u64_u32 v[88:89], vcc, v88, s33, 0
	v_xor_b32_e32 v89, v89, v124
	v_xor_b32_e32 v87, v87, v122
	v_mov_b32_e32 v115, 0
	v_xor_b32_e32 v89, v103, v89
	v_xor_b32_e32 v87, v94, v87
.LBB77_21:                              ;   in Loop: Header=BB77_12 Depth=2
	s_or_b64 exec, exec, s[4:5]
	v_cmp_eq_u32_e32 vcc, 1, v116
	v_cndmask_b32_e32 v4, v4, v5, vcc
	v_cmp_eq_u32_e32 vcc, 2, v116
	v_cndmask_b32_e32 v4, v4, v6, vcc
	;; [unrolled: 2-line block ×6, first 2 shown]
	v_lshrrev_b32_e32 v0, 11, v0
	v_cvt_f64_u32_e32 v[0:1], v0
	v_ldexp_f64 v[0:1], v[0:1], 32
	v_cvt_f64_u32_e32 v[2:3], v4
	v_add_f64 v[0:1], v[0:1], v[2:3]
	v_mov_b32_e32 v2, 0
	v_mov_b32_e32 v3, 0x3ca00000
	v_fma_f64 v[4:5], -v[78:79], v[10:11], v[80:81]
	v_fmac_f64_e32 v[2:3], 0x3ca00000, v[0:1]
	v_mul_f64 v[0:1], v[4:5], s[58:59]
	v_rndne_f64_e32 v[0:1], v[0:1]
	s_mov_b32 s60, s52
	v_fma_f64 v[6:7], s[60:61], v[0:1], v[4:5]
	s_mov_b32 s62, s54
	v_fmac_f64_e32 v[6:7], s[62:63], v[0:1]
	v_pk_mov_b32 v[10:11], v[32:33], v[32:33] op_sel:[0,1]
	v_fmac_f64_e32 v[10:11], s[64:65], v[6:7]
	v_pk_mov_b32 v[116:117], v[34:35], v[34:35] op_sel:[0,1]
	;; [unrolled: 2-line block ×9, first 2 shown]
	v_fmac_f64_e32 v[10:11], v[6:7], v[116:117]
	s_mov_b32 s4, 0
	v_fma_f64 v[10:11], v[6:7], v[10:11], 1.0
	s_mov_b32 s5, 0x40900000
	v_fma_f64 v[6:7], v[6:7], v[10:11], 1.0
	v_cvt_i32_f64_e32 v0, v[0:1]
	v_cmp_nlt_f64_e32 vcc, s[4:5], v[4:5]
	s_mov_b32 s4, 0
	v_ldexp_f64 v[0:1], v[6:7], v0
	s_mov_b32 s5, 0xc090cc00
	v_add_f64 v[0:1], v[0:1], 1.0
	v_cmp_ngt_f64_e64 s[4:5], s[4:5], v[4:5]
	v_cndmask_b32_e32 v1, v93, v1, vcc
	s_and_b64 vcc, s[4:5], vcc
	v_cndmask_b32_e64 v1, v90, v1, s[4:5]
	v_cndmask_b32_e32 v0, 0, v0, vcc
	v_mul_f64 v[0:1], v[0:1], v[0:1]
	v_div_scale_f64 v[6:7], s[4:5], v[0:1], v[0:1], v[2:3]
	v_rcp_f64_e32 v[10:11], v[6:7]
	s_mov_b32 s51, s37
	v_fma_f64 v[116:117], -v[6:7], v[10:11], 1.0
	v_fmac_f64_e32 v[10:11], v[10:11], v[116:117]
	v_fma_f64 v[116:117], -v[6:7], v[10:11], 1.0
	v_fmac_f64_e32 v[10:11], v[10:11], v[116:117]
	v_div_scale_f64 v[116:117], vcc, v[2:3], v[0:1], v[2:3]
	v_mul_f64 v[118:119], v[116:117], v[10:11]
	v_fma_f64 v[6:7], -v[6:7], v[118:119], v[116:117]
	s_nop 1
	v_div_fmas_f64 v[6:7], v[6:7], v[10:11], v[118:119]
	v_div_fixup_f64 v[2:3], v[6:7], v[0:1], v[2:3]
	v_frexp_mant_f64_e32 v[0:1], v[2:3]
	v_cmp_gt_f64_e32 vcc, s[36:37], v[0:1]
	v_cndmask_b32_e64 v17, v90, 2.0, vcc
	v_frexp_exp_i32_f64_e32 v6, v[2:3]
	v_mul_f64 v[0:1], v[0:1], v[16:17]
	v_subbrev_co_u32_e32 v17, vcc, 0, v6, vcc
	v_add_f64 v[6:7], v[0:1], 1.0
	v_rcp_f64_e32 v[10:11], v[6:7]
	v_add_f64 v[118:119], v[6:7], -1.0
	v_add_f64 v[116:117], v[0:1], -1.0
	v_add_f64 v[0:1], v[0:1], -v[118:119]
	v_fma_f64 v[118:119], -v[6:7], v[10:11], 1.0
	v_fmac_f64_e32 v[10:11], v[118:119], v[10:11]
	v_fma_f64 v[118:119], -v[6:7], v[10:11], 1.0
	v_fmac_f64_e32 v[10:11], v[118:119], v[10:11]
	v_mul_f64 v[118:119], v[116:117], v[10:11]
	v_mul_f64 v[120:121], v[6:7], v[118:119]
	v_fma_f64 v[6:7], v[118:119], v[6:7], -v[120:121]
	v_fmac_f64_e32 v[6:7], v[118:119], v[0:1]
	v_add_f64 v[0:1], v[120:121], v[6:7]
	v_add_f64 v[122:123], v[116:117], -v[0:1]
	v_add_f64 v[120:121], v[0:1], -v[120:121]
	v_add_f64 v[116:117], v[116:117], -v[122:123]
	v_add_f64 v[0:1], v[116:117], -v[0:1]
	v_add_f64 v[6:7], v[120:121], -v[6:7]
	v_add_f64 v[0:1], v[6:7], v[0:1]
	v_add_f64 v[0:1], v[122:123], v[0:1]
	v_mul_f64 v[0:1], v[10:11], v[0:1]
	v_add_f64 v[6:7], v[118:119], v[0:1]
	v_add_f64 v[10:11], v[6:7], -v[118:119]
	v_add_f64 v[10:11], v[0:1], -v[10:11]
	v_mul_f64 v[116:117], v[6:7], v[6:7]
	v_pk_mov_b32 v[0:1], s[38:39], s[38:39] op_sel:[0,1]
	v_fma_f64 v[118:119], s[40:41], v[116:117], v[0:1]
	v_fma_f64 v[118:119], v[116:117], v[118:119], s[42:43]
	;; [unrolled: 1-line block ×6, first 2 shown]
	v_ldexp_f64 v[120:121], v[6:7], 1
	v_mul_f64 v[6:7], v[6:7], v[116:117]
	v_mul_f64 v[6:7], v[6:7], v[118:119]
	v_add_f64 v[116:117], v[120:121], v[6:7]
	v_add_f64 v[118:119], v[116:117], -v[120:121]
	v_ldexp_f64 v[10:11], v[10:11], 1
	v_add_f64 v[6:7], v[6:7], -v[118:119]
	v_add_f64 v[6:7], v[10:11], v[6:7]
	v_add_f64 v[10:11], v[116:117], v[6:7]
	v_add_f64 v[116:117], v[10:11], -v[116:117]
	v_add_f64 v[6:7], v[6:7], -v[116:117]
	v_cvt_f64_i32_e32 v[116:117], v17
	v_mul_f64 v[118:119], v[116:117], s[52:53]
	v_fma_f64 v[120:121], v[116:117], s[52:53], -v[118:119]
	v_fmac_f64_e32 v[120:121], s[54:55], v[116:117]
	v_add_f64 v[116:117], v[118:119], v[120:121]
	v_add_f64 v[118:119], v[116:117], -v[118:119]
	v_add_f64 v[118:119], v[120:121], -v[118:119]
	v_add_f64 v[120:121], v[116:117], v[10:11]
	v_add_f64 v[122:123], v[120:121], -v[116:117]
	v_add_f64 v[124:125], v[120:121], -v[122:123]
	;; [unrolled: 1-line block ×4, first 2 shown]
	v_add_f64 v[10:11], v[10:11], v[116:117]
	v_add_f64 v[116:117], v[118:119], v[6:7]
	v_add_f64 v[122:123], v[116:117], -v[118:119]
	v_add_f64 v[124:125], v[116:117], -v[122:123]
	v_add_f64 v[10:11], v[116:117], v[10:11]
	v_add_f64 v[118:119], v[118:119], -v[124:125]
	v_add_f64 v[6:7], v[6:7], -v[122:123]
	v_add_f64 v[116:117], v[120:121], v[10:11]
	v_add_f64 v[6:7], v[6:7], v[118:119]
	v_add_f64 v[118:119], v[116:117], -v[120:121]
	v_add_f64 v[10:11], v[10:11], -v[118:119]
	v_add_f64 v[6:7], v[6:7], v[10:11]
	v_add_f64 v[6:7], v[116:117], v[6:7]
	v_cmp_class_f64_e64 vcc, v[2:3], s11
	v_cndmask_b32_e32 v17, v6, v2, vcc
	v_cndmask_b32_e32 v6, v7, v3, vcc
	v_cmp_neq_f64_e32 vcc, 0, v[2:3]
	v_cndmask_b32_e32 v3, v92, v6, vcc
	v_add_f64 v[6:7], v[8:9], 1.0
	v_add_f64 v[6:7], v[6:7], -1.0
	v_add_f64 v[116:117], v[6:7], s[70:71]
	v_div_scale_f64 v[10:11], s[4:5], v[116:117], v[116:117], s[72:73]
	v_rcp_f64_e32 v[118:119], v[10:11]
	v_cndmask_b32_e32 v2, 0, v17, vcc
	v_add_f64 v[2:3], v[4:5], v[2:3]
	v_fma_f64 v[4:5], v[84:85], v[8:9], v[82:83]
	v_fma_f64 v[120:121], -v[10:11], v[118:119], 1.0
	v_fmac_f64_e32 v[118:119], v[118:119], v[120:121]
	v_fma_f64 v[120:121], -v[10:11], v[118:119], 1.0
	v_fmac_f64_e32 v[118:119], v[118:119], v[120:121]
	v_div_scale_f64 v[120:121], vcc, s[72:73], v[116:117], s[72:73]
	v_mul_f64 v[122:123], v[120:121], v[118:119]
	v_fma_f64 v[120:121], -v[10:11], v[122:123], v[120:121]
	v_add_f64 v[10:11], v[6:7], s[74:75]
	v_div_scale_f64 v[124:125], s[4:5], v[10:11], v[10:11], s[76:77]
	v_rcp_f64_e32 v[126:127], v[124:125]
	v_div_fmas_f64 v[118:119], v[120:121], v[118:119], v[122:123]
	v_div_fixup_f64 v[116:117], v[118:119], v[116:117], s[72:73]
	v_add_f64 v[122:123], v[6:7], s[78:79]
	v_fma_f64 v[118:119], -v[124:125], v[126:127], 1.0
	v_fmac_f64_e32 v[126:127], v[126:127], v[118:119]
	v_fma_f64 v[118:119], -v[124:125], v[126:127], 1.0
	v_fmac_f64_e32 v[126:127], v[126:127], v[118:119]
	v_div_scale_f64 v[118:119], vcc, s[76:77], v[10:11], s[76:77]
	v_mul_f64 v[120:121], v[118:119], v[126:127]
	v_fma_f64 v[118:119], -v[124:125], v[120:121], v[118:119]
	v_div_scale_f64 v[124:125], s[4:5], v[122:123], v[122:123], s[80:81]
	v_rcp_f64_e32 v[128:129], v[124:125]
	v_div_fmas_f64 v[118:119], v[118:119], v[126:127], v[120:121]
	v_add_f64 v[116:117], v[116:117], 0
	v_div_fixup_f64 v[118:119], v[118:119], v[10:11], s[76:77]
	v_add_f64 v[116:117], v[118:119], v[116:117]
	v_fma_f64 v[118:119], -v[124:125], v[128:129], 1.0
	v_fmac_f64_e32 v[128:129], v[128:129], v[118:119]
	v_fma_f64 v[118:119], -v[124:125], v[128:129], 1.0
	v_fmac_f64_e32 v[128:129], v[128:129], v[118:119]
	v_div_scale_f64 v[118:119], vcc, s[80:81], v[122:123], s[80:81]
	v_mul_f64 v[120:121], v[118:119], v[128:129]
	v_fma_f64 v[118:119], -v[124:125], v[120:121], v[118:119]
	v_add_f64 v[124:125], v[6:7], s[82:83]
	v_div_scale_f64 v[126:127], s[4:5], v[124:125], v[124:125], s[84:85]
	v_rcp_f64_e32 v[130:131], v[126:127]
	v_div_fmas_f64 v[118:119], v[118:119], v[128:129], v[120:121]
	v_div_fixup_f64 v[118:119], v[118:119], v[122:123], s[80:81]
	v_add_f64 v[116:117], v[116:117], v[118:119]
	v_fma_f64 v[118:119], -v[126:127], v[130:131], 1.0
	v_fmac_f64_e32 v[130:131], v[130:131], v[118:119]
	v_fma_f64 v[118:119], -v[126:127], v[130:131], 1.0
	v_fmac_f64_e32 v[130:131], v[130:131], v[118:119]
	v_div_scale_f64 v[118:119], vcc, s[84:85], v[124:125], s[84:85]
	v_mul_f64 v[120:121], v[118:119], v[130:131]
	v_add_f64 v[122:123], v[6:7], 4.0
	v_fma_f64 v[118:119], -v[126:127], v[120:121], v[118:119]
	v_div_scale_f64 v[126:127], s[4:5], v[122:123], v[122:123], s[86:87]
	v_rcp_f64_e32 v[128:129], v[126:127]
	v_div_fmas_f64 v[118:119], v[118:119], v[130:131], v[120:121]
	v_div_fixup_f64 v[118:119], v[118:119], v[124:125], s[84:85]
	v_add_f64 v[116:117], v[118:119], v[116:117]
	v_fma_f64 v[118:119], -v[126:127], v[128:129], 1.0
	v_fmac_f64_e32 v[128:129], v[128:129], v[118:119]
	v_fma_f64 v[118:119], -v[126:127], v[128:129], 1.0
	v_fmac_f64_e32 v[128:129], v[128:129], v[118:119]
	v_div_scale_f64 v[118:119], vcc, s[86:87], v[122:123], s[86:87]
	v_mul_f64 v[120:121], v[118:119], v[128:129]
	v_add_f64 v[124:125], v[6:7], s[14:15]
	v_fma_f64 v[118:119], -v[126:127], v[120:121], v[118:119]
	v_div_scale_f64 v[126:127], s[4:5], v[124:125], v[124:125], s[88:89]
	v_rcp_f64_e32 v[130:131], v[126:127]
	v_div_fmas_f64 v[118:119], v[118:119], v[128:129], v[120:121]
	v_div_fixup_f64 v[118:119], v[118:119], v[122:123], s[86:87]
	v_add_f64 v[116:117], v[116:117], v[118:119]
	v_fma_f64 v[118:119], -v[126:127], v[130:131], 1.0
	v_fmac_f64_e32 v[130:131], v[130:131], v[118:119]
	v_fma_f64 v[118:119], -v[126:127], v[130:131], 1.0
	v_fmac_f64_e32 v[130:131], v[130:131], v[118:119]
	v_div_scale_f64 v[118:119], vcc, s[88:89], v[124:125], s[88:89]
	v_mul_f64 v[120:121], v[118:119], v[130:131]
	v_add_f64 v[122:123], v[6:7], 2.0
	v_fma_f64 v[118:119], -v[126:127], v[120:121], v[118:119]
	v_div_scale_f64 v[126:127], s[4:5], v[122:123], v[122:123], s[90:91]
	v_rcp_f64_e32 v[128:129], v[126:127]
	v_div_fmas_f64 v[118:119], v[118:119], v[130:131], v[120:121]
	v_div_fixup_f64 v[118:119], v[118:119], v[124:125], s[88:89]
	v_add_f64 v[116:117], v[118:119], v[116:117]
	v_fma_f64 v[118:119], -v[126:127], v[128:129], 1.0
	v_fmac_f64_e32 v[128:129], v[128:129], v[118:119]
	v_fma_f64 v[118:119], -v[126:127], v[128:129], 1.0
	v_fmac_f64_e32 v[128:129], v[128:129], v[118:119]
	v_div_scale_f64 v[118:119], vcc, s[90:91], v[122:123], s[90:91]
	v_mul_f64 v[120:121], v[118:119], v[128:129]
	v_add_f64 v[124:125], v[6:7], 1.0
	v_fma_f64 v[118:119], -v[126:127], v[120:121], v[118:119]
	v_div_scale_f64 v[126:127], s[4:5], v[124:125], v[124:125], s[92:93]
	v_rcp_f64_e32 v[130:131], v[126:127]
	v_div_fmas_f64 v[118:119], v[118:119], v[128:129], v[120:121]
	v_div_fixup_f64 v[118:119], v[118:119], v[122:123], s[90:91]
	v_add_f64 v[116:117], v[116:117], v[118:119]
	v_fma_f64 v[118:119], -v[126:127], v[130:131], 1.0
	v_fmac_f64_e32 v[130:131], v[130:131], v[118:119]
	v_fma_f64 v[118:119], -v[126:127], v[130:131], 1.0
	v_fmac_f64_e32 v[130:131], v[130:131], v[118:119]
	v_div_scale_f64 v[118:119], vcc, s[92:93], v[124:125], s[92:93]
	v_mul_f64 v[120:121], v[118:119], v[130:131]
	v_fma_f64 v[118:119], -v[126:127], v[120:121], v[118:119]
	v_add_f64 v[10:11], v[10:11], 0.5
	s_nop 0
	v_div_fmas_f64 v[118:119], v[118:119], v[130:131], v[120:121]
	v_div_fixup_f64 v[118:119], v[118:119], v[124:125], s[92:93]
	v_add_f64 v[116:117], v[118:119], v[116:117]
	v_add_f64 v[116:117], v[116:117], s[12:13]
	v_frexp_mant_f64_e32 v[118:119], v[116:117]
	v_cmp_gt_f64_e32 vcc, s[36:37], v[118:119]
	v_cndmask_b32_e64 v17, v90, 2.0, vcc
	v_frexp_exp_i32_f64_e32 v120, v[116:117]
	v_mul_f64 v[118:119], v[118:119], v[16:17]
	v_subbrev_co_u32_e32 v17, vcc, 0, v120, vcc
	v_add_f64 v[120:121], v[118:119], 1.0
	v_rcp_f64_e32 v[122:123], v[120:121]
	v_add_f64 v[126:127], v[120:121], -1.0
	v_add_f64 v[124:125], v[118:119], -1.0
	v_add_f64 v[118:119], v[118:119], -v[126:127]
	v_fma_f64 v[126:127], -v[120:121], v[122:123], 1.0
	v_fmac_f64_e32 v[122:123], v[126:127], v[122:123]
	v_fma_f64 v[126:127], -v[120:121], v[122:123], 1.0
	v_fmac_f64_e32 v[122:123], v[126:127], v[122:123]
	v_mul_f64 v[126:127], v[124:125], v[122:123]
	v_mul_f64 v[128:129], v[120:121], v[126:127]
	v_fma_f64 v[120:121], v[126:127], v[120:121], -v[128:129]
	v_fmac_f64_e32 v[120:121], v[126:127], v[118:119]
	v_add_f64 v[118:119], v[128:129], v[120:121]
	v_add_f64 v[130:131], v[124:125], -v[118:119]
	v_add_f64 v[128:129], v[118:119], -v[128:129]
	;; [unrolled: 1-line block ×5, first 2 shown]
	v_add_f64 v[118:119], v[120:121], v[118:119]
	v_add_f64 v[118:119], v[130:131], v[118:119]
	v_mul_f64 v[118:119], v[122:123], v[118:119]
	v_add_f64 v[120:121], v[126:127], v[118:119]
	v_add_f64 v[122:123], v[120:121], -v[126:127]
	v_add_f64 v[118:119], v[118:119], -v[122:123]
	v_mul_f64 v[122:123], v[120:121], v[120:121]
	v_fma_f64 v[124:125], s[40:41], v[122:123], v[0:1]
	v_fma_f64 v[124:125], v[122:123], v[124:125], s[42:43]
	;; [unrolled: 1-line block ×6, first 2 shown]
	v_ldexp_f64 v[126:127], v[120:121], 1
	v_mul_f64 v[120:121], v[120:121], v[122:123]
	v_mul_f64 v[120:121], v[120:121], v[124:125]
	v_add_f64 v[122:123], v[126:127], v[120:121]
	v_add_f64 v[124:125], v[122:123], -v[126:127]
	v_ldexp_f64 v[118:119], v[118:119], 1
	v_add_f64 v[120:121], v[120:121], -v[124:125]
	v_add_f64 v[118:119], v[118:119], v[120:121]
	v_add_f64 v[120:121], v[122:123], v[118:119]
	v_add_f64 v[122:123], v[120:121], -v[122:123]
	v_add_f64 v[118:119], v[118:119], -v[122:123]
	v_cvt_f64_i32_e32 v[122:123], v17
	v_mul_f64 v[124:125], v[122:123], s[52:53]
	v_fma_f64 v[126:127], v[122:123], s[52:53], -v[124:125]
	v_fmac_f64_e32 v[126:127], s[54:55], v[122:123]
	v_add_f64 v[122:123], v[124:125], v[126:127]
	v_add_f64 v[124:125], v[122:123], -v[124:125]
	v_add_f64 v[124:125], v[126:127], -v[124:125]
	v_add_f64 v[126:127], v[122:123], v[120:121]
	v_add_f64 v[128:129], v[126:127], -v[122:123]
	v_add_f64 v[130:131], v[126:127], -v[128:129]
	;; [unrolled: 1-line block ×4, first 2 shown]
	v_add_f64 v[120:121], v[120:121], v[122:123]
	v_add_f64 v[122:123], v[124:125], v[118:119]
	v_add_f64 v[128:129], v[122:123], -v[124:125]
	v_add_f64 v[130:131], v[122:123], -v[128:129]
	v_add_f64 v[120:121], v[122:123], v[120:121]
	v_add_f64 v[124:125], v[124:125], -v[130:131]
	v_add_f64 v[118:119], v[118:119], -v[128:129]
	v_add_f64 v[122:123], v[126:127], v[120:121]
	v_add_f64 v[118:119], v[118:119], v[124:125]
	v_add_f64 v[124:125], v[122:123], -v[126:127]
	v_add_f64 v[120:121], v[120:121], -v[124:125]
	v_add_f64 v[118:119], v[118:119], v[120:121]
	v_add_f64 v[118:119], v[122:123], v[118:119]
	v_cmp_class_f64_e64 vcc, v[116:117], s11
	v_div_scale_f64 v[120:121], s[4:5], s[34:35], s[34:35], v[10:11]
	v_cndmask_b32_e32 v119, v119, v117, vcc
	v_cndmask_b32_e32 v118, v118, v116, vcc
	v_rcp_f64_e32 v[122:123], v[120:121]
	v_add_f64 v[118:119], v[118:119], s[66:67]
	v_add_f64 v[118:119], v[118:119], s[68:69]
	v_cmp_ngt_f64_e32 vcc, 0, v[116:117]
	v_cndmask_b32_e32 v17, v91, v119, vcc
	v_cmp_nge_f64_e32 vcc, 0, v[116:117]
	v_cndmask_b32_e32 v118, 0, v118, vcc
	v_cmp_neq_f64_e32 vcc, 0, v[116:117]
	v_fma_f64 v[116:117], -v[120:121], v[122:123], 1.0
	v_fmac_f64_e32 v[122:123], v[122:123], v[116:117]
	v_fma_f64 v[116:117], -v[120:121], v[122:123], 1.0
	v_cndmask_b32_e32 v119, v92, v17, vcc
	v_fmac_f64_e32 v[122:123], v[122:123], v[116:117]
	v_div_scale_f64 v[116:117], vcc, v[10:11], s[34:35], v[10:11]
	v_mul_f64 v[124:125], v[116:117], v[122:123]
	v_fma_f64 v[116:117], -v[120:121], v[124:125], v[116:117]
	v_add_f64 v[6:7], v[6:7], 0.5
	s_nop 0
	v_div_fmas_f64 v[116:117], v[116:117], v[122:123], v[124:125]
	v_div_fixup_f64 v[10:11], v[116:117], s[34:35], v[10:11]
	v_frexp_mant_f64_e32 v[116:117], v[10:11]
	v_cmp_gt_f64_e32 vcc, s[36:37], v[116:117]
	v_cndmask_b32_e64 v17, v90, 2.0, vcc
	v_frexp_exp_i32_f64_e32 v120, v[10:11]
	v_mul_f64 v[116:117], v[116:117], v[16:17]
	v_subbrev_co_u32_e32 v17, vcc, 0, v120, vcc
	v_add_f64 v[120:121], v[116:117], 1.0
	v_rcp_f64_e32 v[122:123], v[120:121]
	v_add_f64 v[126:127], v[120:121], -1.0
	v_add_f64 v[124:125], v[116:117], -1.0
	v_add_f64 v[116:117], v[116:117], -v[126:127]
	v_fma_f64 v[126:127], -v[120:121], v[122:123], 1.0
	v_fmac_f64_e32 v[122:123], v[126:127], v[122:123]
	v_fma_f64 v[126:127], -v[120:121], v[122:123], 1.0
	v_fmac_f64_e32 v[122:123], v[126:127], v[122:123]
	v_mul_f64 v[126:127], v[124:125], v[122:123]
	v_mul_f64 v[128:129], v[120:121], v[126:127]
	v_fma_f64 v[120:121], v[126:127], v[120:121], -v[128:129]
	v_fmac_f64_e32 v[120:121], v[126:127], v[116:117]
	v_add_f64 v[116:117], v[128:129], v[120:121]
	v_add_f64 v[130:131], v[124:125], -v[116:117]
	v_add_f64 v[128:129], v[116:117], -v[128:129]
	;; [unrolled: 1-line block ×5, first 2 shown]
	v_add_f64 v[116:117], v[120:121], v[116:117]
	v_add_f64 v[116:117], v[130:131], v[116:117]
	v_mul_f64 v[116:117], v[122:123], v[116:117]
	v_add_f64 v[120:121], v[126:127], v[116:117]
	v_add_f64 v[122:123], v[120:121], -v[126:127]
	v_add_f64 v[116:117], v[116:117], -v[122:123]
	v_mul_f64 v[122:123], v[120:121], v[120:121]
	v_fmac_f64_e32 v[0:1], s[40:41], v[122:123]
	v_fma_f64 v[0:1], v[122:123], v[0:1], s[42:43]
	v_fma_f64 v[0:1], v[122:123], v[0:1], s[44:45]
	;; [unrolled: 1-line block ×5, first 2 shown]
	v_ldexp_f64 v[124:125], v[120:121], 1
	v_mul_f64 v[120:121], v[120:121], v[122:123]
	v_mul_f64 v[0:1], v[120:121], v[0:1]
	v_add_f64 v[120:121], v[124:125], v[0:1]
	v_add_f64 v[122:123], v[120:121], -v[124:125]
	v_ldexp_f64 v[116:117], v[116:117], 1
	v_add_f64 v[0:1], v[0:1], -v[122:123]
	v_add_f64 v[0:1], v[116:117], v[0:1]
	v_add_f64 v[116:117], v[120:121], v[0:1]
	v_add_f64 v[120:121], v[116:117], -v[120:121]
	v_add_f64 v[0:1], v[0:1], -v[120:121]
	v_cvt_f64_i32_e32 v[120:121], v17
	v_mul_f64 v[122:123], v[120:121], s[52:53]
	v_fma_f64 v[124:125], v[120:121], s[52:53], -v[122:123]
	v_fmac_f64_e32 v[124:125], s[54:55], v[120:121]
	v_add_f64 v[120:121], v[122:123], v[124:125]
	v_add_f64 v[122:123], v[120:121], -v[122:123]
	v_add_f64 v[122:123], v[124:125], -v[122:123]
	v_add_f64 v[124:125], v[120:121], v[116:117]
	v_add_f64 v[126:127], v[124:125], -v[120:121]
	v_add_f64 v[128:129], v[124:125], -v[126:127]
	;; [unrolled: 1-line block ×4, first 2 shown]
	v_add_f64 v[116:117], v[116:117], v[120:121]
	v_add_f64 v[120:121], v[122:123], v[0:1]
	v_add_f64 v[126:127], v[120:121], -v[122:123]
	v_add_f64 v[128:129], v[120:121], -v[126:127]
	v_add_f64 v[116:117], v[120:121], v[116:117]
	v_add_f64 v[122:123], v[122:123], -v[128:129]
	v_add_f64 v[0:1], v[0:1], -v[126:127]
	v_add_f64 v[120:121], v[124:125], v[116:117]
	v_add_f64 v[0:1], v[0:1], v[122:123]
	v_add_f64 v[122:123], v[120:121], -v[124:125]
	v_add_f64 v[116:117], v[116:117], -v[122:123]
	v_add_f64 v[0:1], v[0:1], v[116:117]
	v_add_f64 v[0:1], v[120:121], v[0:1]
	v_cmp_class_f64_e64 vcc, v[10:11], s11
	v_cndmask_b32_e32 v0, v0, v10, vcc
	v_cndmask_b32_e32 v1, v1, v11, vcc
	v_cmp_ngt_f64_e32 vcc, 0, v[10:11]
	v_cndmask_b32_e32 v1, v91, v1, vcc
	v_cmp_nge_f64_e32 vcc, 0, v[10:11]
	v_cndmask_b32_e32 v0, 0, v0, vcc
	v_cmp_neq_f64_e32 vcc, 0, v[10:11]
	v_cndmask_b32_e32 v1, v92, v1, vcc
	v_fmac_f64_e32 v[118:119], v[6:7], v[0:1]
	v_add_f64 v[0:1], v[4:5], -v[118:119]
	v_cvt_u32_f64_e32 v4, v[8:9]
	v_cmp_le_f64_e32 vcc, v[2:3], v[0:1]
	v_cndmask_b32_e64 v117, 0, 1, vcc
	v_cndmask_b32_e32 v77, v77, v4, vcc
	v_mov_b32_e32 v116, v115
.LBB77_22:                              ;   in Loop: Header=BB77_12 Depth=2
	s_or_b64 exec, exec, s[22:23]
	v_cmp_gt_i32_e32 vcc, 2, v117
	s_or_b64 s[18:19], vcc, s[18:19]
	v_mov_b32_e32 v17, v116
	v_mov_b32_e32 v0, v89
	;; [unrolled: 1-line block ×5, first 2 shown]
	s_andn2_b64 exec, exec, s[18:19]
	s_cbranch_execnz .LBB77_12
; %bb.23:                               ;   in Loop: Header=BB77_12 Depth=2
	s_or_b64 exec, exec, s[18:19]
	v_cmp_ne_u32_e32 vcc, 0, v117
	s_or_b64 s[56:57], vcc, s[56:57]
	s_mov_b64 s[18:19], 0
	v_mov_b32_e32 v17, v116
	v_mov_b32_e32 v0, v89
	;; [unrolled: 1-line block ×5, first 2 shown]
	s_andn2_b64 exec, exec, s[56:57]
	s_cbranch_execnz .LBB77_12
; %bb.24:                               ;   in Loop: Header=BB77_6 Depth=1
	s_or_b64 exec, exec, s[56:57]
                                        ; implicit-def: $vgpr74_vgpr75
                                        ; implicit-def: $vgpr17
                                        ; implicit-def: $vgpr95
                                        ; implicit-def: $vgpr96
                                        ; implicit-def: $vgpr103
                                        ; implicit-def: $vgpr94
                                        ; implicit-def: $vgpr3
                                        ; implicit-def: $vgpr4_vgpr5
                                        ; implicit-def: $vgpr97
                                        ; implicit-def: $vgpr98
                                        ; implicit-def: $vgpr99
                                        ; implicit-def: $vgpr100
                                        ; implicit-def: $vgpr102
                                        ; implicit-def: $vgpr104
                                        ; implicit-def: $vgpr105
                                        ; implicit-def: $vgpr106
                                        ; implicit-def: $vgpr107
                                        ; implicit-def: $vgpr108
                                        ; implicit-def: $vgpr109
                                        ; implicit-def: $vgpr110
                                        ; implicit-def: $vgpr111
                                        ; implicit-def: $vgpr112
                                        ; implicit-def: $vgpr101
                                        ; implicit-def: $vgpr113
.LBB77_25:                              ;   in Loop: Header=BB77_6 Depth=1
	s_andn2_saveexec_b64 s[18:19], s[24:25]
	s_cbranch_execz .LBB77_37
; %bb.26:                               ;   in Loop: Header=BB77_6 Depth=1
	v_add_co_u32_e32 v6, vcc, 1, v95
	v_cndmask_b32_e64 v7, 0, 1, vcc
	v_addc_co_u32_e32 v10, vcc, 0, v96, vcc
	v_cmp_eq_u32_e32 vcc, 0, v10
	v_cndmask_b32_e32 v7, 0, v7, vcc
	v_add_u32_e32 v8, v7, v12
	v_cmp_eq_u32_e32 vcc, 0, v8
	v_cndmask_b32_e32 v11, 0, v7, vcc
	v_mad_u64_u32 v[6:7], s[4:5], v6, s8, 0
	v_mad_u64_u32 v[8:9], s[4:5], v8, s33, 0
	v_xor_b32_e32 v7, v7, v75
	v_xor_b32_e32 v9, v9, v74
	v_xor_b32_e32 v7, v11, v7
	v_xor_b32_e32 v9, v10, v9
	v_mad_u64_u32 v[74:75], s[4:5], v7, s33, 0
	v_mad_u64_u32 v[10:11], s[4:5], v9, s8, 0
	v_xor_b32_e32 v7, v97, v75
	v_xor_b32_e32 v7, v7, v8
	v_xor_b32_e32 v8, v98, v11
	v_xor_b32_e32 v8, v8, v6
	;; [unrolled: 6-line block ×8, first 2 shown]
	v_mad_u64_u32 v[76:77], s[4:5], v7, s8, 0
	v_mad_u64_u32 v[8:9], s[4:5], v6, s33, 0
	v_xor_b32_e32 v6, v113, v77
	v_xor_b32_e32 v6, v6, v10
	v_mad_u64_u32 v[6:7], s[4:5], v6, s33, 0
	v_xor_b32_e32 v7, v7, v8
	v_xor_b32_e32 v10, v103, v7
	v_cmp_lt_i32_e32 vcc, 1, v17
                                        ; implicit-def: $vgpr8
	s_and_saveexec_b64 s[4:5], vcc
	s_xor_b64 s[4:5], exec, s[4:5]
	s_cbranch_execz .LBB77_32
; %bb.27:                               ;   in Loop: Header=BB77_6 Depth=1
	v_cmp_lt_i32_e32 vcc, 2, v17
                                        ; implicit-def: $vgpr8
	s_and_saveexec_b64 s[22:23], vcc
	s_xor_b64 s[22:23], exec, s[22:23]
; %bb.28:                               ;   in Loop: Header=BB77_6 Depth=1
	v_xor_b32_e32 v0, v101, v9
	v_xor_b32_e32 v0, v0, v74
	v_mul_hi_u32 v0, v0, s8
	v_xor_b32_e32 v0, v0, v76
	v_xor_b32_e32 v8, v94, v0
; %bb.29:                               ;   in Loop: Header=BB77_6 Depth=1
	s_andn2_saveexec_b64 s[22:23], s[22:23]
; %bb.30:                               ;   in Loop: Header=BB77_6 Depth=1
	v_mov_b32_e32 v8, v6
	v_mov_b32_e32 v6, v10
	;; [unrolled: 1-line block ×4, first 2 shown]
; %bb.31:                               ;   in Loop: Header=BB77_6 Depth=1
	s_or_b64 exec, exec, s[22:23]
                                        ; implicit-def: $vgpr17
.LBB77_32:                              ;   in Loop: Header=BB77_6 Depth=1
	s_andn2_saveexec_b64 s[4:5], s[4:5]
	s_cbranch_execz .LBB77_36
; %bb.33:                               ;   in Loop: Header=BB77_6 Depth=1
	v_cmp_eq_u32_e32 vcc, 1, v17
	v_mov_b32_e32 v8, v3
	v_mov_b32_e32 v6, v2
	;; [unrolled: 1-line block ×3, first 2 shown]
	s_and_saveexec_b64 s[22:23], vcc
; %bb.34:                               ;   in Loop: Header=BB77_6 Depth=1
	v_mov_b32_e32 v8, v10
	v_mov_b32_e32 v6, v3
	;; [unrolled: 1-line block ×4, first 2 shown]
; %bb.35:                               ;   in Loop: Header=BB77_6 Depth=1
	s_or_b64 exec, exec, s[22:23]
	v_mov_b32_e32 v3, v0
	v_mov_b32_e32 v10, v7
.LBB77_36:                              ;   in Loop: Header=BB77_6 Depth=1
	s_or_b64 exec, exec, s[4:5]
	v_mov_b32_e32 v11, v16
	v_lshlrev_b64 v[0:1], 21, v[10:11]
	v_xor_b32_e32 v2, v0, v3
	v_cvt_f64_u32_e32 v[0:1], v1
	v_ldexp_f64 v[0:1], v[0:1], 32
	v_cvt_f64_u32_e32 v[2:3], v2
	v_add_f64 v[0:1], v[0:1], v[2:3]
	v_mov_b32_e32 v2, 0
	v_mov_b32_e32 v3, 0x3ca00000
	v_fmac_f64_e32 v[2:3], 0x3ca00000, v[0:1]
	v_mov_b32_e32 v9, v16
	v_lshlrev_b64 v[0:1], 21, v[8:9]
	v_frexp_mant_f64_e32 v[8:9], v[2:3]
	v_cmp_gt_f64_e32 vcc, s[36:37], v[8:9]
	v_cndmask_b32_e64 v17, v90, 2.0, vcc
	v_frexp_exp_i32_f64_e32 v10, v[2:3]
	v_mul_f64 v[8:9], v[8:9], v[16:17]
	v_subbrev_co_u32_e32 v17, vcc, 0, v10, vcc
	v_add_f64 v[10:11], v[8:9], 1.0
	v_rcp_f64_e32 v[74:75], v[10:11]
	v_add_f64 v[78:79], v[10:11], -1.0
	v_add_f64 v[76:77], v[8:9], -1.0
	v_add_f64 v[8:9], v[8:9], -v[78:79]
	v_fma_f64 v[78:79], -v[10:11], v[74:75], 1.0
	v_fmac_f64_e32 v[74:75], v[78:79], v[74:75]
	v_fma_f64 v[78:79], -v[10:11], v[74:75], 1.0
	v_fmac_f64_e32 v[74:75], v[78:79], v[74:75]
	v_mul_f64 v[78:79], v[76:77], v[74:75]
	v_mul_f64 v[80:81], v[10:11], v[78:79]
	v_fma_f64 v[10:11], v[78:79], v[10:11], -v[80:81]
	v_fmac_f64_e32 v[10:11], v[78:79], v[8:9]
	v_add_f64 v[8:9], v[80:81], v[10:11]
	v_add_f64 v[82:83], v[76:77], -v[8:9]
	v_add_f64 v[80:81], v[8:9], -v[80:81]
	;; [unrolled: 1-line block ×5, first 2 shown]
	v_add_f64 v[8:9], v[10:11], v[8:9]
	v_add_f64 v[8:9], v[82:83], v[8:9]
	v_mul_f64 v[8:9], v[74:75], v[8:9]
	v_add_f64 v[10:11], v[78:79], v[8:9]
	v_add_f64 v[74:75], v[10:11], -v[78:79]
	v_add_f64 v[8:9], v[8:9], -v[74:75]
	v_mul_f64 v[74:75], v[10:11], v[10:11]
	v_pk_mov_b32 v[76:77], v[20:21], v[20:21] op_sel:[0,1]
	v_fmac_f64_e32 v[76:77], s[40:41], v[74:75]
	v_pk_mov_b32 v[78:79], v[22:23], v[22:23] op_sel:[0,1]
	v_fmac_f64_e32 v[78:79], v[74:75], v[76:77]
	;; [unrolled: 2-line block ×6, first 2 shown]
	v_ldexp_f64 v[76:77], v[10:11], 1
	v_mul_f64 v[10:11], v[10:11], v[74:75]
	v_mul_f64 v[10:11], v[10:11], v[78:79]
	v_add_f64 v[74:75], v[76:77], v[10:11]
	v_add_f64 v[76:77], v[74:75], -v[76:77]
	v_ldexp_f64 v[8:9], v[8:9], 1
	v_add_f64 v[10:11], v[10:11], -v[76:77]
	v_add_f64 v[8:9], v[8:9], v[10:11]
	v_add_f64 v[10:11], v[74:75], v[8:9]
	v_add_f64 v[74:75], v[10:11], -v[74:75]
	v_add_f64 v[8:9], v[8:9], -v[74:75]
	v_cvt_f64_i32_e32 v[74:75], v17
	v_mul_f64 v[76:77], v[74:75], s[52:53]
	v_fma_f64 v[78:79], v[74:75], s[52:53], -v[76:77]
	v_fmac_f64_e32 v[78:79], s[54:55], v[74:75]
	v_add_f64 v[74:75], v[76:77], v[78:79]
	v_add_f64 v[76:77], v[74:75], -v[76:77]
	v_add_f64 v[76:77], v[78:79], -v[76:77]
	v_add_f64 v[78:79], v[74:75], v[10:11]
	v_add_f64 v[80:81], v[78:79], -v[74:75]
	v_add_f64 v[82:83], v[78:79], -v[80:81]
	v_add_f64 v[74:75], v[74:75], -v[82:83]
	v_add_f64 v[10:11], v[10:11], -v[80:81]
	v_add_f64 v[10:11], v[10:11], v[74:75]
	v_add_f64 v[74:75], v[76:77], v[8:9]
	v_add_f64 v[80:81], v[74:75], -v[76:77]
	v_add_f64 v[82:83], v[74:75], -v[80:81]
	v_add_f64 v[10:11], v[74:75], v[10:11]
	v_add_f64 v[76:77], v[76:77], -v[82:83]
	v_add_f64 v[8:9], v[8:9], -v[80:81]
	v_add_f64 v[74:75], v[78:79], v[10:11]
	v_add_f64 v[8:9], v[8:9], v[76:77]
	v_add_f64 v[76:77], v[74:75], -v[78:79]
	v_add_f64 v[10:11], v[10:11], -v[76:77]
	s_mov_b32 s24, 0
	v_add_f64 v[8:9], v[8:9], v[10:11]
	s_mov_b32 s25, 0x7ff00000
	v_add_f64 v[8:9], v[74:75], v[8:9]
	v_cmp_eq_f64_e32 vcc, s[24:25], v[2:3]
	v_cndmask_b32_e32 v9, v9, v3, vcc
	v_cndmask_b32_e32 v8, v8, v2, vcc
	v_mul_f64 v[8:9], v[8:9], -2.0
	v_cmp_neq_f64_e32 vcc, 0, v[2:3]
	s_mov_b32 s4, 0
	v_cndmask_b32_e32 v3, v93, v9, vcc
	v_cndmask_b32_e32 v2, 0, v8, vcc
	s_brev_b32 s5, 8
	v_cmp_gt_f64_e32 vcc, s[4:5], v[2:3]
	v_cndmask_b32_e64 v8, 0, 1, vcc
	v_lshlrev_b32_e32 v8, 8, v8
	v_ldexp_f64 v[2:3], v[2:3], v8
	v_xor_b32_e32 v6, v0, v6
	v_cvt_f64_u32_e32 v[0:1], v1
	v_rsq_f64_e32 v[8:9], v[2:3]
	v_ldexp_f64 v[0:1], v[0:1], 32
	v_cvt_f64_u32_e32 v[6:7], v6
	v_add_f64 v[0:1], v[0:1], v[6:7]
	v_mov_b32_e32 v6, 0
	v_mov_b32_e32 v7, 0x3cb00000
	v_fmac_f64_e32 v[6:7], 0x3cb00000, v[0:1]
	v_mul_f64 v[0:1], v[2:3], v[8:9]
	v_mul_f64 v[8:9], v[8:9], 0.5
	v_fma_f64 v[10:11], -v[8:9], v[0:1], 0.5
	v_fmac_f64_e32 v[0:1], v[0:1], v[10:11]
	v_fma_f64 v[74:75], -v[0:1], v[0:1], v[2:3]
	v_fmac_f64_e32 v[8:9], v[8:9], v[10:11]
	v_fmac_f64_e32 v[0:1], v[74:75], v[8:9]
	v_fma_f64 v[10:11], -v[0:1], v[0:1], v[2:3]
	v_fmac_f64_e32 v[0:1], v[10:11], v[8:9]
	v_cndmask_b32_e32 v8, 0, v19, vcc
	v_ldexp_f64 v[0:1], v[0:1], v8
	v_cmp_class_f64_e32 vcc, v[2:3], v15
	v_cndmask_b32_e32 v1, v1, v3, vcc
	v_cndmask_b32_e32 v0, v0, v2, vcc
	v_mul_f64 v[2:3], v[6:7], 0.5
	v_fract_f64_e32 v[8:9], v[2:3]
	v_add_f64 v[8:9], v[8:9], v[8:9]
	v_cmp_neq_f64_e32 vcc, s[24:25], v[2:3]
	v_cndmask_b32_e32 v2, 0, v8, vcc
	v_cndmask_b32_e32 v3, 0, v9, vcc
	v_cmp_lt_f64_e32 vcc, 1.0, v[6:7]
	v_cndmask_b32_e32 v3, v7, v3, vcc
	v_cndmask_b32_e32 v2, v6, v2, vcc
	v_add_f64 v[8:9], v[2:3], v[2:3]
	v_rndne_f64_e32 v[8:9], v[8:9]
	v_fmac_f64_e32 v[2:3], -0.5, v[8:9]
	s_mov_b32 s22, 0xf99eb0bb
	v_cvt_i32_f64_e32 v17, v[8:9]
	v_mul_f64 v[8:9], v[2:3], v[2:3]
	v_pk_mov_b32 v[10:11], v[50:51], v[50:51] op_sel:[0,1]
	s_mov_b32 s23, 0x3f3e357e
	v_fmac_f64_e32 v[10:11], s[22:23], v[8:9]
	v_pk_mov_b32 v[74:75], v[52:53], v[52:53] op_sel:[0,1]
	v_fmac_f64_e32 v[74:75], v[8:9], v[10:11]
	v_pk_mov_b32 v[10:11], v[54:55], v[54:55] op_sel:[0,1]
	;; [unrolled: 2-line block ×4, first 2 shown]
	v_fmac_f64_e32 v[10:11], v[8:9], v[74:75]
	v_mul_f64 v[74:75], v[2:3], v[8:9]
	s_mov_b32 s22, 0x54442d18
	v_mul_f64 v[10:11], v[74:75], v[10:11]
	s_mov_b32 s23, 0x400921fb
	v_fmac_f64_e32 v[10:11], s[22:23], v[2:3]
	s_mov_b32 s22, 0x2e21c33
	v_pk_mov_b32 v[2:3], v[60:61], v[60:61] op_sel:[0,1]
	s_mov_b32 s23, 0xbf1b1673
	v_fmac_f64_e32 v[2:3], s[22:23], v[8:9]
	v_pk_mov_b32 v[74:75], v[62:63], v[62:63] op_sel:[0,1]
	v_fmac_f64_e32 v[74:75], v[8:9], v[2:3]
	v_pk_mov_b32 v[2:3], v[64:65], v[64:65] op_sel:[0,1]
	;; [unrolled: 2-line block ×5, first 2 shown]
	v_fmac_f64_e32 v[74:75], v[8:9], v[2:3]
	v_fma_f64 v[2:3], v[8:9], v[74:75], 1.0
	v_and_b32_e32 v9, 1, v17
	v_lshlrev_b32_e32 v8, 30, v17
	v_cmp_eq_u32_e32 vcc, 0, v9
	v_cndmask_b32_e32 v10, v2, v10, vcc
	v_cndmask_b32_e32 v2, v3, v11, vcc
	v_xor_b32_e32 v3, v8, v7
	v_and_b32_e32 v3, 0x80000000, v3
	v_cmp_gt_f64_e32 vcc, s[4:5], v[4:5]
	v_xor_b32_e32 v11, v2, v3
	v_cndmask_b32_e64 v2, 0, 1, vcc
	v_lshlrev_b32_e32 v2, 8, v2
	v_ldexp_f64 v[2:3], v[4:5], v2
	v_rsq_f64_e32 v[8:9], v[2:3]
	v_cmp_lg_f64_e64 s[4:5], s[24:25], v[6:7]
	v_cndmask_b32_e64 v6, 0, v10, s[4:5]
	v_cndmask_b32_e64 v7, v91, v11, s[4:5]
	v_mul_f64 v[0:1], v[0:1], v[6:7]
	v_mul_f64 v[6:7], v[2:3], v[8:9]
	v_mul_f64 v[8:9], v[8:9], 0.5
	v_fma_f64 v[10:11], -v[8:9], v[6:7], 0.5
	v_fmac_f64_e32 v[6:7], v[6:7], v[10:11]
	v_fma_f64 v[74:75], -v[6:7], v[6:7], v[2:3]
	v_fmac_f64_e32 v[8:9], v[8:9], v[10:11]
	v_fmac_f64_e32 v[6:7], v[74:75], v[8:9]
	v_fma_f64 v[10:11], -v[6:7], v[6:7], v[2:3]
	v_fmac_f64_e32 v[6:7], v[10:11], v[8:9]
	v_cndmask_b32_e32 v8, 0, v19, vcc
	v_ldexp_f64 v[6:7], v[6:7], v8
	v_cmp_class_f64_e32 vcc, v[2:3], v15
	v_cndmask_b32_e32 v3, v7, v3, vcc
	v_cndmask_b32_e32 v2, v6, v2, vcc
	v_fmac_f64_e32 v[4:5], v[2:3], v[0:1]
	v_trunc_f64_e32 v[0:1], v[4:5]
	v_add_f64 v[2:3], v[4:5], -v[0:1]
	v_cmp_ge_f64_e64 vcc, |v[2:3]|, 0.5
	v_cndmask_b32_e32 v2, 0, v90, vcc
	s_brev_b32 s4, -2
	v_bfi_b32 v17, s4, v2, v5
	v_add_f64 v[0:1], v[0:1], v[16:17]
	v_cvt_u32_f64_e32 v77, v[0:1]
.LBB77_37:                              ;   in Loop: Header=BB77_6 Depth=1
	s_or_b64 exec, exec, s[18:19]
                                        ; implicit-def: $vgpr6
                                        ; implicit-def: $vgpr74_vgpr75
                                        ; implicit-def: $vgpr17
                                        ; implicit-def: $vgpr95
                                        ; implicit-def: $vgpr96
                                        ; implicit-def: $vgpr103
                                        ; implicit-def: $vgpr94
                                        ; implicit-def: $vgpr3
                                        ; implicit-def: $vgpr4_vgpr5
                                        ; implicit-def: $vgpr97
                                        ; implicit-def: $vgpr98
                                        ; implicit-def: $vgpr99
                                        ; implicit-def: $vgpr100
                                        ; implicit-def: $vgpr102
                                        ; implicit-def: $vgpr104
                                        ; implicit-def: $vgpr105
                                        ; implicit-def: $vgpr106
                                        ; implicit-def: $vgpr107
                                        ; implicit-def: $vgpr108
                                        ; implicit-def: $vgpr109
                                        ; implicit-def: $vgpr110
                                        ; implicit-def: $vgpr111
                                        ; implicit-def: $vgpr112
                                        ; implicit-def: $vgpr101
                                        ; implicit-def: $vgpr113
.LBB77_38:                              ;   in Loop: Header=BB77_6 Depth=1
	s_andn2_saveexec_b64 s[4:5], s[26:27]
	s_cbranch_execz .LBB77_4
; %bb.39:                               ;   in Loop: Header=BB77_6 Depth=1
	v_readlane_b32 s18, v132, 19
	v_readlane_b32 s19, v132, 20
	s_mov_b32 s18, s58
	v_mul_f64 v[8:9], v[4:5], s[18:19]
	v_rndne_f64_e32 v[10:11], v[8:9]
	s_mov_b32 s60, s52
	v_fma_f64 v[4:5], v[10:11], s[60:61], -v[4:5]
	s_mov_b32 s62, s54
	v_fmac_f64_e32 v[4:5], s[62:63], v[10:11]
	v_pk_mov_b32 v[8:9], v[32:33], v[32:33] op_sel:[0,1]
	v_fmac_f64_e32 v[8:9], s[64:65], v[4:5]
	v_pk_mov_b32 v[76:77], v[34:35], v[34:35] op_sel:[0,1]
	v_fmac_f64_e32 v[76:77], v[4:5], v[8:9]
	v_pk_mov_b32 v[8:9], v[36:37], v[36:37] op_sel:[0,1]
	v_fmac_f64_e32 v[8:9], v[4:5], v[76:77]
	v_pk_mov_b32 v[76:77], v[38:39], v[38:39] op_sel:[0,1]
	v_fmac_f64_e32 v[76:77], v[4:5], v[8:9]
	v_pk_mov_b32 v[8:9], v[40:41], v[40:41] op_sel:[0,1]
	v_fmac_f64_e32 v[8:9], v[4:5], v[76:77]
	v_pk_mov_b32 v[76:77], v[42:43], v[42:43] op_sel:[0,1]
	v_fmac_f64_e32 v[76:77], v[4:5], v[8:9]
	v_pk_mov_b32 v[8:9], v[44:45], v[44:45] op_sel:[0,1]
	v_fmac_f64_e32 v[8:9], v[4:5], v[76:77]
	v_pk_mov_b32 v[76:77], v[46:47], v[46:47] op_sel:[0,1]
	v_fmac_f64_e32 v[76:77], v[4:5], v[8:9]
	v_pk_mov_b32 v[78:79], v[48:49], v[48:49] op_sel:[0,1]
	v_fmac_f64_e32 v[78:79], v[4:5], v[76:77]
	v_fma_f64 v[76:77], v[4:5], v[78:79], 1.0
	v_fma_f64 v[4:5], v[4:5], v[76:77], 1.0
	v_cvt_i32_f64_e32 v7, v[10:11]
	s_mov_b32 s18, 0x44866000
	s_mov_b32 s23, s19
	v_mov_b32_e32 v8, 0
	v_ldexp_f64 v[4:5], v[4:5], v7
	v_cmp_nlt_f32_e32 vcc, s18, v6
	v_writelane_b32 v132, s22, 19
	v_mov_b32_e32 v9, 0x3ff00000
	v_mov_b32_e32 v80, 0
	v_cndmask_b32_e32 v11, 0, v5, vcc
	v_cndmask_b32_e32 v10, 0, v4, vcc
	s_mov_b32 s51, -1
	s_mov_b64 s[18:19], 0
	v_mov_b32_e32 v81, v12
	v_writelane_b32 v132, s23, 20
	s_branch .LBB77_41
.LBB77_40:                              ;   in Loop: Header=BB77_41 Depth=2
	s_or_b64 exec, exec, s[22:23]
	v_cmp_eq_u32_e32 vcc, 1, v17
	v_cndmask_b32_e32 v0, v0, v1, vcc
	v_cmp_eq_u32_e32 vcc, 2, v17
	v_cndmask_b32_e32 v0, v0, v2, vcc
	;; [unrolled: 2-line block ×6, first 2 shown]
	v_lshrrev_b32_e32 v0, 11, v0
	v_cvt_f64_u32_e32 v[0:1], v0
	v_ldexp_f64 v[0:1], v[0:1], 32
	v_cvt_f64_u32_e32 v[2:3], v2
	v_add_f64 v[0:1], v[0:1], v[2:3]
	v_mov_b32_e32 v2, 0
	v_mov_b32_e32 v3, 0x3ca00000
	v_fmac_f64_e32 v[2:3], 0x3ca00000, v[0:1]
	v_mul_f64 v[8:9], v[8:9], v[2:3]
	v_cmp_ngt_f64_e32 vcc, v[8:9], v[10:11]
	s_add_i32 s51, s51, 1
	s_or_b64 s[18:19], vcc, s[18:19]
	v_mov_b32_e32 v77, s51
	v_mov_b32_e32 v17, v83
	;; [unrolled: 1-line block ×6, first 2 shown]
	s_andn2_b64 exec, exec, s[18:19]
	s_cbranch_execz .LBB77_3
.LBB77_41:                              ;   Parent Loop BB77_6 Depth=1
                                        ; =>  This Inner Loop Header: Depth=2
	v_add_u32_e32 v82, 1, v17
	v_pk_mov_b32 v[6:7], v[2:3], v[2:3] op_sel:[0,1]
	v_cmp_eq_u32_e32 vcc, 4, v82
	v_pk_mov_b32 v[4:5], v[0:1], v[0:1] op_sel:[0,1]
	v_mov_b32_e32 v79, v0
	v_mov_b32_e32 v78, v1
	;; [unrolled: 1-line block ×4, first 2 shown]
	s_and_saveexec_b64 s[22:23], vcc
	s_cbranch_execz .LBB77_43
; %bb.42:                               ;   in Loop: Header=BB77_41 Depth=2
	v_add_co_u32_e32 v95, vcc, 1, v95
	v_cndmask_b32_e64 v4, 0, 1, vcc
	v_addc_co_u32_e32 v96, vcc, 0, v96, vcc
	v_cmp_eq_u32_e32 vcc, 0, v96
	v_cndmask_b32_e32 v4, 0, v4, vcc
	v_add_u32_e32 v81, v4, v81
	v_cmp_eq_u32_e32 vcc, 0, v81
	v_cndmask_b32_e32 v4, 0, v4, vcc
	v_add_u32_e32 v80, v4, v80
	v_mad_u64_u32 v[4:5], s[56:57], v95, s8, 0
	v_mad_u64_u32 v[6:7], s[56:57], v81, s33, 0
	v_xor_b32_e32 v5, v5, v75
	v_xor_b32_e32 v7, v7, v74
	v_xor_b32_e32 v5, v80, v5
	v_xor_b32_e32 v7, v96, v7
	v_mad_u64_u32 v[78:79], s[56:57], v5, s33, 0
	v_mad_u64_u32 v[76:77], s[56:57], v7, s8, 0
	v_xor_b32_e32 v5, v97, v79
	v_xor_b32_e32 v5, v5, v6
	v_xor_b32_e32 v6, v98, v77
	v_xor_b32_e32 v6, v6, v4
	;; [unrolled: 6-line block ×10, first 2 shown]
	v_mov_b32_e32 v82, 0
	v_mov_b32_e32 v5, v78
	;; [unrolled: 1-line block ×5, first 2 shown]
.LBB77_43:                              ;   in Loop: Header=BB77_41 Depth=2
	s_or_b64 exec, exec, s[22:23]
	v_add_u32_e32 v83, 1, v82
	v_cmp_eq_u32_e32 vcc, 4, v83
	s_and_saveexec_b64 s[22:23], vcc
	s_cbranch_execz .LBB77_40
; %bb.44:                               ;   in Loop: Header=BB77_41 Depth=2
	v_add_co_u32_e32 v95, vcc, 1, v95
	v_cndmask_b32_e64 v76, 0, 1, vcc
	v_addc_co_u32_e32 v96, vcc, 0, v96, vcc
	v_cmp_eq_u32_e32 vcc, 0, v96
	v_cndmask_b32_e32 v76, 0, v76, vcc
	v_add_u32_e32 v81, v76, v81
	v_cmp_eq_u32_e32 vcc, 0, v81
	v_cndmask_b32_e32 v76, 0, v76, vcc
	v_add_u32_e32 v80, v76, v80
	v_mad_u64_u32 v[76:77], s[56:57], v95, s8, 0
	v_mad_u64_u32 v[78:79], s[56:57], v81, s33, 0
	v_xor_b32_e32 v77, v77, v75
	v_xor_b32_e32 v79, v79, v74
	v_xor_b32_e32 v77, v80, v77
	v_xor_b32_e32 v79, v96, v79
	v_mad_u64_u32 v[86:87], s[56:57], v77, s33, 0
	v_mad_u64_u32 v[84:85], s[56:57], v79, s8, 0
	v_xor_b32_e32 v77, v97, v87
	v_xor_b32_e32 v77, v77, v78
	v_xor_b32_e32 v78, v98, v85
	v_xor_b32_e32 v78, v78, v76
	;; [unrolled: 6-line block ×9, first 2 shown]
	v_mad_u64_u32 v[76:77], s[56:57], v76, s8, 0
	v_mad_u64_u32 v[78:79], s[56:57], v78, s33, 0
	v_xor_b32_e32 v79, v79, v114
	v_xor_b32_e32 v77, v77, v88
	v_mov_b32_e32 v83, 0
	v_xor_b32_e32 v79, v103, v79
	v_xor_b32_e32 v84, v94, v77
	s_branch .LBB77_40
.LBB77_45:
	s_or_b64 exec, exec, s[6:7]
	s_and_b64 exec, exec, s[94:95]
	s_cbranch_execnz .LBB77_48
.LBB77_46:
	s_endpgm
.LBB77_47:
	s_mov_b64 s[94:95], -1
	s_and_b64 exec, exec, s[94:95]
	s_cbranch_execz .LBB77_46
.LBB77_48:
	s_trap 2
	; divergent unreachable
	s_endpgm
	.section	.rodata,"a",@progbits
	.p2align	6, 0x0
	.amdhsa_kernel _ZN2at4cuda12_GLOBAL__N_121kernelPointwiseApply2IZN12_GLOBAL__N_119poisson_cuda_kernelIfEEvRKNS_10TensorBaseES7_NS_15PhiloxCudaStateEEUlRfRKfE_ffmLi1ELi1ELi1ELi512ELi2EEEvNS0_6detail10TensorInfoIT0_T2_EENSE_IT1_SG_EESG_T_
		.amdhsa_group_segment_fixed_size 0
		.amdhsa_private_segment_fixed_size 0
		.amdhsa_kernarg_size 1128
		.amdhsa_user_sgpr_count 6
		.amdhsa_user_sgpr_private_segment_buffer 1
		.amdhsa_user_sgpr_dispatch_ptr 0
		.amdhsa_user_sgpr_queue_ptr 0
		.amdhsa_user_sgpr_kernarg_segment_ptr 1
		.amdhsa_user_sgpr_dispatch_id 0
		.amdhsa_user_sgpr_flat_scratch_init 0
		.amdhsa_user_sgpr_kernarg_preload_length 0
		.amdhsa_user_sgpr_kernarg_preload_offset 0
		.amdhsa_user_sgpr_private_segment_size 0
		.amdhsa_uses_dynamic_stack 0
		.amdhsa_system_sgpr_private_segment_wavefront_offset 0
		.amdhsa_system_sgpr_workgroup_id_x 1
		.amdhsa_system_sgpr_workgroup_id_y 0
		.amdhsa_system_sgpr_workgroup_id_z 0
		.amdhsa_system_sgpr_workgroup_info 0
		.amdhsa_system_vgpr_workitem_id 0
		.amdhsa_next_free_vgpr 133
		.amdhsa_next_free_sgpr 96
		.amdhsa_accum_offset 136
		.amdhsa_reserve_vcc 1
		.amdhsa_reserve_flat_scratch 0
		.amdhsa_float_round_mode_32 0
		.amdhsa_float_round_mode_16_64 0
		.amdhsa_float_denorm_mode_32 3
		.amdhsa_float_denorm_mode_16_64 3
		.amdhsa_dx10_clamp 1
		.amdhsa_ieee_mode 1
		.amdhsa_fp16_overflow 0
		.amdhsa_tg_split 0
		.amdhsa_exception_fp_ieee_invalid_op 0
		.amdhsa_exception_fp_denorm_src 0
		.amdhsa_exception_fp_ieee_div_zero 0
		.amdhsa_exception_fp_ieee_overflow 0
		.amdhsa_exception_fp_ieee_underflow 0
		.amdhsa_exception_fp_ieee_inexact 0
		.amdhsa_exception_int_div_zero 0
	.end_amdhsa_kernel
	.section	.text._ZN2at4cuda12_GLOBAL__N_121kernelPointwiseApply2IZN12_GLOBAL__N_119poisson_cuda_kernelIfEEvRKNS_10TensorBaseES7_NS_15PhiloxCudaStateEEUlRfRKfE_ffmLi1ELi1ELi1ELi512ELi2EEEvNS0_6detail10TensorInfoIT0_T2_EENSE_IT1_SG_EESG_T_,"axG",@progbits,_ZN2at4cuda12_GLOBAL__N_121kernelPointwiseApply2IZN12_GLOBAL__N_119poisson_cuda_kernelIfEEvRKNS_10TensorBaseES7_NS_15PhiloxCudaStateEEUlRfRKfE_ffmLi1ELi1ELi1ELi512ELi2EEEvNS0_6detail10TensorInfoIT0_T2_EENSE_IT1_SG_EESG_T_,comdat
.Lfunc_end77:
	.size	_ZN2at4cuda12_GLOBAL__N_121kernelPointwiseApply2IZN12_GLOBAL__N_119poisson_cuda_kernelIfEEvRKNS_10TensorBaseES7_NS_15PhiloxCudaStateEEUlRfRKfE_ffmLi1ELi1ELi1ELi512ELi2EEEvNS0_6detail10TensorInfoIT0_T2_EENSE_IT1_SG_EESG_T_, .Lfunc_end77-_ZN2at4cuda12_GLOBAL__N_121kernelPointwiseApply2IZN12_GLOBAL__N_119poisson_cuda_kernelIfEEvRKNS_10TensorBaseES7_NS_15PhiloxCudaStateEEUlRfRKfE_ffmLi1ELi1ELi1ELi512ELi2EEEvNS0_6detail10TensorInfoIT0_T2_EENSE_IT1_SG_EESG_T_
                                        ; -- End function
	.section	.AMDGPU.csdata,"",@progbits
; Kernel info:
; codeLenInByte = 13612
; NumSgprs: 100
; NumVgprs: 133
; NumAgprs: 0
; TotalNumVgprs: 133
; ScratchSize: 0
; MemoryBound: 0
; FloatMode: 240
; IeeeMode: 1
; LDSByteSize: 0 bytes/workgroup (compile time only)
; SGPRBlocks: 12
; VGPRBlocks: 16
; NumSGPRsForWavesPerEU: 100
; NumVGPRsForWavesPerEU: 133
; AccumOffset: 136
; Occupancy: 3
; WaveLimiterHint : 1
; COMPUTE_PGM_RSRC2:SCRATCH_EN: 0
; COMPUTE_PGM_RSRC2:USER_SGPR: 6
; COMPUTE_PGM_RSRC2:TRAP_HANDLER: 0
; COMPUTE_PGM_RSRC2:TGID_X_EN: 1
; COMPUTE_PGM_RSRC2:TGID_Y_EN: 0
; COMPUTE_PGM_RSRC2:TGID_Z_EN: 0
; COMPUTE_PGM_RSRC2:TIDIG_COMP_CNT: 0
; COMPUTE_PGM_RSRC3_GFX90A:ACCUM_OFFSET: 33
; COMPUTE_PGM_RSRC3_GFX90A:TG_SPLIT: 0
	.section	.text._ZN2at4cuda12_GLOBAL__N_121kernelPointwiseApply2IZN12_GLOBAL__N_119poisson_cuda_kernelIfEEvRKNS_10TensorBaseES7_NS_15PhiloxCudaStateEEUlRfRKfE_ffmLin1ELin1ELi1ELi512ELi2EEEvNS0_6detail10TensorInfoIT0_T2_EENSE_IT1_SG_EESG_T_,"axG",@progbits,_ZN2at4cuda12_GLOBAL__N_121kernelPointwiseApply2IZN12_GLOBAL__N_119poisson_cuda_kernelIfEEvRKNS_10TensorBaseES7_NS_15PhiloxCudaStateEEUlRfRKfE_ffmLin1ELin1ELi1ELi512ELi2EEEvNS0_6detail10TensorInfoIT0_T2_EENSE_IT1_SG_EESG_T_,comdat
	.globl	_ZN2at4cuda12_GLOBAL__N_121kernelPointwiseApply2IZN12_GLOBAL__N_119poisson_cuda_kernelIfEEvRKNS_10TensorBaseES7_NS_15PhiloxCudaStateEEUlRfRKfE_ffmLin1ELin1ELi1ELi512ELi2EEEvNS0_6detail10TensorInfoIT0_T2_EENSE_IT1_SG_EESG_T_ ; -- Begin function _ZN2at4cuda12_GLOBAL__N_121kernelPointwiseApply2IZN12_GLOBAL__N_119poisson_cuda_kernelIfEEvRKNS_10TensorBaseES7_NS_15PhiloxCudaStateEEUlRfRKfE_ffmLin1ELin1ELi1ELi512ELi2EEEvNS0_6detail10TensorInfoIT0_T2_EENSE_IT1_SG_EESG_T_
	.p2align	8
	.type	_ZN2at4cuda12_GLOBAL__N_121kernelPointwiseApply2IZN12_GLOBAL__N_119poisson_cuda_kernelIfEEvRKNS_10TensorBaseES7_NS_15PhiloxCudaStateEEUlRfRKfE_ffmLin1ELin1ELi1ELi512ELi2EEEvNS0_6detail10TensorInfoIT0_T2_EENSE_IT1_SG_EESG_T_,@function
_ZN2at4cuda12_GLOBAL__N_121kernelPointwiseApply2IZN12_GLOBAL__N_119poisson_cuda_kernelIfEEvRKNS_10TensorBaseES7_NS_15PhiloxCudaStateEEUlRfRKfE_ffmLin1ELin1ELi1ELi512ELi2EEEvNS0_6detail10TensorInfoIT0_T2_EENSE_IT1_SG_EESG_T_: ; @_ZN2at4cuda12_GLOBAL__N_121kernelPointwiseApply2IZN12_GLOBAL__N_119poisson_cuda_kernelIfEEvRKNS_10TensorBaseES7_NS_15PhiloxCudaStateEEUlRfRKfE_ffmLin1ELin1ELi1ELi512ELi2EEEvNS0_6detail10TensorInfoIT0_T2_EENSE_IT1_SG_EESG_T_
; %bb.0:
	s_load_dword s2, s[4:5], 0x374
	s_load_dwordx8 s[8:15], s[4:5], 0x340
	s_add_u32 s0, s4, 0x368
	s_addc_u32 s1, s5, 0
	v_mov_b32_e32 v14, 0
	s_waitcnt lgkmcnt(0)
	s_and_b32 s2, s2, 0xffff
	s_mul_i32 s6, s6, s2
	v_add_u32_e32 v12, s6, v0
	v_mov_b32_e32 v13, v14
	v_cmp_gt_u64_e32 vcc, s[8:9], v[12:13]
	s_and_saveexec_b64 s[6:7], vcc
	s_cbranch_execz .LBB78_63
; %bb.1:
	s_load_dword s3, s[0:1], 0x0
	s_load_dword s18, s[4:5], 0x198
	;; [unrolled: 1-line block ×4, first 2 shown]
	s_load_dwordx2 s[20:21], s[4:5], 0x1a0
                                        ; implicit-def: $vgpr134 : SGPR spill to VGPR lane
	s_add_u32 s16, s4, 0x1a0
	s_addc_u32 s17, s5, 0
	s_waitcnt lgkmcnt(0)
	s_cmp_gt_i32 s18, 1
                                        ; kill: killed $sgpr0 killed $sgpr1
	s_cselect_b64 s[0:1], -1, 0
	v_writelane_b32 v134, s20, 0
	v_writelane_b32 v134, s21, 1
	s_load_dwordx2 s[20:21], s[4:5], 0xd0
	s_cmp_gt_i32 s19, 1
	s_mov_b32 s33, 0xcd9e8d57
	s_mul_i32 s2, s3, s2
	s_mov_b32 s38, 0
	s_waitcnt lgkmcnt(0)
	v_writelane_b32 v134, s20, 2
	v_writelane_b32 v134, s21, 3
	;; [unrolled: 1-line block ×4, first 2 shown]
	s_load_dwordx2 s[0:1], s[4:5], 0x270
	s_mov_b32 s44, 0x55555555
	s_mov_b32 s46, 0x6b47b09a
	;; [unrolled: 1-line block ×4, first 2 shown]
	s_waitcnt lgkmcnt(0)
	v_writelane_b32 v134, s0, 6
	v_writelane_b32 v134, s1, 7
	s_cselect_b64 s[0:1], -1, 0
	v_writelane_b32 v134, s0, 8
	v_writelane_b32 v134, s1, 9
	s_load_dwordx2 s[0:1], s[4:5], 0x0
	s_mov_b32 s52, 0x16291751
	s_mov_b32 s54, 0x9b27acf1
	;; [unrolled: 1-line block ×4, first 2 shown]
	s_waitcnt lgkmcnt(0)
	v_writelane_b32 v134, s0, 10
	v_writelane_b32 v134, s1, 11
	s_getpc_b64 s[0:1]
	s_add_u32 s0, s0, .str@rel32@lo+4
	s_addc_u32 s1, s1, .str@rel32@hi+12
	s_cmp_eq_u64 s[0:1], 0
	s_cselect_b64 s[0:1], -1, 0
	s_bitcmp1_b32 s6, 0
	s_cselect_b64 s[6:7], -1, 0
	v_writelane_b32 v134, s6, 12
	v_writelane_b32 v134, s7, 13
	v_mad_u64_u32 v[16:17], s[6:7], v12, s33, 0
	v_writelane_b32 v134, s2, 14
	s_mov_b32 s6, 0
	s_add_i32 s2, s18, 1
	v_writelane_b32 v134, s2, 15
	s_add_i32 s2, s18, -1
	s_mov_b32 s3, s6
	s_lshl_b64 s[2:3], s[2:3], 3
	s_add_u32 s2, s2, s4
	s_addc_u32 s3, s3, s5
	s_add_u32 s2, s2, 8
	s_addc_u32 s3, s3, 0
	v_writelane_b32 v134, s2, 16
	v_writelane_b32 v134, s3, 17
	s_add_i32 s2, s19, 1
	v_writelane_b32 v134, s2, 18
	s_add_i32 s2, s19, -1
	s_mov_b32 s3, s6
	s_lshl_b64 s[2:3], s[2:3], 3
	s_add_u32 s2, s2, s16
	s_addc_u32 s3, s3, s17
	s_add_u32 s2, s2, 8
	s_addc_u32 s3, s3, 0
	v_writelane_b32 v134, s2, 19
	v_writelane_b32 v134, s3, 20
	s_xor_b64 s[0:1], s[0:1], -1
	v_writelane_b32 v134, s0, 21
	s_mov_b32 s62, 0x3b39803f
	s_mov_b32 s66, 0x652b82fe
	v_writelane_b32 v134, s1, 22
	s_mov_b32 s74, 0x6a5dcb37
	s_mov_b32 s76, 0
	;; [unrolled: 1-line block ×15, first 2 shown]
	s_movk_i32 s64, 0xf950
	s_mov_b32 s24, 0xc864beb5
	s_mov_b32 s18, 0
	;; [unrolled: 1-line block ×4, first 2 shown]
	s_mov_b64 s[26:27], 0
	v_mov_b32_e32 v18, v17
	s_mov_b32 s70, 0xd2511f53
	s_mov_b32 s39, 0x40080000
	;; [unrolled: 1-line block ×12, first 2 shown]
	s_movk_i32 s71, 0x204
	s_mov_b32 s67, 0x3ff71547
	s_mov_b32 s69, 0xbfe62e42
	v_mov_b32_e32 v20, 0x6b47b09a
	v_mov_b32_e32 v22, 0xd7f4df2e
	;; [unrolled: 1-line block ×26, first 2 shown]
	v_pk_mov_b32 v[72:73], v[12:13], v[12:13] op_sel:[0,1]
	v_mov_b32_e32 v13, 0x260
	v_mov_b32_e32 v17, 0xffffff80
	;; [unrolled: 1-line block ×32, first 2 shown]
	s_mov_b32 s73, 0xbc7abc9e
	s_mov_b32 s75, 0x3e5ade15
	;; [unrolled: 1-line block ×20, first 2 shown]
	v_writelane_b32 v134, s0, 23
	v_writelane_b32 v134, s1, 24
                                        ; implicit-def: $sgpr28_sgpr29
                                        ; implicit-def: $sgpr30_sgpr31
	s_branch .LBB78_5
.LBB78_2:                               ;   in Loop: Header=BB78_5 Depth=1
	s_or_b64 exec, exec, s[0:1]
.LBB78_3:                               ;   in Loop: Header=BB78_5 Depth=1
	s_or_b64 exec, exec, s[4:5]
	v_readlane_b32 s0, v134, 10
	v_cvt_f32_u32_e32 v3, v79
	v_lshlrev_b64 v[0:1], 2, v[74:75]
	v_readlane_b32 s1, v134, 11
	v_mov_b32_e32 v2, s1
	v_add_co_u32_e32 v0, vcc, s0, v0
	v_addc_co_u32_e32 v1, vcc, v2, v1, vcc
	s_mov_b32 s0, 0
	global_store_dword v[0:1], v3, off
	v_mov_b32_e32 v0, s0
	v_readlane_b32 s0, v134, 14
	v_add_co_u32_e32 v72, vcc, s0, v72
	v_addc_co_u32_e32 v73, vcc, v73, v0, vcc
	v_cmp_le_u64_e32 vcc, s[8:9], v[72:73]
	s_andn2_b64 s[30:31], s[30:31], exec
	s_orn2_b64 s[0:1], vcc, exec
.LBB78_4:                               ;   in Loop: Header=BB78_5 Depth=1
	s_or_b64 exec, exec, s[2:3]
	s_and_b64 s[0:1], exec, s[0:1]
	s_or_b64 s[26:27], s[0:1], s[26:27]
	s_andn2_b64 s[0:1], s[28:29], exec
	s_and_b64 s[2:3], s[30:31], exec
	s_or_b64 s[28:29], s[0:1], s[2:3]
	s_andn2_b64 exec, exec, s[26:27]
	s_cbranch_execz .LBB78_62
.LBB78_5:                               ; =>This Loop Header: Depth=1
                                        ;     Child Loop BB78_7 Depth 2
                                        ;     Child Loop BB78_16 Depth 2
	;; [unrolled: 1-line block ×4, first 2 shown]
	v_sub_u32_e32 v0, s8, v72
	v_cmp_lt_i32_e64 s[0:1], 0, v0
	v_pk_mov_b32 v[74:75], 0, 0
	s_and_saveexec_b64 s[4:5], s[0:1]
	s_cbranch_execz .LBB78_14
; %bb.6:                                ;   in Loop: Header=BB78_5 Depth=1
	v_readlane_b32 s2, v134, 4
	v_readlane_b32 s3, v134, 5
	;; [unrolled: 1-line block ×3, first 2 shown]
	s_andn2_b64 vcc, exec, s[2:3]
	v_pk_mov_b32 v[0:1], 0, 0
	v_readlane_b32 s7, v134, 17
	v_readlane_b32 s59, v134, 15
	v_pk_mov_b32 v[2:3], v[72:73], v[72:73] op_sel:[0,1]
	v_pk_mov_b32 v[4:5], v[72:73], v[72:73] op_sel:[0,1]
	s_cbranch_vccnz .LBB78_13
.LBB78_7:                               ;   Parent Loop BB78_5 Depth=1
                                        ; =>  This Inner Loop Header: Depth=2
	s_load_dwordx2 s[16:17], s[6:7], 0x0
                                        ; implicit-def: $vgpr4_vgpr5
	s_waitcnt lgkmcnt(0)
	v_or_b32_e32 v15, s17, v3
	v_cmp_ne_u64_e32 vcc, 0, v[14:15]
	s_and_saveexec_b64 s[2:3], vcc
	s_xor_b64 s[20:21], exec, s[2:3]
	s_cbranch_execz .LBB78_9
; %bb.8:                                ;   in Loop: Header=BB78_7 Depth=2
	v_cvt_f32_u32_e32 v4, s16
	v_cvt_f32_u32_e32 v5, s17
	s_sub_u32 s2, 0, s16
	s_subb_u32 s3, 0, s17
	v_mac_f32_e32 v4, 0x4f800000, v5
	v_rcp_f32_e32 v4, v4
	v_mul_f32_e32 v4, 0x5f7ffffc, v4
	v_mul_f32_e32 v5, 0x2f800000, v4
	v_trunc_f32_e32 v5, v5
	v_mac_f32_e32 v4, 0xcf800000, v5
	v_cvt_u32_f32_e32 v5, v5
	v_cvt_u32_f32_e32 v4, v4
	v_mul_lo_u32 v6, s2, v5
	v_mul_hi_u32 v8, s2, v4
	v_mul_lo_u32 v7, s3, v4
	v_add_u32_e32 v6, v8, v6
	v_mul_lo_u32 v9, s2, v4
	v_add_u32_e32 v6, v6, v7
	v_mul_hi_u32 v8, v4, v9
	v_mul_lo_u32 v10, v4, v6
	v_mul_hi_u32 v7, v4, v6
	v_add_co_u32_e32 v8, vcc, v8, v10
	v_addc_co_u32_e32 v7, vcc, 0, v7, vcc
	v_mul_hi_u32 v11, v5, v9
	v_mul_lo_u32 v9, v5, v9
	v_add_co_u32_e32 v8, vcc, v8, v9
	v_mul_hi_u32 v10, v5, v6
	v_addc_co_u32_e32 v7, vcc, v7, v11, vcc
	v_addc_co_u32_e32 v8, vcc, 0, v10, vcc
	v_mul_lo_u32 v6, v5, v6
	v_add_co_u32_e32 v6, vcc, v7, v6
	v_addc_co_u32_e32 v7, vcc, 0, v8, vcc
	v_add_co_u32_e32 v4, vcc, v4, v6
	v_addc_co_u32_e32 v5, vcc, v5, v7, vcc
	v_mul_lo_u32 v6, s2, v5
	v_mul_hi_u32 v7, s2, v4
	v_add_u32_e32 v6, v7, v6
	v_mul_lo_u32 v7, s3, v4
	v_add_u32_e32 v6, v6, v7
	v_mul_lo_u32 v8, s2, v4
	v_mul_hi_u32 v9, v5, v8
	v_mul_lo_u32 v10, v5, v8
	v_mul_lo_u32 v15, v4, v6
	v_mul_hi_u32 v8, v4, v8
	v_mul_hi_u32 v11, v4, v6
	v_add_co_u32_e32 v8, vcc, v8, v15
	v_addc_co_u32_e32 v11, vcc, 0, v11, vcc
	v_add_co_u32_e32 v8, vcc, v8, v10
	v_mul_hi_u32 v7, v5, v6
	v_addc_co_u32_e32 v8, vcc, v11, v9, vcc
	v_addc_co_u32_e32 v7, vcc, 0, v7, vcc
	v_mul_lo_u32 v6, v5, v6
	v_add_co_u32_e32 v6, vcc, v8, v6
	v_addc_co_u32_e32 v7, vcc, 0, v7, vcc
	v_add_co_u32_e32 v6, vcc, v4, v6
	v_addc_co_u32_e32 v7, vcc, v5, v7, vcc
	v_mad_u64_u32 v[4:5], s[2:3], v2, v7, 0
	v_mul_hi_u32 v8, v2, v6
	v_add_co_u32_e32 v8, vcc, v8, v4
	v_addc_co_u32_e32 v9, vcc, 0, v5, vcc
	v_mad_u64_u32 v[4:5], s[2:3], v3, v7, 0
	v_mad_u64_u32 v[6:7], s[2:3], v3, v6, 0
	v_add_co_u32_e32 v6, vcc, v8, v6
	v_addc_co_u32_e32 v6, vcc, v9, v7, vcc
	v_addc_co_u32_e32 v5, vcc, 0, v5, vcc
	v_add_co_u32_e32 v6, vcc, v6, v4
	v_addc_co_u32_e32 v7, vcc, 0, v5, vcc
	v_mul_lo_u32 v8, s17, v6
	v_mul_lo_u32 v9, s16, v7
	v_mad_u64_u32 v[4:5], s[2:3], s16, v6, 0
	v_add3_u32 v5, v5, v9, v8
	v_sub_u32_e32 v8, v3, v5
	v_mov_b32_e32 v9, s17
	v_sub_co_u32_e32 v4, vcc, v2, v4
	v_subb_co_u32_e64 v8, s[2:3], v8, v9, vcc
	v_subrev_co_u32_e64 v9, s[2:3], s16, v4
	v_subbrev_co_u32_e64 v8, s[2:3], 0, v8, s[2:3]
	v_cmp_le_u32_e64 s[2:3], s17, v8
	v_cndmask_b32_e64 v10, 0, -1, s[2:3]
	v_cmp_le_u32_e64 s[2:3], s16, v9
	v_cndmask_b32_e64 v9, 0, -1, s[2:3]
	v_cmp_eq_u32_e64 s[2:3], s17, v8
	v_cndmask_b32_e64 v8, v10, v9, s[2:3]
	v_add_co_u32_e64 v9, s[2:3], 2, v6
	v_addc_co_u32_e64 v10, s[2:3], 0, v7, s[2:3]
	v_add_co_u32_e64 v11, s[2:3], 1, v6
	v_addc_co_u32_e64 v15, s[2:3], 0, v7, s[2:3]
	v_subb_co_u32_e32 v5, vcc, v3, v5, vcc
	v_cmp_ne_u32_e64 s[2:3], 0, v8
	v_cmp_le_u32_e32 vcc, s17, v5
	v_cndmask_b32_e64 v8, v15, v10, s[2:3]
	v_cndmask_b32_e64 v10, 0, -1, vcc
	v_cmp_le_u32_e32 vcc, s16, v4
	v_cndmask_b32_e64 v4, 0, -1, vcc
	v_cmp_eq_u32_e32 vcc, s17, v5
	v_cndmask_b32_e32 v4, v10, v4, vcc
	v_cmp_ne_u32_e32 vcc, 0, v4
	v_cndmask_b32_e64 v4, v11, v9, s[2:3]
	v_cndmask_b32_e32 v5, v7, v8, vcc
	v_cndmask_b32_e32 v4, v6, v4, vcc
.LBB78_9:                               ;   in Loop: Header=BB78_7 Depth=2
	s_andn2_saveexec_b64 s[2:3], s[20:21]
	s_cbranch_execz .LBB78_11
; %bb.10:                               ;   in Loop: Header=BB78_7 Depth=2
	v_cvt_f32_u32_e32 v4, s16
	s_sub_i32 s20, 0, s16
	v_rcp_iflag_f32_e32 v4, v4
	v_mul_f32_e32 v4, 0x4f7ffffe, v4
	v_cvt_u32_f32_e32 v4, v4
	v_mul_lo_u32 v5, s20, v4
	v_mul_hi_u32 v5, v4, v5
	v_add_u32_e32 v4, v4, v5
	v_mul_hi_u32 v4, v2, v4
	v_mul_lo_u32 v5, v4, s16
	v_sub_u32_e32 v5, v2, v5
	v_add_u32_e32 v6, 1, v4
	v_subrev_u32_e32 v7, s16, v5
	v_cmp_le_u32_e32 vcc, s16, v5
	v_cndmask_b32_e32 v5, v5, v7, vcc
	v_cndmask_b32_e32 v4, v4, v6, vcc
	v_add_u32_e32 v6, 1, v4
	v_cmp_le_u32_e32 vcc, s16, v5
	v_cndmask_b32_e32 v4, v4, v6, vcc
	v_mov_b32_e32 v5, v14
.LBB78_11:                              ;   in Loop: Header=BB78_7 Depth=2
	s_or_b64 exec, exec, s[2:3]
	v_mad_u64_u32 v[6:7], s[2:3], v4, s16, 0
	s_load_dwordx2 s[2:3], s[6:7], 0xc8
	v_mul_lo_u32 v8, v5, s16
	v_mul_lo_u32 v9, v4, s17
	v_add3_u32 v7, v7, v9, v8
	v_sub_co_u32_e32 v2, vcc, v2, v6
	s_add_i32 s59, s59, -1
	v_subb_co_u32_e32 v3, vcc, v3, v7, vcc
	s_add_u32 s6, s6, -8
	s_waitcnt lgkmcnt(0)
	v_mul_lo_u32 v3, s2, v3
	v_mul_lo_u32 v6, s3, v2
	v_mad_u64_u32 v[0:1], s[2:3], s2, v2, v[0:1]
	s_addc_u32 s7, s7, -1
	s_cmp_gt_u32 s59, 2
	v_add3_u32 v1, v6, v1, v3
	s_cbranch_scc0 .LBB78_13
; %bb.12:                               ;   in Loop: Header=BB78_7 Depth=2
	v_pk_mov_b32 v[2:3], v[4:5], v[4:5] op_sel:[0,1]
	s_branch .LBB78_7
.LBB78_13:                              ;   in Loop: Header=BB78_5 Depth=1
	v_readlane_b32 s6, v134, 2
	v_readlane_b32 s7, v134, 3
	v_mad_u64_u32 v[74:75], s[2:3], s6, v4, v[0:1]
	v_mul_lo_u32 v0, s6, v5
	v_mul_lo_u32 v1, s7, v4
	v_add3_u32 v75, v1, v75, v0
.LBB78_14:                              ;   in Loop: Header=BB78_5 Depth=1
	s_or_b64 exec, exec, s[4:5]
	v_pk_mov_b32 v[0:1], 0, 0
	s_and_saveexec_b64 s[2:3], s[0:1]
	s_cbranch_execz .LBB78_23
; %bb.15:                               ;   in Loop: Header=BB78_5 Depth=1
	v_readlane_b32 s0, v134, 8
	v_readlane_b32 s1, v134, 9
	;; [unrolled: 1-line block ×3, first 2 shown]
	s_andn2_b64 vcc, exec, s[0:1]
	v_pk_mov_b32 v[0:1], 0, 0
	v_readlane_b32 s5, v134, 20
	v_readlane_b32 s20, v134, 18
	v_pk_mov_b32 v[2:3], v[72:73], v[72:73] op_sel:[0,1]
	v_pk_mov_b32 v[4:5], v[72:73], v[72:73] op_sel:[0,1]
	s_cbranch_vccnz .LBB78_22
.LBB78_16:                              ;   Parent Loop BB78_5 Depth=1
                                        ; =>  This Inner Loop Header: Depth=2
	s_load_dwordx2 s[6:7], s[4:5], 0x0
                                        ; implicit-def: $vgpr4_vgpr5
	s_waitcnt lgkmcnt(0)
	v_or_b32_e32 v15, s7, v3
	v_cmp_ne_u64_e32 vcc, 0, v[14:15]
	s_and_saveexec_b64 s[0:1], vcc
	s_xor_b64 s[16:17], exec, s[0:1]
	s_cbranch_execz .LBB78_18
; %bb.17:                               ;   in Loop: Header=BB78_16 Depth=2
	v_cvt_f32_u32_e32 v4, s6
	v_cvt_f32_u32_e32 v5, s7
	s_sub_u32 s0, 0, s6
	s_subb_u32 s1, 0, s7
	v_mac_f32_e32 v4, 0x4f800000, v5
	v_rcp_f32_e32 v4, v4
	v_mul_f32_e32 v4, 0x5f7ffffc, v4
	v_mul_f32_e32 v5, 0x2f800000, v4
	v_trunc_f32_e32 v5, v5
	v_mac_f32_e32 v4, 0xcf800000, v5
	v_cvt_u32_f32_e32 v5, v5
	v_cvt_u32_f32_e32 v4, v4
	v_mul_lo_u32 v6, s0, v5
	v_mul_hi_u32 v8, s0, v4
	v_mul_lo_u32 v7, s1, v4
	v_add_u32_e32 v6, v8, v6
	v_mul_lo_u32 v9, s0, v4
	v_add_u32_e32 v6, v6, v7
	v_mul_hi_u32 v8, v4, v9
	v_mul_lo_u32 v10, v4, v6
	v_mul_hi_u32 v7, v4, v6
	v_add_co_u32_e32 v8, vcc, v8, v10
	v_addc_co_u32_e32 v7, vcc, 0, v7, vcc
	v_mul_hi_u32 v11, v5, v9
	v_mul_lo_u32 v9, v5, v9
	v_add_co_u32_e32 v8, vcc, v8, v9
	v_mul_hi_u32 v10, v5, v6
	v_addc_co_u32_e32 v7, vcc, v7, v11, vcc
	v_addc_co_u32_e32 v8, vcc, 0, v10, vcc
	v_mul_lo_u32 v6, v5, v6
	v_add_co_u32_e32 v6, vcc, v7, v6
	v_addc_co_u32_e32 v7, vcc, 0, v8, vcc
	v_add_co_u32_e32 v4, vcc, v4, v6
	v_addc_co_u32_e32 v5, vcc, v5, v7, vcc
	v_mul_lo_u32 v6, s0, v5
	v_mul_hi_u32 v7, s0, v4
	v_add_u32_e32 v6, v7, v6
	v_mul_lo_u32 v7, s1, v4
	v_add_u32_e32 v6, v6, v7
	v_mul_lo_u32 v8, s0, v4
	v_mul_hi_u32 v9, v5, v8
	v_mul_lo_u32 v10, v5, v8
	v_mul_lo_u32 v15, v4, v6
	v_mul_hi_u32 v8, v4, v8
	v_mul_hi_u32 v11, v4, v6
	v_add_co_u32_e32 v8, vcc, v8, v15
	v_addc_co_u32_e32 v11, vcc, 0, v11, vcc
	v_add_co_u32_e32 v8, vcc, v8, v10
	v_mul_hi_u32 v7, v5, v6
	v_addc_co_u32_e32 v8, vcc, v11, v9, vcc
	v_addc_co_u32_e32 v7, vcc, 0, v7, vcc
	v_mul_lo_u32 v6, v5, v6
	v_add_co_u32_e32 v6, vcc, v8, v6
	v_addc_co_u32_e32 v7, vcc, 0, v7, vcc
	v_add_co_u32_e32 v6, vcc, v4, v6
	v_addc_co_u32_e32 v7, vcc, v5, v7, vcc
	v_mad_u64_u32 v[4:5], s[0:1], v2, v7, 0
	v_mul_hi_u32 v8, v2, v6
	v_add_co_u32_e32 v8, vcc, v8, v4
	v_addc_co_u32_e32 v9, vcc, 0, v5, vcc
	v_mad_u64_u32 v[4:5], s[0:1], v3, v7, 0
	v_mad_u64_u32 v[6:7], s[0:1], v3, v6, 0
	v_add_co_u32_e32 v6, vcc, v8, v6
	v_addc_co_u32_e32 v6, vcc, v9, v7, vcc
	v_addc_co_u32_e32 v5, vcc, 0, v5, vcc
	v_add_co_u32_e32 v6, vcc, v6, v4
	v_addc_co_u32_e32 v7, vcc, 0, v5, vcc
	v_mul_lo_u32 v8, s7, v6
	v_mul_lo_u32 v9, s6, v7
	v_mad_u64_u32 v[4:5], s[0:1], s6, v6, 0
	v_add3_u32 v5, v5, v9, v8
	v_sub_u32_e32 v8, v3, v5
	v_mov_b32_e32 v9, s7
	v_sub_co_u32_e32 v4, vcc, v2, v4
	v_subb_co_u32_e64 v8, s[0:1], v8, v9, vcc
	v_subrev_co_u32_e64 v9, s[0:1], s6, v4
	v_subbrev_co_u32_e64 v8, s[0:1], 0, v8, s[0:1]
	v_cmp_le_u32_e64 s[0:1], s7, v8
	v_cndmask_b32_e64 v10, 0, -1, s[0:1]
	v_cmp_le_u32_e64 s[0:1], s6, v9
	v_cndmask_b32_e64 v9, 0, -1, s[0:1]
	v_cmp_eq_u32_e64 s[0:1], s7, v8
	v_cndmask_b32_e64 v8, v10, v9, s[0:1]
	v_add_co_u32_e64 v9, s[0:1], 2, v6
	v_addc_co_u32_e64 v10, s[0:1], 0, v7, s[0:1]
	v_add_co_u32_e64 v11, s[0:1], 1, v6
	v_addc_co_u32_e64 v15, s[0:1], 0, v7, s[0:1]
	v_subb_co_u32_e32 v5, vcc, v3, v5, vcc
	v_cmp_ne_u32_e64 s[0:1], 0, v8
	v_cmp_le_u32_e32 vcc, s7, v5
	v_cndmask_b32_e64 v8, v15, v10, s[0:1]
	v_cndmask_b32_e64 v10, 0, -1, vcc
	v_cmp_le_u32_e32 vcc, s6, v4
	v_cndmask_b32_e64 v4, 0, -1, vcc
	v_cmp_eq_u32_e32 vcc, s7, v5
	v_cndmask_b32_e32 v4, v10, v4, vcc
	v_cmp_ne_u32_e32 vcc, 0, v4
	v_cndmask_b32_e64 v4, v11, v9, s[0:1]
	v_cndmask_b32_e32 v5, v7, v8, vcc
	v_cndmask_b32_e32 v4, v6, v4, vcc
.LBB78_18:                              ;   in Loop: Header=BB78_16 Depth=2
	s_andn2_saveexec_b64 s[0:1], s[16:17]
	s_cbranch_execz .LBB78_20
; %bb.19:                               ;   in Loop: Header=BB78_16 Depth=2
	v_cvt_f32_u32_e32 v4, s6
	s_sub_i32 s16, 0, s6
	v_rcp_iflag_f32_e32 v4, v4
	v_mul_f32_e32 v4, 0x4f7ffffe, v4
	v_cvt_u32_f32_e32 v4, v4
	v_mul_lo_u32 v5, s16, v4
	v_mul_hi_u32 v5, v4, v5
	v_add_u32_e32 v4, v4, v5
	v_mul_hi_u32 v4, v2, v4
	v_mul_lo_u32 v5, v4, s6
	v_sub_u32_e32 v5, v2, v5
	v_add_u32_e32 v6, 1, v4
	v_subrev_u32_e32 v7, s6, v5
	v_cmp_le_u32_e32 vcc, s6, v5
	v_cndmask_b32_e32 v5, v5, v7, vcc
	v_cndmask_b32_e32 v4, v4, v6, vcc
	v_add_u32_e32 v6, 1, v4
	v_cmp_le_u32_e32 vcc, s6, v5
	v_cndmask_b32_e32 v4, v4, v6, vcc
	v_mov_b32_e32 v5, v14
.LBB78_20:                              ;   in Loop: Header=BB78_16 Depth=2
	s_or_b64 exec, exec, s[0:1]
	v_mad_u64_u32 v[6:7], s[0:1], v4, s6, 0
	s_load_dwordx2 s[0:1], s[4:5], 0xc8
	v_mul_lo_u32 v8, v5, s6
	v_mul_lo_u32 v9, v4, s7
	v_add3_u32 v7, v7, v9, v8
	v_sub_co_u32_e32 v2, vcc, v2, v6
	s_add_i32 s20, s20, -1
	v_subb_co_u32_e32 v3, vcc, v3, v7, vcc
	s_add_u32 s4, s4, -8
	s_waitcnt lgkmcnt(0)
	v_mul_lo_u32 v3, s0, v3
	v_mul_lo_u32 v6, s1, v2
	v_mad_u64_u32 v[0:1], s[0:1], s0, v2, v[0:1]
	s_addc_u32 s5, s5, -1
	s_cmp_gt_u32 s20, 2
	v_add3_u32 v1, v6, v1, v3
	s_cbranch_scc0 .LBB78_22
; %bb.21:                               ;   in Loop: Header=BB78_16 Depth=2
	v_pk_mov_b32 v[2:3], v[4:5], v[4:5] op_sel:[0,1]
	s_branch .LBB78_16
.LBB78_22:                              ;   in Loop: Header=BB78_5 Depth=1
	v_readlane_b32 s4, v134, 6
	v_readlane_b32 s5, v134, 7
	v_mad_u64_u32 v[0:1], s[0:1], s4, v4, v[0:1]
	v_mul_lo_u32 v2, s4, v5
	v_mul_lo_u32 v3, s5, v4
	v_add3_u32 v1, v3, v1, v2
.LBB78_23:                              ;   in Loop: Header=BB78_5 Depth=1
	s_or_b64 exec, exec, s[2:3]
	v_readlane_b32 s0, v134, 0
	v_lshlrev_b64 v[0:1], 2, v[0:1]
	v_readlane_b32 s1, v134, 1
	v_mov_b32_e32 v2, s1
	v_add_co_u32_e32 v0, vcc, s0, v0
	v_addc_co_u32_e32 v1, vcc, v2, v1, vcc
	global_load_dword v6, v[0:1], off
	v_readlane_b32 s2, v134, 21
	v_readlane_b32 s3, v134, 22
	s_mov_b64 s[0:1], -1
	s_or_b64 s[30:31], s[30:31], exec
	s_waitcnt vmcnt(0)
	v_cmp_le_f32_e32 vcc, 0, v6
	s_and_b64 s[4:5], s[2:3], vcc
	s_and_saveexec_b64 s[2:3], s[4:5]
	s_cbranch_execz .LBB78_4
; %bb.24:                               ;   in Loop: Header=BB78_5 Depth=1
	v_readlane_b32 s0, v134, 12
	v_readlane_b32 s1, v134, 13
	s_andn2_b64 vcc, exec, s[0:1]
	v_pk_mov_b32 v[0:1], s[12:13], s[12:13] op_sel:[0,1]
	v_pk_mov_b32 v[76:77], s[10:11], s[10:11] op_sel:[0,1]
	s_cbranch_vccnz .LBB78_26
; %bb.25:                               ;   in Loop: Header=BB78_5 Depth=1
	v_pk_mov_b32 v[0:1], s[12:13], s[12:13] op_sel:[0,1]
	flat_load_dwordx2 v[0:1], v[0:1]
	v_pk_mov_b32 v[2:3], s[10:11], s[10:11] op_sel:[0,1]
	flat_load_dwordx2 v[76:77], v[2:3]
	v_mov_b32_e32 v2, s15
	s_waitcnt vmcnt(0) lgkmcnt(0)
	v_add_co_u32_e32 v0, vcc, s14, v0
	v_addc_co_u32_e32 v1, vcc, v1, v2, vcc
.LBB78_26:                              ;   in Loop: Header=BB78_5 Depth=1
	v_alignbit_b32 v96, v1, v0, 2
	v_and_b32_e32 v15, 3, v0
	v_lshrrev_b32_e32 v97, 2, v1
	v_mad_u64_u32 v[0:1], s[0:1], v96, s70, 0
	v_xor_b32_e32 v3, v18, v76
	v_mov_b32_e32 v2, v77
	v_xor_b32_e32 v1, v1, v77
	s_mov_b32 s0, 0xbb67ae85
	v_xor_b32_e32 v3, v3, v97
	v_add_co_u32_e32 v99, vcc, s0, v2
	v_mad_u64_u32 v[4:5], s[0:1], v3, s70, 0
	v_mad_u64_u32 v[8:9], s[0:1], v1, s33, 0
	v_add_co_u32_e32 v98, vcc, 0x9e3779b9, v76
	v_xor_b32_e32 v1, v16, v9
	v_xor_b32_e32 v3, v99, v5
	s_mov_b32 s0, 0x3c6ef372
	v_xor_b32_e32 v1, v1, v98
	v_xor_b32_e32 v3, v3, v0
	v_add_co_u32_e32 v100, vcc, s0, v76
	s_mov_b32 s0, 0x76cf5d0a
	v_add_co_u32_e32 v101, vcc, s0, v2
	v_mad_u64_u32 v[0:1], s[0:1], v1, s70, 0
	v_mad_u64_u32 v[10:11], s[0:1], v3, s33, 0
	v_xor_b32_e32 v3, v100, v11
	v_xor_b32_e32 v1, v101, v1
	s_mov_b32 s0, 0xdaa66d2b
	v_xor_b32_e32 v3, v3, v8
	v_xor_b32_e32 v1, v1, v4
	v_add_co_u32_e32 v103, vcc, s0, v76
	s_mov_b32 s0, 0x32370b8f
	v_add_co_u32_e32 v104, vcc, s0, v2
	v_mad_u64_u32 v[4:5], s[0:1], v3, s70, 0
	v_mad_u64_u32 v[8:9], s[0:1], v1, s33, 0
	;; [unrolled: 10-line block ×7, first 2 shown]
	v_xor_b32_e32 v1, v102, v1
	v_xor_b32_e32 v3, v114, v3
	;; [unrolled: 1-line block ×4, first 2 shown]
	v_mad_u64_u32 v[4:5], s[0:1], v1, s70, 0
	v_mad_u64_u32 v[8:9], s[0:1], v7, s33, 0
	v_add_u32_e32 v105, 0x8ff34781, v76
	v_add_u32_e32 v95, 0x96a522ad, v77
	v_xor_b32_e32 v0, v9, v0
	v_xor_b32_e32 v2, v5, v2
	s_mov_b32 s0, 0x42800000
	v_mov_b32_e32 v3, v4
	v_mov_b32_e32 v1, v8
	v_xor_b32_e32 v0, v105, v0
	v_xor_b32_e32 v2, v95, v2
	v_cvt_f64_f32_e32 v[4:5], v6
	v_cmp_ngt_f32_e32 vcc, s0, v6
                                        ; implicit-def: $vgpr79
	s_and_saveexec_b64 s[0:1], vcc
	s_xor_b64 s[16:17], exec, s[0:1]
	s_cbranch_execz .LBB78_55
; %bb.27:                               ;   in Loop: Header=BB78_5 Depth=1
	s_mov_b32 s0, 0x457a0000
	v_cmp_ge_f32_e32 vcc, s0, v6
                                        ; implicit-def: $vgpr79
	s_and_saveexec_b64 s[0:1], vcc
	s_xor_b64 s[0:1], exec, s[0:1]
	s_cbranch_execz .LBB78_42
; %bb.28:                               ;   in Loop: Header=BB78_5 Depth=1
	s_mov_b32 s4, 0xae147ae1
	v_writelane_b32 v134, s0, 25
	s_mov_b32 s5, 0xc00ae147
	v_writelane_b32 v134, s1, 26
	v_div_scale_f64 v[6:7], s[0:1], v[4:5], v[4:5], s[4:5]
	v_rcp_f64_e32 v[8:9], v[6:7]
	s_mov_b32 s0, 0
	v_mul_f64 v[80:81], v[4:5], s[38:39]
	s_brev_b32 s1, 8
	v_cmp_gt_f64_e64 s[0:1], s[0:1], v[80:81]
	v_cndmask_b32_e64 v82, 0, 1, s[0:1]
	v_fma_f64 v[78:79], -v[6:7], v[8:9], 1.0
	v_lshlrev_b32_e32 v82, 8, v82
	v_fmac_f64_e32 v[8:9], v[8:9], v[78:79]
	v_ldexp_f64 v[80:81], v[80:81], v82
	v_fma_f64 v[78:79], -v[6:7], v[8:9], 1.0
	v_rsq_f64_e32 v[82:83], v[80:81]
	v_div_scale_f64 v[10:11], vcc, s[4:5], v[4:5], s[4:5]
	v_fmac_f64_e32 v[8:9], v[8:9], v[78:79]
	v_mul_f64 v[78:79], v[10:11], v[8:9]
	v_fma_f64 v[6:7], -v[6:7], v[78:79], v[10:11]
	s_nop 0
	v_div_fmas_f64 v[6:7], v[6:7], v[8:9], v[78:79]
	v_mul_f64 v[8:9], v[80:81], v[82:83]
	v_mul_f64 v[10:11], v[82:83], 0.5
	v_fma_f64 v[78:79], -v[10:11], v[8:9], 0.5
	v_fmac_f64_e32 v[8:9], v[8:9], v[78:79]
	v_fma_f64 v[82:83], -v[8:9], v[8:9], v[80:81]
	v_fmac_f64_e32 v[10:11], v[10:11], v[78:79]
	v_fmac_f64_e32 v[8:9], v[82:83], v[10:11]
	v_fma_f64 v[78:79], -v[8:9], v[8:9], v[80:81]
	v_fmac_f64_e32 v[8:9], v[78:79], v[10:11]
	v_cndmask_b32_e64 v10, 0, v17, s[0:1]
	v_ldexp_f64 v[8:9], v[8:9], v10
	v_cmp_class_f64_e32 vcc, v[80:81], v13
	s_mov_b32 s6, 0x54442d18
	v_cndmask_b32_e32 v9, v9, v81, vcc
	v_cndmask_b32_e32 v8, v8, v80, vcc
	s_mov_b32 s7, 0x400921fb
	v_div_scale_f64 v[10:11], s[0:1], v[8:9], v[8:9], s[6:7]
	v_rcp_f64_e32 v[80:81], v[10:11]
	s_mov_b32 s0, 0x95810625
	v_div_fixup_f64 v[6:7], v[6:7], v[4:5], s[4:5]
	s_mov_b32 s1, 0x3fe88b43
	v_fma_f64 v[82:83], -v[10:11], v[80:81], 1.0
	v_fmac_f64_e32 v[80:81], v[80:81], v[82:83]
	v_fma_f64 v[82:83], -v[10:11], v[80:81], 1.0
	v_fmac_f64_e32 v[80:81], v[80:81], v[82:83]
	v_div_scale_f64 v[82:83], vcc, s[6:7], v[8:9], s[6:7]
	v_mul_f64 v[84:85], v[82:83], v[80:81]
	v_fma_f64 v[10:11], -v[10:11], v[84:85], v[82:83]
	v_add_f64 v[6:7], v[6:7], s[0:1]
	s_nop 0
	v_div_fmas_f64 v[10:11], v[10:11], v[80:81], v[84:85]
	v_div_fixup_f64 v[80:81], v[10:11], v[8:9], s[6:7]
	v_frexp_mant_f64_e32 v[8:9], v[6:7]
	v_cmp_gt_f64_e32 vcc, s[44:45], v[8:9]
	v_mov_b32_e32 v78, 0
	v_cndmask_b32_e64 v79, v19, 2.0, vcc
	v_frexp_exp_i32_f64_e32 v10, v[6:7]
	v_mul_f64 v[8:9], v[8:9], v[78:79]
	v_subbrev_co_u32_e32 v79, vcc, 0, v10, vcc
	v_add_f64 v[10:11], v[8:9], 1.0
	v_rcp_f64_e32 v[84:85], v[10:11]
	v_add_f64 v[88:89], v[10:11], -1.0
	v_add_f64 v[86:87], v[8:9], -1.0
	v_add_f64 v[8:9], v[8:9], -v[88:89]
	v_fma_f64 v[88:89], -v[10:11], v[84:85], 1.0
	v_fmac_f64_e32 v[84:85], v[88:89], v[84:85]
	v_fma_f64 v[88:89], -v[10:11], v[84:85], 1.0
	v_fmac_f64_e32 v[84:85], v[88:89], v[84:85]
	v_mul_f64 v[88:89], v[86:87], v[84:85]
	v_mul_f64 v[90:91], v[10:11], v[88:89]
	v_fma_f64 v[10:11], v[88:89], v[10:11], -v[90:91]
	v_fmac_f64_e32 v[10:11], v[88:89], v[8:9]
	v_add_f64 v[8:9], v[90:91], v[10:11]
	v_add_f64 v[116:117], v[86:87], -v[8:9]
	v_add_f64 v[90:91], v[8:9], -v[90:91]
	;; [unrolled: 1-line block ×5, first 2 shown]
	v_add_f64 v[8:9], v[10:11], v[8:9]
	v_add_f64 v[8:9], v[116:117], v[8:9]
	v_mul_f64 v[8:9], v[84:85], v[8:9]
	v_add_f64 v[10:11], v[88:89], v[8:9]
	v_add_f64 v[84:85], v[10:11], -v[88:89]
	v_add_f64 v[8:9], v[8:9], -v[84:85]
	v_mul_f64 v[84:85], v[10:11], v[10:11]
	v_pk_mov_b32 v[86:87], s[46:47], s[46:47] op_sel:[0,1]
	v_fma_f64 v[88:89], s[48:49], v[84:85], v[86:87]
	v_fma_f64 v[88:89], v[84:85], v[88:89], s[50:51]
	;; [unrolled: 1-line block ×5, first 2 shown]
	s_mov_b32 s59, s45
	v_fma_f64 v[88:89], v[84:85], v[88:89], s[58:59]
	v_ldexp_f64 v[90:91], v[10:11], 1
	v_mul_f64 v[10:11], v[10:11], v[84:85]
	v_mul_f64 v[10:11], v[10:11], v[88:89]
	v_add_f64 v[84:85], v[90:91], v[10:11]
	v_add_f64 v[88:89], v[84:85], -v[90:91]
	v_ldexp_f64 v[8:9], v[8:9], 1
	v_add_f64 v[10:11], v[10:11], -v[88:89]
	v_add_f64 v[8:9], v[8:9], v[10:11]
	v_add_f64 v[10:11], v[84:85], v[8:9]
	v_add_f64 v[84:85], v[10:11], -v[84:85]
	v_add_f64 v[8:9], v[8:9], -v[84:85]
	v_cvt_f64_i32_e32 v[84:85], v79
	v_mul_f64 v[88:89], v[84:85], s[60:61]
	v_fma_f64 v[90:91], v[84:85], s[60:61], -v[88:89]
	v_fmac_f64_e32 v[90:91], s[62:63], v[84:85]
	v_add_f64 v[84:85], v[88:89], v[90:91]
	v_add_f64 v[88:89], v[84:85], -v[88:89]
	v_add_f64 v[88:89], v[90:91], -v[88:89]
	v_add_f64 v[90:91], v[84:85], v[10:11]
	v_add_f64 v[116:117], v[90:91], -v[84:85]
	v_add_f64 v[118:119], v[90:91], -v[116:117]
	;; [unrolled: 1-line block ×4, first 2 shown]
	v_add_f64 v[10:11], v[10:11], v[84:85]
	v_add_f64 v[84:85], v[88:89], v[8:9]
	v_add_f64 v[116:117], v[84:85], -v[88:89]
	v_add_f64 v[118:119], v[84:85], -v[116:117]
	v_add_f64 v[10:11], v[84:85], v[10:11]
	v_add_f64 v[88:89], v[88:89], -v[118:119]
	v_add_f64 v[8:9], v[8:9], -v[116:117]
	v_add_f64 v[84:85], v[90:91], v[10:11]
	v_add_f64 v[8:9], v[8:9], v[88:89]
	v_add_f64 v[88:89], v[84:85], -v[90:91]
	v_add_f64 v[10:11], v[10:11], -v[88:89]
	v_add_f64 v[8:9], v[8:9], v[10:11]
	v_add_f64 v[8:9], v[84:85], v[8:9]
	v_cmp_class_f64_e64 vcc, v[6:7], s71
	v_cndmask_b32_e32 v8, v8, v6, vcc
	v_cndmask_b32_e32 v9, v9, v7, vcc
	v_cmp_ngt_f64_e32 vcc, 0, v[6:7]
	v_cndmask_b32_e32 v9, v92, v9, vcc
	v_cmp_nge_f64_e32 vcc, 0, v[6:7]
	v_cndmask_b32_e32 v8, 0, v8, vcc
	v_cmp_neq_f64_e32 vcc, 0, v[6:7]
	v_cndmask_b32_e32 v9, v93, v9, vcc
	v_add_f64 v[6:7], v[8:9], -v[4:5]
	v_frexp_mant_f64_e32 v[8:9], v[80:81]
	v_cmp_gt_f64_e32 vcc, s[44:45], v[8:9]
	v_cndmask_b32_e64 v79, v19, 2.0, vcc
	v_frexp_exp_i32_f64_e32 v10, v[80:81]
	v_mul_f64 v[8:9], v[8:9], v[78:79]
	v_subbrev_co_u32_e32 v79, vcc, 0, v10, vcc
	v_add_f64 v[10:11], v[8:9], 1.0
	v_rcp_f64_e32 v[84:85], v[10:11]
	v_add_f64 v[90:91], v[10:11], -1.0
	v_add_f64 v[88:89], v[8:9], -1.0
	v_add_f64 v[8:9], v[8:9], -v[90:91]
	v_fma_f64 v[90:91], -v[10:11], v[84:85], 1.0
	v_fmac_f64_e32 v[84:85], v[90:91], v[84:85]
	v_fma_f64 v[90:91], -v[10:11], v[84:85], 1.0
	v_fmac_f64_e32 v[84:85], v[90:91], v[84:85]
	v_mul_f64 v[90:91], v[88:89], v[84:85]
	v_mul_f64 v[116:117], v[10:11], v[90:91]
	v_fma_f64 v[10:11], v[90:91], v[10:11], -v[116:117]
	v_fmac_f64_e32 v[10:11], v[90:91], v[8:9]
	v_add_f64 v[8:9], v[116:117], v[10:11]
	v_add_f64 v[118:119], v[88:89], -v[8:9]
	v_add_f64 v[116:117], v[8:9], -v[116:117]
	;; [unrolled: 1-line block ×5, first 2 shown]
	v_add_f64 v[8:9], v[10:11], v[8:9]
	v_add_f64 v[8:9], v[118:119], v[8:9]
	v_mul_f64 v[8:9], v[84:85], v[8:9]
	v_add_f64 v[10:11], v[90:91], v[8:9]
	v_add_f64 v[84:85], v[10:11], -v[90:91]
	v_add_f64 v[8:9], v[8:9], -v[84:85]
	v_mul_f64 v[84:85], v[10:11], v[10:11]
	v_fma_f64 v[88:89], s[48:49], v[84:85], v[86:87]
	v_fma_f64 v[88:89], v[84:85], v[88:89], s[50:51]
	;; [unrolled: 1-line block ×6, first 2 shown]
	v_ldexp_f64 v[90:91], v[10:11], 1
	v_mul_f64 v[10:11], v[10:11], v[84:85]
	v_mul_f64 v[10:11], v[10:11], v[88:89]
	v_add_f64 v[84:85], v[90:91], v[10:11]
	v_add_f64 v[88:89], v[84:85], -v[90:91]
	v_ldexp_f64 v[8:9], v[8:9], 1
	v_add_f64 v[10:11], v[10:11], -v[88:89]
	v_add_f64 v[8:9], v[8:9], v[10:11]
	v_add_f64 v[10:11], v[84:85], v[8:9]
	v_add_f64 v[84:85], v[10:11], -v[84:85]
	v_add_f64 v[8:9], v[8:9], -v[84:85]
	v_cvt_f64_i32_e32 v[84:85], v79
	v_mul_f64 v[88:89], v[84:85], s[60:61]
	v_fma_f64 v[90:91], v[84:85], s[60:61], -v[88:89]
	v_fmac_f64_e32 v[90:91], s[62:63], v[84:85]
	v_add_f64 v[84:85], v[88:89], v[90:91]
	v_add_f64 v[88:89], v[84:85], -v[88:89]
	v_add_f64 v[88:89], v[90:91], -v[88:89]
	v_add_f64 v[90:91], v[84:85], v[10:11]
	v_add_f64 v[116:117], v[90:91], -v[84:85]
	v_add_f64 v[118:119], v[90:91], -v[116:117]
	;; [unrolled: 1-line block ×4, first 2 shown]
	v_add_f64 v[10:11], v[10:11], v[84:85]
	v_add_f64 v[84:85], v[88:89], v[8:9]
	v_add_f64 v[116:117], v[84:85], -v[88:89]
	v_add_f64 v[118:119], v[84:85], -v[116:117]
	v_add_f64 v[10:11], v[84:85], v[10:11]
	v_add_f64 v[88:89], v[88:89], -v[118:119]
	v_add_f64 v[8:9], v[8:9], -v[116:117]
	v_add_f64 v[84:85], v[90:91], v[10:11]
	v_add_f64 v[8:9], v[8:9], v[88:89]
	v_add_f64 v[88:89], v[84:85], -v[90:91]
	v_add_f64 v[10:11], v[10:11], -v[88:89]
	s_mov_b32 s0, 0
	v_add_f64 v[8:9], v[8:9], v[10:11]
	s_mov_b32 s1, 0x7ff00000
	v_add_f64 v[8:9], v[84:85], v[8:9]
	v_cmp_eq_f64_e32 vcc, s[0:1], v[80:81]
	v_cndmask_b32_e32 v8, v8, v80, vcc
	v_cndmask_b32_e32 v9, v9, v81, vcc
	v_cmp_neq_f64_e32 vcc, 0, v[80:81]
	v_cndmask_b32_e32 v9, v93, v9, vcc
	v_cndmask_b32_e32 v8, 0, v8, vcc
	v_mul_f64 v[82:83], v[80:81], v[4:5]
	v_add_f64 v[84:85], v[6:7], -v[8:9]
	v_frexp_exp_i32_f64_e32 v6, v[4:5]
	v_frexp_mant_f64_e32 v[4:5], v[4:5]
	v_cmp_gt_f64_e32 vcc, s[44:45], v[4:5]
	v_cndmask_b32_e64 v79, v19, 2.0, vcc
	v_mul_f64 v[4:5], v[4:5], v[78:79]
	v_subbrev_co_u32_e32 v79, vcc, 0, v6, vcc
	v_add_f64 v[6:7], v[4:5], 1.0
	v_rcp_f64_e32 v[8:9], v[6:7]
	v_add_f64 v[88:89], v[6:7], -1.0
	v_add_f64 v[10:11], v[4:5], -1.0
	v_add_f64 v[4:5], v[4:5], -v[88:89]
	v_fma_f64 v[88:89], -v[6:7], v[8:9], 1.0
	v_fmac_f64_e32 v[8:9], v[88:89], v[8:9]
	v_fma_f64 v[88:89], -v[6:7], v[8:9], 1.0
	v_fmac_f64_e32 v[8:9], v[88:89], v[8:9]
	v_mul_f64 v[88:89], v[10:11], v[8:9]
	v_mul_f64 v[90:91], v[6:7], v[88:89]
	v_fma_f64 v[6:7], v[88:89], v[6:7], -v[90:91]
	v_fmac_f64_e32 v[6:7], v[88:89], v[4:5]
	v_add_f64 v[4:5], v[90:91], v[6:7]
	v_add_f64 v[116:117], v[10:11], -v[4:5]
	v_add_f64 v[90:91], v[4:5], -v[90:91]
	;; [unrolled: 1-line block ×5, first 2 shown]
	v_add_f64 v[4:5], v[6:7], v[4:5]
	v_add_f64 v[4:5], v[116:117], v[4:5]
	v_mul_f64 v[4:5], v[8:9], v[4:5]
	v_add_f64 v[6:7], v[88:89], v[4:5]
	v_add_f64 v[8:9], v[6:7], -v[88:89]
	v_add_f64 v[4:5], v[4:5], -v[8:9]
	v_mul_f64 v[8:9], v[6:7], v[6:7]
	v_fmac_f64_e32 v[86:87], s[48:49], v[8:9]
	v_fma_f64 v[10:11], v[8:9], v[86:87], s[50:51]
	v_fma_f64 v[10:11], v[8:9], v[10:11], s[52:53]
	;; [unrolled: 1-line block ×5, first 2 shown]
	v_ldexp_f64 v[86:87], v[6:7], 1
	v_mul_f64 v[6:7], v[6:7], v[8:9]
	v_mul_f64 v[6:7], v[6:7], v[10:11]
	v_add_f64 v[8:9], v[86:87], v[6:7]
	v_add_f64 v[10:11], v[8:9], -v[86:87]
	v_ldexp_f64 v[4:5], v[4:5], 1
	v_add_f64 v[6:7], v[6:7], -v[10:11]
	v_add_f64 v[4:5], v[4:5], v[6:7]
	v_add_f64 v[6:7], v[8:9], v[4:5]
	v_add_f64 v[8:9], v[6:7], -v[8:9]
	v_add_f64 v[4:5], v[4:5], -v[8:9]
	v_cvt_f64_i32_e32 v[8:9], v79
	v_mul_f64 v[10:11], v[8:9], s[60:61]
	v_fma_f64 v[86:87], v[8:9], s[60:61], -v[10:11]
	v_fmac_f64_e32 v[86:87], s[62:63], v[8:9]
	v_add_f64 v[8:9], v[10:11], v[86:87]
	v_add_f64 v[10:11], v[8:9], -v[10:11]
	v_add_f64 v[10:11], v[86:87], -v[10:11]
	v_add_f64 v[86:87], v[8:9], v[6:7]
	v_add_f64 v[88:89], v[86:87], -v[8:9]
	v_add_f64 v[90:91], v[86:87], -v[88:89]
	;; [unrolled: 1-line block ×4, first 2 shown]
	v_add_f64 v[6:7], v[6:7], v[8:9]
	v_add_f64 v[8:9], v[10:11], v[4:5]
	v_add_f64 v[88:89], v[8:9], -v[10:11]
	v_add_f64 v[90:91], v[8:9], -v[88:89]
	v_add_f64 v[6:7], v[8:9], v[6:7]
	v_add_f64 v[10:11], v[10:11], -v[90:91]
	v_add_f64 v[4:5], v[4:5], -v[88:89]
	v_add_f64 v[8:9], v[86:87], v[6:7]
	v_add_f64 v[4:5], v[4:5], v[10:11]
	v_add_f64 v[10:11], v[8:9], -v[86:87]
	v_add_f64 v[6:7], v[6:7], -v[10:11]
	v_add_f64 v[4:5], v[4:5], v[6:7]
	v_add_f64 v[86:87], v[8:9], v[4:5]
	s_mov_b64 s[4:5], 0
	s_mov_b64 s[6:7], 0
	v_mov_b32_e32 v115, v12
                                        ; implicit-def: $vgpr79
.LBB78_29:                              ;   Parent Loop BB78_5 Depth=1
                                        ; =>  This Inner Loop Header: Depth=2
	v_add_u32_e32 v116, 1, v15
	v_pk_mov_b32 v[10:11], v[2:3], v[2:3] op_sel:[0,1]
	v_cmp_eq_u32_e32 vcc, 4, v116
	v_pk_mov_b32 v[8:9], v[0:1], v[0:1] op_sel:[0,1]
	v_mov_b32_e32 v91, v0
	v_mov_b32_e32 v90, v1
	;; [unrolled: 1-line block ×4, first 2 shown]
	s_and_saveexec_b64 s[0:1], vcc
	s_cbranch_execz .LBB78_31
; %bb.30:                               ;   in Loop: Header=BB78_29 Depth=2
	v_add_co_u32_e32 v96, vcc, 1, v96
	v_cndmask_b32_e64 v4, 0, 1, vcc
	v_addc_co_u32_e32 v97, vcc, 0, v97, vcc
	v_cmp_eq_u32_e32 vcc, 0, v97
	v_cndmask_b32_e32 v4, 0, v4, vcc
	v_add_u32_e32 v115, v4, v115
	v_cmp_eq_u32_e32 vcc, 0, v115
	v_cndmask_b32_e32 v4, 0, v4, vcc
	v_add_u32_e32 v78, v4, v78
	v_mad_u64_u32 v[4:5], s[20:21], v96, s70, 0
	v_mad_u64_u32 v[6:7], s[20:21], v115, s33, 0
	v_xor_b32_e32 v5, v5, v77
	v_xor_b32_e32 v7, v7, v76
	v_xor_b32_e32 v5, v78, v5
	v_xor_b32_e32 v7, v97, v7
	v_mad_u64_u32 v[10:11], s[20:21], v5, s33, 0
	v_mad_u64_u32 v[8:9], s[20:21], v7, s70, 0
	v_xor_b32_e32 v5, v98, v11
	v_xor_b32_e32 v5, v5, v6
	v_xor_b32_e32 v6, v99, v9
	v_xor_b32_e32 v6, v6, v4
	;; [unrolled: 6-line block ×10, first 2 shown]
	v_mov_b32_e32 v116, 0
	v_mov_b32_e32 v9, v90
	;; [unrolled: 1-line block ×5, first 2 shown]
.LBB78_31:                              ;   in Loop: Header=BB78_29 Depth=2
	s_or_b64 exec, exec, s[0:1]
	v_add_u32_e32 v117, 1, v116
	v_pk_mov_b32 v[4:5], v[8:9], v[8:9] op_sel:[0,1]
	v_cmp_eq_u32_e32 vcc, 4, v117
	v_pk_mov_b32 v[6:7], v[10:11], v[10:11] op_sel:[0,1]
	s_and_saveexec_b64 s[0:1], vcc
	s_cbranch_execz .LBB78_33
; %bb.32:                               ;   in Loop: Header=BB78_29 Depth=2
	v_add_co_u32_e32 v96, vcc, 1, v96
	v_cndmask_b32_e64 v4, 0, 1, vcc
	v_addc_co_u32_e32 v97, vcc, 0, v97, vcc
	v_cmp_eq_u32_e32 vcc, 0, v97
	v_cndmask_b32_e32 v4, 0, v4, vcc
	v_add_u32_e32 v115, v4, v115
	v_cmp_eq_u32_e32 vcc, 0, v115
	v_cndmask_b32_e32 v4, 0, v4, vcc
	v_add_u32_e32 v78, v4, v78
	v_mad_u64_u32 v[4:5], s[20:21], v96, s70, 0
	v_mad_u64_u32 v[6:7], s[20:21], v115, s33, 0
	v_xor_b32_e32 v5, v5, v77
	v_xor_b32_e32 v7, v7, v76
	v_xor_b32_e32 v5, v78, v5
	v_xor_b32_e32 v7, v97, v7
	v_mad_u64_u32 v[90:91], s[20:21], v5, s33, 0
	v_mad_u64_u32 v[88:89], s[20:21], v7, s70, 0
	v_xor_b32_e32 v5, v98, v91
	v_xor_b32_e32 v5, v5, v6
	v_xor_b32_e32 v6, v99, v89
	v_xor_b32_e32 v6, v6, v4
	;; [unrolled: 6-line block ×10, first 2 shown]
	v_mov_b32_e32 v117, 0
	v_mov_b32_e32 v5, v90
	;; [unrolled: 1-line block ×5, first 2 shown]
.LBB78_33:                              ;   in Loop: Header=BB78_29 Depth=2
	s_or_b64 exec, exec, s[0:1]
	v_cmp_eq_u32_e32 vcc, 1, v15
	v_cndmask_b32_e32 v0, v0, v1, vcc
	v_cmp_eq_u32_e32 vcc, 2, v15
	v_cndmask_b32_e32 v0, v0, v2, vcc
	;; [unrolled: 2-line block ×6, first 2 shown]
	v_lshrrev_b32_e32 v0, 11, v0
	v_cvt_f64_u32_e32 v[0:1], v0
	v_ldexp_f64 v[0:1], v[0:1], 32
	v_cvt_f64_u32_e32 v[2:3], v2
	v_add_f64 v[0:1], v[0:1], v[2:3]
	v_mov_b32_e32 v2, 0
	v_mov_b32_e32 v3, 0x3ca00000
	v_fmac_f64_e32 v[2:3], 0x3ca00000, v[0:1]
	v_add_f64 v[0:1], -v[2:3], 1.0
	v_div_scale_f64 v[8:9], s[0:1], v[2:3], v[2:3], v[0:1]
	v_rcp_f64_e32 v[10:11], v[8:9]
	v_fma_f64 v[118:119], -v[8:9], v[10:11], 1.0
	v_fmac_f64_e32 v[10:11], v[10:11], v[118:119]
	v_fma_f64 v[118:119], -v[8:9], v[10:11], 1.0
	v_fmac_f64_e32 v[10:11], v[10:11], v[118:119]
	v_div_scale_f64 v[118:119], vcc, v[0:1], v[2:3], v[0:1]
	v_mul_f64 v[120:121], v[118:119], v[10:11]
	v_fma_f64 v[8:9], -v[8:9], v[120:121], v[118:119]
	s_nop 1
	v_div_fmas_f64 v[8:9], v[8:9], v[10:11], v[120:121]
	v_div_fixup_f64 v[0:1], v[8:9], v[2:3], v[0:1]
	v_frexp_mant_f64_e32 v[2:3], v[0:1]
	v_cmp_gt_f64_e32 vcc, s[44:45], v[2:3]
	v_cndmask_b32_e64 v15, v19, 2.0, vcc
	v_frexp_exp_i32_f64_e32 v8, v[0:1]
	v_mul_f64 v[2:3], v[2:3], v[14:15]
	v_subbrev_co_u32_e32 v15, vcc, 0, v8, vcc
	v_add_f64 v[8:9], v[2:3], 1.0
	v_rcp_f64_e32 v[10:11], v[8:9]
	v_add_f64 v[120:121], v[8:9], -1.0
	v_add_f64 v[118:119], v[2:3], -1.0
	v_add_f64 v[2:3], v[2:3], -v[120:121]
	v_fma_f64 v[120:121], -v[8:9], v[10:11], 1.0
	v_fmac_f64_e32 v[10:11], v[120:121], v[10:11]
	v_fma_f64 v[120:121], -v[8:9], v[10:11], 1.0
	v_fmac_f64_e32 v[10:11], v[120:121], v[10:11]
	v_mul_f64 v[120:121], v[118:119], v[10:11]
	v_mul_f64 v[122:123], v[8:9], v[120:121]
	v_fma_f64 v[8:9], v[120:121], v[8:9], -v[122:123]
	v_fmac_f64_e32 v[8:9], v[120:121], v[2:3]
	v_add_f64 v[2:3], v[122:123], v[8:9]
	v_add_f64 v[124:125], v[118:119], -v[2:3]
	v_add_f64 v[122:123], v[2:3], -v[122:123]
	;; [unrolled: 1-line block ×5, first 2 shown]
	v_add_f64 v[2:3], v[8:9], v[2:3]
	v_add_f64 v[2:3], v[124:125], v[2:3]
	v_mul_f64 v[2:3], v[10:11], v[2:3]
	v_add_f64 v[8:9], v[120:121], v[2:3]
	v_add_f64 v[10:11], v[8:9], -v[120:121]
	v_add_f64 v[2:3], v[2:3], -v[10:11]
	v_mul_f64 v[10:11], v[8:9], v[8:9]
	v_pk_mov_b32 v[118:119], v[20:21], v[20:21] op_sel:[0,1]
	v_fmac_f64_e32 v[118:119], s[48:49], v[10:11]
	v_pk_mov_b32 v[120:121], v[22:23], v[22:23] op_sel:[0,1]
	v_fmac_f64_e32 v[120:121], v[10:11], v[118:119]
	;; [unrolled: 2-line block ×6, first 2 shown]
	v_ldexp_f64 v[118:119], v[8:9], 1
	v_mul_f64 v[8:9], v[8:9], v[10:11]
	v_mul_f64 v[8:9], v[8:9], v[120:121]
	v_add_f64 v[10:11], v[118:119], v[8:9]
	v_add_f64 v[118:119], v[10:11], -v[118:119]
	v_ldexp_f64 v[2:3], v[2:3], 1
	v_add_f64 v[8:9], v[8:9], -v[118:119]
	v_add_f64 v[2:3], v[2:3], v[8:9]
	v_add_f64 v[8:9], v[10:11], v[2:3]
	v_add_f64 v[10:11], v[8:9], -v[10:11]
	v_add_f64 v[2:3], v[2:3], -v[10:11]
	v_cvt_f64_i32_e32 v[10:11], v15
	v_mul_f64 v[118:119], v[10:11], s[60:61]
	v_fma_f64 v[120:121], v[10:11], s[60:61], -v[118:119]
	v_fmac_f64_e32 v[120:121], s[62:63], v[10:11]
	v_add_f64 v[10:11], v[118:119], v[120:121]
	v_add_f64 v[118:119], v[10:11], -v[118:119]
	v_add_f64 v[118:119], v[120:121], -v[118:119]
	v_add_f64 v[120:121], v[10:11], v[8:9]
	v_add_f64 v[122:123], v[120:121], -v[10:11]
	v_add_f64 v[124:125], v[120:121], -v[122:123]
	;; [unrolled: 1-line block ×4, first 2 shown]
	v_add_f64 v[8:9], v[8:9], v[10:11]
	v_add_f64 v[10:11], v[118:119], v[2:3]
	v_add_f64 v[122:123], v[10:11], -v[118:119]
	v_add_f64 v[124:125], v[10:11], -v[122:123]
	v_add_f64 v[8:9], v[10:11], v[8:9]
	v_add_f64 v[118:119], v[118:119], -v[124:125]
	v_add_f64 v[2:3], v[2:3], -v[122:123]
	v_add_f64 v[10:11], v[120:121], v[8:9]
	v_add_f64 v[2:3], v[2:3], v[118:119]
	v_add_f64 v[118:119], v[10:11], -v[120:121]
	v_add_f64 v[8:9], v[8:9], -v[118:119]
	v_add_f64 v[2:3], v[2:3], v[8:9]
	v_add_f64 v[2:3], v[10:11], v[2:3]
	v_cmp_class_f64_e64 vcc, v[0:1], s71
	v_cndmask_b32_e32 v2, v2, v0, vcc
	v_cndmask_b32_e32 v3, v3, v1, vcc
	v_cmp_ngt_f64_e32 vcc, 0, v[0:1]
	v_cndmask_b32_e32 v3, v92, v3, vcc
	v_cmp_nge_f64_e32 vcc, 0, v[0:1]
	v_cndmask_b32_e32 v2, 0, v2, vcc
	v_cmp_neq_f64_e32 vcc, 0, v[0:1]
	v_cndmask_b32_e32 v3, v93, v3, vcc
	v_add_f64 v[0:1], v[82:83], -v[2:3]
	v_div_scale_f64 v[2:3], s[0:1], v[80:81], v[80:81], v[0:1]
	v_rcp_f64_e32 v[8:9], v[2:3]
	v_fma_f64 v[10:11], -v[2:3], v[8:9], 1.0
	v_fmac_f64_e32 v[8:9], v[8:9], v[10:11]
	v_fma_f64 v[10:11], -v[2:3], v[8:9], 1.0
	v_fmac_f64_e32 v[8:9], v[8:9], v[10:11]
	v_div_scale_f64 v[10:11], vcc, v[0:1], v[80:81], v[0:1]
	v_mul_f64 v[118:119], v[10:11], v[8:9]
	v_fma_f64 v[2:3], -v[2:3], v[118:119], v[10:11]
	s_nop 1
	v_div_fmas_f64 v[2:3], v[2:3], v[8:9], v[118:119]
	v_div_fixup_f64 v[10:11], v[2:3], v[80:81], v[0:1]
	v_add_f64 v[0:1], v[10:11], 0.5
	v_floor_f64_e32 v[8:9], v[0:1]
	v_cmp_ngt_f64_e32 vcc, 0, v[8:9]
	v_mov_b32_e32 v118, 2
	s_and_saveexec_b64 s[20:21], vcc
	s_cbranch_execz .LBB78_39
; %bb.34:                               ;   in Loop: Header=BB78_29 Depth=2
	v_add_u32_e32 v15, 1, v117
	v_pk_mov_b32 v[0:1], v[4:5], v[4:5] op_sel:[0,1]
	v_cmp_eq_u32_e32 vcc, 4, v15
	v_pk_mov_b32 v[2:3], v[6:7], v[6:7] op_sel:[0,1]
	s_and_saveexec_b64 s[0:1], vcc
	s_cbranch_execz .LBB78_36
; %bb.35:                               ;   in Loop: Header=BB78_29 Depth=2
	v_add_co_u32_e32 v96, vcc, 1, v96
	v_cndmask_b32_e64 v0, 0, 1, vcc
	v_addc_co_u32_e32 v97, vcc, 0, v97, vcc
	v_cmp_eq_u32_e32 vcc, 0, v97
	v_cndmask_b32_e32 v0, 0, v0, vcc
	v_add_u32_e32 v115, v0, v115
	v_cmp_eq_u32_e32 vcc, 0, v115
	v_cndmask_b32_e32 v0, 0, v0, vcc
	v_add_u32_e32 v78, v0, v78
	v_mad_u64_u32 v[0:1], vcc, v96, s70, 0
	v_mad_u64_u32 v[2:3], vcc, v115, s33, 0
	v_xor_b32_e32 v1, v1, v77
	v_xor_b32_e32 v3, v3, v76
	v_xor_b32_e32 v1, v78, v1
	v_xor_b32_e32 v3, v97, v3
	v_mad_u64_u32 v[90:91], vcc, v1, s33, 0
	v_mad_u64_u32 v[88:89], vcc, v3, s70, 0
	v_xor_b32_e32 v1, v98, v91
	v_xor_b32_e32 v1, v1, v2
	v_xor_b32_e32 v2, v99, v89
	v_xor_b32_e32 v2, v2, v0
	;; [unrolled: 6-line block ×10, first 2 shown]
	v_mov_b32_e32 v15, 0
	v_mov_b32_e32 v1, v90
	;; [unrolled: 1-line block ×5, first 2 shown]
.LBB78_36:                              ;   in Loop: Header=BB78_29 Depth=2
	s_or_b64 exec, exec, s[0:1]
	v_add_u32_e32 v116, 1, v15
	v_cmp_eq_u32_e32 vcc, 4, v116
	s_and_saveexec_b64 s[0:1], vcc
	s_cbranch_execz .LBB78_38
; %bb.37:                               ;   in Loop: Header=BB78_29 Depth=2
	v_add_co_u32_e32 v96, vcc, 1, v96
	v_cndmask_b32_e64 v88, 0, 1, vcc
	v_addc_co_u32_e32 v97, vcc, 0, v97, vcc
	v_cmp_eq_u32_e32 vcc, 0, v97
	v_cndmask_b32_e32 v88, 0, v88, vcc
	v_add_u32_e32 v115, v88, v115
	v_cmp_eq_u32_e32 vcc, 0, v115
	v_cndmask_b32_e32 v88, 0, v88, vcc
	v_add_u32_e32 v78, v88, v78
	v_mad_u64_u32 v[88:89], vcc, v96, s70, 0
	v_mad_u64_u32 v[90:91], vcc, v115, s33, 0
	v_xor_b32_e32 v89, v89, v77
	v_xor_b32_e32 v91, v91, v76
	v_xor_b32_e32 v89, v78, v89
	v_xor_b32_e32 v91, v97, v91
	v_mad_u64_u32 v[120:121], vcc, v89, s33, 0
	v_mad_u64_u32 v[118:119], vcc, v91, s70, 0
	v_xor_b32_e32 v89, v98, v121
	v_xor_b32_e32 v89, v89, v90
	v_xor_b32_e32 v90, v99, v119
	v_xor_b32_e32 v90, v90, v88
	;; [unrolled: 6-line block ×9, first 2 shown]
	v_mad_u64_u32 v[88:89], vcc, v88, s70, 0
	v_mad_u64_u32 v[90:91], vcc, v90, s33, 0
	v_xor_b32_e32 v91, v91, v124
	v_xor_b32_e32 v89, v89, v122
	v_mov_b32_e32 v116, 0
	v_xor_b32_e32 v91, v105, v91
	v_xor_b32_e32 v89, v95, v89
.LBB78_38:                              ;   in Loop: Header=BB78_29 Depth=2
	s_or_b64 exec, exec, s[0:1]
	v_cmp_eq_u32_e32 vcc, 1, v117
	v_cndmask_b32_e32 v4, v4, v5, vcc
	v_cmp_eq_u32_e32 vcc, 2, v117
	v_cndmask_b32_e32 v4, v4, v6, vcc
	;; [unrolled: 2-line block ×6, first 2 shown]
	v_lshrrev_b32_e32 v0, 11, v0
	v_cvt_f64_u32_e32 v[0:1], v0
	v_ldexp_f64 v[0:1], v[0:1], 32
	v_cvt_f64_u32_e32 v[2:3], v4
	v_add_f64 v[0:1], v[0:1], v[2:3]
	v_mov_b32_e32 v2, 0
	v_mov_b32_e32 v3, 0x3ca00000
	v_fma_f64 v[4:5], -v[80:81], v[10:11], v[82:83]
	v_fmac_f64_e32 v[2:3], 0x3ca00000, v[0:1]
	v_mul_f64 v[0:1], v[4:5], s[66:67]
	v_rndne_f64_e32 v[0:1], v[0:1]
	s_mov_b32 s68, s60
	v_fma_f64 v[6:7], s[68:69], v[0:1], v[4:5]
	s_mov_b32 s72, s62
	v_fmac_f64_e32 v[6:7], s[72:73], v[0:1]
	v_pk_mov_b32 v[10:11], v[32:33], v[32:33] op_sel:[0,1]
	v_fmac_f64_e32 v[10:11], s[74:75], v[6:7]
	v_pk_mov_b32 v[118:119], v[34:35], v[34:35] op_sel:[0,1]
	v_fmac_f64_e32 v[118:119], v[6:7], v[10:11]
	v_pk_mov_b32 v[10:11], v[36:37], v[36:37] op_sel:[0,1]
	v_fmac_f64_e32 v[10:11], v[6:7], v[118:119]
	v_pk_mov_b32 v[118:119], v[38:39], v[38:39] op_sel:[0,1]
	v_fmac_f64_e32 v[118:119], v[6:7], v[10:11]
	v_pk_mov_b32 v[10:11], v[40:41], v[40:41] op_sel:[0,1]
	v_fmac_f64_e32 v[10:11], v[6:7], v[118:119]
	v_pk_mov_b32 v[118:119], v[42:43], v[42:43] op_sel:[0,1]
	v_fmac_f64_e32 v[118:119], v[6:7], v[10:11]
	v_pk_mov_b32 v[10:11], v[44:45], v[44:45] op_sel:[0,1]
	v_fmac_f64_e32 v[10:11], v[6:7], v[118:119]
	v_pk_mov_b32 v[118:119], v[46:47], v[46:47] op_sel:[0,1]
	v_fmac_f64_e32 v[118:119], v[6:7], v[10:11]
	v_pk_mov_b32 v[10:11], v[48:49], v[48:49] op_sel:[0,1]
	v_fmac_f64_e32 v[10:11], v[6:7], v[118:119]
	v_fma_f64 v[10:11], v[6:7], v[10:11], 1.0
	v_fma_f64 v[6:7], v[6:7], v[10:11], 1.0
	v_cvt_i32_f64_e32 v0, v[0:1]
	v_ldexp_f64 v[0:1], v[6:7], v0
	v_add_f64 v[0:1], v[0:1], 1.0
	v_cmp_nlt_f64_e32 vcc, s[76:77], v[4:5]
	v_cmp_ngt_f64_e64 s[0:1], s[78:79], v[4:5]
	v_cndmask_b32_e32 v1, v94, v1, vcc
	s_and_b64 vcc, s[0:1], vcc
	v_cndmask_b32_e64 v1, v19, v1, s[0:1]
	v_cndmask_b32_e32 v0, 0, v0, vcc
	v_mul_f64 v[0:1], v[0:1], v[0:1]
	v_div_scale_f64 v[6:7], s[0:1], v[0:1], v[0:1], v[2:3]
	v_rcp_f64_e32 v[10:11], v[6:7]
	s_mov_b32 s59, s45
	v_fma_f64 v[118:119], -v[6:7], v[10:11], 1.0
	v_fmac_f64_e32 v[10:11], v[10:11], v[118:119]
	v_fma_f64 v[118:119], -v[6:7], v[10:11], 1.0
	v_fmac_f64_e32 v[10:11], v[10:11], v[118:119]
	v_div_scale_f64 v[118:119], vcc, v[2:3], v[0:1], v[2:3]
	v_mul_f64 v[120:121], v[118:119], v[10:11]
	v_fma_f64 v[6:7], -v[6:7], v[120:121], v[118:119]
	s_nop 1
	v_div_fmas_f64 v[6:7], v[6:7], v[10:11], v[120:121]
	v_div_fixup_f64 v[2:3], v[6:7], v[0:1], v[2:3]
	v_frexp_mant_f64_e32 v[0:1], v[2:3]
	v_cmp_gt_f64_e32 vcc, s[44:45], v[0:1]
	v_cndmask_b32_e64 v15, v19, 2.0, vcc
	v_frexp_exp_i32_f64_e32 v6, v[2:3]
	v_mul_f64 v[0:1], v[0:1], v[14:15]
	v_subbrev_co_u32_e32 v15, vcc, 0, v6, vcc
	v_add_f64 v[6:7], v[0:1], 1.0
	v_rcp_f64_e32 v[10:11], v[6:7]
	v_add_f64 v[120:121], v[6:7], -1.0
	v_add_f64 v[118:119], v[0:1], -1.0
	v_add_f64 v[0:1], v[0:1], -v[120:121]
	v_fma_f64 v[120:121], -v[6:7], v[10:11], 1.0
	v_fmac_f64_e32 v[10:11], v[120:121], v[10:11]
	v_fma_f64 v[120:121], -v[6:7], v[10:11], 1.0
	v_fmac_f64_e32 v[10:11], v[120:121], v[10:11]
	v_mul_f64 v[120:121], v[118:119], v[10:11]
	v_mul_f64 v[122:123], v[6:7], v[120:121]
	v_fma_f64 v[6:7], v[120:121], v[6:7], -v[122:123]
	v_fmac_f64_e32 v[6:7], v[120:121], v[0:1]
	v_add_f64 v[0:1], v[122:123], v[6:7]
	v_add_f64 v[124:125], v[118:119], -v[0:1]
	v_add_f64 v[122:123], v[0:1], -v[122:123]
	;; [unrolled: 1-line block ×5, first 2 shown]
	v_add_f64 v[0:1], v[6:7], v[0:1]
	v_add_f64 v[0:1], v[124:125], v[0:1]
	v_mul_f64 v[0:1], v[10:11], v[0:1]
	v_add_f64 v[6:7], v[120:121], v[0:1]
	v_add_f64 v[10:11], v[6:7], -v[120:121]
	v_add_f64 v[10:11], v[0:1], -v[10:11]
	v_mul_f64 v[118:119], v[6:7], v[6:7]
	v_pk_mov_b32 v[0:1], s[46:47], s[46:47] op_sel:[0,1]
	v_fma_f64 v[120:121], s[48:49], v[118:119], v[0:1]
	v_fma_f64 v[120:121], v[118:119], v[120:121], s[50:51]
	;; [unrolled: 1-line block ×6, first 2 shown]
	v_ldexp_f64 v[122:123], v[6:7], 1
	v_mul_f64 v[6:7], v[6:7], v[118:119]
	v_mul_f64 v[6:7], v[6:7], v[120:121]
	v_add_f64 v[118:119], v[122:123], v[6:7]
	v_add_f64 v[120:121], v[118:119], -v[122:123]
	v_ldexp_f64 v[10:11], v[10:11], 1
	v_add_f64 v[6:7], v[6:7], -v[120:121]
	v_add_f64 v[6:7], v[10:11], v[6:7]
	v_add_f64 v[10:11], v[118:119], v[6:7]
	v_add_f64 v[118:119], v[10:11], -v[118:119]
	v_add_f64 v[6:7], v[6:7], -v[118:119]
	v_cvt_f64_i32_e32 v[118:119], v15
	v_mul_f64 v[120:121], v[118:119], s[60:61]
	v_fma_f64 v[122:123], v[118:119], s[60:61], -v[120:121]
	v_fmac_f64_e32 v[122:123], s[62:63], v[118:119]
	v_add_f64 v[118:119], v[120:121], v[122:123]
	v_add_f64 v[120:121], v[118:119], -v[120:121]
	v_add_f64 v[120:121], v[122:123], -v[120:121]
	v_add_f64 v[122:123], v[118:119], v[10:11]
	v_add_f64 v[124:125], v[122:123], -v[118:119]
	v_add_f64 v[126:127], v[122:123], -v[124:125]
	v_add_f64 v[118:119], v[118:119], -v[126:127]
	v_add_f64 v[10:11], v[10:11], -v[124:125]
	v_add_f64 v[10:11], v[10:11], v[118:119]
	v_add_f64 v[118:119], v[120:121], v[6:7]
	v_add_f64 v[124:125], v[118:119], -v[120:121]
	v_add_f64 v[126:127], v[118:119], -v[124:125]
	v_add_f64 v[10:11], v[118:119], v[10:11]
	v_add_f64 v[120:121], v[120:121], -v[126:127]
	v_add_f64 v[6:7], v[6:7], -v[124:125]
	v_add_f64 v[118:119], v[122:123], v[10:11]
	v_add_f64 v[6:7], v[6:7], v[120:121]
	v_add_f64 v[120:121], v[118:119], -v[122:123]
	v_add_f64 v[10:11], v[10:11], -v[120:121]
	v_add_f64 v[6:7], v[6:7], v[10:11]
	v_add_f64 v[6:7], v[118:119], v[6:7]
	v_cmp_class_f64_e64 vcc, v[2:3], s71
	v_cndmask_b32_e32 v15, v6, v2, vcc
	v_cndmask_b32_e32 v6, v7, v3, vcc
	v_cmp_neq_f64_e32 vcc, 0, v[2:3]
	v_cndmask_b32_e32 v3, v93, v6, vcc
	v_add_f64 v[6:7], v[8:9], 1.0
	v_add_f64 v[6:7], v[6:7], -1.0
	v_add_f64 v[118:119], v[6:7], s[80:81]
	v_div_scale_f64 v[10:11], s[0:1], v[118:119], v[118:119], s[82:83]
	v_rcp_f64_e32 v[120:121], v[10:11]
	v_cndmask_b32_e32 v2, 0, v15, vcc
	v_add_f64 v[2:3], v[4:5], v[2:3]
	v_fma_f64 v[4:5], v[86:87], v[8:9], v[84:85]
	v_fma_f64 v[122:123], -v[10:11], v[120:121], 1.0
	v_fmac_f64_e32 v[120:121], v[120:121], v[122:123]
	v_fma_f64 v[122:123], -v[10:11], v[120:121], 1.0
	v_fmac_f64_e32 v[120:121], v[120:121], v[122:123]
	v_div_scale_f64 v[122:123], vcc, s[82:83], v[118:119], s[82:83]
	v_mul_f64 v[124:125], v[122:123], v[120:121]
	v_fma_f64 v[122:123], -v[10:11], v[124:125], v[122:123]
	v_add_f64 v[10:11], v[6:7], s[84:85]
	v_div_scale_f64 v[126:127], s[0:1], v[10:11], v[10:11], s[86:87]
	v_rcp_f64_e32 v[128:129], v[126:127]
	v_div_fmas_f64 v[120:121], v[122:123], v[120:121], v[124:125]
	v_div_fixup_f64 v[118:119], v[120:121], v[118:119], s[82:83]
	v_add_f64 v[124:125], v[6:7], s[88:89]
	v_fma_f64 v[120:121], -v[126:127], v[128:129], 1.0
	v_fmac_f64_e32 v[128:129], v[128:129], v[120:121]
	v_fma_f64 v[120:121], -v[126:127], v[128:129], 1.0
	v_fmac_f64_e32 v[128:129], v[128:129], v[120:121]
	v_div_scale_f64 v[120:121], vcc, s[86:87], v[10:11], s[86:87]
	v_mul_f64 v[122:123], v[120:121], v[128:129]
	v_fma_f64 v[120:121], -v[126:127], v[122:123], v[120:121]
	v_div_scale_f64 v[126:127], s[0:1], v[124:125], v[124:125], s[90:91]
	v_rcp_f64_e32 v[130:131], v[126:127]
	v_div_fmas_f64 v[120:121], v[120:121], v[128:129], v[122:123]
	v_add_f64 v[118:119], v[118:119], 0
	v_div_fixup_f64 v[120:121], v[120:121], v[10:11], s[86:87]
	v_add_f64 v[118:119], v[120:121], v[118:119]
	v_fma_f64 v[120:121], -v[126:127], v[130:131], 1.0
	v_fmac_f64_e32 v[130:131], v[130:131], v[120:121]
	v_fma_f64 v[120:121], -v[126:127], v[130:131], 1.0
	v_fmac_f64_e32 v[130:131], v[130:131], v[120:121]
	v_div_scale_f64 v[120:121], vcc, s[90:91], v[124:125], s[90:91]
	v_mul_f64 v[122:123], v[120:121], v[130:131]
	v_fma_f64 v[120:121], -v[126:127], v[122:123], v[120:121]
	v_add_f64 v[126:127], v[6:7], s[92:93]
	v_div_scale_f64 v[128:129], s[0:1], v[126:127], v[126:127], s[94:95]
	v_rcp_f64_e32 v[132:133], v[128:129]
	v_div_fmas_f64 v[120:121], v[120:121], v[130:131], v[122:123]
	v_div_fixup_f64 v[120:121], v[120:121], v[124:125], s[90:91]
	v_add_f64 v[118:119], v[118:119], v[120:121]
	v_fma_f64 v[120:121], -v[128:129], v[132:133], 1.0
	v_fmac_f64_e32 v[132:133], v[132:133], v[120:121]
	v_fma_f64 v[120:121], -v[128:129], v[132:133], 1.0
	v_fmac_f64_e32 v[132:133], v[132:133], v[120:121]
	v_div_scale_f64 v[120:121], vcc, s[94:95], v[126:127], s[94:95]
	v_mul_f64 v[122:123], v[120:121], v[132:133]
	v_add_f64 v[124:125], v[6:7], 4.0
	v_fma_f64 v[120:121], -v[128:129], v[122:123], v[120:121]
	v_div_scale_f64 v[128:129], s[0:1], v[124:125], v[124:125], s[36:37]
	v_rcp_f64_e32 v[130:131], v[128:129]
	v_div_fmas_f64 v[120:121], v[120:121], v[132:133], v[122:123]
	v_div_fixup_f64 v[120:121], v[120:121], v[126:127], s[94:95]
	v_add_f64 v[118:119], v[120:121], v[118:119]
	v_fma_f64 v[120:121], -v[128:129], v[130:131], 1.0
	v_fmac_f64_e32 v[130:131], v[130:131], v[120:121]
	v_fma_f64 v[120:121], -v[128:129], v[130:131], 1.0
	v_fmac_f64_e32 v[130:131], v[130:131], v[120:121]
	v_div_scale_f64 v[120:121], vcc, s[36:37], v[124:125], s[36:37]
	v_mul_f64 v[122:123], v[120:121], v[130:131]
	v_add_f64 v[126:127], v[6:7], s[38:39]
	v_fma_f64 v[120:121], -v[128:129], v[122:123], v[120:121]
	v_div_scale_f64 v[128:129], s[0:1], v[126:127], v[126:127], s[34:35]
	v_rcp_f64_e32 v[132:133], v[128:129]
	v_div_fmas_f64 v[120:121], v[120:121], v[130:131], v[122:123]
	v_div_fixup_f64 v[120:121], v[120:121], v[124:125], s[36:37]
	v_add_f64 v[118:119], v[118:119], v[120:121]
	v_fma_f64 v[120:121], -v[128:129], v[132:133], 1.0
	v_fmac_f64_e32 v[132:133], v[132:133], v[120:121]
	v_fma_f64 v[120:121], -v[128:129], v[132:133], 1.0
	v_fmac_f64_e32 v[132:133], v[132:133], v[120:121]
	v_div_scale_f64 v[120:121], vcc, s[34:35], v[126:127], s[34:35]
	v_mul_f64 v[122:123], v[120:121], v[132:133]
	v_add_f64 v[124:125], v[6:7], 2.0
	v_fma_f64 v[120:121], -v[128:129], v[122:123], v[120:121]
	v_div_scale_f64 v[128:129], s[0:1], v[124:125], v[124:125], s[40:41]
	v_rcp_f64_e32 v[130:131], v[128:129]
	v_div_fmas_f64 v[120:121], v[120:121], v[132:133], v[122:123]
	v_div_fixup_f64 v[120:121], v[120:121], v[126:127], s[34:35]
	v_add_f64 v[118:119], v[120:121], v[118:119]
	v_fma_f64 v[120:121], -v[128:129], v[130:131], 1.0
	v_fmac_f64_e32 v[130:131], v[130:131], v[120:121]
	v_fma_f64 v[120:121], -v[128:129], v[130:131], 1.0
	v_fmac_f64_e32 v[130:131], v[130:131], v[120:121]
	v_div_scale_f64 v[120:121], vcc, s[40:41], v[124:125], s[40:41]
	v_mul_f64 v[122:123], v[120:121], v[130:131]
	v_add_f64 v[126:127], v[6:7], 1.0
	v_fma_f64 v[120:121], -v[128:129], v[122:123], v[120:121]
	v_div_scale_f64 v[128:129], s[0:1], v[126:127], v[126:127], s[42:43]
	v_rcp_f64_e32 v[132:133], v[128:129]
	v_div_fmas_f64 v[120:121], v[120:121], v[130:131], v[122:123]
	v_div_fixup_f64 v[120:121], v[120:121], v[124:125], s[40:41]
	v_add_f64 v[118:119], v[118:119], v[120:121]
	v_fma_f64 v[120:121], -v[128:129], v[132:133], 1.0
	v_fmac_f64_e32 v[132:133], v[132:133], v[120:121]
	v_fma_f64 v[120:121], -v[128:129], v[132:133], 1.0
	v_fmac_f64_e32 v[132:133], v[132:133], v[120:121]
	v_div_scale_f64 v[120:121], vcc, s[42:43], v[126:127], s[42:43]
	v_mul_f64 v[122:123], v[120:121], v[132:133]
	v_fma_f64 v[120:121], -v[128:129], v[122:123], v[120:121]
	v_add_f64 v[10:11], v[10:11], 0.5
	s_nop 0
	v_div_fmas_f64 v[120:121], v[120:121], v[132:133], v[122:123]
	v_div_fixup_f64 v[120:121], v[120:121], v[126:127], s[42:43]
	v_add_f64 v[118:119], v[120:121], v[118:119]
	v_add_f64 v[118:119], v[118:119], s[64:65]
	v_frexp_mant_f64_e32 v[120:121], v[118:119]
	v_cmp_gt_f64_e32 vcc, s[44:45], v[120:121]
	v_cndmask_b32_e64 v15, v19, 2.0, vcc
	v_mul_f64 v[120:121], v[120:121], v[14:15]
	v_add_f64 v[122:123], v[120:121], 1.0
	v_rcp_f64_e32 v[124:125], v[122:123]
	v_add_f64 v[128:129], v[122:123], -1.0
	v_add_f64 v[126:127], v[120:121], -1.0
	v_add_f64 v[120:121], v[120:121], -v[128:129]
	v_fma_f64 v[128:129], -v[122:123], v[124:125], 1.0
	v_fmac_f64_e32 v[124:125], v[128:129], v[124:125]
	v_fma_f64 v[128:129], -v[122:123], v[124:125], 1.0
	v_fmac_f64_e32 v[124:125], v[128:129], v[124:125]
	v_mul_f64 v[128:129], v[126:127], v[124:125]
	v_mul_f64 v[130:131], v[122:123], v[128:129]
	v_fma_f64 v[122:123], v[128:129], v[122:123], -v[130:131]
	v_fmac_f64_e32 v[122:123], v[128:129], v[120:121]
	v_add_f64 v[120:121], v[130:131], v[122:123]
	v_add_f64 v[132:133], v[126:127], -v[120:121]
	v_add_f64 v[130:131], v[120:121], -v[130:131]
	;; [unrolled: 1-line block ×5, first 2 shown]
	v_add_f64 v[120:121], v[122:123], v[120:121]
	v_add_f64 v[120:121], v[132:133], v[120:121]
	v_mul_f64 v[120:121], v[124:125], v[120:121]
	v_add_f64 v[122:123], v[128:129], v[120:121]
	v_add_f64 v[124:125], v[122:123], -v[128:129]
	v_add_f64 v[120:121], v[120:121], -v[124:125]
	v_mul_f64 v[124:125], v[122:123], v[122:123]
	v_fma_f64 v[126:127], s[48:49], v[124:125], v[0:1]
	v_fma_f64 v[126:127], v[124:125], v[126:127], s[50:51]
	;; [unrolled: 1-line block ×6, first 2 shown]
	v_ldexp_f64 v[128:129], v[122:123], 1
	v_mul_f64 v[122:123], v[122:123], v[124:125]
	v_mul_f64 v[122:123], v[122:123], v[126:127]
	v_add_f64 v[124:125], v[128:129], v[122:123]
	v_add_f64 v[126:127], v[124:125], -v[128:129]
	v_ldexp_f64 v[120:121], v[120:121], 1
	v_add_f64 v[122:123], v[122:123], -v[126:127]
	v_add_f64 v[120:121], v[120:121], v[122:123]
	v_frexp_exp_i32_f64_e32 v117, v[118:119]
	v_add_f64 v[122:123], v[124:125], v[120:121]
	v_subbrev_co_u32_e32 v15, vcc, 0, v117, vcc
	v_add_f64 v[124:125], v[122:123], -v[124:125]
	v_add_f64 v[120:121], v[120:121], -v[124:125]
	v_cvt_f64_i32_e32 v[124:125], v15
	v_mul_f64 v[126:127], v[124:125], s[60:61]
	v_fma_f64 v[128:129], v[124:125], s[60:61], -v[126:127]
	v_fmac_f64_e32 v[128:129], s[62:63], v[124:125]
	v_add_f64 v[124:125], v[126:127], v[128:129]
	v_add_f64 v[126:127], v[124:125], -v[126:127]
	v_add_f64 v[126:127], v[128:129], -v[126:127]
	v_add_f64 v[128:129], v[124:125], v[122:123]
	v_add_f64 v[130:131], v[128:129], -v[124:125]
	v_add_f64 v[132:133], v[128:129], -v[130:131]
	;; [unrolled: 1-line block ×4, first 2 shown]
	v_add_f64 v[122:123], v[122:123], v[124:125]
	v_add_f64 v[124:125], v[126:127], v[120:121]
	v_add_f64 v[130:131], v[124:125], -v[126:127]
	v_add_f64 v[132:133], v[124:125], -v[130:131]
	v_add_f64 v[122:123], v[124:125], v[122:123]
	v_add_f64 v[126:127], v[126:127], -v[132:133]
	v_add_f64 v[120:121], v[120:121], -v[130:131]
	v_add_f64 v[124:125], v[128:129], v[122:123]
	v_add_f64 v[120:121], v[120:121], v[126:127]
	v_add_f64 v[126:127], v[124:125], -v[128:129]
	v_add_f64 v[122:123], v[122:123], -v[126:127]
	v_add_f64 v[120:121], v[120:121], v[122:123]
	v_add_f64 v[120:121], v[124:125], v[120:121]
	v_cmp_class_f64_e64 vcc, v[118:119], s71
	v_div_scale_f64 v[122:123], s[0:1], s[22:23], s[22:23], v[10:11]
	v_cndmask_b32_e32 v121, v121, v119, vcc
	v_cndmask_b32_e32 v120, v120, v118, vcc
	v_rcp_f64_e32 v[124:125], v[122:123]
	v_add_f64 v[120:121], v[120:121], s[24:25]
	v_add_f64 v[120:121], v[120:121], s[18:19]
	v_cmp_ngt_f64_e32 vcc, 0, v[118:119]
	v_cndmask_b32_e32 v15, v92, v121, vcc
	v_cmp_nge_f64_e32 vcc, 0, v[118:119]
	v_cndmask_b32_e32 v120, 0, v120, vcc
	v_cmp_neq_f64_e32 vcc, 0, v[118:119]
	v_fma_f64 v[118:119], -v[122:123], v[124:125], 1.0
	v_fmac_f64_e32 v[124:125], v[124:125], v[118:119]
	v_fma_f64 v[118:119], -v[122:123], v[124:125], 1.0
	v_cndmask_b32_e32 v121, v93, v15, vcc
	v_fmac_f64_e32 v[124:125], v[124:125], v[118:119]
	v_div_scale_f64 v[118:119], vcc, v[10:11], s[22:23], v[10:11]
	v_mul_f64 v[126:127], v[118:119], v[124:125]
	v_fma_f64 v[118:119], -v[122:123], v[126:127], v[118:119]
	v_add_f64 v[6:7], v[6:7], 0.5
	s_nop 0
	v_div_fmas_f64 v[118:119], v[118:119], v[124:125], v[126:127]
	v_div_fixup_f64 v[10:11], v[118:119], s[22:23], v[10:11]
	v_frexp_mant_f64_e32 v[118:119], v[10:11]
	v_cmp_gt_f64_e32 vcc, s[44:45], v[118:119]
	v_cndmask_b32_e64 v15, v19, 2.0, vcc
	v_mul_f64 v[118:119], v[118:119], v[14:15]
	v_add_f64 v[122:123], v[118:119], 1.0
	v_rcp_f64_e32 v[124:125], v[122:123]
	v_add_f64 v[128:129], v[122:123], -1.0
	v_add_f64 v[126:127], v[118:119], -1.0
	v_add_f64 v[118:119], v[118:119], -v[128:129]
	v_fma_f64 v[128:129], -v[122:123], v[124:125], 1.0
	v_fmac_f64_e32 v[124:125], v[128:129], v[124:125]
	v_fma_f64 v[128:129], -v[122:123], v[124:125], 1.0
	v_fmac_f64_e32 v[124:125], v[128:129], v[124:125]
	v_mul_f64 v[128:129], v[126:127], v[124:125]
	v_mul_f64 v[130:131], v[122:123], v[128:129]
	v_fma_f64 v[122:123], v[128:129], v[122:123], -v[130:131]
	v_fmac_f64_e32 v[122:123], v[128:129], v[118:119]
	v_add_f64 v[118:119], v[130:131], v[122:123]
	v_add_f64 v[132:133], v[126:127], -v[118:119]
	v_add_f64 v[130:131], v[118:119], -v[130:131]
	;; [unrolled: 1-line block ×5, first 2 shown]
	v_add_f64 v[118:119], v[122:123], v[118:119]
	v_add_f64 v[118:119], v[132:133], v[118:119]
	v_mul_f64 v[118:119], v[124:125], v[118:119]
	v_add_f64 v[122:123], v[128:129], v[118:119]
	v_add_f64 v[124:125], v[122:123], -v[128:129]
	v_add_f64 v[118:119], v[118:119], -v[124:125]
	v_mul_f64 v[124:125], v[122:123], v[122:123]
	v_fmac_f64_e32 v[0:1], s[48:49], v[124:125]
	v_fma_f64 v[0:1], v[124:125], v[0:1], s[50:51]
	v_fma_f64 v[0:1], v[124:125], v[0:1], s[52:53]
	;; [unrolled: 1-line block ×5, first 2 shown]
	v_ldexp_f64 v[126:127], v[122:123], 1
	v_mul_f64 v[122:123], v[122:123], v[124:125]
	v_mul_f64 v[0:1], v[122:123], v[0:1]
	v_add_f64 v[122:123], v[126:127], v[0:1]
	v_add_f64 v[124:125], v[122:123], -v[126:127]
	v_ldexp_f64 v[118:119], v[118:119], 1
	v_add_f64 v[0:1], v[0:1], -v[124:125]
	v_add_f64 v[0:1], v[118:119], v[0:1]
	v_frexp_exp_i32_f64_e32 v117, v[10:11]
	v_add_f64 v[118:119], v[122:123], v[0:1]
	v_subbrev_co_u32_e32 v15, vcc, 0, v117, vcc
	v_add_f64 v[122:123], v[118:119], -v[122:123]
	v_add_f64 v[0:1], v[0:1], -v[122:123]
	v_cvt_f64_i32_e32 v[122:123], v15
	v_mul_f64 v[124:125], v[122:123], s[60:61]
	v_fma_f64 v[126:127], v[122:123], s[60:61], -v[124:125]
	v_fmac_f64_e32 v[126:127], s[62:63], v[122:123]
	v_add_f64 v[122:123], v[124:125], v[126:127]
	v_add_f64 v[124:125], v[122:123], -v[124:125]
	v_add_f64 v[124:125], v[126:127], -v[124:125]
	v_add_f64 v[126:127], v[122:123], v[118:119]
	v_add_f64 v[128:129], v[126:127], -v[122:123]
	v_add_f64 v[130:131], v[126:127], -v[128:129]
	;; [unrolled: 1-line block ×4, first 2 shown]
	v_add_f64 v[118:119], v[118:119], v[122:123]
	v_add_f64 v[122:123], v[124:125], v[0:1]
	v_add_f64 v[128:129], v[122:123], -v[124:125]
	v_add_f64 v[130:131], v[122:123], -v[128:129]
	v_add_f64 v[118:119], v[122:123], v[118:119]
	v_add_f64 v[124:125], v[124:125], -v[130:131]
	v_add_f64 v[0:1], v[0:1], -v[128:129]
	v_add_f64 v[122:123], v[126:127], v[118:119]
	v_add_f64 v[0:1], v[0:1], v[124:125]
	v_add_f64 v[124:125], v[122:123], -v[126:127]
	v_add_f64 v[118:119], v[118:119], -v[124:125]
	v_add_f64 v[0:1], v[0:1], v[118:119]
	v_add_f64 v[0:1], v[122:123], v[0:1]
	v_cmp_class_f64_e64 vcc, v[10:11], s71
	v_cndmask_b32_e32 v0, v0, v10, vcc
	v_cndmask_b32_e32 v1, v1, v11, vcc
	v_cmp_ngt_f64_e32 vcc, 0, v[10:11]
	v_cndmask_b32_e32 v1, v92, v1, vcc
	v_cmp_nge_f64_e32 vcc, 0, v[10:11]
	v_cndmask_b32_e32 v0, 0, v0, vcc
	v_cmp_neq_f64_e32 vcc, 0, v[10:11]
	v_cndmask_b32_e32 v1, v93, v1, vcc
	v_fmac_f64_e32 v[120:121], v[6:7], v[0:1]
	v_add_f64 v[0:1], v[4:5], -v[120:121]
	v_cvt_u32_f64_e32 v4, v[8:9]
	v_cmp_le_f64_e32 vcc, v[2:3], v[0:1]
	v_cndmask_b32_e64 v118, 0, 1, vcc
	v_cndmask_b32_e32 v79, v79, v4, vcc
	v_mov_b32_e32 v117, v116
.LBB78_39:                              ;   in Loop: Header=BB78_29 Depth=2
	s_or_b64 exec, exec, s[20:21]
	v_cmp_gt_i32_e32 vcc, 2, v118
	s_or_b64 s[6:7], vcc, s[6:7]
	v_mov_b32_e32 v15, v117
	v_mov_b32_e32 v0, v91
	;; [unrolled: 1-line block ×5, first 2 shown]
	s_andn2_b64 exec, exec, s[6:7]
	s_cbranch_execnz .LBB78_29
; %bb.40:                               ;   in Loop: Header=BB78_29 Depth=2
	s_or_b64 exec, exec, s[6:7]
	v_cmp_ne_u32_e32 vcc, 0, v118
	s_or_b64 s[4:5], vcc, s[4:5]
	s_mov_b64 s[6:7], 0
	v_mov_b32_e32 v15, v117
	v_mov_b32_e32 v0, v91
	;; [unrolled: 1-line block ×5, first 2 shown]
	s_andn2_b64 exec, exec, s[4:5]
	s_cbranch_execnz .LBB78_29
; %bb.41:                               ;   in Loop: Header=BB78_5 Depth=1
	s_or_b64 exec, exec, s[4:5]
	v_readlane_b32 s0, v134, 25
	v_readlane_b32 s1, v134, 26
                                        ; implicit-def: $vgpr76_vgpr77
                                        ; implicit-def: $vgpr15
                                        ; implicit-def: $vgpr96
                                        ; implicit-def: $vgpr97
                                        ; implicit-def: $vgpr105
                                        ; implicit-def: $vgpr95
                                        ; implicit-def: $vgpr3
                                        ; implicit-def: $vgpr4_vgpr5
                                        ; implicit-def: $vgpr98
                                        ; implicit-def: $vgpr99
                                        ; implicit-def: $vgpr100
                                        ; implicit-def: $vgpr101
                                        ; implicit-def: $vgpr103
                                        ; implicit-def: $vgpr104
                                        ; implicit-def: $vgpr106
                                        ; implicit-def: $vgpr107
                                        ; implicit-def: $vgpr108
                                        ; implicit-def: $vgpr109
                                        ; implicit-def: $vgpr110
                                        ; implicit-def: $vgpr111
                                        ; implicit-def: $vgpr112
                                        ; implicit-def: $vgpr113
                                        ; implicit-def: $vgpr102
                                        ; implicit-def: $vgpr114
.LBB78_42:                              ;   in Loop: Header=BB78_5 Depth=1
	s_andn2_saveexec_b64 s[4:5], s[0:1]
	s_cbranch_execz .LBB78_54
; %bb.43:                               ;   in Loop: Header=BB78_5 Depth=1
	v_add_co_u32_e32 v6, vcc, 1, v96
	v_cndmask_b32_e64 v7, 0, 1, vcc
	v_addc_co_u32_e32 v10, vcc, 0, v97, vcc
	v_cmp_eq_u32_e32 vcc, 0, v10
	v_cndmask_b32_e32 v7, 0, v7, vcc
	v_add_u32_e32 v8, v7, v12
	v_cmp_eq_u32_e32 vcc, 0, v8
	v_cndmask_b32_e32 v11, 0, v7, vcc
	v_mad_u64_u32 v[6:7], s[0:1], v6, s70, 0
	v_mad_u64_u32 v[8:9], s[0:1], v8, s33, 0
	v_xor_b32_e32 v7, v7, v77
	v_xor_b32_e32 v9, v9, v76
	v_xor_b32_e32 v7, v11, v7
	v_xor_b32_e32 v9, v10, v9
	v_mad_u64_u32 v[76:77], s[0:1], v7, s33, 0
	v_mad_u64_u32 v[10:11], s[0:1], v9, s70, 0
	v_xor_b32_e32 v7, v98, v77
	v_xor_b32_e32 v7, v7, v8
	v_xor_b32_e32 v8, v99, v11
	v_xor_b32_e32 v8, v8, v6
	;; [unrolled: 6-line block ×8, first 2 shown]
	v_mad_u64_u32 v[78:79], s[0:1], v7, s70, 0
	v_mad_u64_u32 v[8:9], s[0:1], v6, s33, 0
	v_xor_b32_e32 v6, v114, v79
	v_xor_b32_e32 v6, v6, v10
	v_mad_u64_u32 v[6:7], s[0:1], v6, s33, 0
	v_xor_b32_e32 v7, v7, v8
	v_xor_b32_e32 v10, v105, v7
	v_cmp_lt_i32_e32 vcc, 1, v15
                                        ; implicit-def: $vgpr8
	s_and_saveexec_b64 s[0:1], vcc
	s_xor_b64 s[0:1], exec, s[0:1]
	s_cbranch_execz .LBB78_49
; %bb.44:                               ;   in Loop: Header=BB78_5 Depth=1
	v_cmp_lt_i32_e32 vcc, 2, v15
                                        ; implicit-def: $vgpr8
	s_and_saveexec_b64 s[6:7], vcc
	s_xor_b64 s[6:7], exec, s[6:7]
; %bb.45:                               ;   in Loop: Header=BB78_5 Depth=1
	v_xor_b32_e32 v0, v102, v9
	v_xor_b32_e32 v0, v0, v76
	v_mul_hi_u32 v0, v0, s70
	v_xor_b32_e32 v0, v0, v78
	v_xor_b32_e32 v8, v95, v0
; %bb.46:                               ;   in Loop: Header=BB78_5 Depth=1
	s_andn2_saveexec_b64 s[6:7], s[6:7]
; %bb.47:                               ;   in Loop: Header=BB78_5 Depth=1
	v_mov_b32_e32 v8, v6
	v_mov_b32_e32 v6, v10
	;; [unrolled: 1-line block ×4, first 2 shown]
; %bb.48:                               ;   in Loop: Header=BB78_5 Depth=1
	s_or_b64 exec, exec, s[6:7]
                                        ; implicit-def: $vgpr15
.LBB78_49:                              ;   in Loop: Header=BB78_5 Depth=1
	s_andn2_saveexec_b64 s[0:1], s[0:1]
	s_cbranch_execz .LBB78_53
; %bb.50:                               ;   in Loop: Header=BB78_5 Depth=1
	v_cmp_eq_u32_e32 vcc, 1, v15
	v_mov_b32_e32 v8, v3
	v_mov_b32_e32 v6, v2
	;; [unrolled: 1-line block ×3, first 2 shown]
	s_and_saveexec_b64 s[6:7], vcc
; %bb.51:                               ;   in Loop: Header=BB78_5 Depth=1
	v_mov_b32_e32 v8, v10
	v_mov_b32_e32 v6, v3
	;; [unrolled: 1-line block ×4, first 2 shown]
; %bb.52:                               ;   in Loop: Header=BB78_5 Depth=1
	s_or_b64 exec, exec, s[6:7]
	v_mov_b32_e32 v3, v0
	v_mov_b32_e32 v10, v7
.LBB78_53:                              ;   in Loop: Header=BB78_5 Depth=1
	s_or_b64 exec, exec, s[0:1]
	v_mov_b32_e32 v11, v14
	v_lshlrev_b64 v[0:1], 21, v[10:11]
	v_xor_b32_e32 v2, v0, v3
	v_cvt_f64_u32_e32 v[0:1], v1
	v_ldexp_f64 v[0:1], v[0:1], 32
	v_cvt_f64_u32_e32 v[2:3], v2
	v_add_f64 v[0:1], v[0:1], v[2:3]
	v_mov_b32_e32 v2, 0
	v_mov_b32_e32 v3, 0x3ca00000
	v_fmac_f64_e32 v[2:3], 0x3ca00000, v[0:1]
	v_mov_b32_e32 v9, v14
	v_lshlrev_b64 v[0:1], 21, v[8:9]
	v_frexp_mant_f64_e32 v[8:9], v[2:3]
	v_cmp_gt_f64_e32 vcc, s[44:45], v[8:9]
	v_cndmask_b32_e64 v15, v19, 2.0, vcc
	v_frexp_exp_i32_f64_e32 v10, v[2:3]
	v_mul_f64 v[8:9], v[8:9], v[14:15]
	v_subbrev_co_u32_e32 v15, vcc, 0, v10, vcc
	v_add_f64 v[10:11], v[8:9], 1.0
	v_rcp_f64_e32 v[76:77], v[10:11]
	v_add_f64 v[80:81], v[10:11], -1.0
	v_add_f64 v[78:79], v[8:9], -1.0
	v_add_f64 v[8:9], v[8:9], -v[80:81]
	v_fma_f64 v[80:81], -v[10:11], v[76:77], 1.0
	v_fmac_f64_e32 v[76:77], v[80:81], v[76:77]
	v_fma_f64 v[80:81], -v[10:11], v[76:77], 1.0
	v_fmac_f64_e32 v[76:77], v[80:81], v[76:77]
	v_mul_f64 v[80:81], v[78:79], v[76:77]
	v_mul_f64 v[82:83], v[10:11], v[80:81]
	v_fma_f64 v[10:11], v[80:81], v[10:11], -v[82:83]
	v_fmac_f64_e32 v[10:11], v[80:81], v[8:9]
	v_add_f64 v[8:9], v[82:83], v[10:11]
	v_add_f64 v[84:85], v[78:79], -v[8:9]
	v_add_f64 v[82:83], v[8:9], -v[82:83]
	;; [unrolled: 1-line block ×5, first 2 shown]
	v_add_f64 v[8:9], v[10:11], v[8:9]
	v_add_f64 v[8:9], v[84:85], v[8:9]
	v_mul_f64 v[8:9], v[76:77], v[8:9]
	v_add_f64 v[10:11], v[80:81], v[8:9]
	v_add_f64 v[76:77], v[10:11], -v[80:81]
	v_add_f64 v[8:9], v[8:9], -v[76:77]
	v_mul_f64 v[76:77], v[10:11], v[10:11]
	v_pk_mov_b32 v[78:79], v[20:21], v[20:21] op_sel:[0,1]
	v_fmac_f64_e32 v[78:79], s[48:49], v[76:77]
	v_pk_mov_b32 v[80:81], v[22:23], v[22:23] op_sel:[0,1]
	v_fmac_f64_e32 v[80:81], v[76:77], v[78:79]
	;; [unrolled: 2-line block ×6, first 2 shown]
	v_ldexp_f64 v[78:79], v[10:11], 1
	v_mul_f64 v[10:11], v[10:11], v[76:77]
	v_mul_f64 v[10:11], v[10:11], v[80:81]
	v_add_f64 v[76:77], v[78:79], v[10:11]
	v_add_f64 v[78:79], v[76:77], -v[78:79]
	v_ldexp_f64 v[8:9], v[8:9], 1
	v_add_f64 v[10:11], v[10:11], -v[78:79]
	v_add_f64 v[8:9], v[8:9], v[10:11]
	v_add_f64 v[10:11], v[76:77], v[8:9]
	v_add_f64 v[76:77], v[10:11], -v[76:77]
	v_add_f64 v[8:9], v[8:9], -v[76:77]
	v_cvt_f64_i32_e32 v[76:77], v15
	v_mul_f64 v[78:79], v[76:77], s[60:61]
	v_fma_f64 v[80:81], v[76:77], s[60:61], -v[78:79]
	v_fmac_f64_e32 v[80:81], s[62:63], v[76:77]
	v_add_f64 v[76:77], v[78:79], v[80:81]
	v_add_f64 v[78:79], v[76:77], -v[78:79]
	v_add_f64 v[78:79], v[80:81], -v[78:79]
	v_add_f64 v[80:81], v[76:77], v[10:11]
	v_add_f64 v[82:83], v[80:81], -v[76:77]
	v_add_f64 v[84:85], v[80:81], -v[82:83]
	;; [unrolled: 1-line block ×4, first 2 shown]
	v_add_f64 v[10:11], v[10:11], v[76:77]
	v_add_f64 v[76:77], v[78:79], v[8:9]
	v_add_f64 v[82:83], v[76:77], -v[78:79]
	v_add_f64 v[84:85], v[76:77], -v[82:83]
	v_add_f64 v[10:11], v[76:77], v[10:11]
	v_add_f64 v[78:79], v[78:79], -v[84:85]
	v_add_f64 v[8:9], v[8:9], -v[82:83]
	v_add_f64 v[76:77], v[80:81], v[10:11]
	v_add_f64 v[8:9], v[8:9], v[78:79]
	v_add_f64 v[78:79], v[76:77], -v[80:81]
	v_add_f64 v[10:11], v[10:11], -v[78:79]
	s_mov_b32 s20, 0
	v_add_f64 v[8:9], v[8:9], v[10:11]
	s_mov_b32 s21, 0x7ff00000
	v_add_f64 v[8:9], v[76:77], v[8:9]
	v_cmp_eq_f64_e32 vcc, s[20:21], v[2:3]
	v_cndmask_b32_e32 v9, v9, v3, vcc
	v_cndmask_b32_e32 v8, v8, v2, vcc
	v_mul_f64 v[8:9], v[8:9], -2.0
	v_cmp_neq_f64_e32 vcc, 0, v[2:3]
	s_mov_b32 s0, 0
	v_cndmask_b32_e32 v3, v94, v9, vcc
	v_cndmask_b32_e32 v2, 0, v8, vcc
	s_brev_b32 s1, 8
	v_cmp_gt_f64_e32 vcc, s[0:1], v[2:3]
	v_cndmask_b32_e64 v8, 0, 1, vcc
	v_lshlrev_b32_e32 v8, 8, v8
	v_ldexp_f64 v[2:3], v[2:3], v8
	v_xor_b32_e32 v6, v0, v6
	v_cvt_f64_u32_e32 v[0:1], v1
	v_rsq_f64_e32 v[8:9], v[2:3]
	v_ldexp_f64 v[0:1], v[0:1], 32
	v_cvt_f64_u32_e32 v[6:7], v6
	v_add_f64 v[0:1], v[0:1], v[6:7]
	v_mov_b32_e32 v6, 0
	v_mov_b32_e32 v7, 0x3cb00000
	v_fmac_f64_e32 v[6:7], 0x3cb00000, v[0:1]
	v_mul_f64 v[0:1], v[2:3], v[8:9]
	v_mul_f64 v[8:9], v[8:9], 0.5
	v_fma_f64 v[10:11], -v[8:9], v[0:1], 0.5
	v_fmac_f64_e32 v[0:1], v[0:1], v[10:11]
	v_fma_f64 v[76:77], -v[0:1], v[0:1], v[2:3]
	v_fmac_f64_e32 v[8:9], v[8:9], v[10:11]
	v_fmac_f64_e32 v[0:1], v[76:77], v[8:9]
	v_fma_f64 v[10:11], -v[0:1], v[0:1], v[2:3]
	v_fmac_f64_e32 v[0:1], v[10:11], v[8:9]
	v_cndmask_b32_e32 v8, 0, v17, vcc
	v_ldexp_f64 v[0:1], v[0:1], v8
	v_cmp_class_f64_e32 vcc, v[2:3], v13
	v_cndmask_b32_e32 v1, v1, v3, vcc
	v_cndmask_b32_e32 v0, v0, v2, vcc
	v_mul_f64 v[2:3], v[6:7], 0.5
	v_fract_f64_e32 v[8:9], v[2:3]
	v_add_f64 v[8:9], v[8:9], v[8:9]
	v_cmp_neq_f64_e32 vcc, s[20:21], v[2:3]
	v_cndmask_b32_e32 v2, 0, v8, vcc
	v_cndmask_b32_e32 v3, 0, v9, vcc
	v_cmp_lt_f64_e32 vcc, 1.0, v[6:7]
	v_cndmask_b32_e32 v3, v7, v3, vcc
	v_cndmask_b32_e32 v2, v6, v2, vcc
	v_add_f64 v[8:9], v[2:3], v[2:3]
	v_rndne_f64_e32 v[8:9], v[8:9]
	v_fmac_f64_e32 v[2:3], -0.5, v[8:9]
	s_mov_b32 s6, 0xf99eb0bb
	v_cvt_i32_f64_e32 v15, v[8:9]
	v_mul_f64 v[8:9], v[2:3], v[2:3]
	v_pk_mov_b32 v[10:11], v[50:51], v[50:51] op_sel:[0,1]
	s_mov_b32 s7, 0x3f3e357e
	v_fmac_f64_e32 v[10:11], s[6:7], v[8:9]
	v_pk_mov_b32 v[76:77], v[52:53], v[52:53] op_sel:[0,1]
	v_fmac_f64_e32 v[76:77], v[8:9], v[10:11]
	v_pk_mov_b32 v[10:11], v[54:55], v[54:55] op_sel:[0,1]
	;; [unrolled: 2-line block ×4, first 2 shown]
	v_fmac_f64_e32 v[10:11], v[8:9], v[76:77]
	v_mul_f64 v[76:77], v[2:3], v[8:9]
	s_mov_b32 s6, 0x54442d18
	v_mul_f64 v[10:11], v[76:77], v[10:11]
	s_mov_b32 s7, 0x400921fb
	v_fmac_f64_e32 v[10:11], s[6:7], v[2:3]
	s_mov_b32 s6, 0x2e21c33
	v_pk_mov_b32 v[2:3], v[60:61], v[60:61] op_sel:[0,1]
	s_mov_b32 s7, 0xbf1b1673
	v_fmac_f64_e32 v[2:3], s[6:7], v[8:9]
	v_pk_mov_b32 v[76:77], v[62:63], v[62:63] op_sel:[0,1]
	v_fmac_f64_e32 v[76:77], v[8:9], v[2:3]
	v_pk_mov_b32 v[2:3], v[64:65], v[64:65] op_sel:[0,1]
	;; [unrolled: 2-line block ×5, first 2 shown]
	v_fmac_f64_e32 v[76:77], v[8:9], v[2:3]
	v_fma_f64 v[2:3], v[8:9], v[76:77], 1.0
	v_and_b32_e32 v9, 1, v15
	v_lshlrev_b32_e32 v8, 30, v15
	v_cmp_eq_u32_e32 vcc, 0, v9
	v_cndmask_b32_e32 v10, v2, v10, vcc
	v_cndmask_b32_e32 v2, v3, v11, vcc
	v_xor_b32_e32 v3, v8, v7
	v_and_b32_e32 v3, 0x80000000, v3
	v_cmp_gt_f64_e32 vcc, s[0:1], v[4:5]
	v_xor_b32_e32 v11, v2, v3
	v_cndmask_b32_e64 v2, 0, 1, vcc
	v_lshlrev_b32_e32 v2, 8, v2
	v_ldexp_f64 v[2:3], v[4:5], v2
	v_rsq_f64_e32 v[8:9], v[2:3]
	v_cmp_lg_f64_e64 s[0:1], s[20:21], v[6:7]
	v_cndmask_b32_e64 v6, 0, v10, s[0:1]
	v_cndmask_b32_e64 v7, v92, v11, s[0:1]
	v_mul_f64 v[0:1], v[0:1], v[6:7]
	v_mul_f64 v[6:7], v[2:3], v[8:9]
	v_mul_f64 v[8:9], v[8:9], 0.5
	v_fma_f64 v[10:11], -v[8:9], v[6:7], 0.5
	v_fmac_f64_e32 v[6:7], v[6:7], v[10:11]
	v_fma_f64 v[76:77], -v[6:7], v[6:7], v[2:3]
	v_fmac_f64_e32 v[8:9], v[8:9], v[10:11]
	v_fmac_f64_e32 v[6:7], v[76:77], v[8:9]
	v_fma_f64 v[10:11], -v[6:7], v[6:7], v[2:3]
	v_fmac_f64_e32 v[6:7], v[10:11], v[8:9]
	v_cndmask_b32_e32 v8, 0, v17, vcc
	v_ldexp_f64 v[6:7], v[6:7], v8
	v_cmp_class_f64_e32 vcc, v[2:3], v13
	v_cndmask_b32_e32 v3, v7, v3, vcc
	v_cndmask_b32_e32 v2, v6, v2, vcc
	v_fmac_f64_e32 v[4:5], v[2:3], v[0:1]
	v_trunc_f64_e32 v[0:1], v[4:5]
	v_add_f64 v[2:3], v[4:5], -v[0:1]
	v_cmp_ge_f64_e64 vcc, |v[2:3]|, 0.5
	v_cndmask_b32_e32 v2, 0, v19, vcc
	s_brev_b32 s0, -2
	v_bfi_b32 v15, s0, v2, v5
	v_add_f64 v[0:1], v[0:1], v[14:15]
	v_cvt_u32_f64_e32 v79, v[0:1]
.LBB78_54:                              ;   in Loop: Header=BB78_5 Depth=1
	s_or_b64 exec, exec, s[4:5]
                                        ; implicit-def: $vgpr6
                                        ; implicit-def: $vgpr76_vgpr77
                                        ; implicit-def: $vgpr15
                                        ; implicit-def: $vgpr96
                                        ; implicit-def: $vgpr97
                                        ; implicit-def: $vgpr105
                                        ; implicit-def: $vgpr95
                                        ; implicit-def: $vgpr3
                                        ; implicit-def: $vgpr4_vgpr5
                                        ; implicit-def: $vgpr98
                                        ; implicit-def: $vgpr99
                                        ; implicit-def: $vgpr100
                                        ; implicit-def: $vgpr101
                                        ; implicit-def: $vgpr103
                                        ; implicit-def: $vgpr104
                                        ; implicit-def: $vgpr106
                                        ; implicit-def: $vgpr107
                                        ; implicit-def: $vgpr108
                                        ; implicit-def: $vgpr109
                                        ; implicit-def: $vgpr110
                                        ; implicit-def: $vgpr111
                                        ; implicit-def: $vgpr112
                                        ; implicit-def: $vgpr113
                                        ; implicit-def: $vgpr102
                                        ; implicit-def: $vgpr114
.LBB78_55:                              ;   in Loop: Header=BB78_5 Depth=1
	s_andn2_saveexec_b64 s[4:5], s[16:17]
	s_cbranch_execz .LBB78_3
; %bb.56:                               ;   in Loop: Header=BB78_5 Depth=1
	v_readlane_b32 s0, v134, 23
	v_readlane_b32 s1, v134, 24
	s_mov_b32 s0, s66
	v_mul_f64 v[8:9], v[4:5], s[0:1]
	v_rndne_f64_e32 v[10:11], v[8:9]
	s_mov_b32 s68, s60
	v_fma_f64 v[4:5], v[10:11], s[68:69], -v[4:5]
	s_mov_b32 s72, s62
	v_fmac_f64_e32 v[4:5], s[72:73], v[10:11]
	v_pk_mov_b32 v[8:9], v[32:33], v[32:33] op_sel:[0,1]
	v_fmac_f64_e32 v[8:9], s[74:75], v[4:5]
	v_pk_mov_b32 v[78:79], v[34:35], v[34:35] op_sel:[0,1]
	;; [unrolled: 2-line block ×9, first 2 shown]
	v_fmac_f64_e32 v[80:81], v[4:5], v[78:79]
	v_fma_f64 v[78:79], v[4:5], v[80:81], 1.0
	s_mov_b32 s0, 0xc4800000
	v_fma_f64 v[4:5], v[4:5], v[78:79], 1.0
	v_cvt_i32_f64_e32 v7, v[10:11]
	v_cmp_ngt_f32_e32 vcc, s0, v6
	s_mov_b32 s0, 0x44866000
	s_mov_b32 s7, s1
	v_ldexp_f64 v[4:5], v[4:5], v7
	v_cmp_nlt_f32_e64 s[0:1], s0, v6
	v_mov_b32_e32 v8, 0
	v_cndmask_b32_e32 v5, v94, v5, vcc
	s_and_b64 vcc, s[0:1], vcc
	v_writelane_b32 v134, s6, 23
	v_mov_b32_e32 v9, 0x3ff00000
	v_mov_b32_e32 v82, 0
	v_cndmask_b32_e64 v11, 0, v5, s[0:1]
	v_cndmask_b32_e32 v10, 0, v4, vcc
	s_mov_b32 s16, -1
	s_mov_b64 s[0:1], 0
	v_mov_b32_e32 v83, v12
	v_writelane_b32 v134, s7, 24
	s_branch .LBB78_58
.LBB78_57:                              ;   in Loop: Header=BB78_58 Depth=2
	s_or_b64 exec, exec, s[6:7]
	v_cmp_eq_u32_e32 vcc, 1, v15
	v_cndmask_b32_e32 v0, v0, v1, vcc
	v_cmp_eq_u32_e32 vcc, 2, v15
	v_cndmask_b32_e32 v0, v0, v2, vcc
	;; [unrolled: 2-line block ×6, first 2 shown]
	v_lshrrev_b32_e32 v0, 11, v0
	v_cvt_f64_u32_e32 v[0:1], v0
	v_ldexp_f64 v[0:1], v[0:1], 32
	v_cvt_f64_u32_e32 v[2:3], v2
	v_add_f64 v[0:1], v[0:1], v[2:3]
	v_mov_b32_e32 v2, 0
	v_mov_b32_e32 v3, 0x3ca00000
	v_fmac_f64_e32 v[2:3], 0x3ca00000, v[0:1]
	v_mul_f64 v[8:9], v[8:9], v[2:3]
	v_cmp_ngt_f64_e32 vcc, v[8:9], v[10:11]
	s_add_i32 s16, s16, 1
	s_or_b64 s[0:1], vcc, s[0:1]
	v_mov_b32_e32 v79, s16
	v_mov_b32_e32 v15, v85
	v_mov_b32_e32 v0, v81
	v_mov_b32_e32 v1, v80
	v_mov_b32_e32 v2, v86
	v_mov_b32_e32 v3, v78
	s_andn2_b64 exec, exec, s[0:1]
	s_cbranch_execz .LBB78_2
.LBB78_58:                              ;   Parent Loop BB78_5 Depth=1
                                        ; =>  This Inner Loop Header: Depth=2
	v_add_u32_e32 v84, 1, v15
	v_pk_mov_b32 v[6:7], v[2:3], v[2:3] op_sel:[0,1]
	v_cmp_eq_u32_e32 vcc, 4, v84
	v_pk_mov_b32 v[4:5], v[0:1], v[0:1] op_sel:[0,1]
	v_mov_b32_e32 v81, v0
	v_mov_b32_e32 v80, v1
	;; [unrolled: 1-line block ×4, first 2 shown]
	s_and_saveexec_b64 s[6:7], vcc
	s_cbranch_execz .LBB78_60
; %bb.59:                               ;   in Loop: Header=BB78_58 Depth=2
	v_add_co_u32_e32 v96, vcc, 1, v96
	v_cndmask_b32_e64 v4, 0, 1, vcc
	v_addc_co_u32_e32 v97, vcc, 0, v97, vcc
	v_cmp_eq_u32_e32 vcc, 0, v97
	v_cndmask_b32_e32 v4, 0, v4, vcc
	v_add_u32_e32 v83, v4, v83
	v_cmp_eq_u32_e32 vcc, 0, v83
	v_cndmask_b32_e32 v4, 0, v4, vcc
	v_add_u32_e32 v82, v4, v82
	v_mad_u64_u32 v[4:5], s[20:21], v96, s70, 0
	v_mad_u64_u32 v[6:7], s[20:21], v83, s33, 0
	v_xor_b32_e32 v5, v5, v77
	v_xor_b32_e32 v7, v7, v76
	v_xor_b32_e32 v5, v82, v5
	v_xor_b32_e32 v7, v97, v7
	v_mad_u64_u32 v[80:81], s[20:21], v5, s33, 0
	v_mad_u64_u32 v[78:79], s[20:21], v7, s70, 0
	v_xor_b32_e32 v5, v98, v81
	v_xor_b32_e32 v5, v5, v6
	v_xor_b32_e32 v6, v99, v79
	v_xor_b32_e32 v6, v6, v4
	;; [unrolled: 6-line block ×10, first 2 shown]
	v_mov_b32_e32 v84, 0
	v_mov_b32_e32 v5, v80
	;; [unrolled: 1-line block ×5, first 2 shown]
.LBB78_60:                              ;   in Loop: Header=BB78_58 Depth=2
	s_or_b64 exec, exec, s[6:7]
	v_add_u32_e32 v85, 1, v84
	v_cmp_eq_u32_e32 vcc, 4, v85
	s_and_saveexec_b64 s[6:7], vcc
	s_cbranch_execz .LBB78_57
; %bb.61:                               ;   in Loop: Header=BB78_58 Depth=2
	v_add_co_u32_e32 v96, vcc, 1, v96
	v_cndmask_b32_e64 v78, 0, 1, vcc
	v_addc_co_u32_e32 v97, vcc, 0, v97, vcc
	v_cmp_eq_u32_e32 vcc, 0, v97
	v_cndmask_b32_e32 v78, 0, v78, vcc
	v_add_u32_e32 v83, v78, v83
	v_cmp_eq_u32_e32 vcc, 0, v83
	v_cndmask_b32_e32 v78, 0, v78, vcc
	v_add_u32_e32 v82, v78, v82
	v_mad_u64_u32 v[78:79], s[20:21], v96, s70, 0
	v_mad_u64_u32 v[80:81], s[20:21], v83, s33, 0
	v_xor_b32_e32 v79, v79, v77
	v_xor_b32_e32 v81, v81, v76
	v_xor_b32_e32 v79, v82, v79
	v_xor_b32_e32 v81, v97, v81
	v_mad_u64_u32 v[88:89], s[20:21], v79, s33, 0
	v_mad_u64_u32 v[86:87], s[20:21], v81, s70, 0
	v_xor_b32_e32 v79, v98, v89
	v_xor_b32_e32 v79, v79, v80
	v_xor_b32_e32 v80, v99, v87
	v_xor_b32_e32 v80, v80, v78
	;; [unrolled: 6-line block ×9, first 2 shown]
	v_mad_u64_u32 v[78:79], s[20:21], v78, s70, 0
	v_mad_u64_u32 v[80:81], s[20:21], v80, s33, 0
	v_xor_b32_e32 v81, v81, v116
	v_xor_b32_e32 v79, v79, v90
	v_mov_b32_e32 v85, 0
	v_xor_b32_e32 v81, v105, v81
	v_xor_b32_e32 v86, v95, v79
	s_branch .LBB78_57
.LBB78_62:
	s_or_b64 exec, exec, s[26:27]
	s_and_saveexec_b64 s[0:1], s[28:29]
	s_xor_b64 s[0:1], exec, s[0:1]
	s_cbranch_execnz .LBB78_64
.LBB78_63:
	s_endpgm
.LBB78_64:
	s_trap 2
	; divergent unreachable
	s_endpgm
	.section	.rodata,"a",@progbits
	.p2align	6, 0x0
	.amdhsa_kernel _ZN2at4cuda12_GLOBAL__N_121kernelPointwiseApply2IZN12_GLOBAL__N_119poisson_cuda_kernelIfEEvRKNS_10TensorBaseES7_NS_15PhiloxCudaStateEEUlRfRKfE_ffmLin1ELin1ELi1ELi512ELi2EEEvNS0_6detail10TensorInfoIT0_T2_EENSE_IT1_SG_EESG_T_
		.amdhsa_group_segment_fixed_size 0
		.amdhsa_private_segment_fixed_size 0
		.amdhsa_kernarg_size 1128
		.amdhsa_user_sgpr_count 6
		.amdhsa_user_sgpr_private_segment_buffer 1
		.amdhsa_user_sgpr_dispatch_ptr 0
		.amdhsa_user_sgpr_queue_ptr 0
		.amdhsa_user_sgpr_kernarg_segment_ptr 1
		.amdhsa_user_sgpr_dispatch_id 0
		.amdhsa_user_sgpr_flat_scratch_init 0
		.amdhsa_user_sgpr_kernarg_preload_length 0
		.amdhsa_user_sgpr_kernarg_preload_offset 0
		.amdhsa_user_sgpr_private_segment_size 0
		.amdhsa_uses_dynamic_stack 0
		.amdhsa_system_sgpr_private_segment_wavefront_offset 0
		.amdhsa_system_sgpr_workgroup_id_x 1
		.amdhsa_system_sgpr_workgroup_id_y 0
		.amdhsa_system_sgpr_workgroup_id_z 0
		.amdhsa_system_sgpr_workgroup_info 0
		.amdhsa_system_vgpr_workitem_id 0
		.amdhsa_next_free_vgpr 135
		.amdhsa_next_free_sgpr 96
		.amdhsa_accum_offset 136
		.amdhsa_reserve_vcc 1
		.amdhsa_reserve_flat_scratch 0
		.amdhsa_float_round_mode_32 0
		.amdhsa_float_round_mode_16_64 0
		.amdhsa_float_denorm_mode_32 3
		.amdhsa_float_denorm_mode_16_64 3
		.amdhsa_dx10_clamp 1
		.amdhsa_ieee_mode 1
		.amdhsa_fp16_overflow 0
		.amdhsa_tg_split 0
		.amdhsa_exception_fp_ieee_invalid_op 0
		.amdhsa_exception_fp_denorm_src 0
		.amdhsa_exception_fp_ieee_div_zero 0
		.amdhsa_exception_fp_ieee_overflow 0
		.amdhsa_exception_fp_ieee_underflow 0
		.amdhsa_exception_fp_ieee_inexact 0
		.amdhsa_exception_int_div_zero 0
	.end_amdhsa_kernel
	.section	.text._ZN2at4cuda12_GLOBAL__N_121kernelPointwiseApply2IZN12_GLOBAL__N_119poisson_cuda_kernelIfEEvRKNS_10TensorBaseES7_NS_15PhiloxCudaStateEEUlRfRKfE_ffmLin1ELin1ELi1ELi512ELi2EEEvNS0_6detail10TensorInfoIT0_T2_EENSE_IT1_SG_EESG_T_,"axG",@progbits,_ZN2at4cuda12_GLOBAL__N_121kernelPointwiseApply2IZN12_GLOBAL__N_119poisson_cuda_kernelIfEEvRKNS_10TensorBaseES7_NS_15PhiloxCudaStateEEUlRfRKfE_ffmLin1ELin1ELi1ELi512ELi2EEEvNS0_6detail10TensorInfoIT0_T2_EENSE_IT1_SG_EESG_T_,comdat
.Lfunc_end78:
	.size	_ZN2at4cuda12_GLOBAL__N_121kernelPointwiseApply2IZN12_GLOBAL__N_119poisson_cuda_kernelIfEEvRKNS_10TensorBaseES7_NS_15PhiloxCudaStateEEUlRfRKfE_ffmLin1ELin1ELi1ELi512ELi2EEEvNS0_6detail10TensorInfoIT0_T2_EENSE_IT1_SG_EESG_T_, .Lfunc_end78-_ZN2at4cuda12_GLOBAL__N_121kernelPointwiseApply2IZN12_GLOBAL__N_119poisson_cuda_kernelIfEEvRKNS_10TensorBaseES7_NS_15PhiloxCudaStateEEUlRfRKfE_ffmLin1ELin1ELi1ELi512ELi2EEEvNS0_6detail10TensorInfoIT0_T2_EENSE_IT1_SG_EESG_T_
                                        ; -- End function
	.section	.AMDGPU.csdata,"",@progbits
; Kernel info:
; codeLenInByte = 15440
; NumSgprs: 100
; NumVgprs: 135
; NumAgprs: 0
; TotalNumVgprs: 135
; ScratchSize: 0
; MemoryBound: 0
; FloatMode: 240
; IeeeMode: 1
; LDSByteSize: 0 bytes/workgroup (compile time only)
; SGPRBlocks: 12
; VGPRBlocks: 16
; NumSGPRsForWavesPerEU: 100
; NumVGPRsForWavesPerEU: 135
; AccumOffset: 136
; Occupancy: 3
; WaveLimiterHint : 1
; COMPUTE_PGM_RSRC2:SCRATCH_EN: 0
; COMPUTE_PGM_RSRC2:USER_SGPR: 6
; COMPUTE_PGM_RSRC2:TRAP_HANDLER: 0
; COMPUTE_PGM_RSRC2:TGID_X_EN: 1
; COMPUTE_PGM_RSRC2:TGID_Y_EN: 0
; COMPUTE_PGM_RSRC2:TGID_Z_EN: 0
; COMPUTE_PGM_RSRC2:TIDIG_COMP_CNT: 0
; COMPUTE_PGM_RSRC3_GFX90A:ACCUM_OFFSET: 33
; COMPUTE_PGM_RSRC3_GFX90A:TG_SPLIT: 0
	.section	.text._ZN2at4cuda12_GLOBAL__N_121kernelPointwiseApply2IZN12_GLOBAL__N_119poisson_cuda_kernelIN3c104HalfEEEvRKNS_10TensorBaseES9_NS_15PhiloxCudaStateEEUlRS6_RKS6_E_S6_S6_jLi1ELi1ELi1ELi512ELi2EEEvNS0_6detail10TensorInfoIT0_T2_EENSG_IT1_SI_EESI_T_,"axG",@progbits,_ZN2at4cuda12_GLOBAL__N_121kernelPointwiseApply2IZN12_GLOBAL__N_119poisson_cuda_kernelIN3c104HalfEEEvRKNS_10TensorBaseES9_NS_15PhiloxCudaStateEEUlRS6_RKS6_E_S6_S6_jLi1ELi1ELi1ELi512ELi2EEEvNS0_6detail10TensorInfoIT0_T2_EENSG_IT1_SI_EESI_T_,comdat
	.globl	_ZN2at4cuda12_GLOBAL__N_121kernelPointwiseApply2IZN12_GLOBAL__N_119poisson_cuda_kernelIN3c104HalfEEEvRKNS_10TensorBaseES9_NS_15PhiloxCudaStateEEUlRS6_RKS6_E_S6_S6_jLi1ELi1ELi1ELi512ELi2EEEvNS0_6detail10TensorInfoIT0_T2_EENSG_IT1_SI_EESI_T_ ; -- Begin function _ZN2at4cuda12_GLOBAL__N_121kernelPointwiseApply2IZN12_GLOBAL__N_119poisson_cuda_kernelIN3c104HalfEEEvRKNS_10TensorBaseES9_NS_15PhiloxCudaStateEEUlRS6_RKS6_E_S6_S6_jLi1ELi1ELi1ELi512ELi2EEEvNS0_6detail10TensorInfoIT0_T2_EENSG_IT1_SI_EESI_T_
	.p2align	8
	.type	_ZN2at4cuda12_GLOBAL__N_121kernelPointwiseApply2IZN12_GLOBAL__N_119poisson_cuda_kernelIN3c104HalfEEEvRKNS_10TensorBaseES9_NS_15PhiloxCudaStateEEUlRS6_RKS6_E_S6_S6_jLi1ELi1ELi1ELi512ELi2EEEvNS0_6detail10TensorInfoIT0_T2_EENSG_IT1_SI_EESI_T_,@function
_ZN2at4cuda12_GLOBAL__N_121kernelPointwiseApply2IZN12_GLOBAL__N_119poisson_cuda_kernelIN3c104HalfEEEvRKNS_10TensorBaseES9_NS_15PhiloxCudaStateEEUlRS6_RKS6_E_S6_S6_jLi1ELi1ELi1ELi512ELi2EEEvNS0_6detail10TensorInfoIT0_T2_EENSG_IT1_SI_EESI_T_: ; @_ZN2at4cuda12_GLOBAL__N_121kernelPointwiseApply2IZN12_GLOBAL__N_119poisson_cuda_kernelIN3c104HalfEEEvRKNS_10TensorBaseES9_NS_15PhiloxCudaStateEEUlRS6_RKS6_E_S6_S6_jLi1ELi1ELi1ELi512ELi2EEEvNS0_6detail10TensorInfoIT0_T2_EENSG_IT1_SI_EESI_T_
; %bb.0:
	s_load_dword s2, s[4:5], 0x1e4
	s_load_dword s45, s[4:5], 0x1b0
	s_add_u32 s0, s4, 0x1d8
	s_addc_u32 s1, s5, 0
	s_waitcnt lgkmcnt(0)
	s_and_b32 s2, s2, 0xffff
	s_mul_i32 s6, s6, s2
	v_add_u32_e32 v17, s6, v0
	v_cmp_gt_u32_e32 vcc, s45, v17
	s_and_saveexec_b64 s[6:7], vcc
	s_cbranch_execz .LBB79_46
; %bb.1:
	s_getpc_b64 s[6:7]
	s_add_u32 s6, s6, .str@rel32@lo+4
	s_addc_u32 s7, s7, .str@rel32@hi+12
	s_cmp_eq_u64 s[6:7], 0
	s_mov_b64 s[6:7], 0
	s_cbranch_scc1 .LBB79_47
; %bb.2:
	s_load_dword s3, s[4:5], 0x1d0
	s_load_dwordx2 s[8:9], s[4:5], 0x0
                                        ; implicit-def: $vgpr132 : SGPR spill to VGPR lane
                                        ; kill: killed $sgpr0 killed $sgpr1
	s_mov_b32 s22, 0
	s_mov_b32 s28, 0x55555555
	;; [unrolled: 1-line block ×3, first 2 shown]
	s_waitcnt lgkmcnt(0)
	s_bitcmp1_b32 s3, 0
	v_writelane_b32 v132, s8, 0
	v_writelane_b32 v132, s9, 1
	s_load_dword s8, s[4:5], 0x6c
	s_mov_b32 s34, 0xbf559e2b
	s_mov_b32 s36, 0xd7f4df2e
	;; [unrolled: 1-line block ×4, first 2 shown]
	s_waitcnt lgkmcnt(0)
	v_writelane_b32 v132, s8, 2
	s_load_dwordx2 s[18:19], s[4:5], 0xd8
	s_load_dword s8, s[4:5], 0x144
	s_mov_b32 s42, 0x998ef7b6
	s_mov_b32 s46, 0xfefa39ef
	;; [unrolled: 1-line block ×4, first 2 shown]
	s_waitcnt lgkmcnt(0)
	v_writelane_b32 v132, s8, 3
	s_load_dwordx2 s[8:9], s[4:5], 0x1c8
	s_mov_b32 s58, 0x6a5dcb37
	s_mov_b32 s60, 0
	;; [unrolled: 1-line block ×4, first 2 shown]
	s_waitcnt lgkmcnt(0)
	v_writelane_b32 v132, s8, 4
	v_writelane_b32 v132, s9, 5
	s_load_dwordx4 s[8:11], s[4:5], 0x1b8
	s_mov_b32 s66, 0x8f3faeef
	s_mov_b32 s68, 0
	;; [unrolled: 1-line block ×4, first 2 shown]
	s_waitcnt lgkmcnt(0)
	v_writelane_b32 v132, s8, 6
	v_writelane_b32 v132, s9, 7
	;; [unrolled: 1-line block ×4, first 2 shown]
	s_load_dword s8, s[0:1], 0x0
	s_mov_b32 s11, 0xcd9e8d57
	v_mad_u64_u32 v[12:13], s[0:1], v17, s11, 0
	s_mov_b32 s74, 0x992b2855
	s_waitcnt lgkmcnt(0)
	s_mul_i32 s0, s8, s2
	v_writelane_b32 v132, s0, 10
	s_cselect_b64 s[0:1], -1, 0
	v_cndmask_b32_e64 v0, 0, 1, s[0:1]
	v_cmp_ne_u32_e64 s[0:1], 1, v0
	v_writelane_b32 v132, s0, 11
	v_writelane_b32 v132, s1, 12
	s_mov_b32 s76, 0
	s_mov_b32 s78, 0x7f8b9c81
	s_mov_b32 s80, 0x51a32f5d
	s_mov_b32 s82, 0x61d3b4d8
	s_mov_b32 s84, 0x8ed4171b
	s_mov_b32 s86, 0xb6c30b05
	s_movk_i32 s90, 0xf950
	s_mov_b32 s92, 0xc864beb5
	s_mov_b32 s94, 0
	;; [unrolled: 1-line block ×4, first 2 shown]
	v_mov_b32_e32 v14, 0
	v_mov_b32_e32 v16, v13
	;; [unrolled: 1-line block ×3, first 2 shown]
	s_mov_b32 s33, 0xd2511f53
	s_mov_b32 s23, 0x40080000
	v_mov_b32_e32 v86, 0x260
	s_mov_b32 s29, 0x3fe55555
	s_mov_b32 s31, 0x3fc38538
	;; [unrolled: 1-line block ×10, first 2 shown]
	s_movk_i32 s10, 0x204
	s_mov_b32 s53, 0x3ff71547
	s_mov_b32 s55, 0xbfe62e42
	s_mov_b32 s57, 0xbc7abc9e
	s_mov_b32 s59, 0x3e5ade15
	s_mov_b32 s61, 0x40900000
	s_mov_b32 s63, 0xc090cc00
	s_mov_b32 s65, 0x40200000
	v_mov_b32_e32 v18, 0x6b47b09a
	v_mov_b32_e32 v20, 0xd7f4df2e
	;; [unrolled: 1-line block ×58, first 2 shown]
	s_mov_b32 s67, 0x3e843550
	s_mov_b32 s69, 0x401c0000
	s_mov_b32 s71, 0x3ee4f051
	s_mov_b32 s73, 0x40180000
	s_mov_b32 s75, 0xbfc1bcb2
	s_mov_b32 s77, 0x40140000
	s_mov_b32 s79, 0x402903c2
	s_mov_b32 s81, 0xc06613ae
	s_mov_b32 s83, 0x40881a96
	s_mov_b32 s85, 0xc093ac8e
	s_mov_b32 s87, 0x40852429
	s_mov_b32 s91, 0x3fefffff
	s_mov_b32 s93, 0x3fed67f1
	s_mov_b32 s95, 0xc01c0000
	s_mov_b32 s21, 0x4005bf0a
	v_writelane_b32 v132, s0, 13
                                        ; kill: killed $sgpr4 killed $sgpr5
	v_writelane_b32 v132, s1, 14
                                        ; implicit-def: $sgpr88_sgpr89
                                        ; implicit-def: $sgpr16_sgpr17
                                        ; implicit-def: $sgpr24_sgpr25
	s_branch .LBB79_6
.LBB79_3:                               ;   in Loop: Header=BB79_6 Depth=1
	s_or_b64 exec, exec, s[4:5]
.LBB79_4:                               ;   in Loop: Header=BB79_6 Depth=1
	s_or_b64 exec, exec, s[0:1]
	v_readlane_b32 s0, v132, 2
	v_mul_lo_u32 v0, v92, s0
	v_cvt_f32_u32_e32 v2, v73
	v_cndmask_b32_e64 v0, 0, v0, s[2:3]
	v_mov_b32_e32 v1, v14
	v_readlane_b32 s0, v132, 0
	v_lshlrev_b64 v[0:1], 1, v[0:1]
	v_readlane_b32 s1, v132, 1
	v_mov_b32_e32 v3, s1
	v_add_co_u32_e32 v0, vcc, s0, v0
	v_readlane_b32 s0, v132, 10
	v_cvt_f16_f32_e32 v2, v2
	v_addc_co_u32_e32 v1, vcc, v3, v1, vcc
	v_add_u32_e32 v92, s0, v92
	v_cmp_le_u32_e32 vcc, s45, v92
	s_andn2_b64 s[0:1], s[16:17], exec
	s_and_b64 s[2:3], vcc, exec
	s_andn2_b64 s[24:25], s[24:25], exec
	s_or_b64 s[16:17], s[0:1], s[2:3]
	global_store_short v[0:1], v2, off
.LBB79_5:                               ;   in Loop: Header=BB79_6 Depth=1
	s_or_b64 exec, exec, s[26:27]
	s_and_b64 s[0:1], exec, s[16:17]
	s_or_b64 s[6:7], s[0:1], s[6:7]
	s_andn2_b64 s[0:1], s[88:89], exec
	s_and_b64 s[2:3], s[24:25], exec
	s_or_b64 s[88:89], s[0:1], s[2:3]
	s_andn2_b64 exec, exec, s[6:7]
	s_cbranch_execz .LBB79_45
.LBB79_6:                               ; =>This Loop Header: Depth=1
                                        ;     Child Loop BB79_12 Depth 2
                                        ;     Child Loop BB79_41 Depth 2
	v_sub_u32_e32 v0, s45, v92
	v_readlane_b32 s0, v132, 3
	v_mul_lo_u32 v1, v92, s0
	v_cmp_lt_i32_e64 s[2:3], 0, v0
	v_cndmask_b32_e64 v0, 0, v1, s[2:3]
	v_mov_b32_e32 v1, v14
	v_lshlrev_b64 v[0:1], 1, v[0:1]
	v_add_co_u32_e32 v0, vcc, s18, v0
	v_addc_co_u32_e32 v1, vcc, v13, v1, vcc
	global_load_ushort v6, v[0:1], off
	s_or_b64 s[24:25], s[24:25], exec
	s_or_b64 s[16:17], s[16:17], exec
	s_waitcnt vmcnt(0)
	v_cmp_le_f16_e32 vcc, 0, v6
	s_and_saveexec_b64 s[26:27], vcc
	s_cbranch_execz .LBB79_5
; %bb.7:                                ;   in Loop: Header=BB79_6 Depth=1
	v_readlane_b32 s0, v132, 11
	v_readlane_b32 s12, v132, 6
	;; [unrolled: 1-line block ×6, first 2 shown]
	s_and_b64 vcc, exec, s[0:1]
	v_pk_mov_b32 v[0:1], s[14:15], s[14:15] op_sel:[0,1]
	v_pk_mov_b32 v[70:71], s[12:13], s[12:13] op_sel:[0,1]
	s_cbranch_vccnz .LBB79_9
; %bb.8:                                ;   in Loop: Header=BB79_6 Depth=1
	v_readlane_b32 s12, v132, 6
	v_readlane_b32 s14, v132, 8
	;; [unrolled: 1-line block ×3, first 2 shown]
	v_pk_mov_b32 v[0:1], s[14:15], s[14:15] op_sel:[0,1]
	v_readlane_b32 s13, v132, 7
	flat_load_dwordx2 v[0:1], v[0:1]
	v_pk_mov_b32 v[2:3], s[12:13], s[12:13] op_sel:[0,1]
	flat_load_dwordx2 v[70:71], v[2:3]
	v_readlane_b32 s0, v132, 4
	v_readlane_b32 s1, v132, 5
	v_mov_b32_e32 v2, s1
	s_waitcnt vmcnt(0) lgkmcnt(0)
	v_add_co_u32_e32 v0, vcc, s0, v0
	v_addc_co_u32_e32 v1, vcc, v1, v2, vcc
.LBB79_9:                               ;   in Loop: Header=BB79_6 Depth=1
	v_alignbit_b32 v94, v1, v0, 2
	v_and_b32_e32 v15, 3, v0
	v_lshrrev_b32_e32 v95, 2, v1
	v_mad_u64_u32 v[0:1], s[0:1], v94, s33, 0
	v_xor_b32_e32 v3, v16, v70
	v_mov_b32_e32 v2, v71
	v_xor_b32_e32 v1, v1, v71
	s_mov_b32 s0, 0xbb67ae85
	v_xor_b32_e32 v3, v3, v95
	v_add_co_u32_e32 v97, vcc, s0, v2
	v_mad_u64_u32 v[4:5], s[0:1], v3, s33, 0
	v_mad_u64_u32 v[8:9], s[0:1], v1, s11, 0
	v_add_co_u32_e32 v96, vcc, 0x9e3779b9, v70
	v_xor_b32_e32 v1, v12, v9
	v_xor_b32_e32 v3, v97, v5
	s_mov_b32 s0, 0x3c6ef372
	v_xor_b32_e32 v1, v1, v96
	v_xor_b32_e32 v3, v3, v0
	v_add_co_u32_e32 v98, vcc, s0, v70
	s_mov_b32 s0, 0x76cf5d0a
	v_add_co_u32_e32 v99, vcc, s0, v2
	v_mad_u64_u32 v[0:1], s[0:1], v1, s33, 0
	v_mad_u64_u32 v[10:11], s[0:1], v3, s11, 0
	v_xor_b32_e32 v3, v98, v11
	v_xor_b32_e32 v1, v99, v1
	s_mov_b32 s0, 0xdaa66d2b
	v_xor_b32_e32 v3, v3, v8
	v_xor_b32_e32 v1, v1, v4
	v_add_co_u32_e32 v101, vcc, s0, v70
	s_mov_b32 s0, 0x32370b8f
	v_add_co_u32_e32 v102, vcc, s0, v2
	v_mad_u64_u32 v[4:5], s[0:1], v3, s33, 0
	v_mad_u64_u32 v[8:9], s[0:1], v1, s11, 0
	;; [unrolled: 10-line block ×7, first 2 shown]
	v_xor_b32_e32 v1, v100, v1
	v_xor_b32_e32 v1, v1, v8
	;; [unrolled: 1-line block ×4, first 2 shown]
	v_mad_u64_u32 v[4:5], s[0:1], v1, s33, 0
	v_mov_b32_e32 v3, v4
	v_cvt_f32_f16_e32 v4, v6
	v_mad_u64_u32 v[8:9], s[0:1], v7, s11, 0
	v_add_u32_e32 v103, 0x8ff34781, v70
	v_add_u32_e32 v93, 0x96a522ad, v71
	v_xor_b32_e32 v0, v9, v0
	v_xor_b32_e32 v2, v5, v2
	s_movk_i32 s0, 0x5400
	v_mov_b32_e32 v1, v8
	v_xor_b32_e32 v0, v103, v0
	v_xor_b32_e32 v2, v93, v2
	v_cvt_f64_f32_e32 v[4:5], v4
	v_cmp_ngt_f16_e32 vcc, s0, v6
                                        ; implicit-def: $vgpr73
	s_and_saveexec_b64 s[0:1], vcc
	s_xor_b64 s[50:51], exec, s[0:1]
	s_cbranch_execz .LBB79_38
; %bb.10:                               ;   in Loop: Header=BB79_6 Depth=1
	s_movk_i32 s0, 0x6bd0
	v_cmp_ge_f16_e32 vcc, s0, v6
                                        ; implicit-def: $vgpr73
	s_and_saveexec_b64 s[0:1], vcc
	s_xor_b64 s[12:13], exec, s[0:1]
	s_cbranch_execz .LBB79_25
; %bb.11:                               ;   in Loop: Header=BB79_6 Depth=1
	s_mov_b32 s8, 0xae147ae1
	s_mov_b32 s9, 0xc00ae147
	v_div_scale_f64 v[6:7], s[0:1], v[4:5], v[4:5], s[8:9]
	v_rcp_f64_e32 v[8:9], v[6:7]
	s_mov_b32 s0, 0
	v_mul_f64 v[74:75], v[4:5], s[22:23]
	s_brev_b32 s1, 8
	v_cmp_gt_f64_e64 s[4:5], s[0:1], v[74:75]
	v_cndmask_b32_e64 v76, 0, 1, s[4:5]
	v_fma_f64 v[72:73], -v[6:7], v[8:9], 1.0
	v_lshlrev_b32_e32 v76, 8, v76
	v_fmac_f64_e32 v[8:9], v[8:9], v[72:73]
	v_ldexp_f64 v[74:75], v[74:75], v76
	v_fma_f64 v[72:73], -v[6:7], v[8:9], 1.0
	v_rsq_f64_e32 v[76:77], v[74:75]
	v_div_scale_f64 v[10:11], vcc, s[8:9], v[4:5], s[8:9]
	v_fmac_f64_e32 v[8:9], v[8:9], v[72:73]
	v_mul_f64 v[72:73], v[10:11], v[8:9]
	v_fma_f64 v[6:7], -v[6:7], v[72:73], v[10:11]
	s_nop 0
	v_div_fmas_f64 v[6:7], v[6:7], v[8:9], v[72:73]
	v_mul_f64 v[8:9], v[74:75], v[76:77]
	v_mul_f64 v[10:11], v[76:77], 0.5
	v_fma_f64 v[72:73], -v[10:11], v[8:9], 0.5
	v_fmac_f64_e32 v[8:9], v[8:9], v[72:73]
	v_fma_f64 v[76:77], -v[8:9], v[8:9], v[74:75]
	v_fmac_f64_e32 v[10:11], v[10:11], v[72:73]
	v_fmac_f64_e32 v[8:9], v[76:77], v[10:11]
	v_fma_f64 v[72:73], -v[8:9], v[8:9], v[74:75]
	v_fmac_f64_e32 v[8:9], v[72:73], v[10:11]
	v_cndmask_b32_e64 v10, 0, v87, s[4:5]
	v_ldexp_f64 v[8:9], v[8:9], v10
	v_cmp_class_f64_e32 vcc, v[74:75], v86
	s_mov_b32 s4, 0x54442d18
	v_cndmask_b32_e32 v9, v9, v75, vcc
	v_cndmask_b32_e32 v8, v8, v74, vcc
	s_mov_b32 s5, 0x400921fb
	v_div_scale_f64 v[10:11], s[0:1], v[8:9], v[8:9], s[4:5]
	v_rcp_f64_e32 v[74:75], v[10:11]
	s_mov_b32 s0, 0x95810625
	v_div_fixup_f64 v[6:7], v[6:7], v[4:5], s[8:9]
	s_mov_b32 s1, 0x3fe88b43
	v_fma_f64 v[76:77], -v[10:11], v[74:75], 1.0
	v_fmac_f64_e32 v[74:75], v[74:75], v[76:77]
	v_fma_f64 v[76:77], -v[10:11], v[74:75], 1.0
	v_fmac_f64_e32 v[74:75], v[74:75], v[76:77]
	v_div_scale_f64 v[76:77], vcc, s[4:5], v[8:9], s[4:5]
	v_mul_f64 v[78:79], v[76:77], v[74:75]
	v_fma_f64 v[10:11], -v[10:11], v[78:79], v[76:77]
	v_add_f64 v[6:7], v[6:7], s[0:1]
	s_nop 0
	v_div_fmas_f64 v[10:11], v[10:11], v[74:75], v[78:79]
	v_div_fixup_f64 v[74:75], v[10:11], v[8:9], s[4:5]
	v_frexp_mant_f64_e32 v[8:9], v[6:7]
	v_cmp_gt_f64_e32 vcc, s[28:29], v[8:9]
	v_mov_b32_e32 v72, 0
	v_cndmask_b32_e64 v73, v88, 2.0, vcc
	v_frexp_exp_i32_f64_e32 v10, v[6:7]
	v_mul_f64 v[8:9], v[8:9], v[72:73]
	v_subbrev_co_u32_e32 v73, vcc, 0, v10, vcc
	v_add_f64 v[10:11], v[8:9], 1.0
	v_rcp_f64_e32 v[78:79], v[10:11]
	v_add_f64 v[82:83], v[10:11], -1.0
	v_add_f64 v[80:81], v[8:9], -1.0
	v_add_f64 v[8:9], v[8:9], -v[82:83]
	v_fma_f64 v[82:83], -v[10:11], v[78:79], 1.0
	v_fmac_f64_e32 v[78:79], v[82:83], v[78:79]
	v_fma_f64 v[82:83], -v[10:11], v[78:79], 1.0
	v_fmac_f64_e32 v[78:79], v[82:83], v[78:79]
	v_mul_f64 v[82:83], v[80:81], v[78:79]
	v_mul_f64 v[84:85], v[10:11], v[82:83]
	v_fma_f64 v[10:11], v[82:83], v[10:11], -v[84:85]
	v_fmac_f64_e32 v[10:11], v[82:83], v[8:9]
	v_add_f64 v[8:9], v[84:85], v[10:11]
	v_add_f64 v[114:115], v[80:81], -v[8:9]
	v_add_f64 v[84:85], v[8:9], -v[84:85]
	;; [unrolled: 1-line block ×5, first 2 shown]
	v_add_f64 v[8:9], v[10:11], v[8:9]
	v_add_f64 v[8:9], v[114:115], v[8:9]
	v_mul_f64 v[8:9], v[78:79], v[8:9]
	v_add_f64 v[10:11], v[82:83], v[8:9]
	v_add_f64 v[78:79], v[10:11], -v[82:83]
	v_add_f64 v[8:9], v[8:9], -v[78:79]
	v_mul_f64 v[78:79], v[10:11], v[10:11]
	v_pk_mov_b32 v[80:81], s[30:31], s[30:31] op_sel:[0,1]
	v_fma_f64 v[82:83], s[34:35], v[78:79], v[80:81]
	v_fma_f64 v[82:83], v[78:79], v[82:83], s[36:37]
	;; [unrolled: 1-line block ×4, first 2 shown]
	s_mov_b32 s19, s45
	v_fma_f64 v[82:83], v[78:79], v[82:83], s[42:43]
	s_mov_b32 s45, s29
	v_fma_f64 v[82:83], v[78:79], v[82:83], s[44:45]
	v_ldexp_f64 v[84:85], v[10:11], 1
	v_mul_f64 v[10:11], v[10:11], v[78:79]
	v_mul_f64 v[10:11], v[10:11], v[82:83]
	v_add_f64 v[78:79], v[84:85], v[10:11]
	v_add_f64 v[82:83], v[78:79], -v[84:85]
	v_ldexp_f64 v[8:9], v[8:9], 1
	v_add_f64 v[10:11], v[10:11], -v[82:83]
	v_add_f64 v[8:9], v[8:9], v[10:11]
	v_add_f64 v[10:11], v[78:79], v[8:9]
	v_add_f64 v[78:79], v[10:11], -v[78:79]
	v_add_f64 v[8:9], v[8:9], -v[78:79]
	v_cvt_f64_i32_e32 v[78:79], v73
	v_mul_f64 v[82:83], v[78:79], s[46:47]
	v_fma_f64 v[84:85], v[78:79], s[46:47], -v[82:83]
	v_fmac_f64_e32 v[84:85], s[48:49], v[78:79]
	v_add_f64 v[78:79], v[82:83], v[84:85]
	v_add_f64 v[82:83], v[78:79], -v[82:83]
	v_add_f64 v[82:83], v[84:85], -v[82:83]
	v_add_f64 v[84:85], v[78:79], v[10:11]
	v_add_f64 v[114:115], v[84:85], -v[78:79]
	v_add_f64 v[116:117], v[84:85], -v[114:115]
	v_add_f64 v[78:79], v[78:79], -v[116:117]
	v_add_f64 v[10:11], v[10:11], -v[114:115]
	v_add_f64 v[10:11], v[10:11], v[78:79]
	v_add_f64 v[78:79], v[82:83], v[8:9]
	v_add_f64 v[114:115], v[78:79], -v[82:83]
	v_add_f64 v[116:117], v[78:79], -v[114:115]
	v_add_f64 v[10:11], v[78:79], v[10:11]
	v_add_f64 v[82:83], v[82:83], -v[116:117]
	v_add_f64 v[8:9], v[8:9], -v[114:115]
	v_add_f64 v[78:79], v[84:85], v[10:11]
	v_add_f64 v[8:9], v[8:9], v[82:83]
	v_add_f64 v[82:83], v[78:79], -v[84:85]
	v_add_f64 v[10:11], v[10:11], -v[82:83]
	v_add_f64 v[8:9], v[8:9], v[10:11]
	v_add_f64 v[8:9], v[78:79], v[8:9]
	v_cmp_class_f64_e64 vcc, v[6:7], s10
	v_cndmask_b32_e32 v8, v8, v6, vcc
	v_cndmask_b32_e32 v9, v9, v7, vcc
	v_cmp_ngt_f64_e32 vcc, 0, v[6:7]
	v_cndmask_b32_e32 v9, v89, v9, vcc
	v_cmp_nge_f64_e32 vcc, 0, v[6:7]
	v_cndmask_b32_e32 v8, 0, v8, vcc
	v_cmp_neq_f64_e32 vcc, 0, v[6:7]
	v_cndmask_b32_e32 v9, v90, v9, vcc
	v_add_f64 v[6:7], v[8:9], -v[4:5]
	v_frexp_mant_f64_e32 v[8:9], v[74:75]
	v_cmp_gt_f64_e32 vcc, s[28:29], v[8:9]
	v_cndmask_b32_e64 v73, v88, 2.0, vcc
	v_frexp_exp_i32_f64_e32 v10, v[74:75]
	v_mul_f64 v[8:9], v[8:9], v[72:73]
	v_subbrev_co_u32_e32 v73, vcc, 0, v10, vcc
	v_add_f64 v[10:11], v[8:9], 1.0
	v_rcp_f64_e32 v[78:79], v[10:11]
	v_add_f64 v[84:85], v[10:11], -1.0
	v_add_f64 v[82:83], v[8:9], -1.0
	v_add_f64 v[8:9], v[8:9], -v[84:85]
	v_fma_f64 v[84:85], -v[10:11], v[78:79], 1.0
	v_fmac_f64_e32 v[78:79], v[84:85], v[78:79]
	v_fma_f64 v[84:85], -v[10:11], v[78:79], 1.0
	v_fmac_f64_e32 v[78:79], v[84:85], v[78:79]
	v_mul_f64 v[84:85], v[82:83], v[78:79]
	v_mul_f64 v[114:115], v[10:11], v[84:85]
	v_fma_f64 v[10:11], v[84:85], v[10:11], -v[114:115]
	v_fmac_f64_e32 v[10:11], v[84:85], v[8:9]
	v_add_f64 v[8:9], v[114:115], v[10:11]
	v_add_f64 v[116:117], v[82:83], -v[8:9]
	v_add_f64 v[114:115], v[8:9], -v[114:115]
	;; [unrolled: 1-line block ×5, first 2 shown]
	v_add_f64 v[8:9], v[10:11], v[8:9]
	v_add_f64 v[8:9], v[116:117], v[8:9]
	v_mul_f64 v[8:9], v[78:79], v[8:9]
	v_add_f64 v[10:11], v[84:85], v[8:9]
	v_add_f64 v[78:79], v[10:11], -v[84:85]
	v_add_f64 v[8:9], v[8:9], -v[78:79]
	v_mul_f64 v[78:79], v[10:11], v[10:11]
	v_fma_f64 v[82:83], s[34:35], v[78:79], v[80:81]
	v_fma_f64 v[82:83], v[78:79], v[82:83], s[36:37]
	;; [unrolled: 1-line block ×6, first 2 shown]
	v_ldexp_f64 v[84:85], v[10:11], 1
	v_mul_f64 v[10:11], v[10:11], v[78:79]
	v_mul_f64 v[10:11], v[10:11], v[82:83]
	v_add_f64 v[78:79], v[84:85], v[10:11]
	v_add_f64 v[82:83], v[78:79], -v[84:85]
	v_ldexp_f64 v[8:9], v[8:9], 1
	v_add_f64 v[10:11], v[10:11], -v[82:83]
	v_add_f64 v[8:9], v[8:9], v[10:11]
	v_add_f64 v[10:11], v[78:79], v[8:9]
	v_add_f64 v[78:79], v[10:11], -v[78:79]
	v_add_f64 v[8:9], v[8:9], -v[78:79]
	v_cvt_f64_i32_e32 v[78:79], v73
	v_mul_f64 v[82:83], v[78:79], s[46:47]
	v_fma_f64 v[84:85], v[78:79], s[46:47], -v[82:83]
	v_fmac_f64_e32 v[84:85], s[48:49], v[78:79]
	v_add_f64 v[78:79], v[82:83], v[84:85]
	v_add_f64 v[82:83], v[78:79], -v[82:83]
	v_add_f64 v[82:83], v[84:85], -v[82:83]
	v_add_f64 v[84:85], v[78:79], v[10:11]
	v_add_f64 v[114:115], v[84:85], -v[78:79]
	v_add_f64 v[116:117], v[84:85], -v[114:115]
	;; [unrolled: 1-line block ×4, first 2 shown]
	v_add_f64 v[10:11], v[10:11], v[78:79]
	v_add_f64 v[78:79], v[82:83], v[8:9]
	v_add_f64 v[114:115], v[78:79], -v[82:83]
	v_add_f64 v[116:117], v[78:79], -v[114:115]
	v_add_f64 v[10:11], v[78:79], v[10:11]
	v_add_f64 v[82:83], v[82:83], -v[116:117]
	v_add_f64 v[8:9], v[8:9], -v[114:115]
	v_add_f64 v[78:79], v[84:85], v[10:11]
	v_add_f64 v[8:9], v[8:9], v[82:83]
	v_add_f64 v[82:83], v[78:79], -v[84:85]
	v_add_f64 v[10:11], v[10:11], -v[82:83]
	s_mov_b32 s0, 0
	v_add_f64 v[8:9], v[8:9], v[10:11]
	s_mov_b32 s1, 0x7ff00000
	v_add_f64 v[8:9], v[78:79], v[8:9]
	v_cmp_eq_f64_e32 vcc, s[0:1], v[74:75]
	v_cndmask_b32_e32 v8, v8, v74, vcc
	v_cndmask_b32_e32 v9, v9, v75, vcc
	v_cmp_neq_f64_e32 vcc, 0, v[74:75]
	v_cndmask_b32_e32 v9, v90, v9, vcc
	v_cndmask_b32_e32 v8, 0, v8, vcc
	v_mul_f64 v[76:77], v[74:75], v[4:5]
	v_add_f64 v[78:79], v[6:7], -v[8:9]
	v_frexp_exp_i32_f64_e32 v6, v[4:5]
	v_frexp_mant_f64_e32 v[4:5], v[4:5]
	v_cmp_gt_f64_e32 vcc, s[28:29], v[4:5]
	v_cndmask_b32_e64 v73, v88, 2.0, vcc
	v_mul_f64 v[4:5], v[4:5], v[72:73]
	v_subbrev_co_u32_e32 v73, vcc, 0, v6, vcc
	v_add_f64 v[6:7], v[4:5], 1.0
	v_rcp_f64_e32 v[8:9], v[6:7]
	v_add_f64 v[82:83], v[6:7], -1.0
	v_add_f64 v[10:11], v[4:5], -1.0
	v_add_f64 v[4:5], v[4:5], -v[82:83]
	v_fma_f64 v[82:83], -v[6:7], v[8:9], 1.0
	v_fmac_f64_e32 v[8:9], v[82:83], v[8:9]
	v_fma_f64 v[82:83], -v[6:7], v[8:9], 1.0
	v_fmac_f64_e32 v[8:9], v[82:83], v[8:9]
	v_mul_f64 v[82:83], v[10:11], v[8:9]
	v_mul_f64 v[84:85], v[6:7], v[82:83]
	v_fma_f64 v[6:7], v[82:83], v[6:7], -v[84:85]
	v_fmac_f64_e32 v[6:7], v[82:83], v[4:5]
	v_add_f64 v[4:5], v[84:85], v[6:7]
	v_add_f64 v[114:115], v[10:11], -v[4:5]
	v_add_f64 v[84:85], v[4:5], -v[84:85]
	v_add_f64 v[10:11], v[10:11], -v[114:115]
	v_add_f64 v[4:5], v[10:11], -v[4:5]
	v_add_f64 v[6:7], v[84:85], -v[6:7]
	v_add_f64 v[4:5], v[6:7], v[4:5]
	v_add_f64 v[4:5], v[114:115], v[4:5]
	v_mul_f64 v[4:5], v[8:9], v[4:5]
	v_add_f64 v[6:7], v[82:83], v[4:5]
	v_add_f64 v[8:9], v[6:7], -v[82:83]
	v_add_f64 v[4:5], v[4:5], -v[8:9]
	v_mul_f64 v[8:9], v[6:7], v[6:7]
	v_fmac_f64_e32 v[80:81], s[34:35], v[8:9]
	v_fma_f64 v[10:11], v[8:9], v[80:81], s[36:37]
	v_fma_f64 v[10:11], v[8:9], v[10:11], s[38:39]
	;; [unrolled: 1-line block ×5, first 2 shown]
	v_ldexp_f64 v[80:81], v[6:7], 1
	v_mul_f64 v[6:7], v[6:7], v[8:9]
	v_mul_f64 v[6:7], v[6:7], v[10:11]
	v_add_f64 v[8:9], v[80:81], v[6:7]
	v_add_f64 v[10:11], v[8:9], -v[80:81]
	v_ldexp_f64 v[4:5], v[4:5], 1
	v_add_f64 v[6:7], v[6:7], -v[10:11]
	v_add_f64 v[4:5], v[4:5], v[6:7]
	v_add_f64 v[6:7], v[8:9], v[4:5]
	v_add_f64 v[8:9], v[6:7], -v[8:9]
	v_add_f64 v[4:5], v[4:5], -v[8:9]
	v_cvt_f64_i32_e32 v[8:9], v73
	v_mul_f64 v[10:11], v[8:9], s[46:47]
	v_fma_f64 v[80:81], v[8:9], s[46:47], -v[10:11]
	v_fmac_f64_e32 v[80:81], s[48:49], v[8:9]
	v_add_f64 v[8:9], v[10:11], v[80:81]
	v_add_f64 v[10:11], v[8:9], -v[10:11]
	v_add_f64 v[10:11], v[80:81], -v[10:11]
	v_add_f64 v[80:81], v[8:9], v[6:7]
	v_add_f64 v[82:83], v[80:81], -v[8:9]
	v_add_f64 v[84:85], v[80:81], -v[82:83]
	;; [unrolled: 1-line block ×4, first 2 shown]
	v_add_f64 v[6:7], v[6:7], v[8:9]
	v_add_f64 v[8:9], v[10:11], v[4:5]
	v_add_f64 v[82:83], v[8:9], -v[10:11]
	v_add_f64 v[84:85], v[8:9], -v[82:83]
	v_add_f64 v[6:7], v[8:9], v[6:7]
	v_add_f64 v[10:11], v[10:11], -v[84:85]
	v_add_f64 v[4:5], v[4:5], -v[82:83]
	v_add_f64 v[8:9], v[80:81], v[6:7]
	v_add_f64 v[4:5], v[4:5], v[10:11]
	v_add_f64 v[10:11], v[8:9], -v[80:81]
	v_add_f64 v[6:7], v[6:7], -v[10:11]
	v_add_f64 v[4:5], v[4:5], v[6:7]
	v_add_f64 v[80:81], v[8:9], v[4:5]
	s_mov_b64 s[14:15], 0
	s_mov_b64 s[0:1], 0
	v_mov_b32_e32 v113, v17
                                        ; implicit-def: $vgpr73
.LBB79_12:                              ;   Parent Loop BB79_6 Depth=1
                                        ; =>  This Inner Loop Header: Depth=2
	v_add_u32_e32 v114, 1, v15
	v_pk_mov_b32 v[10:11], v[2:3], v[2:3] op_sel:[0,1]
	v_cmp_eq_u32_e32 vcc, 4, v114
	v_pk_mov_b32 v[8:9], v[0:1], v[0:1] op_sel:[0,1]
	v_mov_b32_e32 v85, v0
	v_mov_b32_e32 v84, v1
	;; [unrolled: 1-line block ×4, first 2 shown]
	s_and_saveexec_b64 s[4:5], vcc
	s_cbranch_execz .LBB79_14
; %bb.13:                               ;   in Loop: Header=BB79_12 Depth=2
	v_add_co_u32_e32 v94, vcc, 1, v94
	v_cndmask_b32_e64 v4, 0, 1, vcc
	v_addc_co_u32_e32 v95, vcc, 0, v95, vcc
	v_cmp_eq_u32_e32 vcc, 0, v95
	v_cndmask_b32_e32 v4, 0, v4, vcc
	v_add_u32_e32 v113, v4, v113
	v_cmp_eq_u32_e32 vcc, 0, v113
	v_cndmask_b32_e32 v4, 0, v4, vcc
	v_add_u32_e32 v72, v4, v72
	v_mad_u64_u32 v[4:5], s[8:9], v94, s33, 0
	v_mad_u64_u32 v[6:7], s[8:9], v113, s11, 0
	v_xor_b32_e32 v5, v5, v71
	v_xor_b32_e32 v7, v7, v70
	v_xor_b32_e32 v5, v72, v5
	v_xor_b32_e32 v7, v95, v7
	v_mad_u64_u32 v[10:11], s[8:9], v5, s11, 0
	v_mad_u64_u32 v[8:9], s[8:9], v7, s33, 0
	v_xor_b32_e32 v5, v96, v11
	v_xor_b32_e32 v5, v5, v6
	v_xor_b32_e32 v6, v97, v9
	v_xor_b32_e32 v6, v6, v4
	;; [unrolled: 6-line block ×10, first 2 shown]
	v_mov_b32_e32 v114, 0
	v_mov_b32_e32 v9, v84
	;; [unrolled: 1-line block ×5, first 2 shown]
.LBB79_14:                              ;   in Loop: Header=BB79_12 Depth=2
	s_or_b64 exec, exec, s[4:5]
	v_add_u32_e32 v115, 1, v114
	v_pk_mov_b32 v[4:5], v[8:9], v[8:9] op_sel:[0,1]
	v_cmp_eq_u32_e32 vcc, 4, v115
	v_pk_mov_b32 v[6:7], v[10:11], v[10:11] op_sel:[0,1]
	s_and_saveexec_b64 s[4:5], vcc
	s_cbranch_execz .LBB79_16
; %bb.15:                               ;   in Loop: Header=BB79_12 Depth=2
	v_add_co_u32_e32 v94, vcc, 1, v94
	v_cndmask_b32_e64 v4, 0, 1, vcc
	v_addc_co_u32_e32 v95, vcc, 0, v95, vcc
	v_cmp_eq_u32_e32 vcc, 0, v95
	v_cndmask_b32_e32 v4, 0, v4, vcc
	v_add_u32_e32 v113, v4, v113
	v_cmp_eq_u32_e32 vcc, 0, v113
	v_cndmask_b32_e32 v4, 0, v4, vcc
	v_add_u32_e32 v72, v4, v72
	v_mad_u64_u32 v[4:5], s[8:9], v94, s33, 0
	v_mad_u64_u32 v[6:7], s[8:9], v113, s11, 0
	v_xor_b32_e32 v5, v5, v71
	v_xor_b32_e32 v7, v7, v70
	v_xor_b32_e32 v5, v72, v5
	v_xor_b32_e32 v7, v95, v7
	v_mad_u64_u32 v[84:85], s[8:9], v5, s11, 0
	v_mad_u64_u32 v[82:83], s[8:9], v7, s33, 0
	v_xor_b32_e32 v5, v96, v85
	v_xor_b32_e32 v5, v5, v6
	v_xor_b32_e32 v6, v97, v83
	v_xor_b32_e32 v6, v6, v4
	;; [unrolled: 6-line block ×10, first 2 shown]
	v_mov_b32_e32 v115, 0
	v_mov_b32_e32 v5, v84
	;; [unrolled: 1-line block ×5, first 2 shown]
.LBB79_16:                              ;   in Loop: Header=BB79_12 Depth=2
	s_or_b64 exec, exec, s[4:5]
	v_cmp_eq_u32_e32 vcc, 1, v15
	v_cndmask_b32_e32 v0, v0, v1, vcc
	v_cmp_eq_u32_e32 vcc, 2, v15
	v_cndmask_b32_e32 v0, v0, v2, vcc
	;; [unrolled: 2-line block ×6, first 2 shown]
	v_lshrrev_b32_e32 v0, 11, v0
	v_cvt_f64_u32_e32 v[0:1], v0
	v_ldexp_f64 v[0:1], v[0:1], 32
	v_cvt_f64_u32_e32 v[2:3], v2
	v_add_f64 v[0:1], v[0:1], v[2:3]
	v_mov_b32_e32 v2, 0
	v_mov_b32_e32 v3, 0x3ca00000
	v_fmac_f64_e32 v[2:3], 0x3ca00000, v[0:1]
	v_add_f64 v[0:1], -v[2:3], 1.0
	v_div_scale_f64 v[8:9], s[4:5], v[2:3], v[2:3], v[0:1]
	v_rcp_f64_e32 v[10:11], v[8:9]
	v_fma_f64 v[116:117], -v[8:9], v[10:11], 1.0
	v_fmac_f64_e32 v[10:11], v[10:11], v[116:117]
	v_fma_f64 v[116:117], -v[8:9], v[10:11], 1.0
	v_fmac_f64_e32 v[10:11], v[10:11], v[116:117]
	v_div_scale_f64 v[116:117], vcc, v[0:1], v[2:3], v[0:1]
	v_mul_f64 v[118:119], v[116:117], v[10:11]
	v_fma_f64 v[8:9], -v[8:9], v[118:119], v[116:117]
	s_nop 1
	v_div_fmas_f64 v[8:9], v[8:9], v[10:11], v[118:119]
	v_div_fixup_f64 v[0:1], v[8:9], v[2:3], v[0:1]
	v_frexp_mant_f64_e32 v[2:3], v[0:1]
	v_cmp_gt_f64_e32 vcc, s[28:29], v[2:3]
	v_cndmask_b32_e64 v15, v88, 2.0, vcc
	v_frexp_exp_i32_f64_e32 v8, v[0:1]
	v_mul_f64 v[2:3], v[2:3], v[14:15]
	v_subbrev_co_u32_e32 v15, vcc, 0, v8, vcc
	v_add_f64 v[8:9], v[2:3], 1.0
	v_rcp_f64_e32 v[10:11], v[8:9]
	v_add_f64 v[118:119], v[8:9], -1.0
	v_add_f64 v[116:117], v[2:3], -1.0
	v_add_f64 v[2:3], v[2:3], -v[118:119]
	v_fma_f64 v[118:119], -v[8:9], v[10:11], 1.0
	v_fmac_f64_e32 v[10:11], v[118:119], v[10:11]
	v_fma_f64 v[118:119], -v[8:9], v[10:11], 1.0
	v_fmac_f64_e32 v[10:11], v[118:119], v[10:11]
	v_mul_f64 v[118:119], v[116:117], v[10:11]
	v_mul_f64 v[120:121], v[8:9], v[118:119]
	v_fma_f64 v[8:9], v[118:119], v[8:9], -v[120:121]
	v_fmac_f64_e32 v[8:9], v[118:119], v[2:3]
	v_add_f64 v[2:3], v[120:121], v[8:9]
	v_add_f64 v[122:123], v[116:117], -v[2:3]
	v_add_f64 v[120:121], v[2:3], -v[120:121]
	;; [unrolled: 1-line block ×5, first 2 shown]
	v_add_f64 v[2:3], v[8:9], v[2:3]
	v_add_f64 v[2:3], v[122:123], v[2:3]
	v_mul_f64 v[2:3], v[10:11], v[2:3]
	v_add_f64 v[8:9], v[118:119], v[2:3]
	v_add_f64 v[10:11], v[8:9], -v[118:119]
	v_add_f64 v[2:3], v[2:3], -v[10:11]
	v_mul_f64 v[10:11], v[8:9], v[8:9]
	v_pk_mov_b32 v[116:117], v[18:19], v[18:19] op_sel:[0,1]
	v_fmac_f64_e32 v[116:117], s[34:35], v[10:11]
	v_pk_mov_b32 v[118:119], v[20:21], v[20:21] op_sel:[0,1]
	v_fmac_f64_e32 v[118:119], v[10:11], v[116:117]
	;; [unrolled: 2-line block ×6, first 2 shown]
	v_ldexp_f64 v[116:117], v[8:9], 1
	v_mul_f64 v[8:9], v[8:9], v[10:11]
	v_mul_f64 v[8:9], v[8:9], v[118:119]
	v_add_f64 v[10:11], v[116:117], v[8:9]
	v_add_f64 v[116:117], v[10:11], -v[116:117]
	v_ldexp_f64 v[2:3], v[2:3], 1
	v_add_f64 v[8:9], v[8:9], -v[116:117]
	v_add_f64 v[2:3], v[2:3], v[8:9]
	v_add_f64 v[8:9], v[10:11], v[2:3]
	v_add_f64 v[10:11], v[8:9], -v[10:11]
	v_add_f64 v[2:3], v[2:3], -v[10:11]
	v_cvt_f64_i32_e32 v[10:11], v15
	v_mul_f64 v[116:117], v[10:11], s[46:47]
	v_fma_f64 v[118:119], v[10:11], s[46:47], -v[116:117]
	v_fmac_f64_e32 v[118:119], s[48:49], v[10:11]
	v_add_f64 v[10:11], v[116:117], v[118:119]
	v_add_f64 v[116:117], v[10:11], -v[116:117]
	v_add_f64 v[116:117], v[118:119], -v[116:117]
	v_add_f64 v[118:119], v[10:11], v[8:9]
	v_add_f64 v[120:121], v[118:119], -v[10:11]
	v_add_f64 v[122:123], v[118:119], -v[120:121]
	;; [unrolled: 1-line block ×4, first 2 shown]
	v_add_f64 v[8:9], v[8:9], v[10:11]
	v_add_f64 v[10:11], v[116:117], v[2:3]
	v_add_f64 v[120:121], v[10:11], -v[116:117]
	v_add_f64 v[122:123], v[10:11], -v[120:121]
	v_add_f64 v[8:9], v[10:11], v[8:9]
	v_add_f64 v[116:117], v[116:117], -v[122:123]
	v_add_f64 v[2:3], v[2:3], -v[120:121]
	v_add_f64 v[10:11], v[118:119], v[8:9]
	v_add_f64 v[2:3], v[2:3], v[116:117]
	v_add_f64 v[116:117], v[10:11], -v[118:119]
	v_add_f64 v[8:9], v[8:9], -v[116:117]
	v_add_f64 v[2:3], v[2:3], v[8:9]
	v_add_f64 v[2:3], v[10:11], v[2:3]
	v_cmp_class_f64_e64 vcc, v[0:1], s10
	v_cndmask_b32_e32 v2, v2, v0, vcc
	v_cndmask_b32_e32 v3, v3, v1, vcc
	v_cmp_ngt_f64_e32 vcc, 0, v[0:1]
	v_cndmask_b32_e32 v3, v89, v3, vcc
	v_cmp_nge_f64_e32 vcc, 0, v[0:1]
	v_cndmask_b32_e32 v2, 0, v2, vcc
	v_cmp_neq_f64_e32 vcc, 0, v[0:1]
	v_cndmask_b32_e32 v3, v90, v3, vcc
	v_add_f64 v[0:1], v[76:77], -v[2:3]
	v_div_scale_f64 v[2:3], s[4:5], v[74:75], v[74:75], v[0:1]
	v_rcp_f64_e32 v[8:9], v[2:3]
	v_fma_f64 v[10:11], -v[2:3], v[8:9], 1.0
	v_fmac_f64_e32 v[8:9], v[8:9], v[10:11]
	v_fma_f64 v[10:11], -v[2:3], v[8:9], 1.0
	v_fmac_f64_e32 v[8:9], v[8:9], v[10:11]
	v_div_scale_f64 v[10:11], vcc, v[0:1], v[74:75], v[0:1]
	v_mul_f64 v[116:117], v[10:11], v[8:9]
	v_fma_f64 v[2:3], -v[2:3], v[116:117], v[10:11]
	s_nop 1
	v_div_fmas_f64 v[2:3], v[2:3], v[8:9], v[116:117]
	v_div_fixup_f64 v[10:11], v[2:3], v[74:75], v[0:1]
	v_add_f64 v[0:1], v[10:11], 0.5
	v_floor_f64_e32 v[8:9], v[0:1]
	v_cmp_ngt_f64_e32 vcc, 0, v[8:9]
	v_mov_b32_e32 v116, 2
	s_and_saveexec_b64 s[8:9], vcc
	s_cbranch_execz .LBB79_22
; %bb.17:                               ;   in Loop: Header=BB79_12 Depth=2
	v_add_u32_e32 v15, 1, v115
	v_pk_mov_b32 v[0:1], v[4:5], v[4:5] op_sel:[0,1]
	v_cmp_eq_u32_e32 vcc, 4, v15
	v_pk_mov_b32 v[2:3], v[6:7], v[6:7] op_sel:[0,1]
	s_and_saveexec_b64 s[4:5], vcc
	s_cbranch_execz .LBB79_19
; %bb.18:                               ;   in Loop: Header=BB79_12 Depth=2
	v_add_co_u32_e32 v94, vcc, 1, v94
	v_cndmask_b32_e64 v0, 0, 1, vcc
	v_addc_co_u32_e32 v95, vcc, 0, v95, vcc
	v_cmp_eq_u32_e32 vcc, 0, v95
	v_cndmask_b32_e32 v0, 0, v0, vcc
	v_add_u32_e32 v113, v0, v113
	v_cmp_eq_u32_e32 vcc, 0, v113
	v_cndmask_b32_e32 v0, 0, v0, vcc
	v_add_u32_e32 v72, v0, v72
	v_mad_u64_u32 v[0:1], vcc, v94, s33, 0
	v_mad_u64_u32 v[2:3], vcc, v113, s11, 0
	v_xor_b32_e32 v1, v1, v71
	v_xor_b32_e32 v3, v3, v70
	v_xor_b32_e32 v1, v72, v1
	v_xor_b32_e32 v3, v95, v3
	v_mad_u64_u32 v[84:85], vcc, v1, s11, 0
	v_mad_u64_u32 v[82:83], vcc, v3, s33, 0
	v_xor_b32_e32 v1, v96, v85
	v_xor_b32_e32 v1, v1, v2
	v_xor_b32_e32 v2, v97, v83
	v_xor_b32_e32 v2, v2, v0
	;; [unrolled: 6-line block ×10, first 2 shown]
	v_mov_b32_e32 v15, 0
	v_mov_b32_e32 v1, v84
	;; [unrolled: 1-line block ×5, first 2 shown]
.LBB79_19:                              ;   in Loop: Header=BB79_12 Depth=2
	s_or_b64 exec, exec, s[4:5]
	v_add_u32_e32 v114, 1, v15
	v_cmp_eq_u32_e32 vcc, 4, v114
	s_and_saveexec_b64 s[4:5], vcc
	s_cbranch_execz .LBB79_21
; %bb.20:                               ;   in Loop: Header=BB79_12 Depth=2
	v_add_co_u32_e32 v94, vcc, 1, v94
	v_cndmask_b32_e64 v82, 0, 1, vcc
	v_addc_co_u32_e32 v95, vcc, 0, v95, vcc
	v_cmp_eq_u32_e32 vcc, 0, v95
	v_cndmask_b32_e32 v82, 0, v82, vcc
	v_add_u32_e32 v113, v82, v113
	v_cmp_eq_u32_e32 vcc, 0, v113
	v_cndmask_b32_e32 v82, 0, v82, vcc
	v_add_u32_e32 v72, v82, v72
	v_mad_u64_u32 v[82:83], vcc, v94, s33, 0
	v_mad_u64_u32 v[84:85], vcc, v113, s11, 0
	v_xor_b32_e32 v83, v83, v71
	v_xor_b32_e32 v85, v85, v70
	v_xor_b32_e32 v83, v72, v83
	v_xor_b32_e32 v85, v95, v85
	v_mad_u64_u32 v[118:119], vcc, v83, s11, 0
	v_mad_u64_u32 v[116:117], vcc, v85, s33, 0
	v_xor_b32_e32 v83, v96, v119
	v_xor_b32_e32 v83, v83, v84
	v_xor_b32_e32 v84, v97, v117
	v_xor_b32_e32 v84, v84, v82
	v_mad_u64_u32 v[82:83], vcc, v83, s33, 0
	v_mad_u64_u32 v[84:85], vcc, v84, s11, 0
	v_xor_b32_e32 v83, v99, v83
	v_xor_b32_e32 v85, v98, v85
	v_xor_b32_e32 v83, v83, v116
	v_xor_b32_e32 v85, v85, v118
	v_mad_u64_u32 v[118:119], vcc, v83, s11, 0
	v_mad_u64_u32 v[116:117], vcc, v85, s33, 0
	v_xor_b32_e32 v83, v101, v119
	v_xor_b32_e32 v83, v83, v84
	v_xor_b32_e32 v84, v102, v117
	v_xor_b32_e32 v84, v84, v82
	v_mad_u64_u32 v[82:83], vcc, v83, s33, 0
	v_mad_u64_u32 v[84:85], vcc, v84, s11, 0
	v_xor_b32_e32 v83, v105, v83
	v_xor_b32_e32 v85, v104, v85
	v_xor_b32_e32 v83, v83, v116
	v_xor_b32_e32 v85, v85, v118
	v_mad_u64_u32 v[118:119], vcc, v83, s11, 0
	v_mad_u64_u32 v[116:117], vcc, v85, s33, 0
	v_xor_b32_e32 v83, v106, v119
	v_xor_b32_e32 v83, v83, v84
	v_xor_b32_e32 v84, v107, v117
	v_xor_b32_e32 v84, v84, v82
	v_mad_u64_u32 v[82:83], vcc, v83, s33, 0
	v_mad_u64_u32 v[84:85], vcc, v84, s11, 0
	v_xor_b32_e32 v83, v109, v83
	v_xor_b32_e32 v85, v108, v85
	v_xor_b32_e32 v83, v83, v116
	v_xor_b32_e32 v85, v85, v118
	v_mad_u64_u32 v[118:119], vcc, v83, s11, 0
	v_mad_u64_u32 v[116:117], vcc, v85, s33, 0
	v_xor_b32_e32 v83, v110, v119
	v_xor_b32_e32 v83, v83, v84
	v_xor_b32_e32 v84, v111, v117
	v_xor_b32_e32 v82, v84, v82
	v_mad_u64_u32 v[120:121], vcc, v83, s33, 0
	v_mad_u64_u32 v[122:123], vcc, v82, s11, 0
	v_xor_b32_e32 v82, v100, v123
	v_xor_b32_e32 v83, v112, v121
	v_xor_b32_e32 v82, v82, v118
	v_xor_b32_e32 v84, v83, v116
	v_mad_u64_u32 v[82:83], vcc, v82, s33, 0
	v_mad_u64_u32 v[84:85], vcc, v84, s11, 0
	v_xor_b32_e32 v85, v85, v122
	v_xor_b32_e32 v83, v83, v120
	v_mov_b32_e32 v114, 0
	v_xor_b32_e32 v85, v103, v85
	v_xor_b32_e32 v83, v93, v83
.LBB79_21:                              ;   in Loop: Header=BB79_12 Depth=2
	s_or_b64 exec, exec, s[4:5]
	v_cmp_eq_u32_e32 vcc, 1, v115
	v_cndmask_b32_e32 v4, v4, v5, vcc
	v_cmp_eq_u32_e32 vcc, 2, v115
	v_cndmask_b32_e32 v4, v4, v6, vcc
	;; [unrolled: 2-line block ×6, first 2 shown]
	v_lshrrev_b32_e32 v0, 11, v0
	v_cvt_f64_u32_e32 v[0:1], v0
	v_ldexp_f64 v[0:1], v[0:1], 32
	v_cvt_f64_u32_e32 v[2:3], v4
	v_add_f64 v[0:1], v[0:1], v[2:3]
	v_mov_b32_e32 v2, 0
	v_mov_b32_e32 v3, 0x3ca00000
	v_fma_f64 v[4:5], -v[74:75], v[10:11], v[76:77]
	v_fmac_f64_e32 v[2:3], 0x3ca00000, v[0:1]
	v_mul_f64 v[0:1], v[4:5], s[52:53]
	v_rndne_f64_e32 v[0:1], v[0:1]
	s_mov_b32 s54, s46
	v_fma_f64 v[6:7], s[54:55], v[0:1], v[4:5]
	s_mov_b32 s56, s48
	v_fmac_f64_e32 v[6:7], s[56:57], v[0:1]
	v_pk_mov_b32 v[10:11], v[30:31], v[30:31] op_sel:[0,1]
	v_fmac_f64_e32 v[10:11], s[58:59], v[6:7]
	v_pk_mov_b32 v[116:117], v[32:33], v[32:33] op_sel:[0,1]
	;; [unrolled: 2-line block ×9, first 2 shown]
	v_fmac_f64_e32 v[10:11], v[6:7], v[116:117]
	v_fma_f64 v[10:11], v[6:7], v[10:11], 1.0
	v_fma_f64 v[6:7], v[6:7], v[10:11], 1.0
	v_cvt_i32_f64_e32 v0, v[0:1]
	v_ldexp_f64 v[0:1], v[6:7], v0
	v_add_f64 v[0:1], v[0:1], 1.0
	v_cmp_nlt_f64_e32 vcc, s[60:61], v[4:5]
	v_cmp_ngt_f64_e64 s[4:5], s[62:63], v[4:5]
	v_cndmask_b32_e32 v1, v91, v1, vcc
	s_and_b64 vcc, s[4:5], vcc
	v_cndmask_b32_e64 v1, v88, v1, s[4:5]
	v_cndmask_b32_e32 v0, 0, v0, vcc
	v_mul_f64 v[0:1], v[0:1], v[0:1]
	v_div_scale_f64 v[6:7], s[4:5], v[0:1], v[0:1], v[2:3]
	v_rcp_f64_e32 v[10:11], v[6:7]
	s_mov_b32 s45, s29
	v_fma_f64 v[116:117], -v[6:7], v[10:11], 1.0
	v_fmac_f64_e32 v[10:11], v[10:11], v[116:117]
	v_fma_f64 v[116:117], -v[6:7], v[10:11], 1.0
	v_fmac_f64_e32 v[10:11], v[10:11], v[116:117]
	v_div_scale_f64 v[116:117], vcc, v[2:3], v[0:1], v[2:3]
	v_mul_f64 v[118:119], v[116:117], v[10:11]
	v_fma_f64 v[6:7], -v[6:7], v[118:119], v[116:117]
	s_nop 1
	v_div_fmas_f64 v[6:7], v[6:7], v[10:11], v[118:119]
	v_div_fixup_f64 v[2:3], v[6:7], v[0:1], v[2:3]
	v_frexp_mant_f64_e32 v[0:1], v[2:3]
	v_cmp_gt_f64_e32 vcc, s[28:29], v[0:1]
	v_cndmask_b32_e64 v15, v88, 2.0, vcc
	v_frexp_exp_i32_f64_e32 v6, v[2:3]
	v_mul_f64 v[0:1], v[0:1], v[14:15]
	v_subbrev_co_u32_e32 v15, vcc, 0, v6, vcc
	v_add_f64 v[6:7], v[0:1], 1.0
	v_rcp_f64_e32 v[10:11], v[6:7]
	v_add_f64 v[118:119], v[6:7], -1.0
	v_add_f64 v[116:117], v[0:1], -1.0
	v_add_f64 v[0:1], v[0:1], -v[118:119]
	v_fma_f64 v[118:119], -v[6:7], v[10:11], 1.0
	v_fmac_f64_e32 v[10:11], v[118:119], v[10:11]
	v_fma_f64 v[118:119], -v[6:7], v[10:11], 1.0
	v_fmac_f64_e32 v[10:11], v[118:119], v[10:11]
	v_mul_f64 v[118:119], v[116:117], v[10:11]
	v_mul_f64 v[120:121], v[6:7], v[118:119]
	v_fma_f64 v[6:7], v[118:119], v[6:7], -v[120:121]
	v_fmac_f64_e32 v[6:7], v[118:119], v[0:1]
	v_add_f64 v[0:1], v[120:121], v[6:7]
	v_add_f64 v[122:123], v[116:117], -v[0:1]
	v_add_f64 v[120:121], v[0:1], -v[120:121]
	;; [unrolled: 1-line block ×5, first 2 shown]
	v_add_f64 v[0:1], v[6:7], v[0:1]
	v_add_f64 v[0:1], v[122:123], v[0:1]
	v_mul_f64 v[0:1], v[10:11], v[0:1]
	v_add_f64 v[6:7], v[118:119], v[0:1]
	v_add_f64 v[10:11], v[6:7], -v[118:119]
	v_add_f64 v[10:11], v[0:1], -v[10:11]
	v_mul_f64 v[116:117], v[6:7], v[6:7]
	v_pk_mov_b32 v[0:1], s[30:31], s[30:31] op_sel:[0,1]
	v_fma_f64 v[118:119], s[34:35], v[116:117], v[0:1]
	v_fma_f64 v[118:119], v[116:117], v[118:119], s[36:37]
	;; [unrolled: 1-line block ×6, first 2 shown]
	v_ldexp_f64 v[120:121], v[6:7], 1
	v_mul_f64 v[6:7], v[6:7], v[116:117]
	v_mul_f64 v[6:7], v[6:7], v[118:119]
	v_add_f64 v[116:117], v[120:121], v[6:7]
	v_add_f64 v[118:119], v[116:117], -v[120:121]
	v_ldexp_f64 v[10:11], v[10:11], 1
	v_add_f64 v[6:7], v[6:7], -v[118:119]
	v_add_f64 v[6:7], v[10:11], v[6:7]
	v_add_f64 v[10:11], v[116:117], v[6:7]
	v_add_f64 v[116:117], v[10:11], -v[116:117]
	v_add_f64 v[6:7], v[6:7], -v[116:117]
	v_cvt_f64_i32_e32 v[116:117], v15
	v_mul_f64 v[118:119], v[116:117], s[46:47]
	v_fma_f64 v[120:121], v[116:117], s[46:47], -v[118:119]
	v_fmac_f64_e32 v[120:121], s[48:49], v[116:117]
	v_add_f64 v[116:117], v[118:119], v[120:121]
	v_add_f64 v[118:119], v[116:117], -v[118:119]
	v_add_f64 v[118:119], v[120:121], -v[118:119]
	v_add_f64 v[120:121], v[116:117], v[10:11]
	v_add_f64 v[122:123], v[120:121], -v[116:117]
	v_add_f64 v[124:125], v[120:121], -v[122:123]
	;; [unrolled: 1-line block ×4, first 2 shown]
	v_add_f64 v[10:11], v[10:11], v[116:117]
	v_add_f64 v[116:117], v[118:119], v[6:7]
	v_add_f64 v[122:123], v[116:117], -v[118:119]
	v_add_f64 v[124:125], v[116:117], -v[122:123]
	v_add_f64 v[10:11], v[116:117], v[10:11]
	v_add_f64 v[118:119], v[118:119], -v[124:125]
	v_add_f64 v[6:7], v[6:7], -v[122:123]
	v_add_f64 v[116:117], v[120:121], v[10:11]
	v_add_f64 v[6:7], v[6:7], v[118:119]
	v_add_f64 v[118:119], v[116:117], -v[120:121]
	v_add_f64 v[10:11], v[10:11], -v[118:119]
	v_add_f64 v[6:7], v[6:7], v[10:11]
	v_add_f64 v[6:7], v[116:117], v[6:7]
	v_cmp_class_f64_e64 vcc, v[2:3], s10
	v_cndmask_b32_e32 v15, v6, v2, vcc
	v_cndmask_b32_e32 v6, v7, v3, vcc
	v_cmp_neq_f64_e32 vcc, 0, v[2:3]
	v_cndmask_b32_e32 v3, v90, v6, vcc
	v_add_f64 v[6:7], v[8:9], 1.0
	v_add_f64 v[6:7], v[6:7], -1.0
	v_add_f64 v[116:117], v[6:7], s[64:65]
	v_div_scale_f64 v[10:11], s[4:5], v[116:117], v[116:117], s[66:67]
	v_rcp_f64_e32 v[118:119], v[10:11]
	v_cndmask_b32_e32 v2, 0, v15, vcc
	v_add_f64 v[2:3], v[4:5], v[2:3]
	v_fma_f64 v[4:5], v[80:81], v[8:9], v[78:79]
	v_fma_f64 v[120:121], -v[10:11], v[118:119], 1.0
	v_fmac_f64_e32 v[118:119], v[118:119], v[120:121]
	v_fma_f64 v[120:121], -v[10:11], v[118:119], 1.0
	v_fmac_f64_e32 v[118:119], v[118:119], v[120:121]
	v_div_scale_f64 v[120:121], vcc, s[66:67], v[116:117], s[66:67]
	v_mul_f64 v[122:123], v[120:121], v[118:119]
	v_fma_f64 v[120:121], -v[10:11], v[122:123], v[120:121]
	v_add_f64 v[10:11], v[6:7], s[68:69]
	v_div_scale_f64 v[124:125], s[4:5], v[10:11], v[10:11], s[70:71]
	v_rcp_f64_e32 v[126:127], v[124:125]
	v_div_fmas_f64 v[118:119], v[120:121], v[118:119], v[122:123]
	v_div_fixup_f64 v[116:117], v[118:119], v[116:117], s[66:67]
	v_add_f64 v[122:123], v[6:7], s[72:73]
	v_fma_f64 v[118:119], -v[124:125], v[126:127], 1.0
	v_fmac_f64_e32 v[126:127], v[126:127], v[118:119]
	v_fma_f64 v[118:119], -v[124:125], v[126:127], 1.0
	v_fmac_f64_e32 v[126:127], v[126:127], v[118:119]
	v_div_scale_f64 v[118:119], vcc, s[70:71], v[10:11], s[70:71]
	v_mul_f64 v[120:121], v[118:119], v[126:127]
	v_fma_f64 v[118:119], -v[124:125], v[120:121], v[118:119]
	v_div_scale_f64 v[124:125], s[4:5], v[122:123], v[122:123], s[74:75]
	v_rcp_f64_e32 v[128:129], v[124:125]
	v_div_fmas_f64 v[118:119], v[118:119], v[126:127], v[120:121]
	v_add_f64 v[116:117], v[116:117], 0
	v_div_fixup_f64 v[118:119], v[118:119], v[10:11], s[70:71]
	v_add_f64 v[116:117], v[118:119], v[116:117]
	v_fma_f64 v[118:119], -v[124:125], v[128:129], 1.0
	v_fmac_f64_e32 v[128:129], v[128:129], v[118:119]
	v_fma_f64 v[118:119], -v[124:125], v[128:129], 1.0
	v_fmac_f64_e32 v[128:129], v[128:129], v[118:119]
	v_div_scale_f64 v[118:119], vcc, s[74:75], v[122:123], s[74:75]
	v_mul_f64 v[120:121], v[118:119], v[128:129]
	v_fma_f64 v[118:119], -v[124:125], v[120:121], v[118:119]
	v_add_f64 v[124:125], v[6:7], s[76:77]
	v_div_scale_f64 v[126:127], s[4:5], v[124:125], v[124:125], s[78:79]
	v_rcp_f64_e32 v[130:131], v[126:127]
	v_div_fmas_f64 v[118:119], v[118:119], v[128:129], v[120:121]
	v_div_fixup_f64 v[118:119], v[118:119], v[122:123], s[74:75]
	v_add_f64 v[116:117], v[116:117], v[118:119]
	v_fma_f64 v[118:119], -v[126:127], v[130:131], 1.0
	v_fmac_f64_e32 v[130:131], v[130:131], v[118:119]
	v_fma_f64 v[118:119], -v[126:127], v[130:131], 1.0
	v_fmac_f64_e32 v[130:131], v[130:131], v[118:119]
	v_div_scale_f64 v[118:119], vcc, s[78:79], v[124:125], s[78:79]
	v_mul_f64 v[120:121], v[118:119], v[130:131]
	v_add_f64 v[122:123], v[6:7], 4.0
	v_fma_f64 v[118:119], -v[126:127], v[120:121], v[118:119]
	v_div_scale_f64 v[126:127], s[4:5], v[122:123], v[122:123], s[80:81]
	v_rcp_f64_e32 v[128:129], v[126:127]
	v_div_fmas_f64 v[118:119], v[118:119], v[130:131], v[120:121]
	v_div_fixup_f64 v[118:119], v[118:119], v[124:125], s[78:79]
	v_add_f64 v[116:117], v[118:119], v[116:117]
	v_fma_f64 v[118:119], -v[126:127], v[128:129], 1.0
	v_fmac_f64_e32 v[128:129], v[128:129], v[118:119]
	v_fma_f64 v[118:119], -v[126:127], v[128:129], 1.0
	v_fmac_f64_e32 v[128:129], v[128:129], v[118:119]
	v_div_scale_f64 v[118:119], vcc, s[80:81], v[122:123], s[80:81]
	v_mul_f64 v[120:121], v[118:119], v[128:129]
	v_add_f64 v[124:125], v[6:7], s[22:23]
	v_fma_f64 v[118:119], -v[126:127], v[120:121], v[118:119]
	v_div_scale_f64 v[126:127], s[4:5], v[124:125], v[124:125], s[82:83]
	v_rcp_f64_e32 v[130:131], v[126:127]
	v_div_fmas_f64 v[118:119], v[118:119], v[128:129], v[120:121]
	v_div_fixup_f64 v[118:119], v[118:119], v[122:123], s[80:81]
	v_add_f64 v[116:117], v[116:117], v[118:119]
	v_fma_f64 v[118:119], -v[126:127], v[130:131], 1.0
	v_fmac_f64_e32 v[130:131], v[130:131], v[118:119]
	v_fma_f64 v[118:119], -v[126:127], v[130:131], 1.0
	v_fmac_f64_e32 v[130:131], v[130:131], v[118:119]
	v_div_scale_f64 v[118:119], vcc, s[82:83], v[124:125], s[82:83]
	v_mul_f64 v[120:121], v[118:119], v[130:131]
	v_add_f64 v[122:123], v[6:7], 2.0
	v_fma_f64 v[118:119], -v[126:127], v[120:121], v[118:119]
	v_div_scale_f64 v[126:127], s[4:5], v[122:123], v[122:123], s[84:85]
	v_rcp_f64_e32 v[128:129], v[126:127]
	v_div_fmas_f64 v[118:119], v[118:119], v[130:131], v[120:121]
	v_div_fixup_f64 v[118:119], v[118:119], v[124:125], s[82:83]
	v_add_f64 v[116:117], v[118:119], v[116:117]
	v_fma_f64 v[118:119], -v[126:127], v[128:129], 1.0
	v_fmac_f64_e32 v[128:129], v[128:129], v[118:119]
	v_fma_f64 v[118:119], -v[126:127], v[128:129], 1.0
	v_fmac_f64_e32 v[128:129], v[128:129], v[118:119]
	v_div_scale_f64 v[118:119], vcc, s[84:85], v[122:123], s[84:85]
	v_mul_f64 v[120:121], v[118:119], v[128:129]
	v_add_f64 v[124:125], v[6:7], 1.0
	v_fma_f64 v[118:119], -v[126:127], v[120:121], v[118:119]
	v_div_scale_f64 v[126:127], s[4:5], v[124:125], v[124:125], s[86:87]
	v_rcp_f64_e32 v[130:131], v[126:127]
	v_div_fmas_f64 v[118:119], v[118:119], v[128:129], v[120:121]
	v_div_fixup_f64 v[118:119], v[118:119], v[122:123], s[84:85]
	v_add_f64 v[116:117], v[116:117], v[118:119]
	v_fma_f64 v[118:119], -v[126:127], v[130:131], 1.0
	v_fmac_f64_e32 v[130:131], v[130:131], v[118:119]
	v_fma_f64 v[118:119], -v[126:127], v[130:131], 1.0
	v_fmac_f64_e32 v[130:131], v[130:131], v[118:119]
	v_div_scale_f64 v[118:119], vcc, s[86:87], v[124:125], s[86:87]
	v_mul_f64 v[120:121], v[118:119], v[130:131]
	v_fma_f64 v[118:119], -v[126:127], v[120:121], v[118:119]
	v_add_f64 v[10:11], v[10:11], 0.5
	s_nop 0
	v_div_fmas_f64 v[118:119], v[118:119], v[130:131], v[120:121]
	v_div_fixup_f64 v[118:119], v[118:119], v[124:125], s[86:87]
	v_add_f64 v[116:117], v[118:119], v[116:117]
	v_add_f64 v[116:117], v[116:117], s[90:91]
	v_frexp_mant_f64_e32 v[118:119], v[116:117]
	v_cmp_gt_f64_e32 vcc, s[28:29], v[118:119]
	v_cndmask_b32_e64 v15, v88, 2.0, vcc
	v_mul_f64 v[118:119], v[118:119], v[14:15]
	v_add_f64 v[120:121], v[118:119], 1.0
	v_rcp_f64_e32 v[122:123], v[120:121]
	v_add_f64 v[126:127], v[120:121], -1.0
	v_add_f64 v[124:125], v[118:119], -1.0
	v_add_f64 v[118:119], v[118:119], -v[126:127]
	v_fma_f64 v[126:127], -v[120:121], v[122:123], 1.0
	v_fmac_f64_e32 v[122:123], v[126:127], v[122:123]
	v_fma_f64 v[126:127], -v[120:121], v[122:123], 1.0
	v_fmac_f64_e32 v[122:123], v[126:127], v[122:123]
	v_mul_f64 v[126:127], v[124:125], v[122:123]
	v_mul_f64 v[128:129], v[120:121], v[126:127]
	v_fma_f64 v[120:121], v[126:127], v[120:121], -v[128:129]
	v_fmac_f64_e32 v[120:121], v[126:127], v[118:119]
	v_add_f64 v[118:119], v[128:129], v[120:121]
	v_add_f64 v[130:131], v[124:125], -v[118:119]
	v_add_f64 v[128:129], v[118:119], -v[128:129]
	;; [unrolled: 1-line block ×5, first 2 shown]
	v_add_f64 v[118:119], v[120:121], v[118:119]
	v_add_f64 v[118:119], v[130:131], v[118:119]
	v_mul_f64 v[118:119], v[122:123], v[118:119]
	v_add_f64 v[120:121], v[126:127], v[118:119]
	v_add_f64 v[122:123], v[120:121], -v[126:127]
	v_add_f64 v[118:119], v[118:119], -v[122:123]
	v_mul_f64 v[122:123], v[120:121], v[120:121]
	v_fma_f64 v[124:125], s[34:35], v[122:123], v[0:1]
	v_fma_f64 v[124:125], v[122:123], v[124:125], s[36:37]
	;; [unrolled: 1-line block ×6, first 2 shown]
	v_ldexp_f64 v[126:127], v[120:121], 1
	v_mul_f64 v[120:121], v[120:121], v[122:123]
	v_mul_f64 v[120:121], v[120:121], v[124:125]
	v_add_f64 v[122:123], v[126:127], v[120:121]
	v_add_f64 v[124:125], v[122:123], -v[126:127]
	v_ldexp_f64 v[118:119], v[118:119], 1
	v_add_f64 v[120:121], v[120:121], -v[124:125]
	v_add_f64 v[118:119], v[118:119], v[120:121]
	v_frexp_exp_i32_f64_e32 v115, v[116:117]
	v_add_f64 v[120:121], v[122:123], v[118:119]
	v_subbrev_co_u32_e32 v15, vcc, 0, v115, vcc
	v_add_f64 v[122:123], v[120:121], -v[122:123]
	v_add_f64 v[118:119], v[118:119], -v[122:123]
	v_cvt_f64_i32_e32 v[122:123], v15
	v_mul_f64 v[124:125], v[122:123], s[46:47]
	v_fma_f64 v[126:127], v[122:123], s[46:47], -v[124:125]
	v_fmac_f64_e32 v[126:127], s[48:49], v[122:123]
	v_add_f64 v[122:123], v[124:125], v[126:127]
	v_add_f64 v[124:125], v[122:123], -v[124:125]
	v_add_f64 v[124:125], v[126:127], -v[124:125]
	v_add_f64 v[126:127], v[122:123], v[120:121]
	v_add_f64 v[128:129], v[126:127], -v[122:123]
	v_add_f64 v[130:131], v[126:127], -v[128:129]
	;; [unrolled: 1-line block ×4, first 2 shown]
	v_add_f64 v[120:121], v[120:121], v[122:123]
	v_add_f64 v[122:123], v[124:125], v[118:119]
	v_add_f64 v[128:129], v[122:123], -v[124:125]
	v_add_f64 v[130:131], v[122:123], -v[128:129]
	v_add_f64 v[120:121], v[122:123], v[120:121]
	v_add_f64 v[124:125], v[124:125], -v[130:131]
	v_add_f64 v[118:119], v[118:119], -v[128:129]
	v_add_f64 v[122:123], v[126:127], v[120:121]
	v_add_f64 v[118:119], v[118:119], v[124:125]
	v_add_f64 v[124:125], v[122:123], -v[126:127]
	v_add_f64 v[120:121], v[120:121], -v[124:125]
	v_add_f64 v[118:119], v[118:119], v[120:121]
	v_add_f64 v[118:119], v[122:123], v[118:119]
	v_cmp_class_f64_e64 vcc, v[116:117], s10
	v_div_scale_f64 v[120:121], s[4:5], s[20:21], s[20:21], v[10:11]
	v_cndmask_b32_e32 v119, v119, v117, vcc
	v_cndmask_b32_e32 v118, v118, v116, vcc
	v_rcp_f64_e32 v[122:123], v[120:121]
	v_add_f64 v[118:119], v[118:119], s[92:93]
	v_add_f64 v[118:119], v[118:119], s[94:95]
	v_cmp_ngt_f64_e32 vcc, 0, v[116:117]
	v_cndmask_b32_e32 v15, v89, v119, vcc
	v_cmp_nge_f64_e32 vcc, 0, v[116:117]
	v_cndmask_b32_e32 v118, 0, v118, vcc
	v_cmp_neq_f64_e32 vcc, 0, v[116:117]
	v_fma_f64 v[116:117], -v[120:121], v[122:123], 1.0
	v_fmac_f64_e32 v[122:123], v[122:123], v[116:117]
	v_fma_f64 v[116:117], -v[120:121], v[122:123], 1.0
	v_cndmask_b32_e32 v119, v90, v15, vcc
	v_fmac_f64_e32 v[122:123], v[122:123], v[116:117]
	v_div_scale_f64 v[116:117], vcc, v[10:11], s[20:21], v[10:11]
	v_mul_f64 v[124:125], v[116:117], v[122:123]
	v_fma_f64 v[116:117], -v[120:121], v[124:125], v[116:117]
	v_add_f64 v[6:7], v[6:7], 0.5
	s_nop 0
	v_div_fmas_f64 v[116:117], v[116:117], v[122:123], v[124:125]
	v_div_fixup_f64 v[10:11], v[116:117], s[20:21], v[10:11]
	v_frexp_mant_f64_e32 v[116:117], v[10:11]
	v_cmp_gt_f64_e32 vcc, s[28:29], v[116:117]
	v_cndmask_b32_e64 v15, v88, 2.0, vcc
	v_mul_f64 v[116:117], v[116:117], v[14:15]
	v_add_f64 v[120:121], v[116:117], 1.0
	v_rcp_f64_e32 v[122:123], v[120:121]
	v_add_f64 v[126:127], v[120:121], -1.0
	v_add_f64 v[124:125], v[116:117], -1.0
	v_add_f64 v[116:117], v[116:117], -v[126:127]
	v_fma_f64 v[126:127], -v[120:121], v[122:123], 1.0
	v_fmac_f64_e32 v[122:123], v[126:127], v[122:123]
	v_fma_f64 v[126:127], -v[120:121], v[122:123], 1.0
	v_fmac_f64_e32 v[122:123], v[126:127], v[122:123]
	v_mul_f64 v[126:127], v[124:125], v[122:123]
	v_mul_f64 v[128:129], v[120:121], v[126:127]
	v_fma_f64 v[120:121], v[126:127], v[120:121], -v[128:129]
	v_fmac_f64_e32 v[120:121], v[126:127], v[116:117]
	v_add_f64 v[116:117], v[128:129], v[120:121]
	v_add_f64 v[130:131], v[124:125], -v[116:117]
	v_add_f64 v[128:129], v[116:117], -v[128:129]
	v_add_f64 v[124:125], v[124:125], -v[130:131]
	v_add_f64 v[116:117], v[124:125], -v[116:117]
	v_add_f64 v[120:121], v[128:129], -v[120:121]
	v_add_f64 v[116:117], v[120:121], v[116:117]
	v_add_f64 v[116:117], v[130:131], v[116:117]
	v_mul_f64 v[116:117], v[122:123], v[116:117]
	v_add_f64 v[120:121], v[126:127], v[116:117]
	v_add_f64 v[122:123], v[120:121], -v[126:127]
	v_add_f64 v[116:117], v[116:117], -v[122:123]
	v_mul_f64 v[122:123], v[120:121], v[120:121]
	v_fmac_f64_e32 v[0:1], s[34:35], v[122:123]
	v_fma_f64 v[0:1], v[122:123], v[0:1], s[36:37]
	v_fma_f64 v[0:1], v[122:123], v[0:1], s[38:39]
	;; [unrolled: 1-line block ×5, first 2 shown]
	v_ldexp_f64 v[124:125], v[120:121], 1
	v_mul_f64 v[120:121], v[120:121], v[122:123]
	v_mul_f64 v[0:1], v[120:121], v[0:1]
	v_add_f64 v[120:121], v[124:125], v[0:1]
	v_add_f64 v[122:123], v[120:121], -v[124:125]
	v_ldexp_f64 v[116:117], v[116:117], 1
	v_add_f64 v[0:1], v[0:1], -v[122:123]
	v_add_f64 v[0:1], v[116:117], v[0:1]
	v_frexp_exp_i32_f64_e32 v115, v[10:11]
	v_add_f64 v[116:117], v[120:121], v[0:1]
	v_subbrev_co_u32_e32 v15, vcc, 0, v115, vcc
	v_add_f64 v[120:121], v[116:117], -v[120:121]
	v_add_f64 v[0:1], v[0:1], -v[120:121]
	v_cvt_f64_i32_e32 v[120:121], v15
	v_mul_f64 v[122:123], v[120:121], s[46:47]
	v_fma_f64 v[124:125], v[120:121], s[46:47], -v[122:123]
	v_fmac_f64_e32 v[124:125], s[48:49], v[120:121]
	v_add_f64 v[120:121], v[122:123], v[124:125]
	v_add_f64 v[122:123], v[120:121], -v[122:123]
	v_add_f64 v[122:123], v[124:125], -v[122:123]
	v_add_f64 v[124:125], v[120:121], v[116:117]
	v_add_f64 v[126:127], v[124:125], -v[120:121]
	v_add_f64 v[128:129], v[124:125], -v[126:127]
	v_add_f64 v[120:121], v[120:121], -v[128:129]
	v_add_f64 v[116:117], v[116:117], -v[126:127]
	v_add_f64 v[116:117], v[116:117], v[120:121]
	v_add_f64 v[120:121], v[122:123], v[0:1]
	v_add_f64 v[126:127], v[120:121], -v[122:123]
	v_add_f64 v[128:129], v[120:121], -v[126:127]
	v_add_f64 v[116:117], v[120:121], v[116:117]
	v_add_f64 v[122:123], v[122:123], -v[128:129]
	v_add_f64 v[0:1], v[0:1], -v[126:127]
	v_add_f64 v[120:121], v[124:125], v[116:117]
	v_add_f64 v[0:1], v[0:1], v[122:123]
	v_add_f64 v[122:123], v[120:121], -v[124:125]
	v_add_f64 v[116:117], v[116:117], -v[122:123]
	v_add_f64 v[0:1], v[0:1], v[116:117]
	v_add_f64 v[0:1], v[120:121], v[0:1]
	v_cmp_class_f64_e64 vcc, v[10:11], s10
	v_cndmask_b32_e32 v0, v0, v10, vcc
	v_cndmask_b32_e32 v1, v1, v11, vcc
	v_cmp_ngt_f64_e32 vcc, 0, v[10:11]
	v_cndmask_b32_e32 v1, v89, v1, vcc
	v_cmp_nge_f64_e32 vcc, 0, v[10:11]
	v_cndmask_b32_e32 v0, 0, v0, vcc
	v_cmp_neq_f64_e32 vcc, 0, v[10:11]
	v_cndmask_b32_e32 v1, v90, v1, vcc
	v_fmac_f64_e32 v[118:119], v[6:7], v[0:1]
	v_add_f64 v[0:1], v[4:5], -v[118:119]
	v_cvt_u32_f64_e32 v4, v[8:9]
	v_cmp_le_f64_e32 vcc, v[2:3], v[0:1]
	v_cndmask_b32_e64 v116, 0, 1, vcc
	v_cndmask_b32_e32 v73, v73, v4, vcc
	v_mov_b32_e32 v115, v114
.LBB79_22:                              ;   in Loop: Header=BB79_12 Depth=2
	s_or_b64 exec, exec, s[8:9]
	v_cmp_gt_i32_e32 vcc, 2, v116
	s_or_b64 s[0:1], vcc, s[0:1]
	v_mov_b32_e32 v15, v115
	v_mov_b32_e32 v0, v85
	;; [unrolled: 1-line block ×5, first 2 shown]
	s_andn2_b64 exec, exec, s[0:1]
	s_cbranch_execnz .LBB79_12
; %bb.23:                               ;   in Loop: Header=BB79_12 Depth=2
	s_or_b64 exec, exec, s[0:1]
	v_cmp_ne_u32_e32 vcc, 0, v116
	s_or_b64 s[14:15], vcc, s[14:15]
	s_mov_b64 s[0:1], 0
	v_mov_b32_e32 v15, v115
	v_mov_b32_e32 v0, v85
	;; [unrolled: 1-line block ×5, first 2 shown]
	s_andn2_b64 exec, exec, s[14:15]
	s_cbranch_execnz .LBB79_12
; %bb.24:                               ;   in Loop: Header=BB79_6 Depth=1
	s_or_b64 exec, exec, s[14:15]
	s_mov_b32 s45, s19
                                        ; implicit-def: $vgpr70_vgpr71
                                        ; implicit-def: $vgpr15
                                        ; implicit-def: $vgpr94
                                        ; implicit-def: $vgpr95
                                        ; implicit-def: $vgpr103
                                        ; implicit-def: $vgpr93
                                        ; implicit-def: $vgpr3
                                        ; implicit-def: $vgpr4_vgpr5
                                        ; implicit-def: $vgpr96
                                        ; implicit-def: $vgpr97
                                        ; implicit-def: $vgpr98
                                        ; implicit-def: $vgpr99
                                        ; implicit-def: $vgpr101
                                        ; implicit-def: $vgpr102
                                        ; implicit-def: $vgpr104
                                        ; implicit-def: $vgpr105
                                        ; implicit-def: $vgpr106
                                        ; implicit-def: $vgpr107
                                        ; implicit-def: $vgpr108
                                        ; implicit-def: $vgpr109
                                        ; implicit-def: $vgpr110
                                        ; implicit-def: $vgpr111
                                        ; implicit-def: $vgpr100
                                        ; implicit-def: $vgpr112
.LBB79_25:                              ;   in Loop: Header=BB79_6 Depth=1
	s_andn2_saveexec_b64 s[0:1], s[12:13]
	s_cbranch_execz .LBB79_37
; %bb.26:                               ;   in Loop: Header=BB79_6 Depth=1
	v_add_co_u32_e32 v6, vcc, 1, v94
	v_cndmask_b32_e64 v7, 0, 1, vcc
	v_addc_co_u32_e32 v10, vcc, 0, v95, vcc
	v_cmp_eq_u32_e32 vcc, 0, v10
	v_cndmask_b32_e32 v7, 0, v7, vcc
	v_add_u32_e32 v8, v7, v17
	v_cmp_eq_u32_e32 vcc, 0, v8
	v_cndmask_b32_e32 v11, 0, v7, vcc
	v_mad_u64_u32 v[6:7], s[4:5], v6, s33, 0
	v_mad_u64_u32 v[8:9], s[4:5], v8, s11, 0
	v_xor_b32_e32 v7, v7, v71
	v_xor_b32_e32 v9, v9, v70
	v_xor_b32_e32 v7, v11, v7
	v_xor_b32_e32 v9, v10, v9
	v_mad_u64_u32 v[70:71], s[4:5], v7, s11, 0
	v_mad_u64_u32 v[10:11], s[4:5], v9, s33, 0
	v_xor_b32_e32 v7, v96, v71
	v_xor_b32_e32 v7, v7, v8
	v_xor_b32_e32 v8, v97, v11
	v_xor_b32_e32 v8, v8, v6
	;; [unrolled: 6-line block ×8, first 2 shown]
	v_mad_u64_u32 v[72:73], s[4:5], v7, s33, 0
	v_mad_u64_u32 v[8:9], s[4:5], v6, s11, 0
	v_xor_b32_e32 v6, v112, v73
	v_xor_b32_e32 v6, v6, v10
	v_mad_u64_u32 v[6:7], s[4:5], v6, s11, 0
	v_xor_b32_e32 v7, v7, v8
	v_xor_b32_e32 v10, v103, v7
	v_cmp_lt_i32_e32 vcc, 1, v15
                                        ; implicit-def: $vgpr8
	s_and_saveexec_b64 s[4:5], vcc
	s_xor_b64 s[4:5], exec, s[4:5]
	s_cbranch_execz .LBB79_32
; %bb.27:                               ;   in Loop: Header=BB79_6 Depth=1
	v_cmp_lt_i32_e32 vcc, 2, v15
                                        ; implicit-def: $vgpr8
	s_and_saveexec_b64 s[8:9], vcc
	s_xor_b64 s[8:9], exec, s[8:9]
; %bb.28:                               ;   in Loop: Header=BB79_6 Depth=1
	v_xor_b32_e32 v0, v100, v9
	v_xor_b32_e32 v0, v0, v70
	v_mul_hi_u32 v0, v0, s33
	v_xor_b32_e32 v0, v0, v72
	v_xor_b32_e32 v8, v93, v0
; %bb.29:                               ;   in Loop: Header=BB79_6 Depth=1
	s_andn2_saveexec_b64 s[8:9], s[8:9]
; %bb.30:                               ;   in Loop: Header=BB79_6 Depth=1
	v_mov_b32_e32 v8, v6
	v_mov_b32_e32 v6, v10
	;; [unrolled: 1-line block ×4, first 2 shown]
; %bb.31:                               ;   in Loop: Header=BB79_6 Depth=1
	s_or_b64 exec, exec, s[8:9]
                                        ; implicit-def: $vgpr15
.LBB79_32:                              ;   in Loop: Header=BB79_6 Depth=1
	s_andn2_saveexec_b64 s[4:5], s[4:5]
	s_cbranch_execz .LBB79_36
; %bb.33:                               ;   in Loop: Header=BB79_6 Depth=1
	v_cmp_eq_u32_e32 vcc, 1, v15
	v_mov_b32_e32 v8, v3
	v_mov_b32_e32 v6, v2
	;; [unrolled: 1-line block ×3, first 2 shown]
	s_and_saveexec_b64 s[8:9], vcc
; %bb.34:                               ;   in Loop: Header=BB79_6 Depth=1
	v_mov_b32_e32 v8, v10
	v_mov_b32_e32 v6, v3
	;; [unrolled: 1-line block ×4, first 2 shown]
; %bb.35:                               ;   in Loop: Header=BB79_6 Depth=1
	s_or_b64 exec, exec, s[8:9]
	v_mov_b32_e32 v3, v0
	v_mov_b32_e32 v10, v7
.LBB79_36:                              ;   in Loop: Header=BB79_6 Depth=1
	s_or_b64 exec, exec, s[4:5]
	v_mov_b32_e32 v11, v14
	v_lshlrev_b64 v[0:1], 21, v[10:11]
	v_xor_b32_e32 v2, v0, v3
	v_cvt_f64_u32_e32 v[0:1], v1
	v_ldexp_f64 v[0:1], v[0:1], 32
	v_cvt_f64_u32_e32 v[2:3], v2
	v_add_f64 v[0:1], v[0:1], v[2:3]
	v_mov_b32_e32 v2, 0
	v_mov_b32_e32 v3, 0x3ca00000
	v_fmac_f64_e32 v[2:3], 0x3ca00000, v[0:1]
	v_mov_b32_e32 v9, v14
	v_lshlrev_b64 v[0:1], 21, v[8:9]
	v_frexp_mant_f64_e32 v[8:9], v[2:3]
	v_cmp_gt_f64_e32 vcc, s[28:29], v[8:9]
	v_cndmask_b32_e64 v15, v88, 2.0, vcc
	v_frexp_exp_i32_f64_e32 v10, v[2:3]
	v_mul_f64 v[8:9], v[8:9], v[14:15]
	v_subbrev_co_u32_e32 v15, vcc, 0, v10, vcc
	v_add_f64 v[10:11], v[8:9], 1.0
	v_rcp_f64_e32 v[70:71], v[10:11]
	v_add_f64 v[74:75], v[10:11], -1.0
	v_add_f64 v[72:73], v[8:9], -1.0
	v_add_f64 v[8:9], v[8:9], -v[74:75]
	v_fma_f64 v[74:75], -v[10:11], v[70:71], 1.0
	v_fmac_f64_e32 v[70:71], v[74:75], v[70:71]
	v_fma_f64 v[74:75], -v[10:11], v[70:71], 1.0
	v_fmac_f64_e32 v[70:71], v[74:75], v[70:71]
	v_mul_f64 v[74:75], v[72:73], v[70:71]
	v_mul_f64 v[76:77], v[10:11], v[74:75]
	v_fma_f64 v[10:11], v[74:75], v[10:11], -v[76:77]
	v_fmac_f64_e32 v[10:11], v[74:75], v[8:9]
	v_add_f64 v[8:9], v[76:77], v[10:11]
	v_add_f64 v[78:79], v[72:73], -v[8:9]
	v_add_f64 v[76:77], v[8:9], -v[76:77]
	;; [unrolled: 1-line block ×5, first 2 shown]
	v_add_f64 v[8:9], v[10:11], v[8:9]
	v_add_f64 v[8:9], v[78:79], v[8:9]
	v_mul_f64 v[8:9], v[70:71], v[8:9]
	v_add_f64 v[10:11], v[74:75], v[8:9]
	v_add_f64 v[70:71], v[10:11], -v[74:75]
	v_add_f64 v[8:9], v[8:9], -v[70:71]
	v_mul_f64 v[70:71], v[10:11], v[10:11]
	v_pk_mov_b32 v[72:73], v[18:19], v[18:19] op_sel:[0,1]
	v_fmac_f64_e32 v[72:73], s[34:35], v[70:71]
	v_pk_mov_b32 v[74:75], v[20:21], v[20:21] op_sel:[0,1]
	v_fmac_f64_e32 v[74:75], v[70:71], v[72:73]
	v_pk_mov_b32 v[72:73], v[22:23], v[22:23] op_sel:[0,1]
	v_fmac_f64_e32 v[72:73], v[70:71], v[74:75]
	v_pk_mov_b32 v[74:75], v[24:25], v[24:25] op_sel:[0,1]
	v_fmac_f64_e32 v[74:75], v[70:71], v[72:73]
	v_pk_mov_b32 v[72:73], v[26:27], v[26:27] op_sel:[0,1]
	v_fmac_f64_e32 v[72:73], v[70:71], v[74:75]
	v_pk_mov_b32 v[74:75], v[28:29], v[28:29] op_sel:[0,1]
	v_fmac_f64_e32 v[74:75], v[70:71], v[72:73]
	v_ldexp_f64 v[72:73], v[10:11], 1
	v_mul_f64 v[10:11], v[10:11], v[70:71]
	v_mul_f64 v[10:11], v[10:11], v[74:75]
	v_add_f64 v[70:71], v[72:73], v[10:11]
	v_add_f64 v[72:73], v[70:71], -v[72:73]
	v_ldexp_f64 v[8:9], v[8:9], 1
	v_add_f64 v[10:11], v[10:11], -v[72:73]
	v_add_f64 v[8:9], v[8:9], v[10:11]
	v_add_f64 v[10:11], v[70:71], v[8:9]
	v_add_f64 v[70:71], v[10:11], -v[70:71]
	v_add_f64 v[8:9], v[8:9], -v[70:71]
	v_cvt_f64_i32_e32 v[70:71], v15
	v_mul_f64 v[72:73], v[70:71], s[46:47]
	v_fma_f64 v[74:75], v[70:71], s[46:47], -v[72:73]
	v_fmac_f64_e32 v[74:75], s[48:49], v[70:71]
	v_add_f64 v[70:71], v[72:73], v[74:75]
	v_add_f64 v[72:73], v[70:71], -v[72:73]
	v_add_f64 v[72:73], v[74:75], -v[72:73]
	v_add_f64 v[74:75], v[70:71], v[10:11]
	v_add_f64 v[76:77], v[74:75], -v[70:71]
	v_add_f64 v[78:79], v[74:75], -v[76:77]
	;; [unrolled: 1-line block ×4, first 2 shown]
	v_add_f64 v[10:11], v[10:11], v[70:71]
	v_add_f64 v[70:71], v[72:73], v[8:9]
	v_add_f64 v[76:77], v[70:71], -v[72:73]
	v_add_f64 v[78:79], v[70:71], -v[76:77]
	v_add_f64 v[10:11], v[70:71], v[10:11]
	v_add_f64 v[72:73], v[72:73], -v[78:79]
	v_add_f64 v[8:9], v[8:9], -v[76:77]
	v_add_f64 v[70:71], v[74:75], v[10:11]
	v_add_f64 v[8:9], v[8:9], v[72:73]
	v_add_f64 v[72:73], v[70:71], -v[74:75]
	v_add_f64 v[10:11], v[10:11], -v[72:73]
	s_mov_b32 s12, 0
	v_add_f64 v[8:9], v[8:9], v[10:11]
	s_mov_b32 s13, 0x7ff00000
	v_add_f64 v[8:9], v[70:71], v[8:9]
	v_cmp_eq_f64_e32 vcc, s[12:13], v[2:3]
	v_cndmask_b32_e32 v9, v9, v3, vcc
	v_cndmask_b32_e32 v8, v8, v2, vcc
	v_mul_f64 v[8:9], v[8:9], -2.0
	v_cmp_neq_f64_e32 vcc, 0, v[2:3]
	s_mov_b32 s4, 0
	v_cndmask_b32_e32 v3, v91, v9, vcc
	v_cndmask_b32_e32 v2, 0, v8, vcc
	s_brev_b32 s5, 8
	v_cmp_gt_f64_e32 vcc, s[4:5], v[2:3]
	v_cndmask_b32_e64 v8, 0, 1, vcc
	v_lshlrev_b32_e32 v8, 8, v8
	v_ldexp_f64 v[2:3], v[2:3], v8
	v_xor_b32_e32 v6, v0, v6
	v_cvt_f64_u32_e32 v[0:1], v1
	v_rsq_f64_e32 v[8:9], v[2:3]
	v_ldexp_f64 v[0:1], v[0:1], 32
	v_cvt_f64_u32_e32 v[6:7], v6
	v_add_f64 v[0:1], v[0:1], v[6:7]
	v_mov_b32_e32 v6, 0
	v_mov_b32_e32 v7, 0x3cb00000
	v_fmac_f64_e32 v[6:7], 0x3cb00000, v[0:1]
	v_mul_f64 v[0:1], v[2:3], v[8:9]
	v_mul_f64 v[8:9], v[8:9], 0.5
	v_fma_f64 v[10:11], -v[8:9], v[0:1], 0.5
	v_fmac_f64_e32 v[0:1], v[0:1], v[10:11]
	v_fma_f64 v[70:71], -v[0:1], v[0:1], v[2:3]
	v_fmac_f64_e32 v[8:9], v[8:9], v[10:11]
	v_fmac_f64_e32 v[0:1], v[70:71], v[8:9]
	v_fma_f64 v[10:11], -v[0:1], v[0:1], v[2:3]
	v_fmac_f64_e32 v[0:1], v[10:11], v[8:9]
	v_cndmask_b32_e32 v8, 0, v87, vcc
	v_ldexp_f64 v[0:1], v[0:1], v8
	v_cmp_class_f64_e32 vcc, v[2:3], v86
	v_cndmask_b32_e32 v1, v1, v3, vcc
	v_cndmask_b32_e32 v0, v0, v2, vcc
	v_mul_f64 v[2:3], v[6:7], 0.5
	v_fract_f64_e32 v[8:9], v[2:3]
	v_add_f64 v[8:9], v[8:9], v[8:9]
	v_cmp_neq_f64_e32 vcc, s[12:13], v[2:3]
	v_cndmask_b32_e32 v2, 0, v8, vcc
	v_cndmask_b32_e32 v3, 0, v9, vcc
	v_cmp_lt_f64_e32 vcc, 1.0, v[6:7]
	v_cndmask_b32_e32 v3, v7, v3, vcc
	v_cndmask_b32_e32 v2, v6, v2, vcc
	v_add_f64 v[8:9], v[2:3], v[2:3]
	v_rndne_f64_e32 v[8:9], v[8:9]
	v_fmac_f64_e32 v[2:3], -0.5, v[8:9]
	s_mov_b32 s8, 0xf99eb0bb
	v_cvt_i32_f64_e32 v15, v[8:9]
	v_mul_f64 v[8:9], v[2:3], v[2:3]
	v_pk_mov_b32 v[10:11], v[48:49], v[48:49] op_sel:[0,1]
	s_mov_b32 s9, 0x3f3e357e
	v_fmac_f64_e32 v[10:11], s[8:9], v[8:9]
	v_pk_mov_b32 v[70:71], v[50:51], v[50:51] op_sel:[0,1]
	v_fmac_f64_e32 v[70:71], v[8:9], v[10:11]
	v_pk_mov_b32 v[10:11], v[52:53], v[52:53] op_sel:[0,1]
	;; [unrolled: 2-line block ×4, first 2 shown]
	v_fmac_f64_e32 v[10:11], v[8:9], v[70:71]
	v_mul_f64 v[70:71], v[2:3], v[8:9]
	s_mov_b32 s8, 0x54442d18
	v_mul_f64 v[10:11], v[70:71], v[10:11]
	s_mov_b32 s9, 0x400921fb
	v_fmac_f64_e32 v[10:11], s[8:9], v[2:3]
	s_mov_b32 s8, 0x2e21c33
	v_pk_mov_b32 v[2:3], v[58:59], v[58:59] op_sel:[0,1]
	s_mov_b32 s9, 0xbf1b1673
	v_fmac_f64_e32 v[2:3], s[8:9], v[8:9]
	v_pk_mov_b32 v[70:71], v[60:61], v[60:61] op_sel:[0,1]
	v_fmac_f64_e32 v[70:71], v[8:9], v[2:3]
	v_pk_mov_b32 v[2:3], v[62:63], v[62:63] op_sel:[0,1]
	;; [unrolled: 2-line block ×5, first 2 shown]
	v_fmac_f64_e32 v[70:71], v[8:9], v[2:3]
	v_fma_f64 v[2:3], v[8:9], v[70:71], 1.0
	v_and_b32_e32 v9, 1, v15
	v_lshlrev_b32_e32 v8, 30, v15
	v_cmp_eq_u32_e32 vcc, 0, v9
	v_cndmask_b32_e32 v10, v2, v10, vcc
	v_cndmask_b32_e32 v2, v3, v11, vcc
	v_xor_b32_e32 v3, v8, v7
	v_and_b32_e32 v3, 0x80000000, v3
	v_cmp_gt_f64_e32 vcc, s[4:5], v[4:5]
	v_xor_b32_e32 v11, v2, v3
	v_cndmask_b32_e64 v2, 0, 1, vcc
	v_lshlrev_b32_e32 v2, 8, v2
	v_ldexp_f64 v[2:3], v[4:5], v2
	v_rsq_f64_e32 v[8:9], v[2:3]
	v_cmp_lg_f64_e64 s[4:5], s[12:13], v[6:7]
	v_cndmask_b32_e64 v6, 0, v10, s[4:5]
	v_cndmask_b32_e64 v7, v89, v11, s[4:5]
	v_mul_f64 v[0:1], v[0:1], v[6:7]
	v_mul_f64 v[6:7], v[2:3], v[8:9]
	v_mul_f64 v[8:9], v[8:9], 0.5
	v_fma_f64 v[10:11], -v[8:9], v[6:7], 0.5
	v_fmac_f64_e32 v[6:7], v[6:7], v[10:11]
	v_fma_f64 v[70:71], -v[6:7], v[6:7], v[2:3]
	v_fmac_f64_e32 v[8:9], v[8:9], v[10:11]
	v_fmac_f64_e32 v[6:7], v[70:71], v[8:9]
	v_fma_f64 v[10:11], -v[6:7], v[6:7], v[2:3]
	v_fmac_f64_e32 v[6:7], v[10:11], v[8:9]
	v_cndmask_b32_e32 v8, 0, v87, vcc
	v_ldexp_f64 v[6:7], v[6:7], v8
	v_cmp_class_f64_e32 vcc, v[2:3], v86
	v_cndmask_b32_e32 v3, v7, v3, vcc
	v_cndmask_b32_e32 v2, v6, v2, vcc
	v_fmac_f64_e32 v[4:5], v[2:3], v[0:1]
	v_trunc_f64_e32 v[0:1], v[4:5]
	v_add_f64 v[2:3], v[4:5], -v[0:1]
	v_cmp_ge_f64_e64 vcc, |v[2:3]|, 0.5
	v_cndmask_b32_e32 v2, 0, v88, vcc
	s_brev_b32 s4, -2
	v_bfi_b32 v15, s4, v2, v5
	v_add_f64 v[0:1], v[0:1], v[14:15]
	v_cvt_u32_f64_e32 v73, v[0:1]
.LBB79_37:                              ;   in Loop: Header=BB79_6 Depth=1
	s_or_b64 exec, exec, s[0:1]
                                        ; implicit-def: $vgpr6
                                        ; implicit-def: $vgpr70_vgpr71
                                        ; implicit-def: $vgpr15
                                        ; implicit-def: $vgpr94
                                        ; implicit-def: $vgpr95
                                        ; implicit-def: $vgpr103
                                        ; implicit-def: $vgpr93
                                        ; implicit-def: $vgpr3
                                        ; implicit-def: $vgpr4_vgpr5
                                        ; implicit-def: $vgpr96
                                        ; implicit-def: $vgpr97
                                        ; implicit-def: $vgpr98
                                        ; implicit-def: $vgpr99
                                        ; implicit-def: $vgpr101
                                        ; implicit-def: $vgpr102
                                        ; implicit-def: $vgpr104
                                        ; implicit-def: $vgpr105
                                        ; implicit-def: $vgpr106
                                        ; implicit-def: $vgpr107
                                        ; implicit-def: $vgpr108
                                        ; implicit-def: $vgpr109
                                        ; implicit-def: $vgpr110
                                        ; implicit-def: $vgpr111
                                        ; implicit-def: $vgpr100
                                        ; implicit-def: $vgpr112
.LBB79_38:                              ;   in Loop: Header=BB79_6 Depth=1
	s_andn2_saveexec_b64 s[0:1], s[50:51]
	s_cbranch_execz .LBB79_4
; %bb.39:                               ;   in Loop: Header=BB79_6 Depth=1
	v_readlane_b32 s4, v132, 13
	v_readlane_b32 s5, v132, 14
	s_mov_b32 s4, s52
	v_mul_f64 v[8:9], v[4:5], s[4:5]
	v_rndne_f64_e32 v[10:11], v[8:9]
	s_mov_b32 s54, s46
	v_fma_f64 v[4:5], v[10:11], s[54:55], -v[4:5]
	s_mov_b32 s56, s48
	v_fmac_f64_e32 v[4:5], s[56:57], v[10:11]
	v_pk_mov_b32 v[8:9], v[30:31], v[30:31] op_sel:[0,1]
	v_fmac_f64_e32 v[8:9], s[58:59], v[4:5]
	v_pk_mov_b32 v[72:73], v[32:33], v[32:33] op_sel:[0,1]
	;; [unrolled: 2-line block ×9, first 2 shown]
	v_fmac_f64_e32 v[74:75], v[4:5], v[72:73]
	v_fma_f64 v[72:73], v[4:5], v[74:75], 1.0
	v_fma_f64 v[4:5], v[4:5], v[72:73], 1.0
	v_cvt_i32_f64_e32 v7, v[10:11]
	s_movk_i32 s4, 0x6433
	s_mov_b32 s9, s5
	v_mov_b32_e32 v8, 0
	v_ldexp_f64 v[4:5], v[4:5], v7
	v_cmp_nlt_f16_e32 vcc, s4, v6
	v_writelane_b32 v132, s8, 13
	v_mov_b32_e32 v9, 0x3ff00000
	v_mov_b32_e32 v76, 0
	v_cndmask_b32_e32 v11, 0, v5, vcc
	v_cndmask_b32_e32 v10, 0, v4, vcc
	s_mov_b32 s12, -1
	s_mov_b64 s[4:5], 0
	v_mov_b32_e32 v77, v17
	v_writelane_b32 v132, s9, 14
	s_branch .LBB79_41
.LBB79_40:                              ;   in Loop: Header=BB79_41 Depth=2
	s_or_b64 exec, exec, s[8:9]
	v_cmp_eq_u32_e32 vcc, 1, v15
	v_cndmask_b32_e32 v0, v0, v1, vcc
	v_cmp_eq_u32_e32 vcc, 2, v15
	v_cndmask_b32_e32 v0, v0, v2, vcc
	;; [unrolled: 2-line block ×6, first 2 shown]
	v_lshrrev_b32_e32 v0, 11, v0
	v_cvt_f64_u32_e32 v[0:1], v0
	v_ldexp_f64 v[0:1], v[0:1], 32
	v_cvt_f64_u32_e32 v[2:3], v2
	v_add_f64 v[0:1], v[0:1], v[2:3]
	v_mov_b32_e32 v2, 0
	v_mov_b32_e32 v3, 0x3ca00000
	v_fmac_f64_e32 v[2:3], 0x3ca00000, v[0:1]
	v_mul_f64 v[8:9], v[8:9], v[2:3]
	v_cmp_ngt_f64_e32 vcc, v[8:9], v[10:11]
	s_add_i32 s12, s12, 1
	s_or_b64 s[4:5], vcc, s[4:5]
	v_mov_b32_e32 v73, s12
	v_mov_b32_e32 v15, v79
	;; [unrolled: 1-line block ×6, first 2 shown]
	s_andn2_b64 exec, exec, s[4:5]
	s_cbranch_execz .LBB79_3
.LBB79_41:                              ;   Parent Loop BB79_6 Depth=1
                                        ; =>  This Inner Loop Header: Depth=2
	v_add_u32_e32 v78, 1, v15
	v_pk_mov_b32 v[6:7], v[2:3], v[2:3] op_sel:[0,1]
	v_cmp_eq_u32_e32 vcc, 4, v78
	v_pk_mov_b32 v[4:5], v[0:1], v[0:1] op_sel:[0,1]
	v_mov_b32_e32 v75, v0
	v_mov_b32_e32 v74, v1
	;; [unrolled: 1-line block ×4, first 2 shown]
	s_and_saveexec_b64 s[8:9], vcc
	s_cbranch_execz .LBB79_43
; %bb.42:                               ;   in Loop: Header=BB79_41 Depth=2
	v_add_co_u32_e32 v94, vcc, 1, v94
	v_cndmask_b32_e64 v4, 0, 1, vcc
	v_addc_co_u32_e32 v95, vcc, 0, v95, vcc
	v_cmp_eq_u32_e32 vcc, 0, v95
	v_cndmask_b32_e32 v4, 0, v4, vcc
	v_add_u32_e32 v77, v4, v77
	v_cmp_eq_u32_e32 vcc, 0, v77
	v_cndmask_b32_e32 v4, 0, v4, vcc
	v_add_u32_e32 v76, v4, v76
	v_mad_u64_u32 v[4:5], s[14:15], v94, s33, 0
	v_mad_u64_u32 v[6:7], s[14:15], v77, s11, 0
	v_xor_b32_e32 v5, v5, v71
	v_xor_b32_e32 v7, v7, v70
	v_xor_b32_e32 v5, v76, v5
	v_xor_b32_e32 v7, v95, v7
	v_mad_u64_u32 v[74:75], s[14:15], v5, s11, 0
	v_mad_u64_u32 v[72:73], s[14:15], v7, s33, 0
	v_xor_b32_e32 v5, v96, v75
	v_xor_b32_e32 v5, v5, v6
	v_xor_b32_e32 v6, v97, v73
	v_xor_b32_e32 v6, v6, v4
	v_mad_u64_u32 v[4:5], s[14:15], v5, s33, 0
	v_mad_u64_u32 v[6:7], s[14:15], v6, s11, 0
	v_xor_b32_e32 v5, v99, v5
	v_xor_b32_e32 v7, v98, v7
	v_xor_b32_e32 v5, v5, v72
	v_xor_b32_e32 v7, v7, v74
	v_mad_u64_u32 v[74:75], s[14:15], v5, s11, 0
	v_mad_u64_u32 v[72:73], s[14:15], v7, s33, 0
	v_xor_b32_e32 v5, v101, v75
	v_xor_b32_e32 v5, v5, v6
	v_xor_b32_e32 v6, v102, v73
	v_xor_b32_e32 v6, v6, v4
	v_mad_u64_u32 v[4:5], s[14:15], v5, s33, 0
	v_mad_u64_u32 v[6:7], s[14:15], v6, s11, 0
	v_xor_b32_e32 v5, v105, v5
	v_xor_b32_e32 v7, v104, v7
	v_xor_b32_e32 v5, v5, v72
	v_xor_b32_e32 v7, v7, v74
	v_mad_u64_u32 v[74:75], s[14:15], v5, s11, 0
	v_mad_u64_u32 v[72:73], s[14:15], v7, s33, 0
	v_xor_b32_e32 v5, v106, v75
	v_xor_b32_e32 v5, v5, v6
	v_xor_b32_e32 v6, v107, v73
	v_xor_b32_e32 v6, v6, v4
	v_mad_u64_u32 v[4:5], s[14:15], v5, s33, 0
	v_mad_u64_u32 v[6:7], s[14:15], v6, s11, 0
	v_xor_b32_e32 v5, v109, v5
	v_xor_b32_e32 v7, v108, v7
	v_xor_b32_e32 v5, v5, v72
	v_xor_b32_e32 v7, v7, v74
	v_mad_u64_u32 v[74:75], s[14:15], v5, s11, 0
	v_mad_u64_u32 v[72:73], s[14:15], v7, s33, 0
	v_xor_b32_e32 v5, v110, v75
	v_xor_b32_e32 v5, v5, v6
	v_xor_b32_e32 v6, v111, v73
	v_xor_b32_e32 v4, v6, v4
	v_mad_u64_u32 v[6:7], s[14:15], v5, s33, 0
	v_mad_u64_u32 v[4:5], s[14:15], v4, s11, 0
	v_xor_b32_e32 v5, v100, v5
	v_xor_b32_e32 v7, v112, v7
	v_xor_b32_e32 v5, v5, v74
	v_xor_b32_e32 v7, v7, v72
	v_mad_u64_u32 v[72:73], s[14:15], v5, s33, 0
	v_mad_u64_u32 v[74:75], s[14:15], v7, s11, 0
	v_xor_b32_e32 v4, v75, v4
	v_xor_b32_e32 v5, v73, v6
	v_xor_b32_e32 v4, v103, v4
	v_xor_b32_e32 v6, v93, v5
	v_mov_b32_e32 v78, 0
	v_mov_b32_e32 v5, v74
	;; [unrolled: 1-line block ×5, first 2 shown]
.LBB79_43:                              ;   in Loop: Header=BB79_41 Depth=2
	s_or_b64 exec, exec, s[8:9]
	v_add_u32_e32 v79, 1, v78
	v_cmp_eq_u32_e32 vcc, 4, v79
	s_and_saveexec_b64 s[8:9], vcc
	s_cbranch_execz .LBB79_40
; %bb.44:                               ;   in Loop: Header=BB79_41 Depth=2
	v_add_co_u32_e32 v94, vcc, 1, v94
	v_cndmask_b32_e64 v72, 0, 1, vcc
	v_addc_co_u32_e32 v95, vcc, 0, v95, vcc
	v_cmp_eq_u32_e32 vcc, 0, v95
	v_cndmask_b32_e32 v72, 0, v72, vcc
	v_add_u32_e32 v77, v72, v77
	v_cmp_eq_u32_e32 vcc, 0, v77
	v_cndmask_b32_e32 v72, 0, v72, vcc
	v_add_u32_e32 v76, v72, v76
	v_mad_u64_u32 v[72:73], s[14:15], v94, s33, 0
	v_mad_u64_u32 v[74:75], s[14:15], v77, s11, 0
	v_xor_b32_e32 v73, v73, v71
	v_xor_b32_e32 v75, v75, v70
	v_xor_b32_e32 v73, v76, v73
	v_xor_b32_e32 v75, v95, v75
	v_mad_u64_u32 v[82:83], s[14:15], v73, s11, 0
	v_mad_u64_u32 v[80:81], s[14:15], v75, s33, 0
	v_xor_b32_e32 v73, v96, v83
	v_xor_b32_e32 v73, v73, v74
	v_xor_b32_e32 v74, v97, v81
	v_xor_b32_e32 v74, v74, v72
	;; [unrolled: 6-line block ×9, first 2 shown]
	v_mad_u64_u32 v[72:73], s[14:15], v72, s33, 0
	v_mad_u64_u32 v[74:75], s[14:15], v74, s11, 0
	v_xor_b32_e32 v75, v75, v114
	v_xor_b32_e32 v73, v73, v84
	v_mov_b32_e32 v79, 0
	v_xor_b32_e32 v75, v103, v75
	v_xor_b32_e32 v80, v93, v73
	s_branch .LBB79_40
.LBB79_45:
	s_or_b64 exec, exec, s[6:7]
	s_and_b64 exec, exec, s[88:89]
	s_cbranch_execnz .LBB79_48
.LBB79_46:
	s_endpgm
.LBB79_47:
	s_mov_b64 s[88:89], -1
	s_and_b64 exec, exec, s[88:89]
	s_cbranch_execz .LBB79_46
.LBB79_48:
	s_trap 2
	; divergent unreachable
	s_endpgm
	.section	.rodata,"a",@progbits
	.p2align	6, 0x0
	.amdhsa_kernel _ZN2at4cuda12_GLOBAL__N_121kernelPointwiseApply2IZN12_GLOBAL__N_119poisson_cuda_kernelIN3c104HalfEEEvRKNS_10TensorBaseES9_NS_15PhiloxCudaStateEEUlRS6_RKS6_E_S6_S6_jLi1ELi1ELi1ELi512ELi2EEEvNS0_6detail10TensorInfoIT0_T2_EENSG_IT1_SI_EESI_T_
		.amdhsa_group_segment_fixed_size 0
		.amdhsa_private_segment_fixed_size 0
		.amdhsa_kernarg_size 728
		.amdhsa_user_sgpr_count 6
		.amdhsa_user_sgpr_private_segment_buffer 1
		.amdhsa_user_sgpr_dispatch_ptr 0
		.amdhsa_user_sgpr_queue_ptr 0
		.amdhsa_user_sgpr_kernarg_segment_ptr 1
		.amdhsa_user_sgpr_dispatch_id 0
		.amdhsa_user_sgpr_flat_scratch_init 0
		.amdhsa_user_sgpr_kernarg_preload_length 0
		.amdhsa_user_sgpr_kernarg_preload_offset 0
		.amdhsa_user_sgpr_private_segment_size 0
		.amdhsa_uses_dynamic_stack 0
		.amdhsa_system_sgpr_private_segment_wavefront_offset 0
		.amdhsa_system_sgpr_workgroup_id_x 1
		.amdhsa_system_sgpr_workgroup_id_y 0
		.amdhsa_system_sgpr_workgroup_id_z 0
		.amdhsa_system_sgpr_workgroup_info 0
		.amdhsa_system_vgpr_workitem_id 0
		.amdhsa_next_free_vgpr 133
		.amdhsa_next_free_sgpr 96
		.amdhsa_accum_offset 136
		.amdhsa_reserve_vcc 1
		.amdhsa_reserve_flat_scratch 0
		.amdhsa_float_round_mode_32 0
		.amdhsa_float_round_mode_16_64 0
		.amdhsa_float_denorm_mode_32 3
		.amdhsa_float_denorm_mode_16_64 3
		.amdhsa_dx10_clamp 1
		.amdhsa_ieee_mode 1
		.amdhsa_fp16_overflow 0
		.amdhsa_tg_split 0
		.amdhsa_exception_fp_ieee_invalid_op 0
		.amdhsa_exception_fp_denorm_src 0
		.amdhsa_exception_fp_ieee_div_zero 0
		.amdhsa_exception_fp_ieee_overflow 0
		.amdhsa_exception_fp_ieee_underflow 0
		.amdhsa_exception_fp_ieee_inexact 0
		.amdhsa_exception_int_div_zero 0
	.end_amdhsa_kernel
	.section	.text._ZN2at4cuda12_GLOBAL__N_121kernelPointwiseApply2IZN12_GLOBAL__N_119poisson_cuda_kernelIN3c104HalfEEEvRKNS_10TensorBaseES9_NS_15PhiloxCudaStateEEUlRS6_RKS6_E_S6_S6_jLi1ELi1ELi1ELi512ELi2EEEvNS0_6detail10TensorInfoIT0_T2_EENSG_IT1_SI_EESI_T_,"axG",@progbits,_ZN2at4cuda12_GLOBAL__N_121kernelPointwiseApply2IZN12_GLOBAL__N_119poisson_cuda_kernelIN3c104HalfEEEvRKNS_10TensorBaseES9_NS_15PhiloxCudaStateEEUlRS6_RKS6_E_S6_S6_jLi1ELi1ELi1ELi512ELi2EEEvNS0_6detail10TensorInfoIT0_T2_EENSG_IT1_SI_EESI_T_,comdat
.Lfunc_end79:
	.size	_ZN2at4cuda12_GLOBAL__N_121kernelPointwiseApply2IZN12_GLOBAL__N_119poisson_cuda_kernelIN3c104HalfEEEvRKNS_10TensorBaseES9_NS_15PhiloxCudaStateEEUlRS6_RKS6_E_S6_S6_jLi1ELi1ELi1ELi512ELi2EEEvNS0_6detail10TensorInfoIT0_T2_EENSG_IT1_SI_EESI_T_, .Lfunc_end79-_ZN2at4cuda12_GLOBAL__N_121kernelPointwiseApply2IZN12_GLOBAL__N_119poisson_cuda_kernelIN3c104HalfEEEvRKNS_10TensorBaseES9_NS_15PhiloxCudaStateEEUlRS6_RKS6_E_S6_S6_jLi1ELi1ELi1ELi512ELi2EEEvNS0_6detail10TensorInfoIT0_T2_EENSG_IT1_SI_EESI_T_
                                        ; -- End function
	.section	.AMDGPU.csdata,"",@progbits
; Kernel info:
; codeLenInByte = 13308
; NumSgprs: 100
; NumVgprs: 133
; NumAgprs: 0
; TotalNumVgprs: 133
; ScratchSize: 0
; MemoryBound: 0
; FloatMode: 240
; IeeeMode: 1
; LDSByteSize: 0 bytes/workgroup (compile time only)
; SGPRBlocks: 12
; VGPRBlocks: 16
; NumSGPRsForWavesPerEU: 100
; NumVGPRsForWavesPerEU: 133
; AccumOffset: 136
; Occupancy: 3
; WaveLimiterHint : 1
; COMPUTE_PGM_RSRC2:SCRATCH_EN: 0
; COMPUTE_PGM_RSRC2:USER_SGPR: 6
; COMPUTE_PGM_RSRC2:TRAP_HANDLER: 0
; COMPUTE_PGM_RSRC2:TGID_X_EN: 1
; COMPUTE_PGM_RSRC2:TGID_Y_EN: 0
; COMPUTE_PGM_RSRC2:TGID_Z_EN: 0
; COMPUTE_PGM_RSRC2:TIDIG_COMP_CNT: 0
; COMPUTE_PGM_RSRC3_GFX90A:ACCUM_OFFSET: 33
; COMPUTE_PGM_RSRC3_GFX90A:TG_SPLIT: 0
	.section	.text._ZN2at4cuda12_GLOBAL__N_121kernelPointwiseApply2IZN12_GLOBAL__N_119poisson_cuda_kernelIN3c104HalfEEEvRKNS_10TensorBaseES9_NS_15PhiloxCudaStateEEUlRS6_RKS6_E_S6_S6_jLi1ELi2ELi1ELi512ELi2EEEvNS0_6detail10TensorInfoIT0_T2_EENSG_IT1_SI_EESI_T_,"axG",@progbits,_ZN2at4cuda12_GLOBAL__N_121kernelPointwiseApply2IZN12_GLOBAL__N_119poisson_cuda_kernelIN3c104HalfEEEvRKNS_10TensorBaseES9_NS_15PhiloxCudaStateEEUlRS6_RKS6_E_S6_S6_jLi1ELi2ELi1ELi512ELi2EEEvNS0_6detail10TensorInfoIT0_T2_EENSG_IT1_SI_EESI_T_,comdat
	.globl	_ZN2at4cuda12_GLOBAL__N_121kernelPointwiseApply2IZN12_GLOBAL__N_119poisson_cuda_kernelIN3c104HalfEEEvRKNS_10TensorBaseES9_NS_15PhiloxCudaStateEEUlRS6_RKS6_E_S6_S6_jLi1ELi2ELi1ELi512ELi2EEEvNS0_6detail10TensorInfoIT0_T2_EENSG_IT1_SI_EESI_T_ ; -- Begin function _ZN2at4cuda12_GLOBAL__N_121kernelPointwiseApply2IZN12_GLOBAL__N_119poisson_cuda_kernelIN3c104HalfEEEvRKNS_10TensorBaseES9_NS_15PhiloxCudaStateEEUlRS6_RKS6_E_S6_S6_jLi1ELi2ELi1ELi512ELi2EEEvNS0_6detail10TensorInfoIT0_T2_EENSG_IT1_SI_EESI_T_
	.p2align	8
	.type	_ZN2at4cuda12_GLOBAL__N_121kernelPointwiseApply2IZN12_GLOBAL__N_119poisson_cuda_kernelIN3c104HalfEEEvRKNS_10TensorBaseES9_NS_15PhiloxCudaStateEEUlRS6_RKS6_E_S6_S6_jLi1ELi2ELi1ELi512ELi2EEEvNS0_6detail10TensorInfoIT0_T2_EENSG_IT1_SI_EESI_T_,@function
_ZN2at4cuda12_GLOBAL__N_121kernelPointwiseApply2IZN12_GLOBAL__N_119poisson_cuda_kernelIN3c104HalfEEEvRKNS_10TensorBaseES9_NS_15PhiloxCudaStateEEUlRS6_RKS6_E_S6_S6_jLi1ELi2ELi1ELi512ELi2EEEvNS0_6detail10TensorInfoIT0_T2_EENSG_IT1_SI_EESI_T_: ; @_ZN2at4cuda12_GLOBAL__N_121kernelPointwiseApply2IZN12_GLOBAL__N_119poisson_cuda_kernelIN3c104HalfEEEvRKNS_10TensorBaseES9_NS_15PhiloxCudaStateEEUlRS6_RKS6_E_S6_S6_jLi1ELi2ELi1ELi512ELi2EEEvNS0_6detail10TensorInfoIT0_T2_EENSG_IT1_SI_EESI_T_
; %bb.0:
	s_load_dword s2, s[4:5], 0x1e4
	s_load_dword s33, s[4:5], 0x1b0
	s_add_u32 s0, s4, 0x1d8
	s_addc_u32 s1, s5, 0
	s_waitcnt lgkmcnt(0)
	s_and_b32 s2, s2, 0xffff
	s_mul_i32 s6, s6, s2
	v_add_u32_e32 v17, s6, v0
	v_cmp_gt_u32_e32 vcc, s33, v17
	s_and_saveexec_b64 s[6:7], vcc
	s_cbranch_execz .LBB80_47
; %bb.1:
	s_load_dwordx2 s[6:7], s[4:5], 0x0
	s_load_dwordx4 s[16:19], s[4:5], 0x1b8
                                        ; implicit-def: $vgpr134 : SGPR spill to VGPR lane
                                        ; kill: killed $sgpr0 killed $sgpr1
	s_mov_b32 s9, 0xcd9e8d57
	s_mov_b32 s22, 0
	;; [unrolled: 1-line block ×3, first 2 shown]
	s_waitcnt lgkmcnt(0)
	v_writelane_b32 v134, s6, 0
	v_writelane_b32 v134, s7, 1
	s_load_dword s45, s[4:5], 0x6c
	s_load_dwordx2 s[12:13], s[4:5], 0xd8
	s_load_dword s8, s[4:5], 0xe4
	s_load_dwordx2 s[6:7], s[4:5], 0x144
	s_mov_b32 s30, 0x6b47b09a
	s_mov_b32 s34, 0xbf559e2b
	;; [unrolled: 1-line block ×3, first 2 shown]
	s_waitcnt lgkmcnt(0)
	v_cvt_f32_u32_e32 v0, s8
	v_writelane_b32 v134, s6, 2
	v_writelane_b32 v134, s7, 3
	s_load_dword s3, s[0:1], 0x0
	s_load_dwordx2 s[6:7], s[4:5], 0x1c8
	v_writelane_b32 v134, s16, 4
	v_writelane_b32 v134, s17, 5
	;; [unrolled: 1-line block ×4, first 2 shown]
	v_rcp_iflag_f32_e32 v0, v0
	s_waitcnt lgkmcnt(0)
	v_writelane_b32 v134, s6, 8
	v_writelane_b32 v134, s7, 9
	s_load_dword s6, s[4:5], 0x1d0
	v_mul_f32_e32 v0, 0x4f7ffffe, v0
	s_getpc_b64 s[0:1]
	s_add_u32 s0, s0, .str@rel32@lo+4
	s_addc_u32 s1, s1, .str@rel32@hi+12
	v_cvt_u32_f32_e32 v0, v0
	s_cmp_eq_u64 s[0:1], 0
	s_cselect_b64 s[0:1], -1, 0
	s_waitcnt lgkmcnt(0)
	s_bitcmp1_b32 s6, 0
	v_mad_u64_u32 v[12:13], s[6:7], v17, s9, 0
	s_mul_i32 s2, s3, s2
	v_writelane_b32 v134, s2, 10
	s_cselect_b64 s[2:3], -1, 0
	s_sub_i32 s6, 0, s8
	v_mul_lo_u32 v1, s6, v0
	v_mul_hi_u32 v1, v0, v1
	v_mov_b32_e32 v16, v13
	v_add_u32_e32 v13, v0, v1
	v_cndmask_b32_e64 v0, 0, 1, s[2:3]
	v_cmp_ne_u32_e64 s[2:3], 1, v0
	v_writelane_b32 v134, s2, 11
	v_writelane_b32 v134, s3, 12
	s_mov_b32 s38, 0x16291751
	s_mov_b32 s40, 0x9b27acf1
	;; [unrolled: 1-line block ×7, first 2 shown]
	s_xor_b64 s[60:61], s[0:1], -1
	s_mov_b32 s62, 0
	s_mov_b32 s64, 0
	s_mov_b32 s66, 0
	s_mov_b32 s68, 0x8f3faeef
	s_mov_b32 s70, 0
	s_mov_b32 s72, 0x4e4e324f
	s_mov_b32 s74, 0
	s_mov_b32 s76, 0x992b2855
	s_mov_b32 s78, 0
	s_mov_b32 s80, 0x7f8b9c81
	s_mov_b32 s82, 0x51a32f5d
	s_mov_b32 s84, 0x61d3b4d8
	s_mov_b32 s86, 0x8ed4171b
	s_mov_b32 s88, 0xb6c30b05
	s_movk_i32 s90, 0xf950
	s_mov_b32 s92, 0xc864beb5
	s_mov_b32 s94, 0
	;; [unrolled: 1-line block ×4, first 2 shown]
                                        ; kill: killed $sgpr4 killed $sgpr5
	s_mov_b64 s[4:5], 0
	v_mov_b32_e32 v14, 0
	v_mov_b32_e32 v88, s13
	s_mov_b32 s11, 0xd2511f53
	s_mov_b32 s23, 0x40080000
	;; [unrolled: 1-line block ×12, first 2 shown]
	s_movk_i32 s10, 0x204
	s_mov_b32 s53, 0x3ff71547
	s_mov_b32 s55, 0xbfe62e42
	;; [unrolled: 1-line block ×4, first 2 shown]
	v_mov_b32_e32 v18, 0x6b47b09a
	v_mov_b32_e32 v20, 0xd7f4df2e
	;; [unrolled: 1-line block ×59, first 2 shown]
	s_mov_b32 s63, 0x40900000
	s_mov_b32 s65, 0xc090cc00
	;; [unrolled: 1-line block ×19, first 2 shown]
	v_writelane_b32 v134, s0, 13
                                        ; implicit-def: $sgpr18_sgpr19
                                        ; implicit-def: $sgpr16_sgpr17
	v_writelane_b32 v134, s1, 14
	s_branch .LBB80_5
.LBB80_2:                               ;   in Loop: Header=BB80_5 Depth=1
	s_or_b64 exec, exec, s[2:3]
	v_readlane_b32 s12, v134, 13
	v_readlane_b32 s13, v134, 14
.LBB80_3:                               ;   in Loop: Header=BB80_5 Depth=1
	s_or_b64 exec, exec, s[0:1]
	v_cvt_f32_u32_e32 v2, v75
	v_readlane_b32 s0, v134, 0
	v_lshlrev_b64 v[0:1], 1, v[70:71]
	v_readlane_b32 s1, v134, 1
	v_mov_b32_e32 v3, s1
	v_cvt_f16_f32_e32 v2, v2
	v_add_co_u32_e32 v0, vcc, s0, v0
	v_readlane_b32 s0, v134, 10
	v_addc_co_u32_e32 v1, vcc, v3, v1, vcc
	v_add_u32_e32 v95, s0, v95
	v_cmp_le_u32_e32 vcc, s33, v95
	s_andn2_b64 s[16:17], s[16:17], exec
	s_orn2_b64 s[0:1], vcc, exec
	global_store_short v[0:1], v2, off
.LBB80_4:                               ;   in Loop: Header=BB80_5 Depth=1
	s_or_b64 exec, exec, s[26:27]
	s_and_b64 s[0:1], exec, s[0:1]
	s_or_b64 s[4:5], s[0:1], s[4:5]
	s_andn2_b64 s[0:1], s[18:19], exec
	s_and_b64 s[2:3], s[16:17], exec
	s_or_b64 s[18:19], s[0:1], s[2:3]
	s_andn2_b64 exec, exec, s[4:5]
	s_cbranch_execz .LBB80_46
.LBB80_5:                               ; =>This Loop Header: Depth=1
                                        ;     Child Loop BB80_13 Depth 2
                                        ;     Child Loop BB80_42 Depth 2
	v_sub_u32_e32 v0, s33, v95
	v_pk_mov_b32 v[70:71], 0, 0
	v_cmp_lt_i32_e32 vcc, 0, v0
	v_pk_mov_b32 v[0:1], v[70:71], v[70:71] op_sel:[0,1]
	s_and_saveexec_b64 s[0:1], vcc
	s_cbranch_execz .LBB80_7
; %bb.6:                                ;   in Loop: Header=BB80_5 Depth=1
	v_mul_hi_u32 v0, v95, v13
	v_mul_lo_u32 v1, v0, s8
	v_sub_u32_e32 v1, v95, v1
	v_add_u32_e32 v2, 1, v0
	v_cmp_le_u32_e32 vcc, s8, v1
	v_cndmask_b32_e32 v0, v0, v2, vcc
	v_subrev_u32_e32 v2, s8, v1
	v_cndmask_b32_e32 v1, v1, v2, vcc
	v_add_u32_e32 v2, 1, v0
	v_cmp_le_u32_e32 vcc, s8, v1
	v_cndmask_b32_e32 v1, v0, v2, vcc
	v_mul_lo_u32 v0, v1, s8
	v_readlane_b32 s2, v134, 2
	v_sub_u32_e32 v0, v95, v0
	v_readlane_b32 s3, v134, 3
	v_mul_lo_u32 v0, v0, s3
	v_mad_u64_u32 v[0:1], s[2:3], v1, s2, v[0:1]
	v_mul_lo_u32 v70, v95, s45
	v_mov_b32_e32 v71, v14
	v_mov_b32_e32 v1, v14
.LBB80_7:                               ;   in Loop: Header=BB80_5 Depth=1
	s_or_b64 exec, exec, s[0:1]
	v_lshlrev_b64 v[0:1], 1, v[0:1]
	v_add_co_u32_e32 v0, vcc, s12, v0
	v_addc_co_u32_e32 v1, vcc, v88, v1, vcc
	global_load_ushort v6, v[0:1], off
	s_mov_b64 s[0:1], -1
	s_or_b64 s[16:17], s[16:17], exec
	s_waitcnt vmcnt(0)
	v_cmp_le_f16_e32 vcc, 0, v6
	s_and_b64 s[2:3], s[60:61], vcc
	s_and_saveexec_b64 s[26:27], s[2:3]
	s_cbranch_execz .LBB80_4
; %bb.8:                                ;   in Loop: Header=BB80_5 Depth=1
	v_readlane_b32 s0, v134, 11
	v_readlane_b32 s1, v134, 12
	s_and_b64 vcc, exec, s[0:1]
	v_readlane_b32 s0, v134, 4
	v_readlane_b32 s1, v134, 5
	;; [unrolled: 1-line block ×4, first 2 shown]
	v_pk_mov_b32 v[0:1], s[2:3], s[2:3] op_sel:[0,1]
	v_pk_mov_b32 v[72:73], s[0:1], s[0:1] op_sel:[0,1]
	s_cbranch_vccnz .LBB80_10
; %bb.9:                                ;   in Loop: Header=BB80_5 Depth=1
	v_readlane_b32 s0, v134, 4
	v_readlane_b32 s2, v134, 6
	;; [unrolled: 1-line block ×3, first 2 shown]
	v_pk_mov_b32 v[0:1], s[2:3], s[2:3] op_sel:[0,1]
	v_readlane_b32 s1, v134, 5
	flat_load_dwordx2 v[0:1], v[0:1]
	v_pk_mov_b32 v[2:3], s[0:1], s[0:1] op_sel:[0,1]
	flat_load_dwordx2 v[72:73], v[2:3]
	v_readlane_b32 s0, v134, 8
	v_readlane_b32 s1, v134, 9
	v_mov_b32_e32 v2, s1
	s_waitcnt vmcnt(0) lgkmcnt(0)
	v_add_co_u32_e32 v0, vcc, s0, v0
	v_addc_co_u32_e32 v1, vcc, v1, v2, vcc
.LBB80_10:                              ;   in Loop: Header=BB80_5 Depth=1
	v_alignbit_b32 v97, v1, v0, 2
	v_and_b32_e32 v15, 3, v0
	v_lshrrev_b32_e32 v98, 2, v1
	v_mad_u64_u32 v[0:1], s[0:1], v97, s11, 0
	v_xor_b32_e32 v3, v16, v72
	v_mov_b32_e32 v2, v73
	v_xor_b32_e32 v1, v1, v73
	s_mov_b32 s0, 0xbb67ae85
	v_xor_b32_e32 v3, v3, v98
	v_add_co_u32_e32 v100, vcc, s0, v2
	v_mad_u64_u32 v[4:5], s[0:1], v3, s11, 0
	v_mad_u64_u32 v[8:9], s[0:1], v1, s9, 0
	v_add_co_u32_e32 v99, vcc, 0x9e3779b9, v72
	v_xor_b32_e32 v1, v12, v9
	v_xor_b32_e32 v3, v100, v5
	s_mov_b32 s0, 0x3c6ef372
	v_xor_b32_e32 v1, v1, v99
	v_xor_b32_e32 v3, v3, v0
	v_add_co_u32_e32 v101, vcc, s0, v72
	s_mov_b32 s0, 0x76cf5d0a
	v_add_co_u32_e32 v102, vcc, s0, v2
	v_mad_u64_u32 v[0:1], s[0:1], v1, s11, 0
	v_mad_u64_u32 v[10:11], s[0:1], v3, s9, 0
	v_xor_b32_e32 v3, v101, v11
	v_xor_b32_e32 v1, v102, v1
	s_mov_b32 s0, 0xdaa66d2b
	v_xor_b32_e32 v3, v3, v8
	v_xor_b32_e32 v1, v1, v4
	v_add_co_u32_e32 v104, vcc, s0, v72
	s_mov_b32 s0, 0x32370b8f
	v_add_co_u32_e32 v105, vcc, s0, v2
	v_mad_u64_u32 v[4:5], s[0:1], v3, s11, 0
	v_mad_u64_u32 v[8:9], s[0:1], v1, s9, 0
	v_xor_b32_e32 v1, v104, v9
	v_xor_b32_e32 v3, v105, v5
	s_mov_b32 s0, 0x78dde6e4
	v_xor_b32_e32 v1, v1, v10
	v_xor_b32_e32 v3, v3, v0
	v_add_co_u32_e32 v107, vcc, s0, v72
	s_mov_b32 s0, 0xed9eba14
	v_add_co_u32_e32 v108, vcc, s0, v2
	v_mad_u64_u32 v[0:1], s[0:1], v1, s11, 0
	v_mad_u64_u32 v[10:11], s[0:1], v3, s9, 0
	v_xor_b32_e32 v3, v107, v11
	v_xor_b32_e32 v1, v108, v1
	s_mov_b32 s0, 0x1715609d
	v_xor_b32_e32 v3, v3, v8
	v_xor_b32_e32 v1, v1, v4
	v_add_co_u32_e32 v109, vcc, s0, v72
	s_mov_b32 s0, 0xa9066899
	v_add_co_u32_e32 v110, vcc, s0, v2
	v_mad_u64_u32 v[4:5], s[0:1], v3, s11, 0
	v_mad_u64_u32 v[8:9], s[0:1], v1, s9, 0
	v_xor_b32_e32 v1, v109, v9
	v_xor_b32_e32 v3, v110, v5
	s_mov_b32 s0, 0xb54cda56
	v_xor_b32_e32 v1, v1, v10
	v_xor_b32_e32 v3, v3, v0
	v_add_co_u32_e32 v111, vcc, s0, v72
	s_mov_b32 s0, 0x646e171e
	v_add_co_u32_e32 v112, vcc, s0, v2
	v_mad_u64_u32 v[0:1], s[0:1], v1, s11, 0
	v_mad_u64_u32 v[10:11], s[0:1], v3, s9, 0
	v_xor_b32_e32 v3, v111, v11
	v_xor_b32_e32 v1, v112, v1
	s_mov_b32 s0, 0x5384540f
	v_xor_b32_e32 v3, v3, v8
	v_xor_b32_e32 v1, v1, v4
	v_add_co_u32_e32 v113, vcc, s0, v72
	s_mov_b32 s0, 0x1fd5c5a3
	v_add_co_u32_e32 v114, vcc, s0, v2
	v_mad_u64_u32 v[4:5], s[0:1], v3, s11, 0
	v_mad_u64_u32 v[8:9], s[0:1], v1, s9, 0
	v_xor_b32_e32 v1, v113, v9
	v_xor_b32_e32 v3, v114, v5
	s_mov_b32 s0, 0xf1bbcdc8
	v_xor_b32_e32 v1, v1, v10
	v_xor_b32_e32 v0, v3, v0
	v_add_co_u32_e32 v103, vcc, s0, v72
	s_mov_b32 s0, 0xdb3d7428
	v_add_co_u32_e32 v115, vcc, s0, v2
	v_mad_u64_u32 v[2:3], s[0:1], v1, s11, 0
	v_mad_u64_u32 v[0:1], s[0:1], v0, s9, 0
	v_xor_b32_e32 v1, v103, v1
	v_xor_b32_e32 v1, v1, v8
	;; [unrolled: 1-line block ×4, first 2 shown]
	v_mad_u64_u32 v[4:5], s[0:1], v1, s11, 0
	v_mov_b32_e32 v3, v4
	v_cvt_f32_f16_e32 v4, v6
	v_mad_u64_u32 v[8:9], s[0:1], v7, s9, 0
	v_add_u32_e32 v106, 0x8ff34781, v72
	v_add_u32_e32 v96, 0x96a522ad, v73
	v_xor_b32_e32 v0, v9, v0
	v_xor_b32_e32 v2, v5, v2
	s_movk_i32 s0, 0x5400
	v_mov_b32_e32 v1, v8
	v_xor_b32_e32 v0, v106, v0
	v_xor_b32_e32 v2, v96, v2
	v_cvt_f64_f32_e32 v[4:5], v4
	v_cmp_ngt_f16_e32 vcc, s0, v6
                                        ; implicit-def: $vgpr75
	s_and_saveexec_b64 s[0:1], vcc
	s_xor_b64 s[50:51], exec, s[0:1]
	s_cbranch_execz .LBB80_39
; %bb.11:                               ;   in Loop: Header=BB80_5 Depth=1
	s_movk_i32 s0, 0x6bd0
	v_cmp_ge_f16_e32 vcc, s0, v6
                                        ; implicit-def: $vgpr75
	s_and_saveexec_b64 s[0:1], vcc
	s_xor_b64 s[6:7], exec, s[0:1]
	s_cbranch_execz .LBB80_26
; %bb.12:                               ;   in Loop: Header=BB80_5 Depth=1
	s_mov_b32 s12, 0xae147ae1
	s_mov_b32 s13, 0xc00ae147
	v_div_scale_f64 v[6:7], s[0:1], v[4:5], v[4:5], s[12:13]
	v_rcp_f64_e32 v[8:9], v[6:7]
	s_mov_b32 s0, 0
	v_mul_f64 v[76:77], v[4:5], s[22:23]
	s_brev_b32 s1, 8
	v_cmp_gt_f64_e64 s[2:3], s[0:1], v[76:77]
	v_cndmask_b32_e64 v78, 0, 1, s[2:3]
	v_fma_f64 v[74:75], -v[6:7], v[8:9], 1.0
	v_lshlrev_b32_e32 v78, 8, v78
	v_fmac_f64_e32 v[8:9], v[8:9], v[74:75]
	v_ldexp_f64 v[76:77], v[76:77], v78
	v_fma_f64 v[74:75], -v[6:7], v[8:9], 1.0
	v_rsq_f64_e32 v[78:79], v[76:77]
	v_div_scale_f64 v[10:11], vcc, s[12:13], v[4:5], s[12:13]
	v_fmac_f64_e32 v[8:9], v[8:9], v[74:75]
	v_mul_f64 v[74:75], v[10:11], v[8:9]
	v_fma_f64 v[6:7], -v[6:7], v[74:75], v[10:11]
	s_nop 0
	v_div_fmas_f64 v[6:7], v[6:7], v[8:9], v[74:75]
	v_mul_f64 v[8:9], v[76:77], v[78:79]
	v_mul_f64 v[10:11], v[78:79], 0.5
	v_fma_f64 v[74:75], -v[10:11], v[8:9], 0.5
	v_fmac_f64_e32 v[8:9], v[8:9], v[74:75]
	v_fma_f64 v[78:79], -v[8:9], v[8:9], v[76:77]
	v_fmac_f64_e32 v[10:11], v[10:11], v[74:75]
	v_fmac_f64_e32 v[8:9], v[78:79], v[10:11]
	v_fma_f64 v[74:75], -v[8:9], v[8:9], v[76:77]
	v_fmac_f64_e32 v[8:9], v[74:75], v[10:11]
	v_cndmask_b32_e64 v10, 0, v90, s[2:3]
	v_ldexp_f64 v[8:9], v[8:9], v10
	v_cmp_class_f64_e32 vcc, v[76:77], v89
	s_mov_b32 s2, 0x54442d18
	v_cndmask_b32_e32 v9, v9, v77, vcc
	v_cndmask_b32_e32 v8, v8, v76, vcc
	s_mov_b32 s3, 0x400921fb
	v_div_scale_f64 v[10:11], s[0:1], v[8:9], v[8:9], s[2:3]
	v_rcp_f64_e32 v[76:77], v[10:11]
	s_mov_b32 s0, 0x95810625
	v_div_fixup_f64 v[6:7], v[6:7], v[4:5], s[12:13]
	s_mov_b32 s1, 0x3fe88b43
	v_fma_f64 v[78:79], -v[10:11], v[76:77], 1.0
	v_fmac_f64_e32 v[76:77], v[76:77], v[78:79]
	v_fma_f64 v[78:79], -v[10:11], v[76:77], 1.0
	v_fmac_f64_e32 v[76:77], v[76:77], v[78:79]
	v_div_scale_f64 v[78:79], vcc, s[2:3], v[8:9], s[2:3]
	v_mul_f64 v[80:81], v[78:79], v[76:77]
	v_fma_f64 v[10:11], -v[10:11], v[80:81], v[78:79]
	v_add_f64 v[6:7], v[6:7], s[0:1]
	s_nop 0
	v_div_fmas_f64 v[10:11], v[10:11], v[76:77], v[80:81]
	v_div_fixup_f64 v[76:77], v[10:11], v[8:9], s[2:3]
	v_frexp_mant_f64_e32 v[8:9], v[6:7]
	v_cmp_gt_f64_e32 vcc, s[28:29], v[8:9]
	v_mov_b32_e32 v74, 0
	v_cndmask_b32_e64 v75, v91, 2.0, vcc
	v_frexp_exp_i32_f64_e32 v10, v[6:7]
	v_mul_f64 v[8:9], v[8:9], v[74:75]
	v_subbrev_co_u32_e32 v75, vcc, 0, v10, vcc
	v_add_f64 v[10:11], v[8:9], 1.0
	v_rcp_f64_e32 v[80:81], v[10:11]
	v_add_f64 v[84:85], v[10:11], -1.0
	v_add_f64 v[82:83], v[8:9], -1.0
	v_add_f64 v[8:9], v[8:9], -v[84:85]
	v_fma_f64 v[84:85], -v[10:11], v[80:81], 1.0
	v_fmac_f64_e32 v[80:81], v[84:85], v[80:81]
	v_fma_f64 v[84:85], -v[10:11], v[80:81], 1.0
	v_fmac_f64_e32 v[80:81], v[84:85], v[80:81]
	v_mul_f64 v[84:85], v[82:83], v[80:81]
	v_mul_f64 v[86:87], v[10:11], v[84:85]
	v_fma_f64 v[10:11], v[84:85], v[10:11], -v[86:87]
	v_fmac_f64_e32 v[10:11], v[84:85], v[8:9]
	v_add_f64 v[8:9], v[86:87], v[10:11]
	v_add_f64 v[116:117], v[82:83], -v[8:9]
	v_add_f64 v[86:87], v[8:9], -v[86:87]
	;; [unrolled: 1-line block ×5, first 2 shown]
	v_add_f64 v[8:9], v[10:11], v[8:9]
	v_add_f64 v[8:9], v[116:117], v[8:9]
	v_mul_f64 v[8:9], v[80:81], v[8:9]
	v_add_f64 v[10:11], v[84:85], v[8:9]
	v_add_f64 v[80:81], v[10:11], -v[84:85]
	v_add_f64 v[8:9], v[8:9], -v[80:81]
	v_mul_f64 v[80:81], v[10:11], v[10:11]
	v_pk_mov_b32 v[82:83], s[30:31], s[30:31] op_sel:[0,1]
	v_fma_f64 v[84:85], s[34:35], v[80:81], v[82:83]
	v_fma_f64 v[84:85], v[80:81], v[84:85], s[36:37]
	;; [unrolled: 1-line block ×4, first 2 shown]
	s_mov_b32 s24, s45
	v_fma_f64 v[84:85], v[80:81], v[84:85], s[42:43]
	s_mov_b32 s45, s29
	v_fma_f64 v[84:85], v[80:81], v[84:85], s[44:45]
	v_ldexp_f64 v[86:87], v[10:11], 1
	v_mul_f64 v[10:11], v[10:11], v[80:81]
	v_mul_f64 v[10:11], v[10:11], v[84:85]
	v_add_f64 v[80:81], v[86:87], v[10:11]
	v_add_f64 v[84:85], v[80:81], -v[86:87]
	v_ldexp_f64 v[8:9], v[8:9], 1
	v_add_f64 v[10:11], v[10:11], -v[84:85]
	v_add_f64 v[8:9], v[8:9], v[10:11]
	v_add_f64 v[10:11], v[80:81], v[8:9]
	v_add_f64 v[80:81], v[10:11], -v[80:81]
	v_add_f64 v[8:9], v[8:9], -v[80:81]
	v_cvt_f64_i32_e32 v[80:81], v75
	v_mul_f64 v[84:85], v[80:81], s[46:47]
	v_fma_f64 v[86:87], v[80:81], s[46:47], -v[84:85]
	v_fmac_f64_e32 v[86:87], s[48:49], v[80:81]
	v_add_f64 v[80:81], v[84:85], v[86:87]
	v_add_f64 v[84:85], v[80:81], -v[84:85]
	v_add_f64 v[84:85], v[86:87], -v[84:85]
	v_add_f64 v[86:87], v[80:81], v[10:11]
	v_add_f64 v[116:117], v[86:87], -v[80:81]
	v_add_f64 v[118:119], v[86:87], -v[116:117]
	;; [unrolled: 1-line block ×4, first 2 shown]
	v_add_f64 v[10:11], v[10:11], v[80:81]
	v_add_f64 v[80:81], v[84:85], v[8:9]
	v_add_f64 v[116:117], v[80:81], -v[84:85]
	v_add_f64 v[118:119], v[80:81], -v[116:117]
	v_add_f64 v[10:11], v[80:81], v[10:11]
	v_add_f64 v[84:85], v[84:85], -v[118:119]
	v_add_f64 v[8:9], v[8:9], -v[116:117]
	v_add_f64 v[80:81], v[86:87], v[10:11]
	v_add_f64 v[8:9], v[8:9], v[84:85]
	v_add_f64 v[84:85], v[80:81], -v[86:87]
	v_add_f64 v[10:11], v[10:11], -v[84:85]
	v_add_f64 v[8:9], v[8:9], v[10:11]
	v_add_f64 v[8:9], v[80:81], v[8:9]
	v_cmp_class_f64_e64 vcc, v[6:7], s10
	v_cndmask_b32_e32 v8, v8, v6, vcc
	v_cndmask_b32_e32 v9, v9, v7, vcc
	v_cmp_ngt_f64_e32 vcc, 0, v[6:7]
	v_cndmask_b32_e32 v9, v92, v9, vcc
	v_cmp_nge_f64_e32 vcc, 0, v[6:7]
	v_cndmask_b32_e32 v8, 0, v8, vcc
	v_cmp_neq_f64_e32 vcc, 0, v[6:7]
	v_cndmask_b32_e32 v9, v93, v9, vcc
	v_add_f64 v[6:7], v[8:9], -v[4:5]
	v_frexp_mant_f64_e32 v[8:9], v[76:77]
	v_cmp_gt_f64_e32 vcc, s[28:29], v[8:9]
	v_cndmask_b32_e64 v75, v91, 2.0, vcc
	v_frexp_exp_i32_f64_e32 v10, v[76:77]
	v_mul_f64 v[8:9], v[8:9], v[74:75]
	v_subbrev_co_u32_e32 v75, vcc, 0, v10, vcc
	v_add_f64 v[10:11], v[8:9], 1.0
	v_rcp_f64_e32 v[80:81], v[10:11]
	v_add_f64 v[86:87], v[10:11], -1.0
	v_add_f64 v[84:85], v[8:9], -1.0
	v_add_f64 v[8:9], v[8:9], -v[86:87]
	v_fma_f64 v[86:87], -v[10:11], v[80:81], 1.0
	v_fmac_f64_e32 v[80:81], v[86:87], v[80:81]
	v_fma_f64 v[86:87], -v[10:11], v[80:81], 1.0
	v_fmac_f64_e32 v[80:81], v[86:87], v[80:81]
	v_mul_f64 v[86:87], v[84:85], v[80:81]
	v_mul_f64 v[116:117], v[10:11], v[86:87]
	v_fma_f64 v[10:11], v[86:87], v[10:11], -v[116:117]
	v_fmac_f64_e32 v[10:11], v[86:87], v[8:9]
	v_add_f64 v[8:9], v[116:117], v[10:11]
	v_add_f64 v[118:119], v[84:85], -v[8:9]
	v_add_f64 v[116:117], v[8:9], -v[116:117]
	;; [unrolled: 1-line block ×5, first 2 shown]
	v_add_f64 v[8:9], v[10:11], v[8:9]
	v_add_f64 v[8:9], v[118:119], v[8:9]
	v_mul_f64 v[8:9], v[80:81], v[8:9]
	v_add_f64 v[10:11], v[86:87], v[8:9]
	v_add_f64 v[80:81], v[10:11], -v[86:87]
	v_add_f64 v[8:9], v[8:9], -v[80:81]
	v_mul_f64 v[80:81], v[10:11], v[10:11]
	v_fma_f64 v[84:85], s[34:35], v[80:81], v[82:83]
	v_fma_f64 v[84:85], v[80:81], v[84:85], s[36:37]
	;; [unrolled: 1-line block ×6, first 2 shown]
	v_ldexp_f64 v[86:87], v[10:11], 1
	v_mul_f64 v[10:11], v[10:11], v[80:81]
	v_mul_f64 v[10:11], v[10:11], v[84:85]
	v_add_f64 v[80:81], v[86:87], v[10:11]
	v_add_f64 v[84:85], v[80:81], -v[86:87]
	v_ldexp_f64 v[8:9], v[8:9], 1
	v_add_f64 v[10:11], v[10:11], -v[84:85]
	v_add_f64 v[8:9], v[8:9], v[10:11]
	v_add_f64 v[10:11], v[80:81], v[8:9]
	v_add_f64 v[80:81], v[10:11], -v[80:81]
	v_add_f64 v[8:9], v[8:9], -v[80:81]
	v_cvt_f64_i32_e32 v[80:81], v75
	v_mul_f64 v[84:85], v[80:81], s[46:47]
	v_fma_f64 v[86:87], v[80:81], s[46:47], -v[84:85]
	v_fmac_f64_e32 v[86:87], s[48:49], v[80:81]
	v_add_f64 v[80:81], v[84:85], v[86:87]
	v_add_f64 v[84:85], v[80:81], -v[84:85]
	v_add_f64 v[84:85], v[86:87], -v[84:85]
	v_add_f64 v[86:87], v[80:81], v[10:11]
	v_add_f64 v[116:117], v[86:87], -v[80:81]
	v_add_f64 v[118:119], v[86:87], -v[116:117]
	;; [unrolled: 1-line block ×4, first 2 shown]
	v_add_f64 v[10:11], v[10:11], v[80:81]
	v_add_f64 v[80:81], v[84:85], v[8:9]
	v_add_f64 v[116:117], v[80:81], -v[84:85]
	v_add_f64 v[118:119], v[80:81], -v[116:117]
	v_add_f64 v[10:11], v[80:81], v[10:11]
	v_add_f64 v[84:85], v[84:85], -v[118:119]
	v_add_f64 v[8:9], v[8:9], -v[116:117]
	v_add_f64 v[80:81], v[86:87], v[10:11]
	v_add_f64 v[8:9], v[8:9], v[84:85]
	v_add_f64 v[84:85], v[80:81], -v[86:87]
	v_add_f64 v[10:11], v[10:11], -v[84:85]
	s_mov_b32 s0, 0
	v_add_f64 v[8:9], v[8:9], v[10:11]
	s_mov_b32 s1, 0x7ff00000
	v_add_f64 v[8:9], v[80:81], v[8:9]
	v_cmp_eq_f64_e32 vcc, s[0:1], v[76:77]
	v_cndmask_b32_e32 v8, v8, v76, vcc
	v_cndmask_b32_e32 v9, v9, v77, vcc
	v_cmp_neq_f64_e32 vcc, 0, v[76:77]
	v_cndmask_b32_e32 v9, v93, v9, vcc
	v_cndmask_b32_e32 v8, 0, v8, vcc
	v_mul_f64 v[78:79], v[76:77], v[4:5]
	v_add_f64 v[80:81], v[6:7], -v[8:9]
	v_frexp_exp_i32_f64_e32 v6, v[4:5]
	v_frexp_mant_f64_e32 v[4:5], v[4:5]
	v_cmp_gt_f64_e32 vcc, s[28:29], v[4:5]
	v_cndmask_b32_e64 v75, v91, 2.0, vcc
	v_mul_f64 v[4:5], v[4:5], v[74:75]
	v_subbrev_co_u32_e32 v75, vcc, 0, v6, vcc
	v_add_f64 v[6:7], v[4:5], 1.0
	v_rcp_f64_e32 v[8:9], v[6:7]
	v_add_f64 v[84:85], v[6:7], -1.0
	v_add_f64 v[10:11], v[4:5], -1.0
	v_add_f64 v[4:5], v[4:5], -v[84:85]
	v_fma_f64 v[84:85], -v[6:7], v[8:9], 1.0
	v_fmac_f64_e32 v[8:9], v[84:85], v[8:9]
	v_fma_f64 v[84:85], -v[6:7], v[8:9], 1.0
	v_fmac_f64_e32 v[8:9], v[84:85], v[8:9]
	v_mul_f64 v[84:85], v[10:11], v[8:9]
	v_mul_f64 v[86:87], v[6:7], v[84:85]
	v_fma_f64 v[6:7], v[84:85], v[6:7], -v[86:87]
	v_fmac_f64_e32 v[6:7], v[84:85], v[4:5]
	v_add_f64 v[4:5], v[86:87], v[6:7]
	v_add_f64 v[116:117], v[10:11], -v[4:5]
	v_add_f64 v[86:87], v[4:5], -v[86:87]
	v_add_f64 v[10:11], v[10:11], -v[116:117]
	v_add_f64 v[4:5], v[10:11], -v[4:5]
	v_add_f64 v[6:7], v[86:87], -v[6:7]
	v_add_f64 v[4:5], v[6:7], v[4:5]
	v_add_f64 v[4:5], v[116:117], v[4:5]
	v_mul_f64 v[4:5], v[8:9], v[4:5]
	v_add_f64 v[6:7], v[84:85], v[4:5]
	v_add_f64 v[8:9], v[6:7], -v[84:85]
	v_add_f64 v[4:5], v[4:5], -v[8:9]
	v_mul_f64 v[8:9], v[6:7], v[6:7]
	v_fmac_f64_e32 v[82:83], s[34:35], v[8:9]
	v_fma_f64 v[10:11], v[8:9], v[82:83], s[36:37]
	v_fma_f64 v[10:11], v[8:9], v[10:11], s[38:39]
	;; [unrolled: 1-line block ×5, first 2 shown]
	v_ldexp_f64 v[82:83], v[6:7], 1
	v_mul_f64 v[6:7], v[6:7], v[8:9]
	v_mul_f64 v[6:7], v[6:7], v[10:11]
	v_add_f64 v[8:9], v[82:83], v[6:7]
	v_add_f64 v[10:11], v[8:9], -v[82:83]
	v_ldexp_f64 v[4:5], v[4:5], 1
	v_add_f64 v[6:7], v[6:7], -v[10:11]
	v_add_f64 v[4:5], v[4:5], v[6:7]
	v_add_f64 v[6:7], v[8:9], v[4:5]
	v_add_f64 v[8:9], v[6:7], -v[8:9]
	v_add_f64 v[4:5], v[4:5], -v[8:9]
	v_cvt_f64_i32_e32 v[8:9], v75
	v_mul_f64 v[10:11], v[8:9], s[46:47]
	v_fma_f64 v[82:83], v[8:9], s[46:47], -v[10:11]
	v_fmac_f64_e32 v[82:83], s[48:49], v[8:9]
	v_add_f64 v[8:9], v[10:11], v[82:83]
	v_add_f64 v[10:11], v[8:9], -v[10:11]
	v_add_f64 v[10:11], v[82:83], -v[10:11]
	v_add_f64 v[82:83], v[8:9], v[6:7]
	v_add_f64 v[84:85], v[82:83], -v[8:9]
	v_add_f64 v[86:87], v[82:83], -v[84:85]
	;; [unrolled: 1-line block ×4, first 2 shown]
	v_add_f64 v[6:7], v[6:7], v[8:9]
	v_add_f64 v[8:9], v[10:11], v[4:5]
	v_add_f64 v[84:85], v[8:9], -v[10:11]
	v_add_f64 v[86:87], v[8:9], -v[84:85]
	v_add_f64 v[6:7], v[8:9], v[6:7]
	v_add_f64 v[10:11], v[10:11], -v[86:87]
	v_add_f64 v[4:5], v[4:5], -v[84:85]
	v_add_f64 v[8:9], v[82:83], v[6:7]
	v_add_f64 v[4:5], v[4:5], v[10:11]
	v_add_f64 v[10:11], v[8:9], -v[82:83]
	v_add_f64 v[6:7], v[6:7], -v[10:11]
	v_add_f64 v[4:5], v[4:5], v[6:7]
	v_add_f64 v[82:83], v[8:9], v[4:5]
	s_mov_b64 s[14:15], 0
	s_mov_b64 s[12:13], 0
	v_mov_b32_e32 v116, v17
                                        ; implicit-def: $vgpr75
.LBB80_13:                              ;   Parent Loop BB80_5 Depth=1
                                        ; =>  This Inner Loop Header: Depth=2
	v_add_u32_e32 v117, 1, v15
	v_pk_mov_b32 v[10:11], v[2:3], v[2:3] op_sel:[0,1]
	v_cmp_eq_u32_e32 vcc, 4, v117
	v_pk_mov_b32 v[8:9], v[0:1], v[0:1] op_sel:[0,1]
	v_mov_b32_e32 v87, v0
	v_mov_b32_e32 v86, v1
	;; [unrolled: 1-line block ×4, first 2 shown]
	s_and_saveexec_b64 s[0:1], vcc
	s_cbranch_execz .LBB80_15
; %bb.14:                               ;   in Loop: Header=BB80_13 Depth=2
	v_add_co_u32_e32 v97, vcc, 1, v97
	v_cndmask_b32_e64 v4, 0, 1, vcc
	v_addc_co_u32_e32 v98, vcc, 0, v98, vcc
	v_cmp_eq_u32_e32 vcc, 0, v98
	v_cndmask_b32_e32 v4, 0, v4, vcc
	v_add_u32_e32 v116, v4, v116
	v_cmp_eq_u32_e32 vcc, 0, v116
	v_cndmask_b32_e32 v4, 0, v4, vcc
	v_add_u32_e32 v74, v4, v74
	v_mad_u64_u32 v[4:5], s[2:3], v97, s11, 0
	v_mad_u64_u32 v[6:7], s[2:3], v116, s9, 0
	v_xor_b32_e32 v5, v5, v73
	v_xor_b32_e32 v7, v7, v72
	v_xor_b32_e32 v5, v74, v5
	v_xor_b32_e32 v7, v98, v7
	v_mad_u64_u32 v[10:11], s[2:3], v5, s9, 0
	v_mad_u64_u32 v[8:9], s[2:3], v7, s11, 0
	v_xor_b32_e32 v5, v99, v11
	v_xor_b32_e32 v5, v5, v6
	v_xor_b32_e32 v6, v100, v9
	v_xor_b32_e32 v6, v6, v4
	;; [unrolled: 6-line block ×10, first 2 shown]
	v_mov_b32_e32 v117, 0
	v_mov_b32_e32 v9, v86
	;; [unrolled: 1-line block ×5, first 2 shown]
.LBB80_15:                              ;   in Loop: Header=BB80_13 Depth=2
	s_or_b64 exec, exec, s[0:1]
	v_add_u32_e32 v118, 1, v117
	v_pk_mov_b32 v[4:5], v[8:9], v[8:9] op_sel:[0,1]
	v_cmp_eq_u32_e32 vcc, 4, v118
	v_pk_mov_b32 v[6:7], v[10:11], v[10:11] op_sel:[0,1]
	s_and_saveexec_b64 s[0:1], vcc
	s_cbranch_execz .LBB80_17
; %bb.16:                               ;   in Loop: Header=BB80_13 Depth=2
	v_add_co_u32_e32 v97, vcc, 1, v97
	v_cndmask_b32_e64 v4, 0, 1, vcc
	v_addc_co_u32_e32 v98, vcc, 0, v98, vcc
	v_cmp_eq_u32_e32 vcc, 0, v98
	v_cndmask_b32_e32 v4, 0, v4, vcc
	v_add_u32_e32 v116, v4, v116
	v_cmp_eq_u32_e32 vcc, 0, v116
	v_cndmask_b32_e32 v4, 0, v4, vcc
	v_add_u32_e32 v74, v4, v74
	v_mad_u64_u32 v[4:5], s[2:3], v97, s11, 0
	v_mad_u64_u32 v[6:7], s[2:3], v116, s9, 0
	v_xor_b32_e32 v5, v5, v73
	v_xor_b32_e32 v7, v7, v72
	v_xor_b32_e32 v5, v74, v5
	v_xor_b32_e32 v7, v98, v7
	v_mad_u64_u32 v[86:87], s[2:3], v5, s9, 0
	v_mad_u64_u32 v[84:85], s[2:3], v7, s11, 0
	v_xor_b32_e32 v5, v99, v87
	v_xor_b32_e32 v5, v5, v6
	v_xor_b32_e32 v6, v100, v85
	v_xor_b32_e32 v6, v6, v4
	;; [unrolled: 6-line block ×10, first 2 shown]
	v_mov_b32_e32 v118, 0
	v_mov_b32_e32 v5, v86
	;; [unrolled: 1-line block ×5, first 2 shown]
.LBB80_17:                              ;   in Loop: Header=BB80_13 Depth=2
	s_or_b64 exec, exec, s[0:1]
	v_cmp_eq_u32_e32 vcc, 1, v15
	v_cndmask_b32_e32 v0, v0, v1, vcc
	v_cmp_eq_u32_e32 vcc, 2, v15
	v_cndmask_b32_e32 v0, v0, v2, vcc
	;; [unrolled: 2-line block ×6, first 2 shown]
	v_lshrrev_b32_e32 v0, 11, v0
	v_cvt_f64_u32_e32 v[0:1], v0
	v_ldexp_f64 v[0:1], v[0:1], 32
	v_cvt_f64_u32_e32 v[2:3], v2
	v_add_f64 v[0:1], v[0:1], v[2:3]
	v_mov_b32_e32 v2, 0
	v_mov_b32_e32 v3, 0x3ca00000
	v_fmac_f64_e32 v[2:3], 0x3ca00000, v[0:1]
	v_add_f64 v[0:1], -v[2:3], 1.0
	v_div_scale_f64 v[8:9], s[0:1], v[2:3], v[2:3], v[0:1]
	v_rcp_f64_e32 v[10:11], v[8:9]
	v_mov_b32_e32 v119, 2
	v_fma_f64 v[120:121], -v[8:9], v[10:11], 1.0
	v_fmac_f64_e32 v[10:11], v[10:11], v[120:121]
	v_fma_f64 v[120:121], -v[8:9], v[10:11], 1.0
	v_fmac_f64_e32 v[10:11], v[10:11], v[120:121]
	v_div_scale_f64 v[120:121], vcc, v[0:1], v[2:3], v[0:1]
	v_mul_f64 v[122:123], v[120:121], v[10:11]
	v_fma_f64 v[8:9], -v[8:9], v[122:123], v[120:121]
	s_nop 1
	v_div_fmas_f64 v[8:9], v[8:9], v[10:11], v[122:123]
	v_div_fixup_f64 v[0:1], v[8:9], v[2:3], v[0:1]
	v_frexp_mant_f64_e32 v[2:3], v[0:1]
	v_cmp_gt_f64_e32 vcc, s[28:29], v[2:3]
	v_cndmask_b32_e64 v15, v91, 2.0, vcc
	v_frexp_exp_i32_f64_e32 v8, v[0:1]
	v_mul_f64 v[2:3], v[2:3], v[14:15]
	v_subbrev_co_u32_e32 v15, vcc, 0, v8, vcc
	v_add_f64 v[8:9], v[2:3], 1.0
	v_rcp_f64_e32 v[10:11], v[8:9]
	v_add_f64 v[122:123], v[8:9], -1.0
	v_add_f64 v[120:121], v[2:3], -1.0
	v_add_f64 v[2:3], v[2:3], -v[122:123]
	v_fma_f64 v[122:123], -v[8:9], v[10:11], 1.0
	v_fmac_f64_e32 v[10:11], v[122:123], v[10:11]
	v_fma_f64 v[122:123], -v[8:9], v[10:11], 1.0
	v_fmac_f64_e32 v[10:11], v[122:123], v[10:11]
	v_mul_f64 v[122:123], v[120:121], v[10:11]
	v_mul_f64 v[124:125], v[8:9], v[122:123]
	v_fma_f64 v[8:9], v[122:123], v[8:9], -v[124:125]
	v_fmac_f64_e32 v[8:9], v[122:123], v[2:3]
	v_add_f64 v[2:3], v[124:125], v[8:9]
	v_add_f64 v[126:127], v[120:121], -v[2:3]
	v_add_f64 v[124:125], v[2:3], -v[124:125]
	;; [unrolled: 1-line block ×5, first 2 shown]
	v_add_f64 v[2:3], v[8:9], v[2:3]
	v_add_f64 v[2:3], v[126:127], v[2:3]
	v_mul_f64 v[2:3], v[10:11], v[2:3]
	v_add_f64 v[8:9], v[122:123], v[2:3]
	v_add_f64 v[10:11], v[8:9], -v[122:123]
	v_add_f64 v[2:3], v[2:3], -v[10:11]
	v_mul_f64 v[10:11], v[8:9], v[8:9]
	v_pk_mov_b32 v[120:121], v[18:19], v[18:19] op_sel:[0,1]
	v_fmac_f64_e32 v[120:121], s[34:35], v[10:11]
	v_pk_mov_b32 v[122:123], v[20:21], v[20:21] op_sel:[0,1]
	v_fmac_f64_e32 v[122:123], v[10:11], v[120:121]
	;; [unrolled: 2-line block ×6, first 2 shown]
	v_ldexp_f64 v[120:121], v[8:9], 1
	v_mul_f64 v[8:9], v[8:9], v[10:11]
	v_mul_f64 v[8:9], v[8:9], v[122:123]
	v_add_f64 v[10:11], v[120:121], v[8:9]
	v_add_f64 v[120:121], v[10:11], -v[120:121]
	v_ldexp_f64 v[2:3], v[2:3], 1
	v_add_f64 v[8:9], v[8:9], -v[120:121]
	v_add_f64 v[2:3], v[2:3], v[8:9]
	v_add_f64 v[8:9], v[10:11], v[2:3]
	v_add_f64 v[10:11], v[8:9], -v[10:11]
	v_add_f64 v[2:3], v[2:3], -v[10:11]
	v_cvt_f64_i32_e32 v[10:11], v15
	v_mul_f64 v[120:121], v[10:11], s[46:47]
	v_fma_f64 v[122:123], v[10:11], s[46:47], -v[120:121]
	v_fmac_f64_e32 v[122:123], s[48:49], v[10:11]
	v_add_f64 v[10:11], v[120:121], v[122:123]
	v_add_f64 v[120:121], v[10:11], -v[120:121]
	v_add_f64 v[120:121], v[122:123], -v[120:121]
	v_add_f64 v[122:123], v[10:11], v[8:9]
	v_add_f64 v[124:125], v[122:123], -v[10:11]
	v_add_f64 v[126:127], v[122:123], -v[124:125]
	;; [unrolled: 1-line block ×4, first 2 shown]
	v_add_f64 v[8:9], v[8:9], v[10:11]
	v_add_f64 v[10:11], v[120:121], v[2:3]
	v_add_f64 v[124:125], v[10:11], -v[120:121]
	v_add_f64 v[126:127], v[10:11], -v[124:125]
	v_add_f64 v[8:9], v[10:11], v[8:9]
	v_add_f64 v[120:121], v[120:121], -v[126:127]
	v_add_f64 v[2:3], v[2:3], -v[124:125]
	v_add_f64 v[10:11], v[122:123], v[8:9]
	v_add_f64 v[2:3], v[2:3], v[120:121]
	v_add_f64 v[120:121], v[10:11], -v[122:123]
	v_add_f64 v[8:9], v[8:9], -v[120:121]
	v_add_f64 v[2:3], v[2:3], v[8:9]
	v_add_f64 v[2:3], v[10:11], v[2:3]
	v_cmp_class_f64_e64 vcc, v[0:1], s10
	v_cndmask_b32_e32 v2, v2, v0, vcc
	v_cndmask_b32_e32 v3, v3, v1, vcc
	v_cmp_ngt_f64_e32 vcc, 0, v[0:1]
	v_cndmask_b32_e32 v3, v92, v3, vcc
	v_cmp_nge_f64_e32 vcc, 0, v[0:1]
	v_cndmask_b32_e32 v2, 0, v2, vcc
	v_cmp_neq_f64_e32 vcc, 0, v[0:1]
	v_cndmask_b32_e32 v3, v93, v3, vcc
	v_add_f64 v[0:1], v[78:79], -v[2:3]
	v_div_scale_f64 v[2:3], s[0:1], v[76:77], v[76:77], v[0:1]
	v_rcp_f64_e32 v[8:9], v[2:3]
	v_fma_f64 v[10:11], -v[2:3], v[8:9], 1.0
	v_fmac_f64_e32 v[8:9], v[8:9], v[10:11]
	v_fma_f64 v[10:11], -v[2:3], v[8:9], 1.0
	v_fmac_f64_e32 v[8:9], v[8:9], v[10:11]
	v_div_scale_f64 v[10:11], vcc, v[0:1], v[76:77], v[0:1]
	v_mul_f64 v[120:121], v[10:11], v[8:9]
	v_fma_f64 v[2:3], -v[2:3], v[120:121], v[10:11]
	s_nop 1
	v_div_fmas_f64 v[2:3], v[2:3], v[8:9], v[120:121]
	v_div_fixup_f64 v[10:11], v[2:3], v[76:77], v[0:1]
	v_add_f64 v[0:1], v[10:11], 0.5
	v_floor_f64_e32 v[8:9], v[0:1]
	v_cmp_ngt_f64_e32 vcc, 0, v[8:9]
	s_and_saveexec_b64 s[0:1], vcc
	s_cbranch_execz .LBB80_23
; %bb.18:                               ;   in Loop: Header=BB80_13 Depth=2
	v_add_u32_e32 v15, 1, v118
	v_pk_mov_b32 v[0:1], v[4:5], v[4:5] op_sel:[0,1]
	v_cmp_eq_u32_e32 vcc, 4, v15
	v_pk_mov_b32 v[2:3], v[6:7], v[6:7] op_sel:[0,1]
	s_and_saveexec_b64 s[2:3], vcc
	s_cbranch_execz .LBB80_20
; %bb.19:                               ;   in Loop: Header=BB80_13 Depth=2
	v_add_co_u32_e32 v97, vcc, 1, v97
	v_cndmask_b32_e64 v0, 0, 1, vcc
	v_addc_co_u32_e32 v98, vcc, 0, v98, vcc
	v_cmp_eq_u32_e32 vcc, 0, v98
	v_cndmask_b32_e32 v0, 0, v0, vcc
	v_add_u32_e32 v116, v0, v116
	v_cmp_eq_u32_e32 vcc, 0, v116
	v_cndmask_b32_e32 v0, 0, v0, vcc
	v_add_u32_e32 v74, v0, v74
	v_mad_u64_u32 v[0:1], vcc, v97, s11, 0
	v_mad_u64_u32 v[2:3], vcc, v116, s9, 0
	v_xor_b32_e32 v1, v1, v73
	v_xor_b32_e32 v3, v3, v72
	v_xor_b32_e32 v1, v74, v1
	v_xor_b32_e32 v3, v98, v3
	v_mad_u64_u32 v[86:87], vcc, v1, s9, 0
	v_mad_u64_u32 v[84:85], vcc, v3, s11, 0
	v_xor_b32_e32 v1, v99, v87
	v_xor_b32_e32 v1, v1, v2
	v_xor_b32_e32 v2, v100, v85
	v_xor_b32_e32 v2, v2, v0
	;; [unrolled: 6-line block ×10, first 2 shown]
	v_mov_b32_e32 v15, 0
	v_mov_b32_e32 v1, v86
	;; [unrolled: 1-line block ×5, first 2 shown]
.LBB80_20:                              ;   in Loop: Header=BB80_13 Depth=2
	s_or_b64 exec, exec, s[2:3]
	v_add_u32_e32 v117, 1, v15
	v_cmp_eq_u32_e32 vcc, 4, v117
	s_and_saveexec_b64 s[2:3], vcc
	s_cbranch_execz .LBB80_22
; %bb.21:                               ;   in Loop: Header=BB80_13 Depth=2
	v_add_co_u32_e32 v97, vcc, 1, v97
	v_cndmask_b32_e64 v84, 0, 1, vcc
	v_addc_co_u32_e32 v98, vcc, 0, v98, vcc
	v_cmp_eq_u32_e32 vcc, 0, v98
	v_cndmask_b32_e32 v84, 0, v84, vcc
	v_add_u32_e32 v116, v84, v116
	v_cmp_eq_u32_e32 vcc, 0, v116
	v_cndmask_b32_e32 v84, 0, v84, vcc
	v_add_u32_e32 v74, v84, v74
	v_mad_u64_u32 v[84:85], vcc, v97, s11, 0
	v_mad_u64_u32 v[86:87], vcc, v116, s9, 0
	v_xor_b32_e32 v85, v85, v73
	v_xor_b32_e32 v87, v87, v72
	v_xor_b32_e32 v85, v74, v85
	v_xor_b32_e32 v87, v98, v87
	v_mad_u64_u32 v[122:123], vcc, v85, s9, 0
	v_mad_u64_u32 v[120:121], vcc, v87, s11, 0
	v_xor_b32_e32 v85, v99, v123
	v_xor_b32_e32 v85, v85, v86
	v_xor_b32_e32 v86, v100, v121
	v_xor_b32_e32 v86, v86, v84
	;; [unrolled: 6-line block ×9, first 2 shown]
	v_mad_u64_u32 v[84:85], vcc, v84, s11, 0
	v_mad_u64_u32 v[86:87], vcc, v86, s9, 0
	v_xor_b32_e32 v87, v87, v126
	v_xor_b32_e32 v85, v85, v124
	v_mov_b32_e32 v117, 0
	v_xor_b32_e32 v87, v106, v87
	v_xor_b32_e32 v85, v96, v85
.LBB80_22:                              ;   in Loop: Header=BB80_13 Depth=2
	s_or_b64 exec, exec, s[2:3]
	v_cmp_eq_u32_e32 vcc, 1, v118
	v_cndmask_b32_e32 v4, v4, v5, vcc
	v_cmp_eq_u32_e32 vcc, 2, v118
	v_cndmask_b32_e32 v4, v4, v6, vcc
	;; [unrolled: 2-line block ×6, first 2 shown]
	v_lshrrev_b32_e32 v0, 11, v0
	v_cvt_f64_u32_e32 v[0:1], v0
	v_ldexp_f64 v[0:1], v[0:1], 32
	v_cvt_f64_u32_e32 v[2:3], v4
	v_add_f64 v[0:1], v[0:1], v[2:3]
	v_mov_b32_e32 v2, 0
	v_mov_b32_e32 v3, 0x3ca00000
	v_fma_f64 v[4:5], -v[76:77], v[10:11], v[78:79]
	v_fmac_f64_e32 v[2:3], 0x3ca00000, v[0:1]
	v_mul_f64 v[0:1], v[4:5], s[52:53]
	v_rndne_f64_e32 v[0:1], v[0:1]
	s_mov_b32 s54, s46
	v_fma_f64 v[6:7], s[54:55], v[0:1], v[4:5]
	s_mov_b32 s56, s48
	v_fmac_f64_e32 v[6:7], s[56:57], v[0:1]
	v_pk_mov_b32 v[10:11], v[30:31], v[30:31] op_sel:[0,1]
	v_fmac_f64_e32 v[10:11], s[58:59], v[6:7]
	v_pk_mov_b32 v[118:119], v[32:33], v[32:33] op_sel:[0,1]
	;; [unrolled: 2-line block ×9, first 2 shown]
	v_fmac_f64_e32 v[10:11], v[6:7], v[118:119]
	v_fma_f64 v[10:11], v[6:7], v[10:11], 1.0
	v_fma_f64 v[6:7], v[6:7], v[10:11], 1.0
	v_cvt_i32_f64_e32 v0, v[0:1]
	v_ldexp_f64 v[0:1], v[6:7], v0
	v_add_f64 v[0:1], v[0:1], 1.0
	v_cmp_nlt_f64_e32 vcc, s[62:63], v[4:5]
	v_cmp_ngt_f64_e64 s[2:3], s[64:65], v[4:5]
	v_cndmask_b32_e32 v1, v94, v1, vcc
	s_and_b64 vcc, s[2:3], vcc
	v_cndmask_b32_e64 v1, v91, v1, s[2:3]
	v_cndmask_b32_e32 v0, 0, v0, vcc
	v_mul_f64 v[0:1], v[0:1], v[0:1]
	v_div_scale_f64 v[6:7], s[2:3], v[0:1], v[0:1], v[2:3]
	v_rcp_f64_e32 v[10:11], v[6:7]
	s_mov_b32 s45, s29
	v_fma_f64 v[118:119], -v[6:7], v[10:11], 1.0
	v_fmac_f64_e32 v[10:11], v[10:11], v[118:119]
	v_fma_f64 v[118:119], -v[6:7], v[10:11], 1.0
	v_fmac_f64_e32 v[10:11], v[10:11], v[118:119]
	v_div_scale_f64 v[118:119], vcc, v[2:3], v[0:1], v[2:3]
	v_mul_f64 v[120:121], v[118:119], v[10:11]
	v_fma_f64 v[6:7], -v[6:7], v[120:121], v[118:119]
	s_nop 1
	v_div_fmas_f64 v[6:7], v[6:7], v[10:11], v[120:121]
	v_div_fixup_f64 v[2:3], v[6:7], v[0:1], v[2:3]
	v_frexp_mant_f64_e32 v[0:1], v[2:3]
	v_cmp_gt_f64_e32 vcc, s[28:29], v[0:1]
	v_cndmask_b32_e64 v15, v91, 2.0, vcc
	v_frexp_exp_i32_f64_e32 v6, v[2:3]
	v_mul_f64 v[0:1], v[0:1], v[14:15]
	v_subbrev_co_u32_e32 v15, vcc, 0, v6, vcc
	v_add_f64 v[6:7], v[0:1], 1.0
	v_rcp_f64_e32 v[10:11], v[6:7]
	v_add_f64 v[120:121], v[6:7], -1.0
	v_add_f64 v[118:119], v[0:1], -1.0
	v_add_f64 v[0:1], v[0:1], -v[120:121]
	v_fma_f64 v[120:121], -v[6:7], v[10:11], 1.0
	v_fmac_f64_e32 v[10:11], v[120:121], v[10:11]
	v_fma_f64 v[120:121], -v[6:7], v[10:11], 1.0
	v_fmac_f64_e32 v[10:11], v[120:121], v[10:11]
	v_mul_f64 v[120:121], v[118:119], v[10:11]
	v_mul_f64 v[122:123], v[6:7], v[120:121]
	v_fma_f64 v[6:7], v[120:121], v[6:7], -v[122:123]
	v_fmac_f64_e32 v[6:7], v[120:121], v[0:1]
	v_add_f64 v[0:1], v[122:123], v[6:7]
	v_add_f64 v[124:125], v[118:119], -v[0:1]
	v_add_f64 v[122:123], v[0:1], -v[122:123]
	;; [unrolled: 1-line block ×5, first 2 shown]
	v_add_f64 v[0:1], v[6:7], v[0:1]
	v_add_f64 v[0:1], v[124:125], v[0:1]
	v_mul_f64 v[0:1], v[10:11], v[0:1]
	v_add_f64 v[6:7], v[120:121], v[0:1]
	v_add_f64 v[10:11], v[6:7], -v[120:121]
	v_add_f64 v[10:11], v[0:1], -v[10:11]
	v_mul_f64 v[118:119], v[6:7], v[6:7]
	v_pk_mov_b32 v[0:1], s[30:31], s[30:31] op_sel:[0,1]
	v_fma_f64 v[120:121], s[34:35], v[118:119], v[0:1]
	v_fma_f64 v[120:121], v[118:119], v[120:121], s[36:37]
	v_fma_f64 v[120:121], v[118:119], v[120:121], s[38:39]
	v_fma_f64 v[120:121], v[118:119], v[120:121], s[40:41]
	v_fma_f64 v[120:121], v[118:119], v[120:121], s[42:43]
	v_fma_f64 v[120:121], v[118:119], v[120:121], s[44:45]
	v_ldexp_f64 v[122:123], v[6:7], 1
	v_mul_f64 v[6:7], v[6:7], v[118:119]
	v_mul_f64 v[6:7], v[6:7], v[120:121]
	v_add_f64 v[118:119], v[122:123], v[6:7]
	v_add_f64 v[120:121], v[118:119], -v[122:123]
	v_ldexp_f64 v[10:11], v[10:11], 1
	v_add_f64 v[6:7], v[6:7], -v[120:121]
	v_add_f64 v[6:7], v[10:11], v[6:7]
	v_add_f64 v[10:11], v[118:119], v[6:7]
	v_add_f64 v[118:119], v[10:11], -v[118:119]
	v_add_f64 v[6:7], v[6:7], -v[118:119]
	v_cvt_f64_i32_e32 v[118:119], v15
	v_mul_f64 v[120:121], v[118:119], s[46:47]
	v_fma_f64 v[122:123], v[118:119], s[46:47], -v[120:121]
	v_fmac_f64_e32 v[122:123], s[48:49], v[118:119]
	v_add_f64 v[118:119], v[120:121], v[122:123]
	v_add_f64 v[120:121], v[118:119], -v[120:121]
	v_add_f64 v[120:121], v[122:123], -v[120:121]
	v_add_f64 v[122:123], v[118:119], v[10:11]
	v_add_f64 v[124:125], v[122:123], -v[118:119]
	v_add_f64 v[126:127], v[122:123], -v[124:125]
	;; [unrolled: 1-line block ×4, first 2 shown]
	v_add_f64 v[10:11], v[10:11], v[118:119]
	v_add_f64 v[118:119], v[120:121], v[6:7]
	v_add_f64 v[124:125], v[118:119], -v[120:121]
	v_add_f64 v[126:127], v[118:119], -v[124:125]
	v_add_f64 v[10:11], v[118:119], v[10:11]
	v_add_f64 v[120:121], v[120:121], -v[126:127]
	v_add_f64 v[6:7], v[6:7], -v[124:125]
	v_add_f64 v[118:119], v[122:123], v[10:11]
	v_add_f64 v[6:7], v[6:7], v[120:121]
	v_add_f64 v[120:121], v[118:119], -v[122:123]
	v_add_f64 v[10:11], v[10:11], -v[120:121]
	v_add_f64 v[6:7], v[6:7], v[10:11]
	v_add_f64 v[6:7], v[118:119], v[6:7]
	v_cmp_class_f64_e64 vcc, v[2:3], s10
	v_cndmask_b32_e32 v15, v6, v2, vcc
	v_cndmask_b32_e32 v6, v7, v3, vcc
	v_cmp_neq_f64_e32 vcc, 0, v[2:3]
	v_cndmask_b32_e32 v3, v93, v6, vcc
	v_add_f64 v[6:7], v[8:9], 1.0
	v_add_f64 v[6:7], v[6:7], -1.0
	v_add_f64 v[118:119], v[6:7], s[66:67]
	v_div_scale_f64 v[10:11], s[2:3], v[118:119], v[118:119], s[68:69]
	v_rcp_f64_e32 v[120:121], v[10:11]
	v_cndmask_b32_e32 v2, 0, v15, vcc
	v_add_f64 v[2:3], v[4:5], v[2:3]
	v_fma_f64 v[4:5], v[82:83], v[8:9], v[80:81]
	v_fma_f64 v[122:123], -v[10:11], v[120:121], 1.0
	v_fmac_f64_e32 v[120:121], v[120:121], v[122:123]
	v_fma_f64 v[122:123], -v[10:11], v[120:121], 1.0
	v_fmac_f64_e32 v[120:121], v[120:121], v[122:123]
	v_div_scale_f64 v[122:123], vcc, s[68:69], v[118:119], s[68:69]
	v_mul_f64 v[124:125], v[122:123], v[120:121]
	v_fma_f64 v[122:123], -v[10:11], v[124:125], v[122:123]
	v_add_f64 v[10:11], v[6:7], s[70:71]
	v_div_scale_f64 v[126:127], s[2:3], v[10:11], v[10:11], s[72:73]
	v_rcp_f64_e32 v[128:129], v[126:127]
	v_div_fmas_f64 v[120:121], v[122:123], v[120:121], v[124:125]
	v_div_fixup_f64 v[118:119], v[120:121], v[118:119], s[68:69]
	v_add_f64 v[124:125], v[6:7], s[74:75]
	v_fma_f64 v[120:121], -v[126:127], v[128:129], 1.0
	v_fmac_f64_e32 v[128:129], v[128:129], v[120:121]
	v_fma_f64 v[120:121], -v[126:127], v[128:129], 1.0
	v_fmac_f64_e32 v[128:129], v[128:129], v[120:121]
	v_div_scale_f64 v[120:121], vcc, s[72:73], v[10:11], s[72:73]
	v_mul_f64 v[122:123], v[120:121], v[128:129]
	v_fma_f64 v[120:121], -v[126:127], v[122:123], v[120:121]
	v_div_scale_f64 v[126:127], s[2:3], v[124:125], v[124:125], s[76:77]
	v_rcp_f64_e32 v[130:131], v[126:127]
	v_div_fmas_f64 v[120:121], v[120:121], v[128:129], v[122:123]
	v_add_f64 v[118:119], v[118:119], 0
	v_div_fixup_f64 v[120:121], v[120:121], v[10:11], s[72:73]
	v_add_f64 v[118:119], v[120:121], v[118:119]
	v_fma_f64 v[120:121], -v[126:127], v[130:131], 1.0
	v_fmac_f64_e32 v[130:131], v[130:131], v[120:121]
	v_fma_f64 v[120:121], -v[126:127], v[130:131], 1.0
	v_fmac_f64_e32 v[130:131], v[130:131], v[120:121]
	v_div_scale_f64 v[120:121], vcc, s[76:77], v[124:125], s[76:77]
	v_mul_f64 v[122:123], v[120:121], v[130:131]
	v_fma_f64 v[120:121], -v[126:127], v[122:123], v[120:121]
	v_add_f64 v[126:127], v[6:7], s[78:79]
	v_div_scale_f64 v[128:129], s[2:3], v[126:127], v[126:127], s[80:81]
	v_rcp_f64_e32 v[132:133], v[128:129]
	v_div_fmas_f64 v[120:121], v[120:121], v[130:131], v[122:123]
	v_div_fixup_f64 v[120:121], v[120:121], v[124:125], s[76:77]
	v_add_f64 v[118:119], v[118:119], v[120:121]
	v_fma_f64 v[120:121], -v[128:129], v[132:133], 1.0
	v_fmac_f64_e32 v[132:133], v[132:133], v[120:121]
	v_fma_f64 v[120:121], -v[128:129], v[132:133], 1.0
	v_fmac_f64_e32 v[132:133], v[132:133], v[120:121]
	v_div_scale_f64 v[120:121], vcc, s[80:81], v[126:127], s[80:81]
	v_mul_f64 v[122:123], v[120:121], v[132:133]
	v_add_f64 v[124:125], v[6:7], 4.0
	v_fma_f64 v[120:121], -v[128:129], v[122:123], v[120:121]
	v_div_scale_f64 v[128:129], s[2:3], v[124:125], v[124:125], s[82:83]
	v_rcp_f64_e32 v[130:131], v[128:129]
	v_div_fmas_f64 v[120:121], v[120:121], v[132:133], v[122:123]
	v_div_fixup_f64 v[120:121], v[120:121], v[126:127], s[80:81]
	v_add_f64 v[118:119], v[120:121], v[118:119]
	v_fma_f64 v[120:121], -v[128:129], v[130:131], 1.0
	v_fmac_f64_e32 v[130:131], v[130:131], v[120:121]
	v_fma_f64 v[120:121], -v[128:129], v[130:131], 1.0
	v_fmac_f64_e32 v[130:131], v[130:131], v[120:121]
	v_div_scale_f64 v[120:121], vcc, s[82:83], v[124:125], s[82:83]
	v_mul_f64 v[122:123], v[120:121], v[130:131]
	v_add_f64 v[126:127], v[6:7], s[22:23]
	v_fma_f64 v[120:121], -v[128:129], v[122:123], v[120:121]
	v_div_scale_f64 v[128:129], s[2:3], v[126:127], v[126:127], s[84:85]
	v_rcp_f64_e32 v[132:133], v[128:129]
	v_div_fmas_f64 v[120:121], v[120:121], v[130:131], v[122:123]
	v_div_fixup_f64 v[120:121], v[120:121], v[124:125], s[82:83]
	v_add_f64 v[118:119], v[118:119], v[120:121]
	v_fma_f64 v[120:121], -v[128:129], v[132:133], 1.0
	v_fmac_f64_e32 v[132:133], v[132:133], v[120:121]
	v_fma_f64 v[120:121], -v[128:129], v[132:133], 1.0
	v_fmac_f64_e32 v[132:133], v[132:133], v[120:121]
	v_div_scale_f64 v[120:121], vcc, s[84:85], v[126:127], s[84:85]
	v_mul_f64 v[122:123], v[120:121], v[132:133]
	v_add_f64 v[124:125], v[6:7], 2.0
	v_fma_f64 v[120:121], -v[128:129], v[122:123], v[120:121]
	v_div_scale_f64 v[128:129], s[2:3], v[124:125], v[124:125], s[86:87]
	v_rcp_f64_e32 v[130:131], v[128:129]
	v_div_fmas_f64 v[120:121], v[120:121], v[132:133], v[122:123]
	v_div_fixup_f64 v[120:121], v[120:121], v[126:127], s[84:85]
	v_add_f64 v[118:119], v[120:121], v[118:119]
	v_fma_f64 v[120:121], -v[128:129], v[130:131], 1.0
	v_fmac_f64_e32 v[130:131], v[130:131], v[120:121]
	v_fma_f64 v[120:121], -v[128:129], v[130:131], 1.0
	v_fmac_f64_e32 v[130:131], v[130:131], v[120:121]
	v_div_scale_f64 v[120:121], vcc, s[86:87], v[124:125], s[86:87]
	v_mul_f64 v[122:123], v[120:121], v[130:131]
	v_add_f64 v[126:127], v[6:7], 1.0
	v_fma_f64 v[120:121], -v[128:129], v[122:123], v[120:121]
	v_div_scale_f64 v[128:129], s[2:3], v[126:127], v[126:127], s[88:89]
	v_rcp_f64_e32 v[132:133], v[128:129]
	v_div_fmas_f64 v[120:121], v[120:121], v[130:131], v[122:123]
	v_div_fixup_f64 v[120:121], v[120:121], v[124:125], s[86:87]
	v_add_f64 v[118:119], v[118:119], v[120:121]
	v_fma_f64 v[120:121], -v[128:129], v[132:133], 1.0
	v_fmac_f64_e32 v[132:133], v[132:133], v[120:121]
	v_fma_f64 v[120:121], -v[128:129], v[132:133], 1.0
	v_fmac_f64_e32 v[132:133], v[132:133], v[120:121]
	v_div_scale_f64 v[120:121], vcc, s[88:89], v[126:127], s[88:89]
	v_mul_f64 v[122:123], v[120:121], v[132:133]
	v_fma_f64 v[120:121], -v[128:129], v[122:123], v[120:121]
	v_add_f64 v[10:11], v[10:11], 0.5
	s_nop 0
	v_div_fmas_f64 v[120:121], v[120:121], v[132:133], v[122:123]
	v_div_fixup_f64 v[120:121], v[120:121], v[126:127], s[88:89]
	v_add_f64 v[118:119], v[120:121], v[118:119]
	v_add_f64 v[118:119], v[118:119], s[90:91]
	v_frexp_mant_f64_e32 v[120:121], v[118:119]
	v_cmp_gt_f64_e32 vcc, s[28:29], v[120:121]
	v_cndmask_b32_e64 v15, v91, 2.0, vcc
	v_frexp_exp_i32_f64_e32 v122, v[118:119]
	v_mul_f64 v[120:121], v[120:121], v[14:15]
	v_subbrev_co_u32_e32 v15, vcc, 0, v122, vcc
	v_add_f64 v[122:123], v[120:121], 1.0
	v_rcp_f64_e32 v[124:125], v[122:123]
	v_add_f64 v[128:129], v[122:123], -1.0
	v_add_f64 v[126:127], v[120:121], -1.0
	v_add_f64 v[120:121], v[120:121], -v[128:129]
	v_fma_f64 v[128:129], -v[122:123], v[124:125], 1.0
	v_fmac_f64_e32 v[124:125], v[128:129], v[124:125]
	v_fma_f64 v[128:129], -v[122:123], v[124:125], 1.0
	v_fmac_f64_e32 v[124:125], v[128:129], v[124:125]
	v_mul_f64 v[128:129], v[126:127], v[124:125]
	v_mul_f64 v[130:131], v[122:123], v[128:129]
	v_fma_f64 v[122:123], v[128:129], v[122:123], -v[130:131]
	v_fmac_f64_e32 v[122:123], v[128:129], v[120:121]
	v_add_f64 v[120:121], v[130:131], v[122:123]
	v_add_f64 v[132:133], v[126:127], -v[120:121]
	v_add_f64 v[130:131], v[120:121], -v[130:131]
	;; [unrolled: 1-line block ×5, first 2 shown]
	v_add_f64 v[120:121], v[122:123], v[120:121]
	v_add_f64 v[120:121], v[132:133], v[120:121]
	v_mul_f64 v[120:121], v[124:125], v[120:121]
	v_add_f64 v[122:123], v[128:129], v[120:121]
	v_add_f64 v[124:125], v[122:123], -v[128:129]
	v_add_f64 v[120:121], v[120:121], -v[124:125]
	v_mul_f64 v[124:125], v[122:123], v[122:123]
	v_fma_f64 v[126:127], s[34:35], v[124:125], v[0:1]
	v_fma_f64 v[126:127], v[124:125], v[126:127], s[36:37]
	;; [unrolled: 1-line block ×6, first 2 shown]
	v_ldexp_f64 v[128:129], v[122:123], 1
	v_mul_f64 v[122:123], v[122:123], v[124:125]
	v_mul_f64 v[122:123], v[122:123], v[126:127]
	v_add_f64 v[124:125], v[128:129], v[122:123]
	v_add_f64 v[126:127], v[124:125], -v[128:129]
	v_ldexp_f64 v[120:121], v[120:121], 1
	v_add_f64 v[122:123], v[122:123], -v[126:127]
	v_add_f64 v[120:121], v[120:121], v[122:123]
	v_add_f64 v[122:123], v[124:125], v[120:121]
	v_add_f64 v[124:125], v[122:123], -v[124:125]
	v_add_f64 v[120:121], v[120:121], -v[124:125]
	v_cvt_f64_i32_e32 v[124:125], v15
	v_mul_f64 v[126:127], v[124:125], s[46:47]
	v_fma_f64 v[128:129], v[124:125], s[46:47], -v[126:127]
	v_fmac_f64_e32 v[128:129], s[48:49], v[124:125]
	v_add_f64 v[124:125], v[126:127], v[128:129]
	v_add_f64 v[126:127], v[124:125], -v[126:127]
	v_add_f64 v[126:127], v[128:129], -v[126:127]
	v_add_f64 v[128:129], v[124:125], v[122:123]
	v_add_f64 v[130:131], v[128:129], -v[124:125]
	v_add_f64 v[132:133], v[128:129], -v[130:131]
	;; [unrolled: 1-line block ×4, first 2 shown]
	v_add_f64 v[122:123], v[122:123], v[124:125]
	v_add_f64 v[124:125], v[126:127], v[120:121]
	v_add_f64 v[130:131], v[124:125], -v[126:127]
	v_add_f64 v[132:133], v[124:125], -v[130:131]
	v_add_f64 v[122:123], v[124:125], v[122:123]
	v_add_f64 v[126:127], v[126:127], -v[132:133]
	v_add_f64 v[120:121], v[120:121], -v[130:131]
	v_add_f64 v[124:125], v[128:129], v[122:123]
	v_add_f64 v[120:121], v[120:121], v[126:127]
	v_add_f64 v[126:127], v[124:125], -v[128:129]
	v_add_f64 v[122:123], v[122:123], -v[126:127]
	v_add_f64 v[120:121], v[120:121], v[122:123]
	v_add_f64 v[120:121], v[124:125], v[120:121]
	v_cmp_class_f64_e64 vcc, v[118:119], s10
	v_div_scale_f64 v[122:123], s[2:3], s[20:21], s[20:21], v[10:11]
	v_cndmask_b32_e32 v121, v121, v119, vcc
	v_cndmask_b32_e32 v120, v120, v118, vcc
	v_rcp_f64_e32 v[124:125], v[122:123]
	v_add_f64 v[120:121], v[120:121], s[92:93]
	v_add_f64 v[120:121], v[120:121], s[94:95]
	v_cmp_ngt_f64_e32 vcc, 0, v[118:119]
	v_cndmask_b32_e32 v15, v92, v121, vcc
	v_cmp_nge_f64_e32 vcc, 0, v[118:119]
	v_cndmask_b32_e32 v120, 0, v120, vcc
	v_cmp_neq_f64_e32 vcc, 0, v[118:119]
	v_fma_f64 v[118:119], -v[122:123], v[124:125], 1.0
	v_fmac_f64_e32 v[124:125], v[124:125], v[118:119]
	v_fma_f64 v[118:119], -v[122:123], v[124:125], 1.0
	v_cndmask_b32_e32 v121, v93, v15, vcc
	v_fmac_f64_e32 v[124:125], v[124:125], v[118:119]
	v_div_scale_f64 v[118:119], vcc, v[10:11], s[20:21], v[10:11]
	v_mul_f64 v[126:127], v[118:119], v[124:125]
	v_fma_f64 v[118:119], -v[122:123], v[126:127], v[118:119]
	v_add_f64 v[6:7], v[6:7], 0.5
	s_nop 0
	v_div_fmas_f64 v[118:119], v[118:119], v[124:125], v[126:127]
	v_div_fixup_f64 v[10:11], v[118:119], s[20:21], v[10:11]
	v_frexp_mant_f64_e32 v[118:119], v[10:11]
	v_cmp_gt_f64_e32 vcc, s[28:29], v[118:119]
	v_cndmask_b32_e64 v15, v91, 2.0, vcc
	v_frexp_exp_i32_f64_e32 v122, v[10:11]
	v_mul_f64 v[118:119], v[118:119], v[14:15]
	v_subbrev_co_u32_e32 v15, vcc, 0, v122, vcc
	v_add_f64 v[122:123], v[118:119], 1.0
	v_rcp_f64_e32 v[124:125], v[122:123]
	v_add_f64 v[128:129], v[122:123], -1.0
	v_add_f64 v[126:127], v[118:119], -1.0
	v_add_f64 v[118:119], v[118:119], -v[128:129]
	v_fma_f64 v[128:129], -v[122:123], v[124:125], 1.0
	v_fmac_f64_e32 v[124:125], v[128:129], v[124:125]
	v_fma_f64 v[128:129], -v[122:123], v[124:125], 1.0
	v_fmac_f64_e32 v[124:125], v[128:129], v[124:125]
	v_mul_f64 v[128:129], v[126:127], v[124:125]
	v_mul_f64 v[130:131], v[122:123], v[128:129]
	v_fma_f64 v[122:123], v[128:129], v[122:123], -v[130:131]
	v_fmac_f64_e32 v[122:123], v[128:129], v[118:119]
	v_add_f64 v[118:119], v[130:131], v[122:123]
	v_add_f64 v[132:133], v[126:127], -v[118:119]
	v_add_f64 v[130:131], v[118:119], -v[130:131]
	;; [unrolled: 1-line block ×5, first 2 shown]
	v_add_f64 v[118:119], v[122:123], v[118:119]
	v_add_f64 v[118:119], v[132:133], v[118:119]
	v_mul_f64 v[118:119], v[124:125], v[118:119]
	v_add_f64 v[122:123], v[128:129], v[118:119]
	v_add_f64 v[124:125], v[122:123], -v[128:129]
	v_add_f64 v[118:119], v[118:119], -v[124:125]
	v_mul_f64 v[124:125], v[122:123], v[122:123]
	v_fmac_f64_e32 v[0:1], s[34:35], v[124:125]
	v_fma_f64 v[0:1], v[124:125], v[0:1], s[36:37]
	v_fma_f64 v[0:1], v[124:125], v[0:1], s[38:39]
	;; [unrolled: 1-line block ×5, first 2 shown]
	v_ldexp_f64 v[126:127], v[122:123], 1
	v_mul_f64 v[122:123], v[122:123], v[124:125]
	v_mul_f64 v[0:1], v[122:123], v[0:1]
	v_add_f64 v[122:123], v[126:127], v[0:1]
	v_add_f64 v[124:125], v[122:123], -v[126:127]
	v_ldexp_f64 v[118:119], v[118:119], 1
	v_add_f64 v[0:1], v[0:1], -v[124:125]
	v_add_f64 v[0:1], v[118:119], v[0:1]
	v_add_f64 v[118:119], v[122:123], v[0:1]
	v_add_f64 v[122:123], v[118:119], -v[122:123]
	v_add_f64 v[0:1], v[0:1], -v[122:123]
	v_cvt_f64_i32_e32 v[122:123], v15
	v_mul_f64 v[124:125], v[122:123], s[46:47]
	v_fma_f64 v[126:127], v[122:123], s[46:47], -v[124:125]
	v_fmac_f64_e32 v[126:127], s[48:49], v[122:123]
	v_add_f64 v[122:123], v[124:125], v[126:127]
	v_add_f64 v[124:125], v[122:123], -v[124:125]
	v_add_f64 v[124:125], v[126:127], -v[124:125]
	v_add_f64 v[126:127], v[122:123], v[118:119]
	v_add_f64 v[128:129], v[126:127], -v[122:123]
	v_add_f64 v[130:131], v[126:127], -v[128:129]
	;; [unrolled: 1-line block ×4, first 2 shown]
	v_add_f64 v[118:119], v[118:119], v[122:123]
	v_add_f64 v[122:123], v[124:125], v[0:1]
	v_add_f64 v[128:129], v[122:123], -v[124:125]
	v_add_f64 v[130:131], v[122:123], -v[128:129]
	v_add_f64 v[118:119], v[122:123], v[118:119]
	v_add_f64 v[124:125], v[124:125], -v[130:131]
	v_add_f64 v[0:1], v[0:1], -v[128:129]
	v_add_f64 v[122:123], v[126:127], v[118:119]
	v_add_f64 v[0:1], v[0:1], v[124:125]
	v_add_f64 v[124:125], v[122:123], -v[126:127]
	v_add_f64 v[118:119], v[118:119], -v[124:125]
	v_add_f64 v[0:1], v[0:1], v[118:119]
	v_add_f64 v[0:1], v[122:123], v[0:1]
	v_cmp_class_f64_e64 vcc, v[10:11], s10
	v_cndmask_b32_e32 v0, v0, v10, vcc
	v_cndmask_b32_e32 v1, v1, v11, vcc
	v_cmp_ngt_f64_e32 vcc, 0, v[10:11]
	v_cndmask_b32_e32 v1, v92, v1, vcc
	v_cmp_nge_f64_e32 vcc, 0, v[10:11]
	v_cndmask_b32_e32 v0, 0, v0, vcc
	v_cmp_neq_f64_e32 vcc, 0, v[10:11]
	v_cndmask_b32_e32 v1, v93, v1, vcc
	v_fmac_f64_e32 v[120:121], v[6:7], v[0:1]
	v_add_f64 v[0:1], v[4:5], -v[120:121]
	v_cvt_u32_f64_e32 v4, v[8:9]
	v_cmp_le_f64_e32 vcc, v[2:3], v[0:1]
	v_cndmask_b32_e64 v119, 0, 1, vcc
	v_cndmask_b32_e32 v75, v75, v4, vcc
	v_mov_b32_e32 v118, v117
.LBB80_23:                              ;   in Loop: Header=BB80_13 Depth=2
	s_or_b64 exec, exec, s[0:1]
	v_cmp_gt_i32_e32 vcc, 2, v119
	s_or_b64 s[12:13], vcc, s[12:13]
	v_mov_b32_e32 v15, v118
	v_mov_b32_e32 v0, v87
	v_mov_b32_e32 v1, v86
	v_mov_b32_e32 v2, v85
	v_mov_b32_e32 v3, v84
	s_andn2_b64 exec, exec, s[12:13]
	s_cbranch_execnz .LBB80_13
; %bb.24:                               ;   in Loop: Header=BB80_13 Depth=2
	s_or_b64 exec, exec, s[12:13]
	v_cmp_ne_u32_e32 vcc, 0, v119
	s_or_b64 s[14:15], vcc, s[14:15]
	s_mov_b64 s[12:13], 0
	v_mov_b32_e32 v15, v118
	v_mov_b32_e32 v0, v87
	;; [unrolled: 1-line block ×5, first 2 shown]
	s_andn2_b64 exec, exec, s[14:15]
	s_cbranch_execnz .LBB80_13
; %bb.25:                               ;   in Loop: Header=BB80_5 Depth=1
	s_or_b64 exec, exec, s[14:15]
	s_mov_b32 s45, s24
	v_readlane_b32 s12, v134, 13
                                        ; implicit-def: $vgpr72_vgpr73
                                        ; implicit-def: $vgpr15
                                        ; implicit-def: $vgpr97
                                        ; implicit-def: $vgpr98
                                        ; implicit-def: $vgpr106
                                        ; implicit-def: $vgpr96
                                        ; implicit-def: $vgpr3
                                        ; implicit-def: $vgpr4_vgpr5
                                        ; implicit-def: $vgpr99
                                        ; implicit-def: $vgpr100
                                        ; implicit-def: $vgpr101
                                        ; implicit-def: $vgpr102
                                        ; implicit-def: $vgpr104
                                        ; implicit-def: $vgpr105
                                        ; implicit-def: $vgpr107
                                        ; implicit-def: $vgpr108
                                        ; implicit-def: $vgpr109
                                        ; implicit-def: $vgpr110
                                        ; implicit-def: $vgpr111
                                        ; implicit-def: $vgpr112
                                        ; implicit-def: $vgpr113
                                        ; implicit-def: $vgpr114
                                        ; implicit-def: $vgpr103
                                        ; implicit-def: $vgpr115
	v_readlane_b32 s13, v134, 14
.LBB80_26:                              ;   in Loop: Header=BB80_5 Depth=1
	s_andn2_saveexec_b64 s[0:1], s[6:7]
	s_cbranch_execz .LBB80_38
; %bb.27:                               ;   in Loop: Header=BB80_5 Depth=1
	v_add_co_u32_e32 v6, vcc, 1, v97
	v_cndmask_b32_e64 v7, 0, 1, vcc
	v_addc_co_u32_e32 v10, vcc, 0, v98, vcc
	v_cmp_eq_u32_e32 vcc, 0, v10
	v_cndmask_b32_e32 v7, 0, v7, vcc
	v_add_u32_e32 v8, v7, v17
	v_cmp_eq_u32_e32 vcc, 0, v8
	v_cndmask_b32_e32 v11, 0, v7, vcc
	v_mad_u64_u32 v[6:7], s[2:3], v6, s11, 0
	v_mad_u64_u32 v[8:9], s[2:3], v8, s9, 0
	v_xor_b32_e32 v7, v7, v73
	v_xor_b32_e32 v9, v9, v72
	v_xor_b32_e32 v7, v11, v7
	v_xor_b32_e32 v9, v10, v9
	v_mad_u64_u32 v[72:73], s[2:3], v7, s9, 0
	v_mad_u64_u32 v[10:11], s[2:3], v9, s11, 0
	v_xor_b32_e32 v7, v99, v73
	v_xor_b32_e32 v7, v7, v8
	v_xor_b32_e32 v8, v100, v11
	v_xor_b32_e32 v8, v8, v6
	;; [unrolled: 6-line block ×8, first 2 shown]
	v_mad_u64_u32 v[74:75], s[2:3], v7, s11, 0
	v_mad_u64_u32 v[8:9], s[2:3], v6, s9, 0
	v_xor_b32_e32 v6, v115, v75
	v_xor_b32_e32 v6, v6, v10
	v_mad_u64_u32 v[6:7], s[2:3], v6, s9, 0
	v_xor_b32_e32 v7, v7, v8
	v_xor_b32_e32 v10, v106, v7
	v_cmp_lt_i32_e32 vcc, 1, v15
                                        ; implicit-def: $vgpr8
	s_and_saveexec_b64 s[2:3], vcc
	s_xor_b64 s[2:3], exec, s[2:3]
	s_cbranch_execz .LBB80_33
; %bb.28:                               ;   in Loop: Header=BB80_5 Depth=1
	v_cmp_lt_i32_e32 vcc, 2, v15
                                        ; implicit-def: $vgpr8
	s_and_saveexec_b64 s[6:7], vcc
	s_xor_b64 s[6:7], exec, s[6:7]
; %bb.29:                               ;   in Loop: Header=BB80_5 Depth=1
	v_xor_b32_e32 v0, v103, v9
	v_xor_b32_e32 v0, v0, v72
	v_mul_hi_u32 v0, v0, s11
	v_xor_b32_e32 v0, v0, v74
	v_xor_b32_e32 v8, v96, v0
; %bb.30:                               ;   in Loop: Header=BB80_5 Depth=1
	s_andn2_saveexec_b64 s[6:7], s[6:7]
; %bb.31:                               ;   in Loop: Header=BB80_5 Depth=1
	v_mov_b32_e32 v8, v6
	v_mov_b32_e32 v6, v10
	v_mov_b32_e32 v10, v3
	v_mov_b32_e32 v3, v2
; %bb.32:                               ;   in Loop: Header=BB80_5 Depth=1
	s_or_b64 exec, exec, s[6:7]
	v_readlane_b32 s12, v134, 13
                                        ; implicit-def: $vgpr15
	v_readlane_b32 s13, v134, 14
.LBB80_33:                              ;   in Loop: Header=BB80_5 Depth=1
	s_andn2_saveexec_b64 s[2:3], s[2:3]
	s_cbranch_execz .LBB80_37
; %bb.34:                               ;   in Loop: Header=BB80_5 Depth=1
	v_cmp_eq_u32_e32 vcc, 1, v15
	v_mov_b32_e32 v8, v3
	v_mov_b32_e32 v6, v2
	;; [unrolled: 1-line block ×3, first 2 shown]
	s_and_saveexec_b64 s[6:7], vcc
; %bb.35:                               ;   in Loop: Header=BB80_5 Depth=1
	v_mov_b32_e32 v8, v10
	v_mov_b32_e32 v6, v3
	;; [unrolled: 1-line block ×4, first 2 shown]
; %bb.36:                               ;   in Loop: Header=BB80_5 Depth=1
	s_or_b64 exec, exec, s[6:7]
	v_mov_b32_e32 v3, v0
	v_mov_b32_e32 v10, v7
	v_readlane_b32 s12, v134, 13
	v_readlane_b32 s13, v134, 14
.LBB80_37:                              ;   in Loop: Header=BB80_5 Depth=1
	s_or_b64 exec, exec, s[2:3]
	v_mov_b32_e32 v11, v14
	v_lshlrev_b64 v[0:1], 21, v[10:11]
	v_xor_b32_e32 v2, v0, v3
	v_cvt_f64_u32_e32 v[0:1], v1
	v_ldexp_f64 v[0:1], v[0:1], 32
	v_cvt_f64_u32_e32 v[2:3], v2
	v_add_f64 v[0:1], v[0:1], v[2:3]
	v_mov_b32_e32 v2, 0
	v_mov_b32_e32 v3, 0x3ca00000
	v_fmac_f64_e32 v[2:3], 0x3ca00000, v[0:1]
	v_mov_b32_e32 v9, v14
	v_lshlrev_b64 v[0:1], 21, v[8:9]
	v_frexp_mant_f64_e32 v[8:9], v[2:3]
	v_cmp_gt_f64_e32 vcc, s[28:29], v[8:9]
	v_cndmask_b32_e64 v15, v91, 2.0, vcc
	v_frexp_exp_i32_f64_e32 v10, v[2:3]
	v_mul_f64 v[8:9], v[8:9], v[14:15]
	v_subbrev_co_u32_e32 v15, vcc, 0, v10, vcc
	v_add_f64 v[10:11], v[8:9], 1.0
	v_rcp_f64_e32 v[72:73], v[10:11]
	v_add_f64 v[76:77], v[10:11], -1.0
	v_add_f64 v[74:75], v[8:9], -1.0
	v_add_f64 v[8:9], v[8:9], -v[76:77]
	v_fma_f64 v[76:77], -v[10:11], v[72:73], 1.0
	v_fmac_f64_e32 v[72:73], v[76:77], v[72:73]
	v_fma_f64 v[76:77], -v[10:11], v[72:73], 1.0
	v_fmac_f64_e32 v[72:73], v[76:77], v[72:73]
	v_mul_f64 v[76:77], v[74:75], v[72:73]
	v_mul_f64 v[78:79], v[10:11], v[76:77]
	v_fma_f64 v[10:11], v[76:77], v[10:11], -v[78:79]
	v_fmac_f64_e32 v[10:11], v[76:77], v[8:9]
	v_add_f64 v[8:9], v[78:79], v[10:11]
	v_add_f64 v[80:81], v[74:75], -v[8:9]
	v_add_f64 v[78:79], v[8:9], -v[78:79]
	;; [unrolled: 1-line block ×5, first 2 shown]
	v_add_f64 v[8:9], v[10:11], v[8:9]
	v_add_f64 v[8:9], v[80:81], v[8:9]
	v_mul_f64 v[8:9], v[72:73], v[8:9]
	v_add_f64 v[10:11], v[76:77], v[8:9]
	v_add_f64 v[72:73], v[10:11], -v[76:77]
	v_add_f64 v[8:9], v[8:9], -v[72:73]
	v_mul_f64 v[72:73], v[10:11], v[10:11]
	v_pk_mov_b32 v[74:75], v[18:19], v[18:19] op_sel:[0,1]
	v_fmac_f64_e32 v[74:75], s[34:35], v[72:73]
	v_pk_mov_b32 v[76:77], v[20:21], v[20:21] op_sel:[0,1]
	v_fmac_f64_e32 v[76:77], v[72:73], v[74:75]
	;; [unrolled: 2-line block ×6, first 2 shown]
	v_ldexp_f64 v[74:75], v[10:11], 1
	v_mul_f64 v[10:11], v[10:11], v[72:73]
	v_mul_f64 v[10:11], v[10:11], v[76:77]
	v_add_f64 v[72:73], v[74:75], v[10:11]
	v_add_f64 v[74:75], v[72:73], -v[74:75]
	v_ldexp_f64 v[8:9], v[8:9], 1
	v_add_f64 v[10:11], v[10:11], -v[74:75]
	v_add_f64 v[8:9], v[8:9], v[10:11]
	v_add_f64 v[10:11], v[72:73], v[8:9]
	v_add_f64 v[72:73], v[10:11], -v[72:73]
	v_add_f64 v[8:9], v[8:9], -v[72:73]
	v_cvt_f64_i32_e32 v[72:73], v15
	v_mul_f64 v[74:75], v[72:73], s[46:47]
	v_fma_f64 v[76:77], v[72:73], s[46:47], -v[74:75]
	v_fmac_f64_e32 v[76:77], s[48:49], v[72:73]
	v_add_f64 v[72:73], v[74:75], v[76:77]
	v_add_f64 v[74:75], v[72:73], -v[74:75]
	v_add_f64 v[74:75], v[76:77], -v[74:75]
	v_add_f64 v[76:77], v[72:73], v[10:11]
	v_add_f64 v[78:79], v[76:77], -v[72:73]
	v_add_f64 v[80:81], v[76:77], -v[78:79]
	;; [unrolled: 1-line block ×4, first 2 shown]
	v_add_f64 v[10:11], v[10:11], v[72:73]
	v_add_f64 v[72:73], v[74:75], v[8:9]
	v_add_f64 v[78:79], v[72:73], -v[74:75]
	v_add_f64 v[80:81], v[72:73], -v[78:79]
	v_add_f64 v[10:11], v[72:73], v[10:11]
	v_add_f64 v[74:75], v[74:75], -v[80:81]
	v_add_f64 v[8:9], v[8:9], -v[78:79]
	v_add_f64 v[72:73], v[76:77], v[10:11]
	v_add_f64 v[8:9], v[8:9], v[74:75]
	v_add_f64 v[74:75], v[72:73], -v[76:77]
	v_add_f64 v[10:11], v[10:11], -v[74:75]
	s_mov_b32 s14, 0
	v_add_f64 v[8:9], v[8:9], v[10:11]
	s_mov_b32 s15, 0x7ff00000
	v_add_f64 v[8:9], v[72:73], v[8:9]
	v_cmp_eq_f64_e32 vcc, s[14:15], v[2:3]
	v_cndmask_b32_e32 v9, v9, v3, vcc
	v_cndmask_b32_e32 v8, v8, v2, vcc
	v_mul_f64 v[8:9], v[8:9], -2.0
	v_cmp_neq_f64_e32 vcc, 0, v[2:3]
	s_mov_b32 s2, 0
	v_cndmask_b32_e32 v3, v94, v9, vcc
	v_cndmask_b32_e32 v2, 0, v8, vcc
	s_brev_b32 s3, 8
	v_cmp_gt_f64_e32 vcc, s[2:3], v[2:3]
	v_cndmask_b32_e64 v8, 0, 1, vcc
	v_lshlrev_b32_e32 v8, 8, v8
	v_ldexp_f64 v[2:3], v[2:3], v8
	v_xor_b32_e32 v6, v0, v6
	v_cvt_f64_u32_e32 v[0:1], v1
	v_rsq_f64_e32 v[8:9], v[2:3]
	v_ldexp_f64 v[0:1], v[0:1], 32
	v_cvt_f64_u32_e32 v[6:7], v6
	v_add_f64 v[0:1], v[0:1], v[6:7]
	v_mov_b32_e32 v6, 0
	v_mov_b32_e32 v7, 0x3cb00000
	v_fmac_f64_e32 v[6:7], 0x3cb00000, v[0:1]
	v_mul_f64 v[0:1], v[2:3], v[8:9]
	v_mul_f64 v[8:9], v[8:9], 0.5
	v_fma_f64 v[10:11], -v[8:9], v[0:1], 0.5
	v_fmac_f64_e32 v[0:1], v[0:1], v[10:11]
	v_fma_f64 v[72:73], -v[0:1], v[0:1], v[2:3]
	v_fmac_f64_e32 v[8:9], v[8:9], v[10:11]
	v_fmac_f64_e32 v[0:1], v[72:73], v[8:9]
	v_fma_f64 v[10:11], -v[0:1], v[0:1], v[2:3]
	v_fmac_f64_e32 v[0:1], v[10:11], v[8:9]
	v_cndmask_b32_e32 v8, 0, v90, vcc
	v_ldexp_f64 v[0:1], v[0:1], v8
	v_cmp_class_f64_e32 vcc, v[2:3], v89
	v_cndmask_b32_e32 v1, v1, v3, vcc
	v_cndmask_b32_e32 v0, v0, v2, vcc
	v_mul_f64 v[2:3], v[6:7], 0.5
	v_fract_f64_e32 v[8:9], v[2:3]
	v_add_f64 v[8:9], v[8:9], v[8:9]
	v_cmp_neq_f64_e32 vcc, s[14:15], v[2:3]
	v_cndmask_b32_e32 v2, 0, v8, vcc
	v_cndmask_b32_e32 v3, 0, v9, vcc
	v_cmp_lt_f64_e32 vcc, 1.0, v[6:7]
	v_cndmask_b32_e32 v3, v7, v3, vcc
	v_cndmask_b32_e32 v2, v6, v2, vcc
	v_add_f64 v[8:9], v[2:3], v[2:3]
	v_rndne_f64_e32 v[8:9], v[8:9]
	v_fmac_f64_e32 v[2:3], -0.5, v[8:9]
	s_mov_b32 s6, 0xf99eb0bb
	v_cvt_i32_f64_e32 v15, v[8:9]
	v_mul_f64 v[8:9], v[2:3], v[2:3]
	v_pk_mov_b32 v[10:11], v[48:49], v[48:49] op_sel:[0,1]
	s_mov_b32 s7, 0x3f3e357e
	v_fmac_f64_e32 v[10:11], s[6:7], v[8:9]
	v_pk_mov_b32 v[72:73], v[50:51], v[50:51] op_sel:[0,1]
	v_fmac_f64_e32 v[72:73], v[8:9], v[10:11]
	v_pk_mov_b32 v[10:11], v[52:53], v[52:53] op_sel:[0,1]
	;; [unrolled: 2-line block ×4, first 2 shown]
	v_fmac_f64_e32 v[10:11], v[8:9], v[72:73]
	v_mul_f64 v[72:73], v[2:3], v[8:9]
	s_mov_b32 s6, 0x54442d18
	v_mul_f64 v[10:11], v[72:73], v[10:11]
	s_mov_b32 s7, 0x400921fb
	v_fmac_f64_e32 v[10:11], s[6:7], v[2:3]
	s_mov_b32 s6, 0x2e21c33
	v_pk_mov_b32 v[2:3], v[58:59], v[58:59] op_sel:[0,1]
	s_mov_b32 s7, 0xbf1b1673
	v_fmac_f64_e32 v[2:3], s[6:7], v[8:9]
	v_pk_mov_b32 v[72:73], v[60:61], v[60:61] op_sel:[0,1]
	v_fmac_f64_e32 v[72:73], v[8:9], v[2:3]
	v_pk_mov_b32 v[2:3], v[62:63], v[62:63] op_sel:[0,1]
	;; [unrolled: 2-line block ×5, first 2 shown]
	v_fmac_f64_e32 v[72:73], v[8:9], v[2:3]
	v_fma_f64 v[2:3], v[8:9], v[72:73], 1.0
	v_and_b32_e32 v9, 1, v15
	v_lshlrev_b32_e32 v8, 30, v15
	v_cmp_eq_u32_e32 vcc, 0, v9
	v_cndmask_b32_e32 v10, v2, v10, vcc
	v_cndmask_b32_e32 v2, v3, v11, vcc
	v_xor_b32_e32 v3, v8, v7
	v_and_b32_e32 v3, 0x80000000, v3
	v_cmp_gt_f64_e32 vcc, s[2:3], v[4:5]
	v_xor_b32_e32 v11, v2, v3
	v_cndmask_b32_e64 v2, 0, 1, vcc
	v_lshlrev_b32_e32 v2, 8, v2
	v_ldexp_f64 v[2:3], v[4:5], v2
	v_rsq_f64_e32 v[8:9], v[2:3]
	v_cmp_lg_f64_e64 s[2:3], s[14:15], v[6:7]
	v_cndmask_b32_e64 v6, 0, v10, s[2:3]
	v_cndmask_b32_e64 v7, v92, v11, s[2:3]
	v_mul_f64 v[0:1], v[0:1], v[6:7]
	v_mul_f64 v[6:7], v[2:3], v[8:9]
	v_mul_f64 v[8:9], v[8:9], 0.5
	v_fma_f64 v[10:11], -v[8:9], v[6:7], 0.5
	v_fmac_f64_e32 v[6:7], v[6:7], v[10:11]
	v_fma_f64 v[72:73], -v[6:7], v[6:7], v[2:3]
	v_fmac_f64_e32 v[8:9], v[8:9], v[10:11]
	v_fmac_f64_e32 v[6:7], v[72:73], v[8:9]
	v_fma_f64 v[10:11], -v[6:7], v[6:7], v[2:3]
	v_fmac_f64_e32 v[6:7], v[10:11], v[8:9]
	v_cndmask_b32_e32 v8, 0, v90, vcc
	v_ldexp_f64 v[6:7], v[6:7], v8
	v_cmp_class_f64_e32 vcc, v[2:3], v89
	v_cndmask_b32_e32 v3, v7, v3, vcc
	v_cndmask_b32_e32 v2, v6, v2, vcc
	v_fmac_f64_e32 v[4:5], v[2:3], v[0:1]
	v_trunc_f64_e32 v[0:1], v[4:5]
	v_add_f64 v[2:3], v[4:5], -v[0:1]
	v_cmp_ge_f64_e64 vcc, |v[2:3]|, 0.5
	v_cndmask_b32_e32 v2, 0, v91, vcc
	s_brev_b32 s2, -2
	v_bfi_b32 v15, s2, v2, v5
	v_add_f64 v[0:1], v[0:1], v[14:15]
	v_cvt_u32_f64_e32 v75, v[0:1]
.LBB80_38:                              ;   in Loop: Header=BB80_5 Depth=1
	s_or_b64 exec, exec, s[0:1]
                                        ; implicit-def: $vgpr6
                                        ; implicit-def: $vgpr72_vgpr73
                                        ; implicit-def: $vgpr15
                                        ; implicit-def: $vgpr97
                                        ; implicit-def: $vgpr98
                                        ; implicit-def: $vgpr106
                                        ; implicit-def: $vgpr96
                                        ; implicit-def: $vgpr3
                                        ; implicit-def: $vgpr4_vgpr5
                                        ; implicit-def: $vgpr99
                                        ; implicit-def: $vgpr100
                                        ; implicit-def: $vgpr101
                                        ; implicit-def: $vgpr102
                                        ; implicit-def: $vgpr104
                                        ; implicit-def: $vgpr105
                                        ; implicit-def: $vgpr107
                                        ; implicit-def: $vgpr108
                                        ; implicit-def: $vgpr109
                                        ; implicit-def: $vgpr110
                                        ; implicit-def: $vgpr111
                                        ; implicit-def: $vgpr112
                                        ; implicit-def: $vgpr113
                                        ; implicit-def: $vgpr114
                                        ; implicit-def: $vgpr103
                                        ; implicit-def: $vgpr115
.LBB80_39:                              ;   in Loop: Header=BB80_5 Depth=1
	s_andn2_saveexec_b64 s[0:1], s[50:51]
	s_cbranch_execz .LBB80_3
; %bb.40:                               ;   in Loop: Header=BB80_5 Depth=1
	s_mov_b32 s24, s52
	v_mul_f64 v[8:9], v[4:5], s[24:25]
	v_rndne_f64_e32 v[10:11], v[8:9]
	s_mov_b32 s54, s46
	v_fma_f64 v[4:5], v[10:11], s[54:55], -v[4:5]
	s_mov_b32 s56, s48
	v_fmac_f64_e32 v[4:5], s[56:57], v[10:11]
	v_pk_mov_b32 v[8:9], v[30:31], v[30:31] op_sel:[0,1]
	v_fmac_f64_e32 v[8:9], s[58:59], v[4:5]
	v_pk_mov_b32 v[74:75], v[32:33], v[32:33] op_sel:[0,1]
	;; [unrolled: 2-line block ×9, first 2 shown]
	v_fmac_f64_e32 v[76:77], v[4:5], v[74:75]
	v_fma_f64 v[74:75], v[4:5], v[76:77], 1.0
	s_mov_b32 s2, 0xe400
	v_fma_f64 v[4:5], v[4:5], v[74:75], 1.0
	v_cvt_i32_f64_e32 v7, v[10:11]
	v_cmp_ngt_f16_e32 vcc, s2, v6
	s_movk_i32 s2, 0x6433
	v_ldexp_f64 v[4:5], v[4:5], v7
	v_cmp_nlt_f16_e64 s[2:3], s2, v6
	v_mov_b32_e32 v8, 0
	v_cndmask_b32_e32 v5, v94, v5, vcc
	s_and_b64 vcc, s[2:3], vcc
	v_mov_b32_e32 v9, 0x3ff00000
	v_mov_b32_e32 v78, 0
	v_cndmask_b32_e64 v11, 0, v5, s[2:3]
	v_cndmask_b32_e32 v10, 0, v4, vcc
	s_mov_b32 s12, -1
	s_mov_b64 s[2:3], 0
	v_mov_b32_e32 v79, v17
	s_branch .LBB80_42
.LBB80_41:                              ;   in Loop: Header=BB80_42 Depth=2
	s_or_b64 exec, exec, s[6:7]
	v_cmp_eq_u32_e32 vcc, 1, v15
	v_cndmask_b32_e32 v0, v0, v1, vcc
	v_cmp_eq_u32_e32 vcc, 2, v15
	v_cndmask_b32_e32 v0, v0, v2, vcc
	;; [unrolled: 2-line block ×6, first 2 shown]
	v_lshrrev_b32_e32 v0, 11, v0
	v_cvt_f64_u32_e32 v[0:1], v0
	v_ldexp_f64 v[0:1], v[0:1], 32
	v_cvt_f64_u32_e32 v[2:3], v2
	v_add_f64 v[0:1], v[0:1], v[2:3]
	v_mov_b32_e32 v2, 0
	v_mov_b32_e32 v3, 0x3ca00000
	v_fmac_f64_e32 v[2:3], 0x3ca00000, v[0:1]
	v_mul_f64 v[8:9], v[8:9], v[2:3]
	v_cmp_ngt_f64_e32 vcc, v[8:9], v[10:11]
	s_add_i32 s12, s12, 1
	s_or_b64 s[2:3], vcc, s[2:3]
	v_mov_b32_e32 v75, s12
	v_mov_b32_e32 v15, v81
	;; [unrolled: 1-line block ×6, first 2 shown]
	s_andn2_b64 exec, exec, s[2:3]
	s_cbranch_execz .LBB80_2
.LBB80_42:                              ;   Parent Loop BB80_5 Depth=1
                                        ; =>  This Inner Loop Header: Depth=2
	v_add_u32_e32 v80, 1, v15
	v_pk_mov_b32 v[6:7], v[2:3], v[2:3] op_sel:[0,1]
	v_cmp_eq_u32_e32 vcc, 4, v80
	v_pk_mov_b32 v[4:5], v[0:1], v[0:1] op_sel:[0,1]
	v_mov_b32_e32 v77, v0
	v_mov_b32_e32 v76, v1
	;; [unrolled: 1-line block ×4, first 2 shown]
	s_and_saveexec_b64 s[6:7], vcc
	s_cbranch_execz .LBB80_44
; %bb.43:                               ;   in Loop: Header=BB80_42 Depth=2
	v_add_co_u32_e32 v97, vcc, 1, v97
	v_cndmask_b32_e64 v4, 0, 1, vcc
	v_addc_co_u32_e32 v98, vcc, 0, v98, vcc
	v_cmp_eq_u32_e32 vcc, 0, v98
	v_cndmask_b32_e32 v4, 0, v4, vcc
	v_add_u32_e32 v79, v4, v79
	v_cmp_eq_u32_e32 vcc, 0, v79
	v_cndmask_b32_e32 v4, 0, v4, vcc
	v_add_u32_e32 v78, v4, v78
	v_mad_u64_u32 v[4:5], s[14:15], v97, s11, 0
	v_mad_u64_u32 v[6:7], s[14:15], v79, s9, 0
	v_xor_b32_e32 v5, v5, v73
	v_xor_b32_e32 v7, v7, v72
	v_xor_b32_e32 v5, v78, v5
	v_xor_b32_e32 v7, v98, v7
	v_mad_u64_u32 v[76:77], s[14:15], v5, s9, 0
	v_mad_u64_u32 v[74:75], s[14:15], v7, s11, 0
	v_xor_b32_e32 v5, v99, v77
	v_xor_b32_e32 v5, v5, v6
	v_xor_b32_e32 v6, v100, v75
	v_xor_b32_e32 v6, v6, v4
	;; [unrolled: 6-line block ×10, first 2 shown]
	v_mov_b32_e32 v80, 0
	v_mov_b32_e32 v5, v76
	;; [unrolled: 1-line block ×5, first 2 shown]
.LBB80_44:                              ;   in Loop: Header=BB80_42 Depth=2
	s_or_b64 exec, exec, s[6:7]
	v_add_u32_e32 v81, 1, v80
	v_cmp_eq_u32_e32 vcc, 4, v81
	s_and_saveexec_b64 s[6:7], vcc
	s_cbranch_execz .LBB80_41
; %bb.45:                               ;   in Loop: Header=BB80_42 Depth=2
	v_add_co_u32_e32 v97, vcc, 1, v97
	v_cndmask_b32_e64 v74, 0, 1, vcc
	v_addc_co_u32_e32 v98, vcc, 0, v98, vcc
	v_cmp_eq_u32_e32 vcc, 0, v98
	v_cndmask_b32_e32 v74, 0, v74, vcc
	v_add_u32_e32 v79, v74, v79
	v_cmp_eq_u32_e32 vcc, 0, v79
	v_cndmask_b32_e32 v74, 0, v74, vcc
	v_add_u32_e32 v78, v74, v78
	v_mad_u64_u32 v[74:75], s[14:15], v97, s11, 0
	v_mad_u64_u32 v[76:77], s[14:15], v79, s9, 0
	v_xor_b32_e32 v75, v75, v73
	v_xor_b32_e32 v77, v77, v72
	v_xor_b32_e32 v75, v78, v75
	v_xor_b32_e32 v77, v98, v77
	v_mad_u64_u32 v[84:85], s[14:15], v75, s9, 0
	v_mad_u64_u32 v[82:83], s[14:15], v77, s11, 0
	v_xor_b32_e32 v75, v99, v85
	v_xor_b32_e32 v75, v75, v76
	v_xor_b32_e32 v76, v100, v83
	v_xor_b32_e32 v76, v76, v74
	;; [unrolled: 6-line block ×9, first 2 shown]
	v_mad_u64_u32 v[74:75], s[14:15], v74, s11, 0
	v_mad_u64_u32 v[76:77], s[14:15], v76, s9, 0
	v_xor_b32_e32 v77, v77, v116
	v_xor_b32_e32 v75, v75, v86
	v_mov_b32_e32 v81, 0
	v_xor_b32_e32 v77, v106, v77
	v_xor_b32_e32 v82, v96, v75
	s_branch .LBB80_41
.LBB80_46:
	s_or_b64 exec, exec, s[4:5]
	s_and_saveexec_b64 s[0:1], s[18:19]
	s_xor_b64 s[0:1], exec, s[0:1]
	s_cbranch_execnz .LBB80_48
.LBB80_47:
	s_endpgm
.LBB80_48:
	s_trap 2
	; divergent unreachable
	s_endpgm
	.section	.rodata,"a",@progbits
	.p2align	6, 0x0
	.amdhsa_kernel _ZN2at4cuda12_GLOBAL__N_121kernelPointwiseApply2IZN12_GLOBAL__N_119poisson_cuda_kernelIN3c104HalfEEEvRKNS_10TensorBaseES9_NS_15PhiloxCudaStateEEUlRS6_RKS6_E_S6_S6_jLi1ELi2ELi1ELi512ELi2EEEvNS0_6detail10TensorInfoIT0_T2_EENSG_IT1_SI_EESI_T_
		.amdhsa_group_segment_fixed_size 0
		.amdhsa_private_segment_fixed_size 0
		.amdhsa_kernarg_size 728
		.amdhsa_user_sgpr_count 6
		.amdhsa_user_sgpr_private_segment_buffer 1
		.amdhsa_user_sgpr_dispatch_ptr 0
		.amdhsa_user_sgpr_queue_ptr 0
		.amdhsa_user_sgpr_kernarg_segment_ptr 1
		.amdhsa_user_sgpr_dispatch_id 0
		.amdhsa_user_sgpr_flat_scratch_init 0
		.amdhsa_user_sgpr_kernarg_preload_length 0
		.amdhsa_user_sgpr_kernarg_preload_offset 0
		.amdhsa_user_sgpr_private_segment_size 0
		.amdhsa_uses_dynamic_stack 0
		.amdhsa_system_sgpr_private_segment_wavefront_offset 0
		.amdhsa_system_sgpr_workgroup_id_x 1
		.amdhsa_system_sgpr_workgroup_id_y 0
		.amdhsa_system_sgpr_workgroup_id_z 0
		.amdhsa_system_sgpr_workgroup_info 0
		.amdhsa_system_vgpr_workitem_id 0
		.amdhsa_next_free_vgpr 135
		.amdhsa_next_free_sgpr 96
		.amdhsa_accum_offset 136
		.amdhsa_reserve_vcc 1
		.amdhsa_reserve_flat_scratch 0
		.amdhsa_float_round_mode_32 0
		.amdhsa_float_round_mode_16_64 0
		.amdhsa_float_denorm_mode_32 3
		.amdhsa_float_denorm_mode_16_64 3
		.amdhsa_dx10_clamp 1
		.amdhsa_ieee_mode 1
		.amdhsa_fp16_overflow 0
		.amdhsa_tg_split 0
		.amdhsa_exception_fp_ieee_invalid_op 0
		.amdhsa_exception_fp_denorm_src 0
		.amdhsa_exception_fp_ieee_div_zero 0
		.amdhsa_exception_fp_ieee_overflow 0
		.amdhsa_exception_fp_ieee_underflow 0
		.amdhsa_exception_fp_ieee_inexact 0
		.amdhsa_exception_int_div_zero 0
	.end_amdhsa_kernel
	.section	.text._ZN2at4cuda12_GLOBAL__N_121kernelPointwiseApply2IZN12_GLOBAL__N_119poisson_cuda_kernelIN3c104HalfEEEvRKNS_10TensorBaseES9_NS_15PhiloxCudaStateEEUlRS6_RKS6_E_S6_S6_jLi1ELi2ELi1ELi512ELi2EEEvNS0_6detail10TensorInfoIT0_T2_EENSG_IT1_SI_EESI_T_,"axG",@progbits,_ZN2at4cuda12_GLOBAL__N_121kernelPointwiseApply2IZN12_GLOBAL__N_119poisson_cuda_kernelIN3c104HalfEEEvRKNS_10TensorBaseES9_NS_15PhiloxCudaStateEEUlRS6_RKS6_E_S6_S6_jLi1ELi2ELi1ELi512ELi2EEEvNS0_6detail10TensorInfoIT0_T2_EENSG_IT1_SI_EESI_T_,comdat
.Lfunc_end80:
	.size	_ZN2at4cuda12_GLOBAL__N_121kernelPointwiseApply2IZN12_GLOBAL__N_119poisson_cuda_kernelIN3c104HalfEEEvRKNS_10TensorBaseES9_NS_15PhiloxCudaStateEEUlRS6_RKS6_E_S6_S6_jLi1ELi2ELi1ELi512ELi2EEEvNS0_6detail10TensorInfoIT0_T2_EENSG_IT1_SI_EESI_T_, .Lfunc_end80-_ZN2at4cuda12_GLOBAL__N_121kernelPointwiseApply2IZN12_GLOBAL__N_119poisson_cuda_kernelIN3c104HalfEEEvRKNS_10TensorBaseES9_NS_15PhiloxCudaStateEEUlRS6_RKS6_E_S6_S6_jLi1ELi2ELi1ELi512ELi2EEEvNS0_6detail10TensorInfoIT0_T2_EENSG_IT1_SI_EESI_T_
                                        ; -- End function
	.section	.AMDGPU.csdata,"",@progbits
; Kernel info:
; codeLenInByte = 13484
; NumSgprs: 100
; NumVgprs: 135
; NumAgprs: 0
; TotalNumVgprs: 135
; ScratchSize: 0
; MemoryBound: 0
; FloatMode: 240
; IeeeMode: 1
; LDSByteSize: 0 bytes/workgroup (compile time only)
; SGPRBlocks: 12
; VGPRBlocks: 16
; NumSGPRsForWavesPerEU: 100
; NumVGPRsForWavesPerEU: 135
; AccumOffset: 136
; Occupancy: 3
; WaveLimiterHint : 1
; COMPUTE_PGM_RSRC2:SCRATCH_EN: 0
; COMPUTE_PGM_RSRC2:USER_SGPR: 6
; COMPUTE_PGM_RSRC2:TRAP_HANDLER: 0
; COMPUTE_PGM_RSRC2:TGID_X_EN: 1
; COMPUTE_PGM_RSRC2:TGID_Y_EN: 0
; COMPUTE_PGM_RSRC2:TGID_Z_EN: 0
; COMPUTE_PGM_RSRC2:TIDIG_COMP_CNT: 0
; COMPUTE_PGM_RSRC3_GFX90A:ACCUM_OFFSET: 33
; COMPUTE_PGM_RSRC3_GFX90A:TG_SPLIT: 0
	.section	.text._ZN2at4cuda12_GLOBAL__N_121kernelPointwiseApply2IZN12_GLOBAL__N_119poisson_cuda_kernelIN3c104HalfEEEvRKNS_10TensorBaseES9_NS_15PhiloxCudaStateEEUlRS6_RKS6_E_S6_S6_jLi1ELin1ELi1ELi512ELi2EEEvNS0_6detail10TensorInfoIT0_T2_EENSG_IT1_SI_EESI_T_,"axG",@progbits,_ZN2at4cuda12_GLOBAL__N_121kernelPointwiseApply2IZN12_GLOBAL__N_119poisson_cuda_kernelIN3c104HalfEEEvRKNS_10TensorBaseES9_NS_15PhiloxCudaStateEEUlRS6_RKS6_E_S6_S6_jLi1ELin1ELi1ELi512ELi2EEEvNS0_6detail10TensorInfoIT0_T2_EENSG_IT1_SI_EESI_T_,comdat
	.globl	_ZN2at4cuda12_GLOBAL__N_121kernelPointwiseApply2IZN12_GLOBAL__N_119poisson_cuda_kernelIN3c104HalfEEEvRKNS_10TensorBaseES9_NS_15PhiloxCudaStateEEUlRS6_RKS6_E_S6_S6_jLi1ELin1ELi1ELi512ELi2EEEvNS0_6detail10TensorInfoIT0_T2_EENSG_IT1_SI_EESI_T_ ; -- Begin function _ZN2at4cuda12_GLOBAL__N_121kernelPointwiseApply2IZN12_GLOBAL__N_119poisson_cuda_kernelIN3c104HalfEEEvRKNS_10TensorBaseES9_NS_15PhiloxCudaStateEEUlRS6_RKS6_E_S6_S6_jLi1ELin1ELi1ELi512ELi2EEEvNS0_6detail10TensorInfoIT0_T2_EENSG_IT1_SI_EESI_T_
	.p2align	8
	.type	_ZN2at4cuda12_GLOBAL__N_121kernelPointwiseApply2IZN12_GLOBAL__N_119poisson_cuda_kernelIN3c104HalfEEEvRKNS_10TensorBaseES9_NS_15PhiloxCudaStateEEUlRS6_RKS6_E_S6_S6_jLi1ELin1ELi1ELi512ELi2EEEvNS0_6detail10TensorInfoIT0_T2_EENSG_IT1_SI_EESI_T_,@function
_ZN2at4cuda12_GLOBAL__N_121kernelPointwiseApply2IZN12_GLOBAL__N_119poisson_cuda_kernelIN3c104HalfEEEvRKNS_10TensorBaseES9_NS_15PhiloxCudaStateEEUlRS6_RKS6_E_S6_S6_jLi1ELin1ELi1ELi512ELi2EEEvNS0_6detail10TensorInfoIT0_T2_EENSG_IT1_SI_EESI_T_: ; @_ZN2at4cuda12_GLOBAL__N_121kernelPointwiseApply2IZN12_GLOBAL__N_119poisson_cuda_kernelIN3c104HalfEEEvRKNS_10TensorBaseES9_NS_15PhiloxCudaStateEEUlRS6_RKS6_E_S6_S6_jLi1ELin1ELi1ELi512ELi2EEEvNS0_6detail10TensorInfoIT0_T2_EENSG_IT1_SI_EESI_T_
; %bb.0:
	s_load_dword s2, s[4:5], 0x1e4
	s_load_dword s33, s[4:5], 0x1b0
	s_add_u32 s0, s4, 0x1d8
	s_addc_u32 s1, s5, 0
	s_waitcnt lgkmcnt(0)
	s_and_b32 s2, s2, 0xffff
	s_mul_i32 s6, s6, s2
	v_add_u32_e32 v17, s6, v0
	v_cmp_gt_u32_e32 vcc, s33, v17
	s_and_saveexec_b64 s[6:7], vcc
	s_cbranch_execz .LBB81_50
; %bb.1:
	s_load_dwordx4 s[16:19], s[4:5], 0x1b8
                                        ; implicit-def: $vgpr134 : SGPR spill to VGPR lane
	s_load_dword s8, s[4:5], 0x1d0
                                        ; kill: killed $sgpr0 killed $sgpr1
	s_add_u32 s9, s4, 0xd8
	s_addc_u32 s12, s5, 0
	s_mov_b32 s24, 0
	s_waitcnt lgkmcnt(0)
	v_writelane_b32 v134, s16, 0
	v_writelane_b32 v134, s17, 1
	;; [unrolled: 1-line block ×4, first 2 shown]
	s_load_dword s3, s[4:5], 0x1a8
	s_load_dwordx2 s[16:17], s[4:5], 0x0
	s_load_dword s6, s[4:5], 0x6c
	s_mov_b32 s30, 0x55555555
	s_mov_b32 s34, 0x6b47b09a
	s_waitcnt lgkmcnt(0)
	s_cmp_gt_i32 s3, 1
	s_load_dwordx2 s[64:65], s[4:5], 0xd8
	v_writelane_b32 v134, s6, 4
	s_load_dword s13, s[0:1], 0x0
	s_load_dwordx2 s[6:7], s[4:5], 0x1c8
	s_mov_b32 s36, 0xbf559e2b
	s_load_dword s0, s[4:5], 0x144
	s_mov_b32 s38, 0xd7f4df2e
	s_mov_b32 s40, 0x16291751
	s_waitcnt lgkmcnt(0)
	v_writelane_b32 v134, s6, 5
	v_writelane_b32 v134, s7, 6
	;; [unrolled: 1-line block ×3, first 2 shown]
	s_cselect_b64 s[6:7], -1, 0
	s_getpc_b64 s[0:1]
	s_add_u32 s0, s0, .str@rel32@lo+4
	s_addc_u32 s1, s1, .str@rel32@hi+12
	s_cmp_eq_u64 s[0:1], 0
	s_cselect_b64 s[0:1], -1, 0
	s_bitcmp1_b32 s8, 0
	s_cselect_b64 s[10:11], -1, 0
	v_writelane_b32 v134, s10, 8
	s_mov_b32 s8, 0xcd9e8d57
	v_writelane_b32 v134, s11, 9
	v_mad_u64_u32 v[12:13], s[10:11], v17, s8, 0
	s_mul_i32 s10, s13, s2
	s_add_i32 s2, s3, 1
	v_writelane_b32 v134, s2, 10
	s_add_i32 s2, s3, -1
	s_mov_b32 s3, 0
	s_lshl_b64 s[2:3], s[2:3], 2
	s_add_u32 s2, s2, s9
	s_addc_u32 s3, s3, s12
	s_add_u32 s2, s2, 8
	s_addc_u32 s3, s3, 0
	v_writelane_b32 v134, s2, 11
	v_writelane_b32 v134, s3, 12
	s_xor_b64 s[0:1], s[0:1], -1
	v_cndmask_b32_e64 v0, 0, 1, s[6:7]
	v_writelane_b32 v134, s0, 13
	v_writelane_b32 v134, s1, 14
	v_cmp_ne_u32_e64 s[0:1], 1, v0
	v_writelane_b32 v134, s0, 15
	s_mov_b32 s42, 0x9b27acf1
	s_mov_b32 s44, 0x998ef7b6
	;; [unrolled: 1-line block ×7, first 2 shown]
	v_writelane_b32 v134, s1, 16
	s_mov_b32 s66, 0
	s_mov_b32 s68, 0
	;; [unrolled: 1-line block ×13, first 2 shown]
	s_movk_i32 s92, 0xf950
	s_mov_b32 s94, 0xc864beb5
	s_mov_b32 s22, 0
	s_mov_b32 s20, 0x8b145769
                                        ; kill: killed $sgpr4 killed $sgpr5
	s_mov_b64 s[4:5], 0
	v_mov_b32_e32 v14, 0
	v_mov_b32_e32 v16, v13
	s_mov_b32 s11, 0xd2511f53
	s_mov_b32 s25, 0x40080000
	;; [unrolled: 1-line block ×12, first 2 shown]
	s_movk_i32 s9, 0x204
	s_mov_b32 s55, 0x3ff71547
	s_mov_b32 s57, 0xbfe62e42
	;; [unrolled: 1-line block ×5, first 2 shown]
	v_mov_b32_e32 v18, 0x6b47b09a
	v_mov_b32_e32 v20, 0xd7f4df2e
	;; [unrolled: 1-line block ×27, first 2 shown]
	s_mov_b32 s65, s10
	v_mov_b32_e32 v88, 0x260
	v_mov_b32_e32 v89, 0xffffff80
	;; [unrolled: 1-line block ×33, first 2 shown]
	s_mov_b32 s10, 0xdb3d7428
	s_mov_b32 s67, 0xc090cc00
	;; [unrolled: 1-line block ×19, first 2 shown]
	v_writelane_b32 v134, s16, 17
                                        ; implicit-def: $sgpr26_sgpr27
                                        ; implicit-def: $sgpr28_sgpr29
	v_writelane_b32 v134, s17, 18
	s_branch .LBB81_5
.LBB81_2:                               ;   in Loop: Header=BB81_5 Depth=1
	s_or_b64 exec, exec, s[2:3]
.LBB81_3:                               ;   in Loop: Header=BB81_5 Depth=1
	s_or_b64 exec, exec, s[0:1]
	v_cvt_f32_u32_e32 v2, v75
	v_lshlrev_b64 v[0:1], 1, v[70:71]
	v_mov_b32_e32 v3, s17
	v_add_co_u32_e32 v0, vcc, s16, v0
	v_cvt_f16_f32_e32 v2, v2
	v_addc_co_u32_e32 v1, vcc, v3, v1, vcc
	v_add_u32_e32 v94, s65, v94
	v_cmp_le_u32_e32 vcc, s33, v94
	s_andn2_b64 s[28:29], s[28:29], exec
	s_orn2_b64 s[0:1], vcc, exec
	global_store_short v[0:1], v2, off
.LBB81_4:                               ;   in Loop: Header=BB81_5 Depth=1
	s_or_b64 exec, exec, s[52:53]
	s_and_b64 s[0:1], exec, s[0:1]
	s_or_b64 s[4:5], s[0:1], s[4:5]
	s_andn2_b64 s[0:1], s[26:27], exec
	s_and_b64 s[2:3], s[28:29], exec
	s_or_b64 s[26:27], s[0:1], s[2:3]
	s_andn2_b64 exec, exec, s[4:5]
	s_cbranch_execz .LBB81_49
.LBB81_5:                               ; =>This Loop Header: Depth=1
                                        ;     Child Loop BB81_8 Depth 2
                                        ;     Child Loop BB81_16 Depth 2
	;; [unrolled: 1-line block ×3, first 2 shown]
	v_sub_u32_e32 v0, s33, v94
	v_cmp_lt_i32_e32 vcc, 0, v0
	v_pk_mov_b32 v[0:1], 0, 0
	v_pk_mov_b32 v[70:71], v[0:1], v[0:1] op_sel:[0,1]
	s_and_saveexec_b64 s[0:1], vcc
	s_cbranch_execz .LBB81_10
; %bb.6:                                ;   in Loop: Header=BB81_5 Depth=1
	v_readlane_b32 s2, v134, 15
	v_readlane_b32 s3, v134, 16
	s_and_b64 vcc, exec, s[2:3]
	v_mov_b32_e32 v0, 0
	v_mov_b32_e32 v2, v94
	s_cbranch_vccnz .LBB81_9
; %bb.7:                                ;   in Loop: Header=BB81_5 Depth=1
	v_readlane_b32 s2, v134, 11
	v_mov_b32_e32 v0, 0
	v_readlane_b32 s3, v134, 12
	v_readlane_b32 s6, v134, 10
	v_mov_b32_e32 v2, v94
.LBB81_8:                               ;   Parent Loop BB81_5 Depth=1
                                        ; =>  This Inner Loop Header: Depth=2
	s_load_dword s7, s[2:3], 0x0
	s_load_dword s12, s[2:3], 0x64
	v_mov_b32_e32 v1, v2
	s_add_i32 s6, s6, -1
	s_waitcnt lgkmcnt(0)
	v_cvt_f32_u32_e32 v2, s7
	s_sub_i32 s14, 0, s7
	s_add_u32 s2, s2, -4
	s_addc_u32 s3, s3, -1
	v_rcp_iflag_f32_e32 v2, v2
	s_cmp_gt_u32 s6, 2
	v_mul_f32_e32 v2, 0x4f7ffffe, v2
	v_cvt_u32_f32_e32 v2, v2
	v_mul_lo_u32 v3, s14, v2
	v_mul_hi_u32 v3, v2, v3
	v_add_u32_e32 v2, v2, v3
	v_mul_hi_u32 v2, v1, v2
	v_mul_lo_u32 v3, v2, s7
	v_sub_u32_e32 v3, v1, v3
	v_add_u32_e32 v4, 1, v2
	v_subrev_u32_e32 v5, s7, v3
	v_cmp_le_u32_e32 vcc, s7, v3
	v_cndmask_b32_e32 v2, v2, v4, vcc
	v_cndmask_b32_e32 v3, v3, v5, vcc
	v_add_u32_e32 v4, 1, v2
	v_cmp_le_u32_e32 vcc, s7, v3
	v_cndmask_b32_e32 v2, v2, v4, vcc
	v_mul_lo_u32 v3, v2, s7
	v_sub_u32_e32 v1, v1, v3
	v_mad_u64_u32 v[0:1], s[14:15], s12, v1, v[0:1]
	s_cbranch_scc1 .LBB81_8
.LBB81_9:                               ;   in Loop: Header=BB81_5 Depth=1
	v_readlane_b32 s2, v134, 4
	v_mul_lo_u32 v70, v94, s2
	v_readlane_b32 s2, v134, 7
	v_mad_u64_u32 v[0:1], s[2:3], s2, v2, v[0:1]
	v_mov_b32_e32 v71, v14
	v_mov_b32_e32 v1, v14
.LBB81_10:                              ;   in Loop: Header=BB81_5 Depth=1
	s_or_b64 exec, exec, s[0:1]
	v_lshlrev_b64 v[0:1], 1, v[0:1]
	v_add_co_u32_e32 v0, vcc, s64, v0
	v_addc_co_u32_e32 v1, vcc, v13, v1, vcc
	global_load_ushort v6, v[0:1], off
	v_readlane_b32 s2, v134, 13
	v_readlane_b32 s3, v134, 14
	s_mov_b64 s[0:1], -1
	s_or_b64 s[28:29], s[28:29], exec
	s_waitcnt vmcnt(0)
	v_cmp_le_f16_e32 vcc, 0, v6
	s_and_b64 s[2:3], s[2:3], vcc
	s_and_saveexec_b64 s[52:53], s[2:3]
	s_cbranch_execz .LBB81_4
; %bb.11:                               ;   in Loop: Header=BB81_5 Depth=1
	v_readlane_b32 s0, v134, 8
	v_readlane_b32 s1, v134, 9
	s_andn2_b64 vcc, exec, s[0:1]
	v_readlane_b32 s0, v134, 0
	v_readlane_b32 s1, v134, 1
	;; [unrolled: 1-line block ×4, first 2 shown]
	v_pk_mov_b32 v[0:1], s[2:3], s[2:3] op_sel:[0,1]
	v_pk_mov_b32 v[72:73], s[0:1], s[0:1] op_sel:[0,1]
	s_cbranch_vccnz .LBB81_13
; %bb.12:                               ;   in Loop: Header=BB81_5 Depth=1
	v_readlane_b32 s0, v134, 0
	v_readlane_b32 s2, v134, 2
	;; [unrolled: 1-line block ×3, first 2 shown]
	v_pk_mov_b32 v[0:1], s[2:3], s[2:3] op_sel:[0,1]
	v_readlane_b32 s1, v134, 1
	flat_load_dwordx2 v[0:1], v[0:1]
	v_pk_mov_b32 v[2:3], s[0:1], s[0:1] op_sel:[0,1]
	flat_load_dwordx2 v[72:73], v[2:3]
	v_readlane_b32 s0, v134, 5
	v_readlane_b32 s1, v134, 6
	v_mov_b32_e32 v2, s1
	s_waitcnt vmcnt(0) lgkmcnt(0)
	v_add_co_u32_e32 v0, vcc, s0, v0
	v_addc_co_u32_e32 v1, vcc, v1, v2, vcc
.LBB81_13:                              ;   in Loop: Header=BB81_5 Depth=1
	v_alignbit_b32 v96, v1, v0, 2
	v_and_b32_e32 v15, 3, v0
	v_lshrrev_b32_e32 v97, 2, v1
	v_mad_u64_u32 v[0:1], s[0:1], v96, s11, 0
	v_xor_b32_e32 v3, v16, v72
	v_mov_b32_e32 v2, v73
	v_xor_b32_e32 v1, v1, v73
	s_mov_b32 s0, 0xbb67ae85
	v_xor_b32_e32 v3, v3, v97
	v_add_co_u32_e32 v99, vcc, s0, v2
	v_mad_u64_u32 v[4:5], s[0:1], v3, s11, 0
	v_mad_u64_u32 v[8:9], s[0:1], v1, s8, 0
	v_add_co_u32_e32 v98, vcc, 0x9e3779b9, v72
	v_xor_b32_e32 v1, v12, v9
	v_xor_b32_e32 v3, v99, v5
	s_mov_b32 s0, 0x3c6ef372
	v_xor_b32_e32 v1, v1, v98
	v_xor_b32_e32 v3, v3, v0
	v_add_co_u32_e32 v100, vcc, s0, v72
	s_mov_b32 s0, 0x76cf5d0a
	v_add_co_u32_e32 v101, vcc, s0, v2
	v_mad_u64_u32 v[0:1], s[0:1], v1, s11, 0
	v_mad_u64_u32 v[10:11], s[0:1], v3, s8, 0
	v_xor_b32_e32 v3, v100, v11
	v_xor_b32_e32 v1, v101, v1
	s_mov_b32 s0, 0xdaa66d2b
	v_xor_b32_e32 v3, v3, v8
	v_xor_b32_e32 v1, v1, v4
	v_add_co_u32_e32 v103, vcc, s0, v72
	s_mov_b32 s0, 0x32370b8f
	v_add_co_u32_e32 v105, vcc, s0, v2
	v_mad_u64_u32 v[4:5], s[0:1], v3, s11, 0
	v_mad_u64_u32 v[8:9], s[0:1], v1, s8, 0
	;; [unrolled: 10-line block ×6, first 2 shown]
	v_xor_b32_e32 v1, v112, v9
	v_xor_b32_e32 v3, v113, v5
	;; [unrolled: 1-line block ×4, first 2 shown]
	s_mov_b32 s0, 0xf1bbcdc8
	v_add_co_u32_e32 v102, vcc, s0, v72
	v_add_co_u32_e32 v114, vcc, s10, v2
	v_mad_u64_u32 v[2:3], s[0:1], v1, s11, 0
	v_mad_u64_u32 v[0:1], s[0:1], v0, s8, 0
	v_xor_b32_e32 v1, v102, v1
	v_xor_b32_e32 v1, v1, v8
	;; [unrolled: 1-line block ×4, first 2 shown]
	v_mad_u64_u32 v[4:5], s[0:1], v1, s11, 0
	v_mov_b32_e32 v3, v4
	v_cvt_f32_f16_e32 v4, v6
	v_mad_u64_u32 v[8:9], s[0:1], v7, s8, 0
	v_add_u32_e32 v104, 0x8ff34781, v72
	v_add_u32_e32 v95, 0x96a522ad, v73
	v_xor_b32_e32 v0, v9, v0
	v_xor_b32_e32 v2, v5, v2
	s_movk_i32 s0, 0x5400
	v_mov_b32_e32 v1, v8
	v_xor_b32_e32 v0, v104, v0
	v_xor_b32_e32 v2, v95, v2
	v_cvt_f64_f32_e32 v[4:5], v4
	v_cmp_ngt_f16_e32 vcc, s0, v6
                                        ; implicit-def: $vgpr75
	s_and_saveexec_b64 s[0:1], vcc
	s_xor_b64 s[18:19], exec, s[0:1]
	s_cbranch_execz .LBB81_42
; %bb.14:                               ;   in Loop: Header=BB81_5 Depth=1
	s_movk_i32 s0, 0x6bd0
	v_cmp_ge_f16_e32 vcc, s0, v6
                                        ; implicit-def: $vgpr75
	s_and_saveexec_b64 s[0:1], vcc
	s_xor_b64 s[6:7], exec, s[0:1]
	s_cbranch_execz .LBB81_29
; %bb.15:                               ;   in Loop: Header=BB81_5 Depth=1
	s_mov_b32 s14, 0xae147ae1
	s_mov_b32 s15, 0xc00ae147
	v_div_scale_f64 v[6:7], s[0:1], v[4:5], v[4:5], s[14:15]
	v_rcp_f64_e32 v[8:9], v[6:7]
	s_mov_b32 s0, 0
	v_mul_f64 v[76:77], v[4:5], s[24:25]
	s_brev_b32 s1, 8
	v_cmp_gt_f64_e64 s[2:3], s[0:1], v[76:77]
	v_cndmask_b32_e64 v78, 0, 1, s[2:3]
	v_fma_f64 v[74:75], -v[6:7], v[8:9], 1.0
	v_lshlrev_b32_e32 v78, 8, v78
	v_fmac_f64_e32 v[8:9], v[8:9], v[74:75]
	v_ldexp_f64 v[76:77], v[76:77], v78
	v_fma_f64 v[74:75], -v[6:7], v[8:9], 1.0
	v_rsq_f64_e32 v[78:79], v[76:77]
	v_div_scale_f64 v[10:11], vcc, s[14:15], v[4:5], s[14:15]
	v_fmac_f64_e32 v[8:9], v[8:9], v[74:75]
	v_mul_f64 v[74:75], v[10:11], v[8:9]
	v_fma_f64 v[6:7], -v[6:7], v[74:75], v[10:11]
	s_nop 0
	v_div_fmas_f64 v[6:7], v[6:7], v[8:9], v[74:75]
	v_mul_f64 v[8:9], v[76:77], v[78:79]
	v_mul_f64 v[10:11], v[78:79], 0.5
	v_fma_f64 v[74:75], -v[10:11], v[8:9], 0.5
	v_fmac_f64_e32 v[8:9], v[8:9], v[74:75]
	v_fma_f64 v[78:79], -v[8:9], v[8:9], v[76:77]
	v_fmac_f64_e32 v[10:11], v[10:11], v[74:75]
	v_fmac_f64_e32 v[8:9], v[78:79], v[10:11]
	v_fma_f64 v[74:75], -v[8:9], v[8:9], v[76:77]
	v_fmac_f64_e32 v[8:9], v[74:75], v[10:11]
	v_cndmask_b32_e64 v10, 0, v89, s[2:3]
	v_ldexp_f64 v[8:9], v[8:9], v10
	v_cmp_class_f64_e32 vcc, v[76:77], v88
	s_mov_b32 s2, 0x54442d18
	v_cndmask_b32_e32 v9, v9, v77, vcc
	v_cndmask_b32_e32 v8, v8, v76, vcc
	s_mov_b32 s3, 0x400921fb
	v_div_scale_f64 v[10:11], s[0:1], v[8:9], v[8:9], s[2:3]
	v_rcp_f64_e32 v[76:77], v[10:11]
	s_mov_b32 s0, 0x95810625
	v_div_fixup_f64 v[6:7], v[6:7], v[4:5], s[14:15]
	s_mov_b32 s1, 0x3fe88b43
	v_fma_f64 v[78:79], -v[10:11], v[76:77], 1.0
	v_fmac_f64_e32 v[76:77], v[76:77], v[78:79]
	v_fma_f64 v[78:79], -v[10:11], v[76:77], 1.0
	v_fmac_f64_e32 v[76:77], v[76:77], v[78:79]
	v_div_scale_f64 v[78:79], vcc, s[2:3], v[8:9], s[2:3]
	v_mul_f64 v[80:81], v[78:79], v[76:77]
	v_fma_f64 v[10:11], -v[10:11], v[80:81], v[78:79]
	v_add_f64 v[6:7], v[6:7], s[0:1]
	s_nop 0
	v_div_fmas_f64 v[10:11], v[10:11], v[76:77], v[80:81]
	v_div_fixup_f64 v[76:77], v[10:11], v[8:9], s[2:3]
	v_frexp_mant_f64_e32 v[8:9], v[6:7]
	v_cmp_gt_f64_e32 vcc, s[30:31], v[8:9]
	v_mov_b32_e32 v74, 0
	v_cndmask_b32_e64 v75, v90, 2.0, vcc
	v_frexp_exp_i32_f64_e32 v10, v[6:7]
	v_mul_f64 v[8:9], v[8:9], v[74:75]
	v_subbrev_co_u32_e32 v75, vcc, 0, v10, vcc
	v_add_f64 v[10:11], v[8:9], 1.0
	v_rcp_f64_e32 v[80:81], v[10:11]
	v_add_f64 v[84:85], v[10:11], -1.0
	v_add_f64 v[82:83], v[8:9], -1.0
	v_add_f64 v[8:9], v[8:9], -v[84:85]
	v_fma_f64 v[84:85], -v[10:11], v[80:81], 1.0
	v_fmac_f64_e32 v[80:81], v[84:85], v[80:81]
	v_fma_f64 v[84:85], -v[10:11], v[80:81], 1.0
	v_fmac_f64_e32 v[80:81], v[84:85], v[80:81]
	v_mul_f64 v[84:85], v[82:83], v[80:81]
	v_mul_f64 v[86:87], v[10:11], v[84:85]
	v_fma_f64 v[10:11], v[84:85], v[10:11], -v[86:87]
	v_fmac_f64_e32 v[10:11], v[84:85], v[8:9]
	v_add_f64 v[8:9], v[86:87], v[10:11]
	v_add_f64 v[116:117], v[82:83], -v[8:9]
	v_add_f64 v[86:87], v[8:9], -v[86:87]
	;; [unrolled: 1-line block ×5, first 2 shown]
	v_add_f64 v[8:9], v[10:11], v[8:9]
	v_add_f64 v[8:9], v[116:117], v[8:9]
	v_mul_f64 v[8:9], v[80:81], v[8:9]
	v_add_f64 v[10:11], v[84:85], v[8:9]
	v_add_f64 v[80:81], v[10:11], -v[84:85]
	v_add_f64 v[8:9], v[8:9], -v[80:81]
	v_mul_f64 v[80:81], v[10:11], v[10:11]
	v_pk_mov_b32 v[82:83], s[34:35], s[34:35] op_sel:[0,1]
	v_fma_f64 v[84:85], s[36:37], v[80:81], v[82:83]
	v_fma_f64 v[84:85], v[80:81], v[84:85], s[38:39]
	;; [unrolled: 1-line block ×5, first 2 shown]
	s_mov_b32 s47, s31
	v_fma_f64 v[84:85], v[80:81], v[84:85], s[46:47]
	v_ldexp_f64 v[86:87], v[10:11], 1
	v_mul_f64 v[10:11], v[10:11], v[80:81]
	v_mul_f64 v[10:11], v[10:11], v[84:85]
	v_add_f64 v[80:81], v[86:87], v[10:11]
	v_add_f64 v[84:85], v[80:81], -v[86:87]
	v_ldexp_f64 v[8:9], v[8:9], 1
	v_add_f64 v[10:11], v[10:11], -v[84:85]
	v_add_f64 v[8:9], v[8:9], v[10:11]
	v_add_f64 v[10:11], v[80:81], v[8:9]
	v_add_f64 v[80:81], v[10:11], -v[80:81]
	v_add_f64 v[8:9], v[8:9], -v[80:81]
	v_cvt_f64_i32_e32 v[80:81], v75
	v_mul_f64 v[84:85], v[80:81], s[48:49]
	v_fma_f64 v[86:87], v[80:81], s[48:49], -v[84:85]
	v_fmac_f64_e32 v[86:87], s[50:51], v[80:81]
	v_add_f64 v[80:81], v[84:85], v[86:87]
	v_add_f64 v[84:85], v[80:81], -v[84:85]
	v_add_f64 v[84:85], v[86:87], -v[84:85]
	v_add_f64 v[86:87], v[80:81], v[10:11]
	v_add_f64 v[116:117], v[86:87], -v[80:81]
	v_add_f64 v[118:119], v[86:87], -v[116:117]
	;; [unrolled: 1-line block ×4, first 2 shown]
	v_add_f64 v[10:11], v[10:11], v[80:81]
	v_add_f64 v[80:81], v[84:85], v[8:9]
	v_add_f64 v[116:117], v[80:81], -v[84:85]
	v_add_f64 v[118:119], v[80:81], -v[116:117]
	v_add_f64 v[10:11], v[80:81], v[10:11]
	v_add_f64 v[84:85], v[84:85], -v[118:119]
	v_add_f64 v[8:9], v[8:9], -v[116:117]
	v_add_f64 v[80:81], v[86:87], v[10:11]
	v_add_f64 v[8:9], v[8:9], v[84:85]
	v_add_f64 v[84:85], v[80:81], -v[86:87]
	v_add_f64 v[10:11], v[10:11], -v[84:85]
	v_add_f64 v[8:9], v[8:9], v[10:11]
	v_add_f64 v[8:9], v[80:81], v[8:9]
	v_cmp_class_f64_e64 vcc, v[6:7], s9
	v_cndmask_b32_e32 v8, v8, v6, vcc
	v_cndmask_b32_e32 v9, v9, v7, vcc
	v_cmp_ngt_f64_e32 vcc, 0, v[6:7]
	v_cndmask_b32_e32 v9, v91, v9, vcc
	v_cmp_nge_f64_e32 vcc, 0, v[6:7]
	v_cndmask_b32_e32 v8, 0, v8, vcc
	v_cmp_neq_f64_e32 vcc, 0, v[6:7]
	v_cndmask_b32_e32 v9, v92, v9, vcc
	v_add_f64 v[6:7], v[8:9], -v[4:5]
	v_frexp_mant_f64_e32 v[8:9], v[76:77]
	v_cmp_gt_f64_e32 vcc, s[30:31], v[8:9]
	v_cndmask_b32_e64 v75, v90, 2.0, vcc
	v_frexp_exp_i32_f64_e32 v10, v[76:77]
	v_mul_f64 v[8:9], v[8:9], v[74:75]
	v_subbrev_co_u32_e32 v75, vcc, 0, v10, vcc
	v_add_f64 v[10:11], v[8:9], 1.0
	v_rcp_f64_e32 v[80:81], v[10:11]
	v_add_f64 v[86:87], v[10:11], -1.0
	v_add_f64 v[84:85], v[8:9], -1.0
	v_add_f64 v[8:9], v[8:9], -v[86:87]
	v_fma_f64 v[86:87], -v[10:11], v[80:81], 1.0
	v_fmac_f64_e32 v[80:81], v[86:87], v[80:81]
	v_fma_f64 v[86:87], -v[10:11], v[80:81], 1.0
	v_fmac_f64_e32 v[80:81], v[86:87], v[80:81]
	v_mul_f64 v[86:87], v[84:85], v[80:81]
	v_mul_f64 v[116:117], v[10:11], v[86:87]
	v_fma_f64 v[10:11], v[86:87], v[10:11], -v[116:117]
	v_fmac_f64_e32 v[10:11], v[86:87], v[8:9]
	v_add_f64 v[8:9], v[116:117], v[10:11]
	v_add_f64 v[118:119], v[84:85], -v[8:9]
	v_add_f64 v[116:117], v[8:9], -v[116:117]
	;; [unrolled: 1-line block ×5, first 2 shown]
	v_add_f64 v[8:9], v[10:11], v[8:9]
	v_add_f64 v[8:9], v[118:119], v[8:9]
	v_mul_f64 v[8:9], v[80:81], v[8:9]
	v_add_f64 v[10:11], v[86:87], v[8:9]
	v_add_f64 v[80:81], v[10:11], -v[86:87]
	v_add_f64 v[8:9], v[8:9], -v[80:81]
	v_mul_f64 v[80:81], v[10:11], v[10:11]
	v_fma_f64 v[84:85], s[36:37], v[80:81], v[82:83]
	v_fma_f64 v[84:85], v[80:81], v[84:85], s[38:39]
	;; [unrolled: 1-line block ×6, first 2 shown]
	v_ldexp_f64 v[86:87], v[10:11], 1
	v_mul_f64 v[10:11], v[10:11], v[80:81]
	v_mul_f64 v[10:11], v[10:11], v[84:85]
	v_add_f64 v[80:81], v[86:87], v[10:11]
	v_add_f64 v[84:85], v[80:81], -v[86:87]
	v_ldexp_f64 v[8:9], v[8:9], 1
	v_add_f64 v[10:11], v[10:11], -v[84:85]
	v_add_f64 v[8:9], v[8:9], v[10:11]
	v_add_f64 v[10:11], v[80:81], v[8:9]
	v_add_f64 v[80:81], v[10:11], -v[80:81]
	v_add_f64 v[8:9], v[8:9], -v[80:81]
	v_cvt_f64_i32_e32 v[80:81], v75
	v_mul_f64 v[84:85], v[80:81], s[48:49]
	v_fma_f64 v[86:87], v[80:81], s[48:49], -v[84:85]
	v_fmac_f64_e32 v[86:87], s[50:51], v[80:81]
	v_add_f64 v[80:81], v[84:85], v[86:87]
	v_add_f64 v[84:85], v[80:81], -v[84:85]
	v_add_f64 v[84:85], v[86:87], -v[84:85]
	v_add_f64 v[86:87], v[80:81], v[10:11]
	v_add_f64 v[116:117], v[86:87], -v[80:81]
	v_add_f64 v[118:119], v[86:87], -v[116:117]
	;; [unrolled: 1-line block ×4, first 2 shown]
	v_add_f64 v[10:11], v[10:11], v[80:81]
	v_add_f64 v[80:81], v[84:85], v[8:9]
	v_add_f64 v[116:117], v[80:81], -v[84:85]
	v_add_f64 v[118:119], v[80:81], -v[116:117]
	v_add_f64 v[10:11], v[80:81], v[10:11]
	v_add_f64 v[84:85], v[84:85], -v[118:119]
	v_add_f64 v[8:9], v[8:9], -v[116:117]
	v_add_f64 v[80:81], v[86:87], v[10:11]
	v_add_f64 v[8:9], v[8:9], v[84:85]
	v_add_f64 v[84:85], v[80:81], -v[86:87]
	v_add_f64 v[10:11], v[10:11], -v[84:85]
	s_mov_b32 s0, 0
	v_add_f64 v[8:9], v[8:9], v[10:11]
	s_mov_b32 s1, 0x7ff00000
	v_add_f64 v[8:9], v[80:81], v[8:9]
	v_cmp_eq_f64_e32 vcc, s[0:1], v[76:77]
	v_cndmask_b32_e32 v8, v8, v76, vcc
	v_cndmask_b32_e32 v9, v9, v77, vcc
	v_cmp_neq_f64_e32 vcc, 0, v[76:77]
	v_cndmask_b32_e32 v9, v92, v9, vcc
	v_cndmask_b32_e32 v8, 0, v8, vcc
	v_mul_f64 v[78:79], v[76:77], v[4:5]
	v_add_f64 v[80:81], v[6:7], -v[8:9]
	v_frexp_exp_i32_f64_e32 v6, v[4:5]
	v_frexp_mant_f64_e32 v[4:5], v[4:5]
	v_cmp_gt_f64_e32 vcc, s[30:31], v[4:5]
	v_cndmask_b32_e64 v75, v90, 2.0, vcc
	v_mul_f64 v[4:5], v[4:5], v[74:75]
	v_subbrev_co_u32_e32 v75, vcc, 0, v6, vcc
	v_add_f64 v[6:7], v[4:5], 1.0
	v_rcp_f64_e32 v[8:9], v[6:7]
	v_add_f64 v[84:85], v[6:7], -1.0
	v_add_f64 v[10:11], v[4:5], -1.0
	v_add_f64 v[4:5], v[4:5], -v[84:85]
	v_fma_f64 v[84:85], -v[6:7], v[8:9], 1.0
	v_fmac_f64_e32 v[8:9], v[84:85], v[8:9]
	v_fma_f64 v[84:85], -v[6:7], v[8:9], 1.0
	v_fmac_f64_e32 v[8:9], v[84:85], v[8:9]
	v_mul_f64 v[84:85], v[10:11], v[8:9]
	v_mul_f64 v[86:87], v[6:7], v[84:85]
	v_fma_f64 v[6:7], v[84:85], v[6:7], -v[86:87]
	v_fmac_f64_e32 v[6:7], v[84:85], v[4:5]
	v_add_f64 v[4:5], v[86:87], v[6:7]
	v_add_f64 v[116:117], v[10:11], -v[4:5]
	v_add_f64 v[86:87], v[4:5], -v[86:87]
	;; [unrolled: 1-line block ×5, first 2 shown]
	v_add_f64 v[4:5], v[6:7], v[4:5]
	v_add_f64 v[4:5], v[116:117], v[4:5]
	v_mul_f64 v[4:5], v[8:9], v[4:5]
	v_add_f64 v[6:7], v[84:85], v[4:5]
	v_add_f64 v[8:9], v[6:7], -v[84:85]
	v_add_f64 v[4:5], v[4:5], -v[8:9]
	v_mul_f64 v[8:9], v[6:7], v[6:7]
	v_fmac_f64_e32 v[82:83], s[36:37], v[8:9]
	v_fma_f64 v[10:11], v[8:9], v[82:83], s[38:39]
	v_fma_f64 v[10:11], v[8:9], v[10:11], s[40:41]
	;; [unrolled: 1-line block ×5, first 2 shown]
	v_ldexp_f64 v[82:83], v[6:7], 1
	v_mul_f64 v[6:7], v[6:7], v[8:9]
	v_mul_f64 v[6:7], v[6:7], v[10:11]
	v_add_f64 v[8:9], v[82:83], v[6:7]
	v_add_f64 v[10:11], v[8:9], -v[82:83]
	v_ldexp_f64 v[4:5], v[4:5], 1
	v_add_f64 v[6:7], v[6:7], -v[10:11]
	v_add_f64 v[4:5], v[4:5], v[6:7]
	v_add_f64 v[6:7], v[8:9], v[4:5]
	v_add_f64 v[8:9], v[6:7], -v[8:9]
	v_add_f64 v[4:5], v[4:5], -v[8:9]
	v_cvt_f64_i32_e32 v[8:9], v75
	v_mul_f64 v[10:11], v[8:9], s[48:49]
	v_fma_f64 v[82:83], v[8:9], s[48:49], -v[10:11]
	v_fmac_f64_e32 v[82:83], s[50:51], v[8:9]
	v_add_f64 v[8:9], v[10:11], v[82:83]
	v_add_f64 v[10:11], v[8:9], -v[10:11]
	v_add_f64 v[10:11], v[82:83], -v[10:11]
	v_add_f64 v[82:83], v[8:9], v[6:7]
	v_add_f64 v[84:85], v[82:83], -v[8:9]
	v_add_f64 v[86:87], v[82:83], -v[84:85]
	;; [unrolled: 1-line block ×4, first 2 shown]
	v_add_f64 v[6:7], v[6:7], v[8:9]
	v_add_f64 v[8:9], v[10:11], v[4:5]
	v_add_f64 v[84:85], v[8:9], -v[10:11]
	v_add_f64 v[86:87], v[8:9], -v[84:85]
	v_add_f64 v[6:7], v[8:9], v[6:7]
	v_add_f64 v[10:11], v[10:11], -v[86:87]
	v_add_f64 v[4:5], v[4:5], -v[84:85]
	v_add_f64 v[8:9], v[82:83], v[6:7]
	v_add_f64 v[4:5], v[4:5], v[10:11]
	v_add_f64 v[10:11], v[8:9], -v[82:83]
	v_add_f64 v[6:7], v[6:7], -v[10:11]
	v_add_f64 v[4:5], v[4:5], v[6:7]
	v_add_f64 v[82:83], v[8:9], v[4:5]
	s_mov_b64 s[14:15], 0
	s_mov_b64 s[16:17], 0
	v_mov_b32_e32 v115, v17
                                        ; implicit-def: $vgpr75
.LBB81_16:                              ;   Parent Loop BB81_5 Depth=1
                                        ; =>  This Inner Loop Header: Depth=2
	v_add_u32_e32 v116, 1, v15
	v_pk_mov_b32 v[10:11], v[2:3], v[2:3] op_sel:[0,1]
	v_cmp_eq_u32_e32 vcc, 4, v116
	v_pk_mov_b32 v[8:9], v[0:1], v[0:1] op_sel:[0,1]
	v_mov_b32_e32 v87, v0
	v_mov_b32_e32 v86, v1
	;; [unrolled: 1-line block ×4, first 2 shown]
	s_and_saveexec_b64 s[0:1], vcc
	s_cbranch_execz .LBB81_18
; %bb.17:                               ;   in Loop: Header=BB81_16 Depth=2
	v_add_co_u32_e32 v96, vcc, 1, v96
	v_cndmask_b32_e64 v4, 0, 1, vcc
	v_addc_co_u32_e32 v97, vcc, 0, v97, vcc
	v_cmp_eq_u32_e32 vcc, 0, v97
	v_cndmask_b32_e32 v4, 0, v4, vcc
	v_add_u32_e32 v115, v4, v115
	v_cmp_eq_u32_e32 vcc, 0, v115
	v_cndmask_b32_e32 v4, 0, v4, vcc
	v_add_u32_e32 v74, v4, v74
	v_mad_u64_u32 v[4:5], s[2:3], v96, s11, 0
	v_mad_u64_u32 v[6:7], s[2:3], v115, s8, 0
	v_xor_b32_e32 v5, v5, v73
	v_xor_b32_e32 v7, v7, v72
	v_xor_b32_e32 v5, v74, v5
	v_xor_b32_e32 v7, v97, v7
	v_mad_u64_u32 v[10:11], s[2:3], v5, s8, 0
	v_mad_u64_u32 v[8:9], s[2:3], v7, s11, 0
	v_xor_b32_e32 v5, v98, v11
	v_xor_b32_e32 v5, v5, v6
	v_xor_b32_e32 v6, v99, v9
	v_xor_b32_e32 v6, v6, v4
	;; [unrolled: 6-line block ×10, first 2 shown]
	v_mov_b32_e32 v116, 0
	v_mov_b32_e32 v9, v86
	;; [unrolled: 1-line block ×5, first 2 shown]
.LBB81_18:                              ;   in Loop: Header=BB81_16 Depth=2
	s_or_b64 exec, exec, s[0:1]
	v_add_u32_e32 v117, 1, v116
	v_pk_mov_b32 v[4:5], v[8:9], v[8:9] op_sel:[0,1]
	v_cmp_eq_u32_e32 vcc, 4, v117
	v_pk_mov_b32 v[6:7], v[10:11], v[10:11] op_sel:[0,1]
	s_and_saveexec_b64 s[0:1], vcc
	s_cbranch_execz .LBB81_20
; %bb.19:                               ;   in Loop: Header=BB81_16 Depth=2
	v_add_co_u32_e32 v96, vcc, 1, v96
	v_cndmask_b32_e64 v4, 0, 1, vcc
	v_addc_co_u32_e32 v97, vcc, 0, v97, vcc
	v_cmp_eq_u32_e32 vcc, 0, v97
	v_cndmask_b32_e32 v4, 0, v4, vcc
	v_add_u32_e32 v115, v4, v115
	v_cmp_eq_u32_e32 vcc, 0, v115
	v_cndmask_b32_e32 v4, 0, v4, vcc
	v_add_u32_e32 v74, v4, v74
	v_mad_u64_u32 v[4:5], s[2:3], v96, s11, 0
	v_mad_u64_u32 v[6:7], s[2:3], v115, s8, 0
	v_xor_b32_e32 v5, v5, v73
	v_xor_b32_e32 v7, v7, v72
	v_xor_b32_e32 v5, v74, v5
	v_xor_b32_e32 v7, v97, v7
	v_mad_u64_u32 v[86:87], s[2:3], v5, s8, 0
	v_mad_u64_u32 v[84:85], s[2:3], v7, s11, 0
	v_xor_b32_e32 v5, v98, v87
	v_xor_b32_e32 v5, v5, v6
	v_xor_b32_e32 v6, v99, v85
	v_xor_b32_e32 v6, v6, v4
	v_mad_u64_u32 v[4:5], s[2:3], v5, s11, 0
	v_mad_u64_u32 v[6:7], s[2:3], v6, s8, 0
	v_xor_b32_e32 v5, v101, v5
	v_xor_b32_e32 v7, v100, v7
	v_xor_b32_e32 v5, v5, v84
	v_xor_b32_e32 v7, v7, v86
	v_mad_u64_u32 v[86:87], s[2:3], v5, s8, 0
	v_mad_u64_u32 v[84:85], s[2:3], v7, s11, 0
	v_xor_b32_e32 v5, v103, v87
	v_xor_b32_e32 v5, v5, v6
	v_xor_b32_e32 v6, v105, v85
	v_xor_b32_e32 v6, v6, v4
	v_mad_u64_u32 v[4:5], s[2:3], v5, s11, 0
	v_mad_u64_u32 v[6:7], s[2:3], v6, s8, 0
	v_xor_b32_e32 v5, v107, v5
	v_xor_b32_e32 v7, v106, v7
	v_xor_b32_e32 v5, v5, v84
	v_xor_b32_e32 v7, v7, v86
	v_mad_u64_u32 v[86:87], s[2:3], v5, s8, 0
	v_mad_u64_u32 v[84:85], s[2:3], v7, s11, 0
	v_xor_b32_e32 v5, v108, v87
	v_xor_b32_e32 v5, v5, v6
	v_xor_b32_e32 v6, v109, v85
	v_xor_b32_e32 v6, v6, v4
	v_mad_u64_u32 v[4:5], s[2:3], v5, s11, 0
	v_mad_u64_u32 v[6:7], s[2:3], v6, s8, 0
	v_xor_b32_e32 v5, v111, v5
	v_xor_b32_e32 v7, v110, v7
	v_xor_b32_e32 v5, v5, v84
	v_xor_b32_e32 v7, v7, v86
	v_mad_u64_u32 v[86:87], s[2:3], v5, s8, 0
	v_mad_u64_u32 v[84:85], s[2:3], v7, s11, 0
	v_xor_b32_e32 v5, v112, v87
	v_xor_b32_e32 v5, v5, v6
	v_xor_b32_e32 v6, v113, v85
	v_xor_b32_e32 v4, v6, v4
	v_mad_u64_u32 v[6:7], s[2:3], v5, s11, 0
	v_mad_u64_u32 v[4:5], s[2:3], v4, s8, 0
	v_xor_b32_e32 v5, v102, v5
	v_xor_b32_e32 v7, v114, v7
	v_xor_b32_e32 v5, v5, v86
	v_xor_b32_e32 v7, v7, v84
	v_mad_u64_u32 v[84:85], s[2:3], v5, s11, 0
	v_mad_u64_u32 v[86:87], s[2:3], v7, s8, 0
	v_xor_b32_e32 v4, v87, v4
	v_xor_b32_e32 v5, v85, v6
	v_xor_b32_e32 v4, v104, v4
	v_xor_b32_e32 v6, v95, v5
	v_mov_b32_e32 v117, 0
	v_mov_b32_e32 v5, v86
	v_mov_b32_e32 v7, v84
	v_mov_b32_e32 v87, v4
	v_mov_b32_e32 v85, v6
.LBB81_20:                              ;   in Loop: Header=BB81_16 Depth=2
	s_or_b64 exec, exec, s[0:1]
	v_cmp_eq_u32_e32 vcc, 1, v15
	v_cndmask_b32_e32 v0, v0, v1, vcc
	v_cmp_eq_u32_e32 vcc, 2, v15
	v_cndmask_b32_e32 v0, v0, v2, vcc
	;; [unrolled: 2-line block ×6, first 2 shown]
	v_lshrrev_b32_e32 v0, 11, v0
	v_cvt_f64_u32_e32 v[0:1], v0
	v_ldexp_f64 v[0:1], v[0:1], 32
	v_cvt_f64_u32_e32 v[2:3], v2
	v_add_f64 v[0:1], v[0:1], v[2:3]
	v_mov_b32_e32 v2, 0
	v_mov_b32_e32 v3, 0x3ca00000
	v_fmac_f64_e32 v[2:3], 0x3ca00000, v[0:1]
	v_add_f64 v[0:1], -v[2:3], 1.0
	v_div_scale_f64 v[8:9], s[0:1], v[2:3], v[2:3], v[0:1]
	v_rcp_f64_e32 v[10:11], v[8:9]
	v_fma_f64 v[118:119], -v[8:9], v[10:11], 1.0
	v_fmac_f64_e32 v[10:11], v[10:11], v[118:119]
	v_fma_f64 v[118:119], -v[8:9], v[10:11], 1.0
	v_fmac_f64_e32 v[10:11], v[10:11], v[118:119]
	v_div_scale_f64 v[118:119], vcc, v[0:1], v[2:3], v[0:1]
	v_mul_f64 v[120:121], v[118:119], v[10:11]
	v_fma_f64 v[8:9], -v[8:9], v[120:121], v[118:119]
	s_nop 1
	v_div_fmas_f64 v[8:9], v[8:9], v[10:11], v[120:121]
	v_div_fixup_f64 v[0:1], v[8:9], v[2:3], v[0:1]
	v_frexp_mant_f64_e32 v[2:3], v[0:1]
	v_cmp_gt_f64_e32 vcc, s[30:31], v[2:3]
	v_cndmask_b32_e64 v15, v90, 2.0, vcc
	v_frexp_exp_i32_f64_e32 v8, v[0:1]
	v_mul_f64 v[2:3], v[2:3], v[14:15]
	v_subbrev_co_u32_e32 v15, vcc, 0, v8, vcc
	v_add_f64 v[8:9], v[2:3], 1.0
	v_rcp_f64_e32 v[10:11], v[8:9]
	v_add_f64 v[120:121], v[8:9], -1.0
	v_add_f64 v[118:119], v[2:3], -1.0
	v_add_f64 v[2:3], v[2:3], -v[120:121]
	v_fma_f64 v[120:121], -v[8:9], v[10:11], 1.0
	v_fmac_f64_e32 v[10:11], v[120:121], v[10:11]
	v_fma_f64 v[120:121], -v[8:9], v[10:11], 1.0
	v_fmac_f64_e32 v[10:11], v[120:121], v[10:11]
	v_mul_f64 v[120:121], v[118:119], v[10:11]
	v_mul_f64 v[122:123], v[8:9], v[120:121]
	v_fma_f64 v[8:9], v[120:121], v[8:9], -v[122:123]
	v_fmac_f64_e32 v[8:9], v[120:121], v[2:3]
	v_add_f64 v[2:3], v[122:123], v[8:9]
	v_add_f64 v[124:125], v[118:119], -v[2:3]
	v_add_f64 v[122:123], v[2:3], -v[122:123]
	;; [unrolled: 1-line block ×5, first 2 shown]
	v_add_f64 v[2:3], v[8:9], v[2:3]
	v_add_f64 v[2:3], v[124:125], v[2:3]
	v_mul_f64 v[2:3], v[10:11], v[2:3]
	v_add_f64 v[8:9], v[120:121], v[2:3]
	v_add_f64 v[10:11], v[8:9], -v[120:121]
	v_add_f64 v[2:3], v[2:3], -v[10:11]
	v_mul_f64 v[10:11], v[8:9], v[8:9]
	v_pk_mov_b32 v[118:119], v[18:19], v[18:19] op_sel:[0,1]
	v_fmac_f64_e32 v[118:119], s[36:37], v[10:11]
	v_pk_mov_b32 v[120:121], v[20:21], v[20:21] op_sel:[0,1]
	v_fmac_f64_e32 v[120:121], v[10:11], v[118:119]
	;; [unrolled: 2-line block ×6, first 2 shown]
	v_ldexp_f64 v[118:119], v[8:9], 1
	v_mul_f64 v[8:9], v[8:9], v[10:11]
	v_mul_f64 v[8:9], v[8:9], v[120:121]
	v_add_f64 v[10:11], v[118:119], v[8:9]
	v_add_f64 v[118:119], v[10:11], -v[118:119]
	v_ldexp_f64 v[2:3], v[2:3], 1
	v_add_f64 v[8:9], v[8:9], -v[118:119]
	v_add_f64 v[2:3], v[2:3], v[8:9]
	v_add_f64 v[8:9], v[10:11], v[2:3]
	v_add_f64 v[10:11], v[8:9], -v[10:11]
	v_add_f64 v[2:3], v[2:3], -v[10:11]
	v_cvt_f64_i32_e32 v[10:11], v15
	v_mul_f64 v[118:119], v[10:11], s[48:49]
	v_fma_f64 v[120:121], v[10:11], s[48:49], -v[118:119]
	v_fmac_f64_e32 v[120:121], s[50:51], v[10:11]
	v_add_f64 v[10:11], v[118:119], v[120:121]
	v_add_f64 v[118:119], v[10:11], -v[118:119]
	v_add_f64 v[118:119], v[120:121], -v[118:119]
	v_add_f64 v[120:121], v[10:11], v[8:9]
	v_add_f64 v[122:123], v[120:121], -v[10:11]
	v_add_f64 v[124:125], v[120:121], -v[122:123]
	;; [unrolled: 1-line block ×4, first 2 shown]
	v_add_f64 v[8:9], v[8:9], v[10:11]
	v_add_f64 v[10:11], v[118:119], v[2:3]
	v_add_f64 v[122:123], v[10:11], -v[118:119]
	v_add_f64 v[124:125], v[10:11], -v[122:123]
	v_add_f64 v[8:9], v[10:11], v[8:9]
	v_add_f64 v[118:119], v[118:119], -v[124:125]
	v_add_f64 v[2:3], v[2:3], -v[122:123]
	v_add_f64 v[10:11], v[120:121], v[8:9]
	v_add_f64 v[2:3], v[2:3], v[118:119]
	v_add_f64 v[118:119], v[10:11], -v[120:121]
	v_add_f64 v[8:9], v[8:9], -v[118:119]
	v_add_f64 v[2:3], v[2:3], v[8:9]
	v_add_f64 v[2:3], v[10:11], v[2:3]
	v_cmp_class_f64_e64 vcc, v[0:1], s9
	v_cndmask_b32_e32 v2, v2, v0, vcc
	v_cndmask_b32_e32 v3, v3, v1, vcc
	v_cmp_ngt_f64_e32 vcc, 0, v[0:1]
	v_cndmask_b32_e32 v3, v91, v3, vcc
	v_cmp_nge_f64_e32 vcc, 0, v[0:1]
	v_cndmask_b32_e32 v2, 0, v2, vcc
	v_cmp_neq_f64_e32 vcc, 0, v[0:1]
	v_cndmask_b32_e32 v3, v92, v3, vcc
	v_add_f64 v[0:1], v[78:79], -v[2:3]
	v_div_scale_f64 v[2:3], s[0:1], v[76:77], v[76:77], v[0:1]
	v_rcp_f64_e32 v[8:9], v[2:3]
	v_fma_f64 v[10:11], -v[2:3], v[8:9], 1.0
	v_fmac_f64_e32 v[8:9], v[8:9], v[10:11]
	v_fma_f64 v[10:11], -v[2:3], v[8:9], 1.0
	v_fmac_f64_e32 v[8:9], v[8:9], v[10:11]
	v_div_scale_f64 v[10:11], vcc, v[0:1], v[76:77], v[0:1]
	v_mul_f64 v[118:119], v[10:11], v[8:9]
	v_fma_f64 v[2:3], -v[2:3], v[118:119], v[10:11]
	s_nop 1
	v_div_fmas_f64 v[2:3], v[2:3], v[8:9], v[118:119]
	v_div_fixup_f64 v[10:11], v[2:3], v[76:77], v[0:1]
	v_add_f64 v[0:1], v[10:11], 0.5
	v_floor_f64_e32 v[8:9], v[0:1]
	v_cmp_ngt_f64_e32 vcc, 0, v[8:9]
	v_mov_b32_e32 v118, 2
	s_and_saveexec_b64 s[0:1], vcc
	s_cbranch_execz .LBB81_26
; %bb.21:                               ;   in Loop: Header=BB81_16 Depth=2
	v_add_u32_e32 v15, 1, v117
	v_pk_mov_b32 v[0:1], v[4:5], v[4:5] op_sel:[0,1]
	v_cmp_eq_u32_e32 vcc, 4, v15
	v_pk_mov_b32 v[2:3], v[6:7], v[6:7] op_sel:[0,1]
	s_and_saveexec_b64 s[2:3], vcc
	s_cbranch_execz .LBB81_23
; %bb.22:                               ;   in Loop: Header=BB81_16 Depth=2
	v_add_co_u32_e32 v96, vcc, 1, v96
	v_cndmask_b32_e64 v0, 0, 1, vcc
	v_addc_co_u32_e32 v97, vcc, 0, v97, vcc
	v_cmp_eq_u32_e32 vcc, 0, v97
	v_cndmask_b32_e32 v0, 0, v0, vcc
	v_add_u32_e32 v115, v0, v115
	v_cmp_eq_u32_e32 vcc, 0, v115
	v_cndmask_b32_e32 v0, 0, v0, vcc
	v_add_u32_e32 v74, v0, v74
	v_mad_u64_u32 v[0:1], vcc, v96, s11, 0
	v_mad_u64_u32 v[2:3], vcc, v115, s8, 0
	v_xor_b32_e32 v1, v1, v73
	v_xor_b32_e32 v3, v3, v72
	v_xor_b32_e32 v1, v74, v1
	v_xor_b32_e32 v3, v97, v3
	v_mad_u64_u32 v[86:87], vcc, v1, s8, 0
	v_mad_u64_u32 v[84:85], vcc, v3, s11, 0
	v_xor_b32_e32 v1, v98, v87
	v_xor_b32_e32 v1, v1, v2
	v_xor_b32_e32 v2, v99, v85
	v_xor_b32_e32 v2, v2, v0
	;; [unrolled: 6-line block ×10, first 2 shown]
	v_mov_b32_e32 v15, 0
	v_mov_b32_e32 v1, v86
	;; [unrolled: 1-line block ×5, first 2 shown]
.LBB81_23:                              ;   in Loop: Header=BB81_16 Depth=2
	s_or_b64 exec, exec, s[2:3]
	v_add_u32_e32 v116, 1, v15
	v_cmp_eq_u32_e32 vcc, 4, v116
	s_and_saveexec_b64 s[2:3], vcc
	s_cbranch_execz .LBB81_25
; %bb.24:                               ;   in Loop: Header=BB81_16 Depth=2
	v_add_co_u32_e32 v96, vcc, 1, v96
	v_cndmask_b32_e64 v84, 0, 1, vcc
	v_addc_co_u32_e32 v97, vcc, 0, v97, vcc
	v_cmp_eq_u32_e32 vcc, 0, v97
	v_cndmask_b32_e32 v84, 0, v84, vcc
	v_add_u32_e32 v115, v84, v115
	v_cmp_eq_u32_e32 vcc, 0, v115
	v_cndmask_b32_e32 v84, 0, v84, vcc
	v_add_u32_e32 v74, v84, v74
	v_mad_u64_u32 v[84:85], vcc, v96, s11, 0
	v_mad_u64_u32 v[86:87], vcc, v115, s8, 0
	v_xor_b32_e32 v85, v85, v73
	v_xor_b32_e32 v87, v87, v72
	v_xor_b32_e32 v85, v74, v85
	v_xor_b32_e32 v87, v97, v87
	v_mad_u64_u32 v[120:121], vcc, v85, s8, 0
	v_mad_u64_u32 v[118:119], vcc, v87, s11, 0
	v_xor_b32_e32 v85, v98, v121
	v_xor_b32_e32 v85, v85, v86
	v_xor_b32_e32 v86, v99, v119
	v_xor_b32_e32 v86, v86, v84
	;; [unrolled: 6-line block ×9, first 2 shown]
	v_mad_u64_u32 v[84:85], vcc, v84, s11, 0
	v_mad_u64_u32 v[86:87], vcc, v86, s8, 0
	v_xor_b32_e32 v87, v87, v124
	v_xor_b32_e32 v85, v85, v122
	v_mov_b32_e32 v116, 0
	v_xor_b32_e32 v87, v104, v87
	v_xor_b32_e32 v85, v95, v85
.LBB81_25:                              ;   in Loop: Header=BB81_16 Depth=2
	s_or_b64 exec, exec, s[2:3]
	v_cmp_eq_u32_e32 vcc, 1, v117
	v_cndmask_b32_e32 v4, v4, v5, vcc
	v_cmp_eq_u32_e32 vcc, 2, v117
	v_cndmask_b32_e32 v4, v4, v6, vcc
	;; [unrolled: 2-line block ×6, first 2 shown]
	v_lshrrev_b32_e32 v0, 11, v0
	v_cvt_f64_u32_e32 v[0:1], v0
	v_ldexp_f64 v[0:1], v[0:1], 32
	v_cvt_f64_u32_e32 v[2:3], v4
	v_add_f64 v[0:1], v[0:1], v[2:3]
	v_mov_b32_e32 v2, 0
	v_mov_b32_e32 v3, 0x3ca00000
	v_fma_f64 v[4:5], -v[76:77], v[10:11], v[78:79]
	v_fmac_f64_e32 v[2:3], 0x3ca00000, v[0:1]
	v_mul_f64 v[0:1], v[4:5], s[54:55]
	v_rndne_f64_e32 v[0:1], v[0:1]
	s_mov_b32 s56, s48
	v_fma_f64 v[6:7], s[56:57], v[0:1], v[4:5]
	s_mov_b32 s58, s50
	v_fmac_f64_e32 v[6:7], s[58:59], v[0:1]
	v_pk_mov_b32 v[10:11], v[30:31], v[30:31] op_sel:[0,1]
	v_fmac_f64_e32 v[10:11], s[60:61], v[6:7]
	v_pk_mov_b32 v[118:119], v[32:33], v[32:33] op_sel:[0,1]
	;; [unrolled: 2-line block ×9, first 2 shown]
	v_fmac_f64_e32 v[10:11], v[6:7], v[118:119]
	v_fma_f64 v[10:11], v[6:7], v[10:11], 1.0
	v_fma_f64 v[6:7], v[6:7], v[10:11], 1.0
	v_cvt_i32_f64_e32 v0, v[0:1]
	v_ldexp_f64 v[0:1], v[6:7], v0
	v_add_f64 v[0:1], v[0:1], 1.0
	v_cmp_nlt_f64_e32 vcc, s[62:63], v[4:5]
	v_cmp_ngt_f64_e64 s[2:3], s[66:67], v[4:5]
	v_cndmask_b32_e32 v1, v93, v1, vcc
	s_and_b64 vcc, s[2:3], vcc
	v_cndmask_b32_e64 v1, v90, v1, s[2:3]
	v_cndmask_b32_e32 v0, 0, v0, vcc
	v_mul_f64 v[0:1], v[0:1], v[0:1]
	v_div_scale_f64 v[6:7], s[2:3], v[0:1], v[0:1], v[2:3]
	v_rcp_f64_e32 v[10:11], v[6:7]
	s_mov_b32 s47, s31
	v_fma_f64 v[118:119], -v[6:7], v[10:11], 1.0
	v_fmac_f64_e32 v[10:11], v[10:11], v[118:119]
	v_fma_f64 v[118:119], -v[6:7], v[10:11], 1.0
	v_fmac_f64_e32 v[10:11], v[10:11], v[118:119]
	v_div_scale_f64 v[118:119], vcc, v[2:3], v[0:1], v[2:3]
	v_mul_f64 v[120:121], v[118:119], v[10:11]
	v_fma_f64 v[6:7], -v[6:7], v[120:121], v[118:119]
	s_nop 1
	v_div_fmas_f64 v[6:7], v[6:7], v[10:11], v[120:121]
	v_div_fixup_f64 v[2:3], v[6:7], v[0:1], v[2:3]
	v_frexp_mant_f64_e32 v[0:1], v[2:3]
	v_cmp_gt_f64_e32 vcc, s[30:31], v[0:1]
	v_cndmask_b32_e64 v15, v90, 2.0, vcc
	v_frexp_exp_i32_f64_e32 v6, v[2:3]
	v_mul_f64 v[0:1], v[0:1], v[14:15]
	v_subbrev_co_u32_e32 v15, vcc, 0, v6, vcc
	v_add_f64 v[6:7], v[0:1], 1.0
	v_rcp_f64_e32 v[10:11], v[6:7]
	v_add_f64 v[120:121], v[6:7], -1.0
	v_add_f64 v[118:119], v[0:1], -1.0
	v_add_f64 v[0:1], v[0:1], -v[120:121]
	v_fma_f64 v[120:121], -v[6:7], v[10:11], 1.0
	v_fmac_f64_e32 v[10:11], v[120:121], v[10:11]
	v_fma_f64 v[120:121], -v[6:7], v[10:11], 1.0
	v_fmac_f64_e32 v[10:11], v[120:121], v[10:11]
	v_mul_f64 v[120:121], v[118:119], v[10:11]
	v_mul_f64 v[122:123], v[6:7], v[120:121]
	v_fma_f64 v[6:7], v[120:121], v[6:7], -v[122:123]
	v_fmac_f64_e32 v[6:7], v[120:121], v[0:1]
	v_add_f64 v[0:1], v[122:123], v[6:7]
	v_add_f64 v[124:125], v[118:119], -v[0:1]
	v_add_f64 v[122:123], v[0:1], -v[122:123]
	;; [unrolled: 1-line block ×5, first 2 shown]
	v_add_f64 v[0:1], v[6:7], v[0:1]
	v_add_f64 v[0:1], v[124:125], v[0:1]
	v_mul_f64 v[0:1], v[10:11], v[0:1]
	v_add_f64 v[6:7], v[120:121], v[0:1]
	v_add_f64 v[10:11], v[6:7], -v[120:121]
	v_add_f64 v[10:11], v[0:1], -v[10:11]
	v_mul_f64 v[118:119], v[6:7], v[6:7]
	v_pk_mov_b32 v[0:1], s[34:35], s[34:35] op_sel:[0,1]
	v_fma_f64 v[120:121], s[36:37], v[118:119], v[0:1]
	v_fma_f64 v[120:121], v[118:119], v[120:121], s[38:39]
	v_fma_f64 v[120:121], v[118:119], v[120:121], s[40:41]
	v_fma_f64 v[120:121], v[118:119], v[120:121], s[42:43]
	v_fma_f64 v[120:121], v[118:119], v[120:121], s[44:45]
	v_fma_f64 v[120:121], v[118:119], v[120:121], s[46:47]
	v_ldexp_f64 v[122:123], v[6:7], 1
	v_mul_f64 v[6:7], v[6:7], v[118:119]
	v_mul_f64 v[6:7], v[6:7], v[120:121]
	v_add_f64 v[118:119], v[122:123], v[6:7]
	v_add_f64 v[120:121], v[118:119], -v[122:123]
	v_ldexp_f64 v[10:11], v[10:11], 1
	v_add_f64 v[6:7], v[6:7], -v[120:121]
	v_add_f64 v[6:7], v[10:11], v[6:7]
	v_add_f64 v[10:11], v[118:119], v[6:7]
	v_add_f64 v[118:119], v[10:11], -v[118:119]
	v_add_f64 v[6:7], v[6:7], -v[118:119]
	v_cvt_f64_i32_e32 v[118:119], v15
	v_mul_f64 v[120:121], v[118:119], s[48:49]
	v_fma_f64 v[122:123], v[118:119], s[48:49], -v[120:121]
	v_fmac_f64_e32 v[122:123], s[50:51], v[118:119]
	v_add_f64 v[118:119], v[120:121], v[122:123]
	v_add_f64 v[120:121], v[118:119], -v[120:121]
	v_add_f64 v[120:121], v[122:123], -v[120:121]
	v_add_f64 v[122:123], v[118:119], v[10:11]
	v_add_f64 v[124:125], v[122:123], -v[118:119]
	v_add_f64 v[126:127], v[122:123], -v[124:125]
	;; [unrolled: 1-line block ×4, first 2 shown]
	v_add_f64 v[10:11], v[10:11], v[118:119]
	v_add_f64 v[118:119], v[120:121], v[6:7]
	v_add_f64 v[124:125], v[118:119], -v[120:121]
	v_add_f64 v[126:127], v[118:119], -v[124:125]
	v_add_f64 v[10:11], v[118:119], v[10:11]
	v_add_f64 v[120:121], v[120:121], -v[126:127]
	v_add_f64 v[6:7], v[6:7], -v[124:125]
	v_add_f64 v[118:119], v[122:123], v[10:11]
	v_add_f64 v[6:7], v[6:7], v[120:121]
	v_add_f64 v[120:121], v[118:119], -v[122:123]
	v_add_f64 v[10:11], v[10:11], -v[120:121]
	v_add_f64 v[6:7], v[6:7], v[10:11]
	v_add_f64 v[6:7], v[118:119], v[6:7]
	v_cmp_class_f64_e64 vcc, v[2:3], s9
	v_cndmask_b32_e32 v15, v6, v2, vcc
	v_cndmask_b32_e32 v6, v7, v3, vcc
	v_cmp_neq_f64_e32 vcc, 0, v[2:3]
	v_cndmask_b32_e32 v3, v92, v6, vcc
	v_add_f64 v[6:7], v[8:9], 1.0
	v_add_f64 v[6:7], v[6:7], -1.0
	v_add_f64 v[118:119], v[6:7], s[68:69]
	v_div_scale_f64 v[10:11], s[2:3], v[118:119], v[118:119], s[70:71]
	v_rcp_f64_e32 v[120:121], v[10:11]
	v_cndmask_b32_e32 v2, 0, v15, vcc
	v_add_f64 v[2:3], v[4:5], v[2:3]
	v_fma_f64 v[4:5], v[82:83], v[8:9], v[80:81]
	v_fma_f64 v[122:123], -v[10:11], v[120:121], 1.0
	v_fmac_f64_e32 v[120:121], v[120:121], v[122:123]
	v_fma_f64 v[122:123], -v[10:11], v[120:121], 1.0
	v_fmac_f64_e32 v[120:121], v[120:121], v[122:123]
	v_div_scale_f64 v[122:123], vcc, s[70:71], v[118:119], s[70:71]
	v_mul_f64 v[124:125], v[122:123], v[120:121]
	v_fma_f64 v[122:123], -v[10:11], v[124:125], v[122:123]
	v_add_f64 v[10:11], v[6:7], s[72:73]
	v_div_scale_f64 v[126:127], s[2:3], v[10:11], v[10:11], s[74:75]
	v_rcp_f64_e32 v[128:129], v[126:127]
	v_div_fmas_f64 v[120:121], v[122:123], v[120:121], v[124:125]
	v_div_fixup_f64 v[118:119], v[120:121], v[118:119], s[70:71]
	v_add_f64 v[124:125], v[6:7], s[76:77]
	v_fma_f64 v[120:121], -v[126:127], v[128:129], 1.0
	v_fmac_f64_e32 v[128:129], v[128:129], v[120:121]
	v_fma_f64 v[120:121], -v[126:127], v[128:129], 1.0
	v_fmac_f64_e32 v[128:129], v[128:129], v[120:121]
	v_div_scale_f64 v[120:121], vcc, s[74:75], v[10:11], s[74:75]
	v_mul_f64 v[122:123], v[120:121], v[128:129]
	v_fma_f64 v[120:121], -v[126:127], v[122:123], v[120:121]
	v_div_scale_f64 v[126:127], s[2:3], v[124:125], v[124:125], s[78:79]
	v_rcp_f64_e32 v[130:131], v[126:127]
	v_div_fmas_f64 v[120:121], v[120:121], v[128:129], v[122:123]
	v_add_f64 v[118:119], v[118:119], 0
	v_div_fixup_f64 v[120:121], v[120:121], v[10:11], s[74:75]
	v_add_f64 v[118:119], v[120:121], v[118:119]
	v_fma_f64 v[120:121], -v[126:127], v[130:131], 1.0
	v_fmac_f64_e32 v[130:131], v[130:131], v[120:121]
	v_fma_f64 v[120:121], -v[126:127], v[130:131], 1.0
	v_fmac_f64_e32 v[130:131], v[130:131], v[120:121]
	v_div_scale_f64 v[120:121], vcc, s[78:79], v[124:125], s[78:79]
	v_mul_f64 v[122:123], v[120:121], v[130:131]
	v_fma_f64 v[120:121], -v[126:127], v[122:123], v[120:121]
	v_add_f64 v[126:127], v[6:7], s[80:81]
	v_div_scale_f64 v[128:129], s[2:3], v[126:127], v[126:127], s[82:83]
	v_rcp_f64_e32 v[132:133], v[128:129]
	v_div_fmas_f64 v[120:121], v[120:121], v[130:131], v[122:123]
	v_div_fixup_f64 v[120:121], v[120:121], v[124:125], s[78:79]
	v_add_f64 v[118:119], v[118:119], v[120:121]
	v_fma_f64 v[120:121], -v[128:129], v[132:133], 1.0
	v_fmac_f64_e32 v[132:133], v[132:133], v[120:121]
	v_fma_f64 v[120:121], -v[128:129], v[132:133], 1.0
	v_fmac_f64_e32 v[132:133], v[132:133], v[120:121]
	v_div_scale_f64 v[120:121], vcc, s[82:83], v[126:127], s[82:83]
	v_mul_f64 v[122:123], v[120:121], v[132:133]
	v_add_f64 v[124:125], v[6:7], 4.0
	v_fma_f64 v[120:121], -v[128:129], v[122:123], v[120:121]
	v_div_scale_f64 v[128:129], s[2:3], v[124:125], v[124:125], s[84:85]
	v_rcp_f64_e32 v[130:131], v[128:129]
	v_div_fmas_f64 v[120:121], v[120:121], v[132:133], v[122:123]
	v_div_fixup_f64 v[120:121], v[120:121], v[126:127], s[82:83]
	v_add_f64 v[118:119], v[120:121], v[118:119]
	v_fma_f64 v[120:121], -v[128:129], v[130:131], 1.0
	v_fmac_f64_e32 v[130:131], v[130:131], v[120:121]
	v_fma_f64 v[120:121], -v[128:129], v[130:131], 1.0
	v_fmac_f64_e32 v[130:131], v[130:131], v[120:121]
	v_div_scale_f64 v[120:121], vcc, s[84:85], v[124:125], s[84:85]
	v_mul_f64 v[122:123], v[120:121], v[130:131]
	v_add_f64 v[126:127], v[6:7], s[24:25]
	v_fma_f64 v[120:121], -v[128:129], v[122:123], v[120:121]
	v_div_scale_f64 v[128:129], s[2:3], v[126:127], v[126:127], s[86:87]
	v_rcp_f64_e32 v[132:133], v[128:129]
	v_div_fmas_f64 v[120:121], v[120:121], v[130:131], v[122:123]
	v_div_fixup_f64 v[120:121], v[120:121], v[124:125], s[84:85]
	v_add_f64 v[118:119], v[118:119], v[120:121]
	v_fma_f64 v[120:121], -v[128:129], v[132:133], 1.0
	v_fmac_f64_e32 v[132:133], v[132:133], v[120:121]
	v_fma_f64 v[120:121], -v[128:129], v[132:133], 1.0
	v_fmac_f64_e32 v[132:133], v[132:133], v[120:121]
	v_div_scale_f64 v[120:121], vcc, s[86:87], v[126:127], s[86:87]
	v_mul_f64 v[122:123], v[120:121], v[132:133]
	v_add_f64 v[124:125], v[6:7], 2.0
	v_fma_f64 v[120:121], -v[128:129], v[122:123], v[120:121]
	v_div_scale_f64 v[128:129], s[2:3], v[124:125], v[124:125], s[88:89]
	v_rcp_f64_e32 v[130:131], v[128:129]
	v_div_fmas_f64 v[120:121], v[120:121], v[132:133], v[122:123]
	v_div_fixup_f64 v[120:121], v[120:121], v[126:127], s[86:87]
	v_add_f64 v[118:119], v[120:121], v[118:119]
	v_fma_f64 v[120:121], -v[128:129], v[130:131], 1.0
	v_fmac_f64_e32 v[130:131], v[130:131], v[120:121]
	v_fma_f64 v[120:121], -v[128:129], v[130:131], 1.0
	v_fmac_f64_e32 v[130:131], v[130:131], v[120:121]
	v_div_scale_f64 v[120:121], vcc, s[88:89], v[124:125], s[88:89]
	v_mul_f64 v[122:123], v[120:121], v[130:131]
	v_add_f64 v[126:127], v[6:7], 1.0
	v_fma_f64 v[120:121], -v[128:129], v[122:123], v[120:121]
	v_div_scale_f64 v[128:129], s[2:3], v[126:127], v[126:127], s[90:91]
	v_rcp_f64_e32 v[132:133], v[128:129]
	v_div_fmas_f64 v[120:121], v[120:121], v[130:131], v[122:123]
	v_div_fixup_f64 v[120:121], v[120:121], v[124:125], s[88:89]
	v_add_f64 v[118:119], v[118:119], v[120:121]
	v_fma_f64 v[120:121], -v[128:129], v[132:133], 1.0
	v_fmac_f64_e32 v[132:133], v[132:133], v[120:121]
	v_fma_f64 v[120:121], -v[128:129], v[132:133], 1.0
	v_fmac_f64_e32 v[132:133], v[132:133], v[120:121]
	v_div_scale_f64 v[120:121], vcc, s[90:91], v[126:127], s[90:91]
	v_mul_f64 v[122:123], v[120:121], v[132:133]
	v_fma_f64 v[120:121], -v[128:129], v[122:123], v[120:121]
	v_add_f64 v[10:11], v[10:11], 0.5
	s_nop 0
	v_div_fmas_f64 v[120:121], v[120:121], v[132:133], v[122:123]
	v_div_fixup_f64 v[120:121], v[120:121], v[126:127], s[90:91]
	v_add_f64 v[118:119], v[120:121], v[118:119]
	v_add_f64 v[118:119], v[118:119], s[92:93]
	v_frexp_mant_f64_e32 v[120:121], v[118:119]
	v_cmp_gt_f64_e32 vcc, s[30:31], v[120:121]
	v_cndmask_b32_e64 v15, v90, 2.0, vcc
	v_mul_f64 v[120:121], v[120:121], v[14:15]
	v_add_f64 v[122:123], v[120:121], 1.0
	v_rcp_f64_e32 v[124:125], v[122:123]
	v_add_f64 v[128:129], v[122:123], -1.0
	v_add_f64 v[126:127], v[120:121], -1.0
	v_add_f64 v[120:121], v[120:121], -v[128:129]
	v_fma_f64 v[128:129], -v[122:123], v[124:125], 1.0
	v_fmac_f64_e32 v[124:125], v[128:129], v[124:125]
	v_fma_f64 v[128:129], -v[122:123], v[124:125], 1.0
	v_fmac_f64_e32 v[124:125], v[128:129], v[124:125]
	v_mul_f64 v[128:129], v[126:127], v[124:125]
	v_mul_f64 v[130:131], v[122:123], v[128:129]
	v_fma_f64 v[122:123], v[128:129], v[122:123], -v[130:131]
	v_fmac_f64_e32 v[122:123], v[128:129], v[120:121]
	v_add_f64 v[120:121], v[130:131], v[122:123]
	v_add_f64 v[132:133], v[126:127], -v[120:121]
	v_add_f64 v[130:131], v[120:121], -v[130:131]
	;; [unrolled: 1-line block ×5, first 2 shown]
	v_add_f64 v[120:121], v[122:123], v[120:121]
	v_add_f64 v[120:121], v[132:133], v[120:121]
	v_mul_f64 v[120:121], v[124:125], v[120:121]
	v_add_f64 v[122:123], v[128:129], v[120:121]
	v_add_f64 v[124:125], v[122:123], -v[128:129]
	v_add_f64 v[120:121], v[120:121], -v[124:125]
	v_mul_f64 v[124:125], v[122:123], v[122:123]
	v_fma_f64 v[126:127], s[36:37], v[124:125], v[0:1]
	v_fma_f64 v[126:127], v[124:125], v[126:127], s[38:39]
	;; [unrolled: 1-line block ×6, first 2 shown]
	v_ldexp_f64 v[128:129], v[122:123], 1
	v_mul_f64 v[122:123], v[122:123], v[124:125]
	v_mul_f64 v[122:123], v[122:123], v[126:127]
	v_add_f64 v[124:125], v[128:129], v[122:123]
	v_add_f64 v[126:127], v[124:125], -v[128:129]
	v_ldexp_f64 v[120:121], v[120:121], 1
	v_add_f64 v[122:123], v[122:123], -v[126:127]
	v_add_f64 v[120:121], v[120:121], v[122:123]
	v_frexp_exp_i32_f64_e32 v117, v[118:119]
	v_add_f64 v[122:123], v[124:125], v[120:121]
	v_subbrev_co_u32_e32 v15, vcc, 0, v117, vcc
	v_add_f64 v[124:125], v[122:123], -v[124:125]
	v_add_f64 v[120:121], v[120:121], -v[124:125]
	v_cvt_f64_i32_e32 v[124:125], v15
	v_mul_f64 v[126:127], v[124:125], s[48:49]
	v_fma_f64 v[128:129], v[124:125], s[48:49], -v[126:127]
	v_fmac_f64_e32 v[128:129], s[50:51], v[124:125]
	v_add_f64 v[124:125], v[126:127], v[128:129]
	v_add_f64 v[126:127], v[124:125], -v[126:127]
	v_add_f64 v[126:127], v[128:129], -v[126:127]
	v_add_f64 v[128:129], v[124:125], v[122:123]
	v_add_f64 v[130:131], v[128:129], -v[124:125]
	v_add_f64 v[132:133], v[128:129], -v[130:131]
	;; [unrolled: 1-line block ×4, first 2 shown]
	v_add_f64 v[122:123], v[122:123], v[124:125]
	v_add_f64 v[124:125], v[126:127], v[120:121]
	v_add_f64 v[130:131], v[124:125], -v[126:127]
	v_add_f64 v[132:133], v[124:125], -v[130:131]
	v_add_f64 v[122:123], v[124:125], v[122:123]
	v_add_f64 v[126:127], v[126:127], -v[132:133]
	v_add_f64 v[120:121], v[120:121], -v[130:131]
	v_add_f64 v[124:125], v[128:129], v[122:123]
	v_add_f64 v[120:121], v[120:121], v[126:127]
	v_add_f64 v[126:127], v[124:125], -v[128:129]
	v_add_f64 v[122:123], v[122:123], -v[126:127]
	v_add_f64 v[120:121], v[120:121], v[122:123]
	v_add_f64 v[120:121], v[124:125], v[120:121]
	v_cmp_class_f64_e64 vcc, v[118:119], s9
	v_div_scale_f64 v[122:123], s[2:3], s[20:21], s[20:21], v[10:11]
	v_cndmask_b32_e32 v121, v121, v119, vcc
	v_cndmask_b32_e32 v120, v120, v118, vcc
	v_rcp_f64_e32 v[124:125], v[122:123]
	v_add_f64 v[120:121], v[120:121], s[94:95]
	v_add_f64 v[120:121], v[120:121], s[22:23]
	v_cmp_ngt_f64_e32 vcc, 0, v[118:119]
	v_cndmask_b32_e32 v15, v91, v121, vcc
	v_cmp_nge_f64_e32 vcc, 0, v[118:119]
	v_cndmask_b32_e32 v120, 0, v120, vcc
	v_cmp_neq_f64_e32 vcc, 0, v[118:119]
	v_fma_f64 v[118:119], -v[122:123], v[124:125], 1.0
	v_fmac_f64_e32 v[124:125], v[124:125], v[118:119]
	v_fma_f64 v[118:119], -v[122:123], v[124:125], 1.0
	v_cndmask_b32_e32 v121, v92, v15, vcc
	v_fmac_f64_e32 v[124:125], v[124:125], v[118:119]
	v_div_scale_f64 v[118:119], vcc, v[10:11], s[20:21], v[10:11]
	v_mul_f64 v[126:127], v[118:119], v[124:125]
	v_fma_f64 v[118:119], -v[122:123], v[126:127], v[118:119]
	v_add_f64 v[6:7], v[6:7], 0.5
	s_nop 0
	v_div_fmas_f64 v[118:119], v[118:119], v[124:125], v[126:127]
	v_div_fixup_f64 v[10:11], v[118:119], s[20:21], v[10:11]
	v_frexp_mant_f64_e32 v[118:119], v[10:11]
	v_cmp_gt_f64_e32 vcc, s[30:31], v[118:119]
	v_cndmask_b32_e64 v15, v90, 2.0, vcc
	v_mul_f64 v[118:119], v[118:119], v[14:15]
	v_add_f64 v[122:123], v[118:119], 1.0
	v_rcp_f64_e32 v[124:125], v[122:123]
	v_add_f64 v[128:129], v[122:123], -1.0
	v_add_f64 v[126:127], v[118:119], -1.0
	v_add_f64 v[118:119], v[118:119], -v[128:129]
	v_fma_f64 v[128:129], -v[122:123], v[124:125], 1.0
	v_fmac_f64_e32 v[124:125], v[128:129], v[124:125]
	v_fma_f64 v[128:129], -v[122:123], v[124:125], 1.0
	v_fmac_f64_e32 v[124:125], v[128:129], v[124:125]
	v_mul_f64 v[128:129], v[126:127], v[124:125]
	v_mul_f64 v[130:131], v[122:123], v[128:129]
	v_fma_f64 v[122:123], v[128:129], v[122:123], -v[130:131]
	v_fmac_f64_e32 v[122:123], v[128:129], v[118:119]
	v_add_f64 v[118:119], v[130:131], v[122:123]
	v_add_f64 v[132:133], v[126:127], -v[118:119]
	v_add_f64 v[130:131], v[118:119], -v[130:131]
	;; [unrolled: 1-line block ×5, first 2 shown]
	v_add_f64 v[118:119], v[122:123], v[118:119]
	v_add_f64 v[118:119], v[132:133], v[118:119]
	v_mul_f64 v[118:119], v[124:125], v[118:119]
	v_add_f64 v[122:123], v[128:129], v[118:119]
	v_add_f64 v[124:125], v[122:123], -v[128:129]
	v_add_f64 v[118:119], v[118:119], -v[124:125]
	v_mul_f64 v[124:125], v[122:123], v[122:123]
	v_fmac_f64_e32 v[0:1], s[36:37], v[124:125]
	v_fma_f64 v[0:1], v[124:125], v[0:1], s[38:39]
	v_fma_f64 v[0:1], v[124:125], v[0:1], s[40:41]
	;; [unrolled: 1-line block ×5, first 2 shown]
	v_ldexp_f64 v[126:127], v[122:123], 1
	v_mul_f64 v[122:123], v[122:123], v[124:125]
	v_mul_f64 v[0:1], v[122:123], v[0:1]
	v_add_f64 v[122:123], v[126:127], v[0:1]
	v_add_f64 v[124:125], v[122:123], -v[126:127]
	v_ldexp_f64 v[118:119], v[118:119], 1
	v_add_f64 v[0:1], v[0:1], -v[124:125]
	v_add_f64 v[0:1], v[118:119], v[0:1]
	v_frexp_exp_i32_f64_e32 v117, v[10:11]
	v_add_f64 v[118:119], v[122:123], v[0:1]
	v_subbrev_co_u32_e32 v15, vcc, 0, v117, vcc
	v_add_f64 v[122:123], v[118:119], -v[122:123]
	v_add_f64 v[0:1], v[0:1], -v[122:123]
	v_cvt_f64_i32_e32 v[122:123], v15
	v_mul_f64 v[124:125], v[122:123], s[48:49]
	v_fma_f64 v[126:127], v[122:123], s[48:49], -v[124:125]
	v_fmac_f64_e32 v[126:127], s[50:51], v[122:123]
	v_add_f64 v[122:123], v[124:125], v[126:127]
	v_add_f64 v[124:125], v[122:123], -v[124:125]
	v_add_f64 v[124:125], v[126:127], -v[124:125]
	v_add_f64 v[126:127], v[122:123], v[118:119]
	v_add_f64 v[128:129], v[126:127], -v[122:123]
	v_add_f64 v[130:131], v[126:127], -v[128:129]
	;; [unrolled: 1-line block ×4, first 2 shown]
	v_add_f64 v[118:119], v[118:119], v[122:123]
	v_add_f64 v[122:123], v[124:125], v[0:1]
	v_add_f64 v[128:129], v[122:123], -v[124:125]
	v_add_f64 v[130:131], v[122:123], -v[128:129]
	v_add_f64 v[118:119], v[122:123], v[118:119]
	v_add_f64 v[124:125], v[124:125], -v[130:131]
	v_add_f64 v[0:1], v[0:1], -v[128:129]
	v_add_f64 v[122:123], v[126:127], v[118:119]
	v_add_f64 v[0:1], v[0:1], v[124:125]
	v_add_f64 v[124:125], v[122:123], -v[126:127]
	v_add_f64 v[118:119], v[118:119], -v[124:125]
	v_add_f64 v[0:1], v[0:1], v[118:119]
	v_add_f64 v[0:1], v[122:123], v[0:1]
	v_cmp_class_f64_e64 vcc, v[10:11], s9
	v_cndmask_b32_e32 v0, v0, v10, vcc
	v_cndmask_b32_e32 v1, v1, v11, vcc
	v_cmp_ngt_f64_e32 vcc, 0, v[10:11]
	v_cndmask_b32_e32 v1, v91, v1, vcc
	v_cmp_nge_f64_e32 vcc, 0, v[10:11]
	v_cndmask_b32_e32 v0, 0, v0, vcc
	v_cmp_neq_f64_e32 vcc, 0, v[10:11]
	v_cndmask_b32_e32 v1, v92, v1, vcc
	v_fmac_f64_e32 v[120:121], v[6:7], v[0:1]
	v_add_f64 v[0:1], v[4:5], -v[120:121]
	v_cvt_u32_f64_e32 v4, v[8:9]
	v_cmp_le_f64_e32 vcc, v[2:3], v[0:1]
	v_cndmask_b32_e64 v118, 0, 1, vcc
	v_cndmask_b32_e32 v75, v75, v4, vcc
	v_mov_b32_e32 v117, v116
.LBB81_26:                              ;   in Loop: Header=BB81_16 Depth=2
	s_or_b64 exec, exec, s[0:1]
	v_cmp_gt_i32_e32 vcc, 2, v118
	s_or_b64 s[16:17], vcc, s[16:17]
	v_mov_b32_e32 v15, v117
	v_mov_b32_e32 v0, v87
	;; [unrolled: 1-line block ×5, first 2 shown]
	s_andn2_b64 exec, exec, s[16:17]
	s_cbranch_execnz .LBB81_16
; %bb.27:                               ;   in Loop: Header=BB81_16 Depth=2
	s_or_b64 exec, exec, s[16:17]
	v_cmp_ne_u32_e32 vcc, 0, v118
	s_or_b64 s[14:15], vcc, s[14:15]
	s_mov_b64 s[16:17], 0
	v_mov_b32_e32 v15, v117
	v_mov_b32_e32 v0, v87
	;; [unrolled: 1-line block ×5, first 2 shown]
	s_andn2_b64 exec, exec, s[14:15]
	s_cbranch_execnz .LBB81_16
; %bb.28:                               ;   in Loop: Header=BB81_5 Depth=1
	s_or_b64 exec, exec, s[14:15]
	v_readlane_b32 s16, v134, 17
	v_readlane_b32 s17, v134, 18
                                        ; implicit-def: $vgpr72_vgpr73
                                        ; implicit-def: $vgpr15
                                        ; implicit-def: $vgpr96
                                        ; implicit-def: $vgpr97
                                        ; implicit-def: $vgpr104
                                        ; implicit-def: $vgpr95
                                        ; implicit-def: $vgpr3
                                        ; implicit-def: $vgpr4_vgpr5
                                        ; implicit-def: $vgpr98
                                        ; implicit-def: $vgpr99
                                        ; implicit-def: $vgpr100
                                        ; implicit-def: $vgpr101
                                        ; implicit-def: $vgpr103
                                        ; implicit-def: $vgpr105
                                        ; implicit-def: $vgpr106
                                        ; implicit-def: $vgpr107
                                        ; implicit-def: $vgpr108
                                        ; implicit-def: $vgpr109
                                        ; implicit-def: $vgpr110
                                        ; implicit-def: $vgpr111
                                        ; implicit-def: $vgpr112
                                        ; implicit-def: $vgpr113
                                        ; implicit-def: $vgpr102
                                        ; implicit-def: $vgpr114
.LBB81_29:                              ;   in Loop: Header=BB81_5 Depth=1
	s_andn2_saveexec_b64 s[0:1], s[6:7]
	s_cbranch_execz .LBB81_41
; %bb.30:                               ;   in Loop: Header=BB81_5 Depth=1
	v_add_co_u32_e32 v6, vcc, 1, v96
	v_cndmask_b32_e64 v7, 0, 1, vcc
	v_addc_co_u32_e32 v10, vcc, 0, v97, vcc
	v_cmp_eq_u32_e32 vcc, 0, v10
	v_cndmask_b32_e32 v7, 0, v7, vcc
	v_add_u32_e32 v8, v7, v17
	v_cmp_eq_u32_e32 vcc, 0, v8
	v_cndmask_b32_e32 v11, 0, v7, vcc
	v_mad_u64_u32 v[6:7], s[2:3], v6, s11, 0
	v_mad_u64_u32 v[8:9], s[2:3], v8, s8, 0
	v_xor_b32_e32 v7, v7, v73
	v_xor_b32_e32 v9, v9, v72
	v_xor_b32_e32 v7, v11, v7
	v_xor_b32_e32 v9, v10, v9
	v_mad_u64_u32 v[72:73], s[2:3], v7, s8, 0
	v_mad_u64_u32 v[10:11], s[2:3], v9, s11, 0
	v_xor_b32_e32 v7, v98, v73
	v_xor_b32_e32 v7, v7, v8
	v_xor_b32_e32 v8, v99, v11
	v_xor_b32_e32 v8, v8, v6
	;; [unrolled: 6-line block ×8, first 2 shown]
	v_mad_u64_u32 v[74:75], s[2:3], v7, s11, 0
	v_mad_u64_u32 v[8:9], s[2:3], v6, s8, 0
	v_xor_b32_e32 v6, v114, v75
	v_xor_b32_e32 v6, v6, v10
	v_mad_u64_u32 v[6:7], s[2:3], v6, s8, 0
	v_xor_b32_e32 v7, v7, v8
	v_xor_b32_e32 v10, v104, v7
	v_cmp_lt_i32_e32 vcc, 1, v15
                                        ; implicit-def: $vgpr8
	s_and_saveexec_b64 s[2:3], vcc
	s_xor_b64 s[2:3], exec, s[2:3]
	s_cbranch_execz .LBB81_36
; %bb.31:                               ;   in Loop: Header=BB81_5 Depth=1
	v_cmp_lt_i32_e32 vcc, 2, v15
                                        ; implicit-def: $vgpr8
	s_and_saveexec_b64 s[6:7], vcc
	s_xor_b64 s[6:7], exec, s[6:7]
; %bb.32:                               ;   in Loop: Header=BB81_5 Depth=1
	v_xor_b32_e32 v0, v102, v9
	v_xor_b32_e32 v0, v0, v72
	v_mul_hi_u32 v0, v0, s11
	v_xor_b32_e32 v0, v0, v74
	v_xor_b32_e32 v8, v95, v0
; %bb.33:                               ;   in Loop: Header=BB81_5 Depth=1
	s_andn2_saveexec_b64 s[6:7], s[6:7]
; %bb.34:                               ;   in Loop: Header=BB81_5 Depth=1
	v_mov_b32_e32 v8, v6
	v_mov_b32_e32 v6, v10
	;; [unrolled: 1-line block ×4, first 2 shown]
; %bb.35:                               ;   in Loop: Header=BB81_5 Depth=1
	s_or_b64 exec, exec, s[6:7]
                                        ; implicit-def: $vgpr15
.LBB81_36:                              ;   in Loop: Header=BB81_5 Depth=1
	s_andn2_saveexec_b64 s[2:3], s[2:3]
	s_cbranch_execz .LBB81_40
; %bb.37:                               ;   in Loop: Header=BB81_5 Depth=1
	v_cmp_eq_u32_e32 vcc, 1, v15
	v_mov_b32_e32 v8, v3
	v_mov_b32_e32 v6, v2
	;; [unrolled: 1-line block ×3, first 2 shown]
	s_and_saveexec_b64 s[6:7], vcc
; %bb.38:                               ;   in Loop: Header=BB81_5 Depth=1
	v_mov_b32_e32 v8, v10
	v_mov_b32_e32 v6, v3
	;; [unrolled: 1-line block ×4, first 2 shown]
; %bb.39:                               ;   in Loop: Header=BB81_5 Depth=1
	s_or_b64 exec, exec, s[6:7]
	v_mov_b32_e32 v3, v0
	v_mov_b32_e32 v10, v7
.LBB81_40:                              ;   in Loop: Header=BB81_5 Depth=1
	s_or_b64 exec, exec, s[2:3]
	v_mov_b32_e32 v11, v14
	v_lshlrev_b64 v[0:1], 21, v[10:11]
	v_xor_b32_e32 v2, v0, v3
	v_cvt_f64_u32_e32 v[0:1], v1
	v_ldexp_f64 v[0:1], v[0:1], 32
	v_cvt_f64_u32_e32 v[2:3], v2
	v_add_f64 v[0:1], v[0:1], v[2:3]
	v_mov_b32_e32 v2, 0
	v_mov_b32_e32 v3, 0x3ca00000
	v_fmac_f64_e32 v[2:3], 0x3ca00000, v[0:1]
	v_mov_b32_e32 v9, v14
	v_lshlrev_b64 v[0:1], 21, v[8:9]
	v_frexp_mant_f64_e32 v[8:9], v[2:3]
	v_cmp_gt_f64_e32 vcc, s[30:31], v[8:9]
	v_cndmask_b32_e64 v15, v90, 2.0, vcc
	v_frexp_exp_i32_f64_e32 v10, v[2:3]
	v_mul_f64 v[8:9], v[8:9], v[14:15]
	v_subbrev_co_u32_e32 v15, vcc, 0, v10, vcc
	v_add_f64 v[10:11], v[8:9], 1.0
	v_rcp_f64_e32 v[72:73], v[10:11]
	v_add_f64 v[76:77], v[10:11], -1.0
	v_add_f64 v[74:75], v[8:9], -1.0
	v_add_f64 v[8:9], v[8:9], -v[76:77]
	v_fma_f64 v[76:77], -v[10:11], v[72:73], 1.0
	v_fmac_f64_e32 v[72:73], v[76:77], v[72:73]
	v_fma_f64 v[76:77], -v[10:11], v[72:73], 1.0
	v_fmac_f64_e32 v[72:73], v[76:77], v[72:73]
	v_mul_f64 v[76:77], v[74:75], v[72:73]
	v_mul_f64 v[78:79], v[10:11], v[76:77]
	v_fma_f64 v[10:11], v[76:77], v[10:11], -v[78:79]
	v_fmac_f64_e32 v[10:11], v[76:77], v[8:9]
	v_add_f64 v[8:9], v[78:79], v[10:11]
	v_add_f64 v[80:81], v[74:75], -v[8:9]
	v_add_f64 v[78:79], v[8:9], -v[78:79]
	;; [unrolled: 1-line block ×5, first 2 shown]
	v_add_f64 v[8:9], v[10:11], v[8:9]
	v_add_f64 v[8:9], v[80:81], v[8:9]
	v_mul_f64 v[8:9], v[72:73], v[8:9]
	v_add_f64 v[10:11], v[76:77], v[8:9]
	v_add_f64 v[72:73], v[10:11], -v[76:77]
	v_add_f64 v[8:9], v[8:9], -v[72:73]
	v_mul_f64 v[72:73], v[10:11], v[10:11]
	v_pk_mov_b32 v[74:75], v[18:19], v[18:19] op_sel:[0,1]
	v_fmac_f64_e32 v[74:75], s[36:37], v[72:73]
	v_pk_mov_b32 v[76:77], v[20:21], v[20:21] op_sel:[0,1]
	v_fmac_f64_e32 v[76:77], v[72:73], v[74:75]
	;; [unrolled: 2-line block ×6, first 2 shown]
	v_ldexp_f64 v[74:75], v[10:11], 1
	v_mul_f64 v[10:11], v[10:11], v[72:73]
	v_mul_f64 v[10:11], v[10:11], v[76:77]
	v_add_f64 v[72:73], v[74:75], v[10:11]
	v_add_f64 v[74:75], v[72:73], -v[74:75]
	v_ldexp_f64 v[8:9], v[8:9], 1
	v_add_f64 v[10:11], v[10:11], -v[74:75]
	v_add_f64 v[8:9], v[8:9], v[10:11]
	v_add_f64 v[10:11], v[72:73], v[8:9]
	v_add_f64 v[72:73], v[10:11], -v[72:73]
	v_add_f64 v[8:9], v[8:9], -v[72:73]
	v_cvt_f64_i32_e32 v[72:73], v15
	v_mul_f64 v[74:75], v[72:73], s[48:49]
	v_fma_f64 v[76:77], v[72:73], s[48:49], -v[74:75]
	v_fmac_f64_e32 v[76:77], s[50:51], v[72:73]
	v_add_f64 v[72:73], v[74:75], v[76:77]
	v_add_f64 v[74:75], v[72:73], -v[74:75]
	v_add_f64 v[74:75], v[76:77], -v[74:75]
	v_add_f64 v[76:77], v[72:73], v[10:11]
	v_add_f64 v[78:79], v[76:77], -v[72:73]
	v_add_f64 v[80:81], v[76:77], -v[78:79]
	;; [unrolled: 1-line block ×4, first 2 shown]
	v_add_f64 v[10:11], v[10:11], v[72:73]
	v_add_f64 v[72:73], v[74:75], v[8:9]
	v_add_f64 v[78:79], v[72:73], -v[74:75]
	v_add_f64 v[80:81], v[72:73], -v[78:79]
	v_add_f64 v[10:11], v[72:73], v[10:11]
	v_add_f64 v[74:75], v[74:75], -v[80:81]
	v_add_f64 v[8:9], v[8:9], -v[78:79]
	v_add_f64 v[72:73], v[76:77], v[10:11]
	v_add_f64 v[8:9], v[8:9], v[74:75]
	v_add_f64 v[74:75], v[72:73], -v[76:77]
	v_add_f64 v[10:11], v[10:11], -v[74:75]
	s_mov_b32 s14, 0
	v_add_f64 v[8:9], v[8:9], v[10:11]
	s_mov_b32 s15, 0x7ff00000
	v_add_f64 v[8:9], v[72:73], v[8:9]
	v_cmp_eq_f64_e32 vcc, s[14:15], v[2:3]
	v_cndmask_b32_e32 v9, v9, v3, vcc
	v_cndmask_b32_e32 v8, v8, v2, vcc
	v_mul_f64 v[8:9], v[8:9], -2.0
	v_cmp_neq_f64_e32 vcc, 0, v[2:3]
	s_mov_b32 s2, 0
	v_cndmask_b32_e32 v3, v93, v9, vcc
	v_cndmask_b32_e32 v2, 0, v8, vcc
	s_brev_b32 s3, 8
	v_cmp_gt_f64_e32 vcc, s[2:3], v[2:3]
	v_cndmask_b32_e64 v8, 0, 1, vcc
	v_lshlrev_b32_e32 v8, 8, v8
	v_ldexp_f64 v[2:3], v[2:3], v8
	v_xor_b32_e32 v6, v0, v6
	v_cvt_f64_u32_e32 v[0:1], v1
	v_rsq_f64_e32 v[8:9], v[2:3]
	v_ldexp_f64 v[0:1], v[0:1], 32
	v_cvt_f64_u32_e32 v[6:7], v6
	v_add_f64 v[0:1], v[0:1], v[6:7]
	v_mov_b32_e32 v6, 0
	v_mov_b32_e32 v7, 0x3cb00000
	v_fmac_f64_e32 v[6:7], 0x3cb00000, v[0:1]
	v_mul_f64 v[0:1], v[2:3], v[8:9]
	v_mul_f64 v[8:9], v[8:9], 0.5
	v_fma_f64 v[10:11], -v[8:9], v[0:1], 0.5
	v_fmac_f64_e32 v[0:1], v[0:1], v[10:11]
	v_fma_f64 v[72:73], -v[0:1], v[0:1], v[2:3]
	v_fmac_f64_e32 v[8:9], v[8:9], v[10:11]
	v_fmac_f64_e32 v[0:1], v[72:73], v[8:9]
	v_fma_f64 v[10:11], -v[0:1], v[0:1], v[2:3]
	v_fmac_f64_e32 v[0:1], v[10:11], v[8:9]
	v_cndmask_b32_e32 v8, 0, v89, vcc
	v_ldexp_f64 v[0:1], v[0:1], v8
	v_cmp_class_f64_e32 vcc, v[2:3], v88
	v_cndmask_b32_e32 v1, v1, v3, vcc
	v_cndmask_b32_e32 v0, v0, v2, vcc
	v_mul_f64 v[2:3], v[6:7], 0.5
	v_fract_f64_e32 v[8:9], v[2:3]
	v_add_f64 v[8:9], v[8:9], v[8:9]
	v_cmp_neq_f64_e32 vcc, s[14:15], v[2:3]
	v_cndmask_b32_e32 v2, 0, v8, vcc
	v_cndmask_b32_e32 v3, 0, v9, vcc
	v_cmp_lt_f64_e32 vcc, 1.0, v[6:7]
	v_cndmask_b32_e32 v3, v7, v3, vcc
	v_cndmask_b32_e32 v2, v6, v2, vcc
	v_add_f64 v[8:9], v[2:3], v[2:3]
	v_rndne_f64_e32 v[8:9], v[8:9]
	v_fmac_f64_e32 v[2:3], -0.5, v[8:9]
	s_mov_b32 s6, 0xf99eb0bb
	v_cvt_i32_f64_e32 v15, v[8:9]
	v_mul_f64 v[8:9], v[2:3], v[2:3]
	v_pk_mov_b32 v[10:11], v[48:49], v[48:49] op_sel:[0,1]
	s_mov_b32 s7, 0x3f3e357e
	v_fmac_f64_e32 v[10:11], s[6:7], v[8:9]
	v_pk_mov_b32 v[72:73], v[50:51], v[50:51] op_sel:[0,1]
	v_fmac_f64_e32 v[72:73], v[8:9], v[10:11]
	v_pk_mov_b32 v[10:11], v[52:53], v[52:53] op_sel:[0,1]
	;; [unrolled: 2-line block ×4, first 2 shown]
	v_fmac_f64_e32 v[10:11], v[8:9], v[72:73]
	v_mul_f64 v[72:73], v[2:3], v[8:9]
	s_mov_b32 s6, 0x54442d18
	v_mul_f64 v[10:11], v[72:73], v[10:11]
	s_mov_b32 s7, 0x400921fb
	v_fmac_f64_e32 v[10:11], s[6:7], v[2:3]
	s_mov_b32 s6, 0x2e21c33
	v_pk_mov_b32 v[2:3], v[58:59], v[58:59] op_sel:[0,1]
	s_mov_b32 s7, 0xbf1b1673
	v_fmac_f64_e32 v[2:3], s[6:7], v[8:9]
	v_pk_mov_b32 v[72:73], v[60:61], v[60:61] op_sel:[0,1]
	v_fmac_f64_e32 v[72:73], v[8:9], v[2:3]
	v_pk_mov_b32 v[2:3], v[62:63], v[62:63] op_sel:[0,1]
	;; [unrolled: 2-line block ×5, first 2 shown]
	v_fmac_f64_e32 v[72:73], v[8:9], v[2:3]
	v_fma_f64 v[2:3], v[8:9], v[72:73], 1.0
	v_and_b32_e32 v9, 1, v15
	v_lshlrev_b32_e32 v8, 30, v15
	v_cmp_eq_u32_e32 vcc, 0, v9
	v_cndmask_b32_e32 v10, v2, v10, vcc
	v_cndmask_b32_e32 v2, v3, v11, vcc
	v_xor_b32_e32 v3, v8, v7
	v_and_b32_e32 v3, 0x80000000, v3
	v_cmp_gt_f64_e32 vcc, s[2:3], v[4:5]
	v_xor_b32_e32 v11, v2, v3
	v_cndmask_b32_e64 v2, 0, 1, vcc
	v_lshlrev_b32_e32 v2, 8, v2
	v_ldexp_f64 v[2:3], v[4:5], v2
	v_rsq_f64_e32 v[8:9], v[2:3]
	v_cmp_lg_f64_e64 s[2:3], s[14:15], v[6:7]
	v_cndmask_b32_e64 v6, 0, v10, s[2:3]
	v_cndmask_b32_e64 v7, v91, v11, s[2:3]
	v_mul_f64 v[0:1], v[0:1], v[6:7]
	v_mul_f64 v[6:7], v[2:3], v[8:9]
	v_mul_f64 v[8:9], v[8:9], 0.5
	v_fma_f64 v[10:11], -v[8:9], v[6:7], 0.5
	v_fmac_f64_e32 v[6:7], v[6:7], v[10:11]
	v_fma_f64 v[72:73], -v[6:7], v[6:7], v[2:3]
	v_fmac_f64_e32 v[8:9], v[8:9], v[10:11]
	v_fmac_f64_e32 v[6:7], v[72:73], v[8:9]
	v_fma_f64 v[10:11], -v[6:7], v[6:7], v[2:3]
	v_fmac_f64_e32 v[6:7], v[10:11], v[8:9]
	v_cndmask_b32_e32 v8, 0, v89, vcc
	v_ldexp_f64 v[6:7], v[6:7], v8
	v_cmp_class_f64_e32 vcc, v[2:3], v88
	v_cndmask_b32_e32 v3, v7, v3, vcc
	v_cndmask_b32_e32 v2, v6, v2, vcc
	v_fmac_f64_e32 v[4:5], v[2:3], v[0:1]
	v_trunc_f64_e32 v[0:1], v[4:5]
	v_add_f64 v[2:3], v[4:5], -v[0:1]
	v_cmp_ge_f64_e64 vcc, |v[2:3]|, 0.5
	v_cndmask_b32_e32 v2, 0, v90, vcc
	s_brev_b32 s2, -2
	v_bfi_b32 v15, s2, v2, v5
	v_add_f64 v[0:1], v[0:1], v[14:15]
	v_cvt_u32_f64_e32 v75, v[0:1]
.LBB81_41:                              ;   in Loop: Header=BB81_5 Depth=1
	s_or_b64 exec, exec, s[0:1]
                                        ; implicit-def: $vgpr6
                                        ; implicit-def: $vgpr72_vgpr73
                                        ; implicit-def: $vgpr15
                                        ; implicit-def: $vgpr96
                                        ; implicit-def: $vgpr97
                                        ; implicit-def: $vgpr104
                                        ; implicit-def: $vgpr95
                                        ; implicit-def: $vgpr3
                                        ; implicit-def: $vgpr4_vgpr5
                                        ; implicit-def: $vgpr98
                                        ; implicit-def: $vgpr99
                                        ; implicit-def: $vgpr100
                                        ; implicit-def: $vgpr101
                                        ; implicit-def: $vgpr103
                                        ; implicit-def: $vgpr105
                                        ; implicit-def: $vgpr106
                                        ; implicit-def: $vgpr107
                                        ; implicit-def: $vgpr108
                                        ; implicit-def: $vgpr109
                                        ; implicit-def: $vgpr110
                                        ; implicit-def: $vgpr111
                                        ; implicit-def: $vgpr112
                                        ; implicit-def: $vgpr113
                                        ; implicit-def: $vgpr102
                                        ; implicit-def: $vgpr114
.LBB81_42:                              ;   in Loop: Header=BB81_5 Depth=1
	s_andn2_saveexec_b64 s[0:1], s[18:19]
	s_cbranch_execz .LBB81_3
; %bb.43:                               ;   in Loop: Header=BB81_5 Depth=1
	s_mov_b32 s12, s54
	v_mul_f64 v[8:9], v[4:5], s[12:13]
	v_rndne_f64_e32 v[10:11], v[8:9]
	s_mov_b32 s56, s48
	v_fma_f64 v[4:5], v[10:11], s[56:57], -v[4:5]
	s_mov_b32 s58, s50
	v_fmac_f64_e32 v[4:5], s[58:59], v[10:11]
	v_pk_mov_b32 v[8:9], v[30:31], v[30:31] op_sel:[0,1]
	v_fmac_f64_e32 v[8:9], s[60:61], v[4:5]
	v_pk_mov_b32 v[74:75], v[32:33], v[32:33] op_sel:[0,1]
	;; [unrolled: 2-line block ×9, first 2 shown]
	v_fmac_f64_e32 v[76:77], v[4:5], v[74:75]
	v_fma_f64 v[74:75], v[4:5], v[76:77], 1.0
	s_mov_b32 s2, 0xe400
	v_fma_f64 v[4:5], v[4:5], v[74:75], 1.0
	v_cvt_i32_f64_e32 v7, v[10:11]
	v_cmp_ngt_f16_e32 vcc, s2, v6
	s_movk_i32 s2, 0x6433
	v_ldexp_f64 v[4:5], v[4:5], v7
	v_cmp_nlt_f16_e64 s[2:3], s2, v6
	v_mov_b32_e32 v8, 0
	v_cndmask_b32_e32 v5, v93, v5, vcc
	s_and_b64 vcc, s[2:3], vcc
	v_mov_b32_e32 v9, 0x3ff00000
	v_mov_b32_e32 v78, 0
	v_cndmask_b32_e64 v11, 0, v5, s[2:3]
	v_cndmask_b32_e32 v10, 0, v4, vcc
	s_mov_b32 s12, -1
	s_mov_b64 s[2:3], 0
	v_mov_b32_e32 v79, v17
	s_branch .LBB81_45
.LBB81_44:                              ;   in Loop: Header=BB81_45 Depth=2
	s_or_b64 exec, exec, s[6:7]
	v_cmp_eq_u32_e32 vcc, 1, v15
	v_cndmask_b32_e32 v0, v0, v1, vcc
	v_cmp_eq_u32_e32 vcc, 2, v15
	v_cndmask_b32_e32 v0, v0, v2, vcc
	;; [unrolled: 2-line block ×6, first 2 shown]
	v_lshrrev_b32_e32 v0, 11, v0
	v_cvt_f64_u32_e32 v[0:1], v0
	v_ldexp_f64 v[0:1], v[0:1], 32
	v_cvt_f64_u32_e32 v[2:3], v2
	v_add_f64 v[0:1], v[0:1], v[2:3]
	v_mov_b32_e32 v2, 0
	v_mov_b32_e32 v3, 0x3ca00000
	v_fmac_f64_e32 v[2:3], 0x3ca00000, v[0:1]
	v_mul_f64 v[8:9], v[8:9], v[2:3]
	v_cmp_ngt_f64_e32 vcc, v[8:9], v[10:11]
	s_add_i32 s12, s12, 1
	s_or_b64 s[2:3], vcc, s[2:3]
	v_mov_b32_e32 v75, s12
	v_mov_b32_e32 v15, v81
	;; [unrolled: 1-line block ×6, first 2 shown]
	s_andn2_b64 exec, exec, s[2:3]
	s_cbranch_execz .LBB81_2
.LBB81_45:                              ;   Parent Loop BB81_5 Depth=1
                                        ; =>  This Inner Loop Header: Depth=2
	v_add_u32_e32 v80, 1, v15
	v_pk_mov_b32 v[6:7], v[2:3], v[2:3] op_sel:[0,1]
	v_cmp_eq_u32_e32 vcc, 4, v80
	v_pk_mov_b32 v[4:5], v[0:1], v[0:1] op_sel:[0,1]
	v_mov_b32_e32 v77, v0
	v_mov_b32_e32 v76, v1
	;; [unrolled: 1-line block ×4, first 2 shown]
	s_and_saveexec_b64 s[6:7], vcc
	s_cbranch_execz .LBB81_47
; %bb.46:                               ;   in Loop: Header=BB81_45 Depth=2
	v_add_co_u32_e32 v96, vcc, 1, v96
	v_cndmask_b32_e64 v4, 0, 1, vcc
	v_addc_co_u32_e32 v97, vcc, 0, v97, vcc
	v_cmp_eq_u32_e32 vcc, 0, v97
	v_cndmask_b32_e32 v4, 0, v4, vcc
	v_add_u32_e32 v79, v4, v79
	v_cmp_eq_u32_e32 vcc, 0, v79
	v_cndmask_b32_e32 v4, 0, v4, vcc
	v_add_u32_e32 v78, v4, v78
	v_mad_u64_u32 v[4:5], s[14:15], v96, s11, 0
	v_mad_u64_u32 v[6:7], s[14:15], v79, s8, 0
	v_xor_b32_e32 v5, v5, v73
	v_xor_b32_e32 v7, v7, v72
	v_xor_b32_e32 v5, v78, v5
	v_xor_b32_e32 v7, v97, v7
	v_mad_u64_u32 v[76:77], s[14:15], v5, s8, 0
	v_mad_u64_u32 v[74:75], s[14:15], v7, s11, 0
	v_xor_b32_e32 v5, v98, v77
	v_xor_b32_e32 v5, v5, v6
	v_xor_b32_e32 v6, v99, v75
	v_xor_b32_e32 v6, v6, v4
	;; [unrolled: 6-line block ×10, first 2 shown]
	v_mov_b32_e32 v80, 0
	v_mov_b32_e32 v5, v76
	;; [unrolled: 1-line block ×5, first 2 shown]
.LBB81_47:                              ;   in Loop: Header=BB81_45 Depth=2
	s_or_b64 exec, exec, s[6:7]
	v_add_u32_e32 v81, 1, v80
	v_cmp_eq_u32_e32 vcc, 4, v81
	s_and_saveexec_b64 s[6:7], vcc
	s_cbranch_execz .LBB81_44
; %bb.48:                               ;   in Loop: Header=BB81_45 Depth=2
	v_add_co_u32_e32 v96, vcc, 1, v96
	v_cndmask_b32_e64 v74, 0, 1, vcc
	v_addc_co_u32_e32 v97, vcc, 0, v97, vcc
	v_cmp_eq_u32_e32 vcc, 0, v97
	v_cndmask_b32_e32 v74, 0, v74, vcc
	v_add_u32_e32 v79, v74, v79
	v_cmp_eq_u32_e32 vcc, 0, v79
	v_cndmask_b32_e32 v74, 0, v74, vcc
	v_add_u32_e32 v78, v74, v78
	v_mad_u64_u32 v[74:75], s[14:15], v96, s11, 0
	v_mad_u64_u32 v[76:77], s[14:15], v79, s8, 0
	v_xor_b32_e32 v75, v75, v73
	v_xor_b32_e32 v77, v77, v72
	v_xor_b32_e32 v75, v78, v75
	v_xor_b32_e32 v77, v97, v77
	v_mad_u64_u32 v[84:85], s[14:15], v75, s8, 0
	v_mad_u64_u32 v[82:83], s[14:15], v77, s11, 0
	v_xor_b32_e32 v75, v98, v85
	v_xor_b32_e32 v75, v75, v76
	v_xor_b32_e32 v76, v99, v83
	v_xor_b32_e32 v76, v76, v74
	;; [unrolled: 6-line block ×9, first 2 shown]
	v_mad_u64_u32 v[74:75], s[14:15], v74, s11, 0
	v_mad_u64_u32 v[76:77], s[14:15], v76, s8, 0
	v_xor_b32_e32 v77, v77, v116
	v_xor_b32_e32 v75, v75, v86
	v_mov_b32_e32 v81, 0
	v_xor_b32_e32 v77, v104, v77
	v_xor_b32_e32 v82, v95, v75
	s_branch .LBB81_44
.LBB81_49:
	s_or_b64 exec, exec, s[4:5]
	s_and_saveexec_b64 s[0:1], s[26:27]
	s_xor_b64 s[0:1], exec, s[0:1]
	s_cbranch_execnz .LBB81_51
.LBB81_50:
	s_endpgm
.LBB81_51:
	s_trap 2
	; divergent unreachable
	s_endpgm
	.section	.rodata,"a",@progbits
	.p2align	6, 0x0
	.amdhsa_kernel _ZN2at4cuda12_GLOBAL__N_121kernelPointwiseApply2IZN12_GLOBAL__N_119poisson_cuda_kernelIN3c104HalfEEEvRKNS_10TensorBaseES9_NS_15PhiloxCudaStateEEUlRS6_RKS6_E_S6_S6_jLi1ELin1ELi1ELi512ELi2EEEvNS0_6detail10TensorInfoIT0_T2_EENSG_IT1_SI_EESI_T_
		.amdhsa_group_segment_fixed_size 0
		.amdhsa_private_segment_fixed_size 0
		.amdhsa_kernarg_size 728
		.amdhsa_user_sgpr_count 6
		.amdhsa_user_sgpr_private_segment_buffer 1
		.amdhsa_user_sgpr_dispatch_ptr 0
		.amdhsa_user_sgpr_queue_ptr 0
		.amdhsa_user_sgpr_kernarg_segment_ptr 1
		.amdhsa_user_sgpr_dispatch_id 0
		.amdhsa_user_sgpr_flat_scratch_init 0
		.amdhsa_user_sgpr_kernarg_preload_length 0
		.amdhsa_user_sgpr_kernarg_preload_offset 0
		.amdhsa_user_sgpr_private_segment_size 0
		.amdhsa_uses_dynamic_stack 0
		.amdhsa_system_sgpr_private_segment_wavefront_offset 0
		.amdhsa_system_sgpr_workgroup_id_x 1
		.amdhsa_system_sgpr_workgroup_id_y 0
		.amdhsa_system_sgpr_workgroup_id_z 0
		.amdhsa_system_sgpr_workgroup_info 0
		.amdhsa_system_vgpr_workitem_id 0
		.amdhsa_next_free_vgpr 135
		.amdhsa_next_free_sgpr 96
		.amdhsa_accum_offset 136
		.amdhsa_reserve_vcc 1
		.amdhsa_reserve_flat_scratch 0
		.amdhsa_float_round_mode_32 0
		.amdhsa_float_round_mode_16_64 0
		.amdhsa_float_denorm_mode_32 3
		.amdhsa_float_denorm_mode_16_64 3
		.amdhsa_dx10_clamp 1
		.amdhsa_ieee_mode 1
		.amdhsa_fp16_overflow 0
		.amdhsa_tg_split 0
		.amdhsa_exception_fp_ieee_invalid_op 0
		.amdhsa_exception_fp_denorm_src 0
		.amdhsa_exception_fp_ieee_div_zero 0
		.amdhsa_exception_fp_ieee_overflow 0
		.amdhsa_exception_fp_ieee_underflow 0
		.amdhsa_exception_fp_ieee_inexact 0
		.amdhsa_exception_int_div_zero 0
	.end_amdhsa_kernel
	.section	.text._ZN2at4cuda12_GLOBAL__N_121kernelPointwiseApply2IZN12_GLOBAL__N_119poisson_cuda_kernelIN3c104HalfEEEvRKNS_10TensorBaseES9_NS_15PhiloxCudaStateEEUlRS6_RKS6_E_S6_S6_jLi1ELin1ELi1ELi512ELi2EEEvNS0_6detail10TensorInfoIT0_T2_EENSG_IT1_SI_EESI_T_,"axG",@progbits,_ZN2at4cuda12_GLOBAL__N_121kernelPointwiseApply2IZN12_GLOBAL__N_119poisson_cuda_kernelIN3c104HalfEEEvRKNS_10TensorBaseES9_NS_15PhiloxCudaStateEEUlRS6_RKS6_E_S6_S6_jLi1ELin1ELi1ELi512ELi2EEEvNS0_6detail10TensorInfoIT0_T2_EENSG_IT1_SI_EESI_T_,comdat
.Lfunc_end81:
	.size	_ZN2at4cuda12_GLOBAL__N_121kernelPointwiseApply2IZN12_GLOBAL__N_119poisson_cuda_kernelIN3c104HalfEEEvRKNS_10TensorBaseES9_NS_15PhiloxCudaStateEEUlRS6_RKS6_E_S6_S6_jLi1ELin1ELi1ELi512ELi2EEEvNS0_6detail10TensorInfoIT0_T2_EENSG_IT1_SI_EESI_T_, .Lfunc_end81-_ZN2at4cuda12_GLOBAL__N_121kernelPointwiseApply2IZN12_GLOBAL__N_119poisson_cuda_kernelIN3c104HalfEEEvRKNS_10TensorBaseES9_NS_15PhiloxCudaStateEEUlRS6_RKS6_E_S6_S6_jLi1ELin1ELi1ELi512ELi2EEEvNS0_6detail10TensorInfoIT0_T2_EENSG_IT1_SI_EESI_T_
                                        ; -- End function
	.section	.AMDGPU.csdata,"",@progbits
; Kernel info:
; codeLenInByte = 13608
; NumSgprs: 100
; NumVgprs: 135
; NumAgprs: 0
; TotalNumVgprs: 135
; ScratchSize: 0
; MemoryBound: 0
; FloatMode: 240
; IeeeMode: 1
; LDSByteSize: 0 bytes/workgroup (compile time only)
; SGPRBlocks: 12
; VGPRBlocks: 16
; NumSGPRsForWavesPerEU: 100
; NumVGPRsForWavesPerEU: 135
; AccumOffset: 136
; Occupancy: 3
; WaveLimiterHint : 1
; COMPUTE_PGM_RSRC2:SCRATCH_EN: 0
; COMPUTE_PGM_RSRC2:USER_SGPR: 6
; COMPUTE_PGM_RSRC2:TRAP_HANDLER: 0
; COMPUTE_PGM_RSRC2:TGID_X_EN: 1
; COMPUTE_PGM_RSRC2:TGID_Y_EN: 0
; COMPUTE_PGM_RSRC2:TGID_Z_EN: 0
; COMPUTE_PGM_RSRC2:TIDIG_COMP_CNT: 0
; COMPUTE_PGM_RSRC3_GFX90A:ACCUM_OFFSET: 33
; COMPUTE_PGM_RSRC3_GFX90A:TG_SPLIT: 0
	.section	.text._ZN2at4cuda12_GLOBAL__N_121kernelPointwiseApply2IZN12_GLOBAL__N_119poisson_cuda_kernelIN3c104HalfEEEvRKNS_10TensorBaseES9_NS_15PhiloxCudaStateEEUlRS6_RKS6_E_S6_S6_jLi2ELi1ELi1ELi512ELi2EEEvNS0_6detail10TensorInfoIT0_T2_EENSG_IT1_SI_EESI_T_,"axG",@progbits,_ZN2at4cuda12_GLOBAL__N_121kernelPointwiseApply2IZN12_GLOBAL__N_119poisson_cuda_kernelIN3c104HalfEEEvRKNS_10TensorBaseES9_NS_15PhiloxCudaStateEEUlRS6_RKS6_E_S6_S6_jLi2ELi1ELi1ELi512ELi2EEEvNS0_6detail10TensorInfoIT0_T2_EENSG_IT1_SI_EESI_T_,comdat
	.globl	_ZN2at4cuda12_GLOBAL__N_121kernelPointwiseApply2IZN12_GLOBAL__N_119poisson_cuda_kernelIN3c104HalfEEEvRKNS_10TensorBaseES9_NS_15PhiloxCudaStateEEUlRS6_RKS6_E_S6_S6_jLi2ELi1ELi1ELi512ELi2EEEvNS0_6detail10TensorInfoIT0_T2_EENSG_IT1_SI_EESI_T_ ; -- Begin function _ZN2at4cuda12_GLOBAL__N_121kernelPointwiseApply2IZN12_GLOBAL__N_119poisson_cuda_kernelIN3c104HalfEEEvRKNS_10TensorBaseES9_NS_15PhiloxCudaStateEEUlRS6_RKS6_E_S6_S6_jLi2ELi1ELi1ELi512ELi2EEEvNS0_6detail10TensorInfoIT0_T2_EENSG_IT1_SI_EESI_T_
	.p2align	8
	.type	_ZN2at4cuda12_GLOBAL__N_121kernelPointwiseApply2IZN12_GLOBAL__N_119poisson_cuda_kernelIN3c104HalfEEEvRKNS_10TensorBaseES9_NS_15PhiloxCudaStateEEUlRS6_RKS6_E_S6_S6_jLi2ELi1ELi1ELi512ELi2EEEvNS0_6detail10TensorInfoIT0_T2_EENSG_IT1_SI_EESI_T_,@function
_ZN2at4cuda12_GLOBAL__N_121kernelPointwiseApply2IZN12_GLOBAL__N_119poisson_cuda_kernelIN3c104HalfEEEvRKNS_10TensorBaseES9_NS_15PhiloxCudaStateEEUlRS6_RKS6_E_S6_S6_jLi2ELi1ELi1ELi512ELi2EEEvNS0_6detail10TensorInfoIT0_T2_EENSG_IT1_SI_EESI_T_: ; @_ZN2at4cuda12_GLOBAL__N_121kernelPointwiseApply2IZN12_GLOBAL__N_119poisson_cuda_kernelIN3c104HalfEEEvRKNS_10TensorBaseES9_NS_15PhiloxCudaStateEEUlRS6_RKS6_E_S6_S6_jLi2ELi1ELi1ELi512ELi2EEEvNS0_6detail10TensorInfoIT0_T2_EENSG_IT1_SI_EESI_T_
; %bb.0:
	s_load_dword s2, s[4:5], 0x1e4
	s_load_dword s33, s[4:5], 0x1b0
	s_add_u32 s0, s4, 0x1d8
	s_addc_u32 s1, s5, 0
	s_waitcnt lgkmcnt(0)
	s_and_b32 s2, s2, 0xffff
	s_mul_i32 s6, s6, s2
	v_add_u32_e32 v17, s6, v0
	v_cmp_gt_u32_e32 vcc, s33, v17
	s_and_saveexec_b64 s[6:7], vcc
	s_cbranch_execz .LBB82_47
; %bb.1:
	s_load_dwordx2 s[6:7], s[4:5], 0x0
                                        ; implicit-def: $vgpr134 : SGPR spill to VGPR lane
                                        ; kill: killed $sgpr0 killed $sgpr1
	s_mov_b32 s10, 0xcd9e8d57
	s_mov_b32 s22, 0
	;; [unrolled: 1-line block ×4, first 2 shown]
	s_waitcnt lgkmcnt(0)
	v_writelane_b32 v134, s6, 0
	v_writelane_b32 v134, s7, 1
	s_load_dword s8, s[4:5], 0xc
	s_load_dwordx2 s[6:7], s[4:5], 0x6c
	s_load_dwordx2 s[24:25], s[4:5], 0xd8
	s_load_dword s9, s[4:5], 0x144
	s_load_dwordx4 s[12:15], s[4:5], 0x1b8
	s_mov_b32 s34, 0xbf559e2b
	s_mov_b32 s36, 0xd7f4df2e
	s_waitcnt lgkmcnt(0)
	v_cvt_f32_u32_e32 v0, s8
	v_writelane_b32 v134, s6, 2
	v_writelane_b32 v134, s7, 3
	s_load_dword s3, s[0:1], 0x0
	s_load_dwordx2 s[6:7], s[4:5], 0x1c8
	v_writelane_b32 v134, s12, 4
	v_writelane_b32 v134, s13, 5
	;; [unrolled: 1-line block ×4, first 2 shown]
	v_rcp_iflag_f32_e32 v0, v0
	s_waitcnt lgkmcnt(0)
	v_writelane_b32 v134, s6, 8
	v_writelane_b32 v134, s7, 9
	s_load_dword s6, s[4:5], 0x1d0
	v_mul_f32_e32 v0, 0x4f7ffffe, v0
	s_getpc_b64 s[0:1]
	s_add_u32 s0, s0, .str@rel32@lo+4
	s_addc_u32 s1, s1, .str@rel32@hi+12
	v_cvt_u32_f32_e32 v0, v0
	s_cmp_eq_u64 s[0:1], 0
	s_cselect_b64 s[0:1], -1, 0
	s_waitcnt lgkmcnt(0)
	s_bitcmp1_b32 s6, 0
	v_mad_u64_u32 v[12:13], s[6:7], v17, s10, 0
	s_mul_i32 s45, s3, s2
	s_cselect_b64 s[2:3], -1, 0
	s_sub_i32 s6, 0, s8
	v_mul_lo_u32 v1, s6, v0
	v_mul_hi_u32 v1, v0, v1
	v_mov_b32_e32 v16, v13
	v_add_u32_e32 v13, v0, v1
	v_cndmask_b32_e64 v0, 0, 1, s[2:3]
	v_cmp_ne_u32_e64 s[2:3], 1, v0
	v_writelane_b32 v134, s2, 10
	v_writelane_b32 v134, s3, 11
	s_xor_b64 s[60:61], s[0:1], -1
	s_mov_b32 s1, 0xbff71547
	s_mov_b32 s38, 0x16291751
	;; [unrolled: 1-line block ×22, first 2 shown]
	s_movk_i32 s90, 0xf950
	s_mov_b32 s92, 0xc864beb5
	s_mov_b32 s94, 0
	;; [unrolled: 1-line block ×3, first 2 shown]
	v_writelane_b32 v134, s0, 12
                                        ; kill: killed $sgpr4 killed $sgpr5
	s_mov_b64 s[4:5], 0
	v_mov_b32_e32 v14, 0
	v_mov_b32_e32 v88, s25
	s_mov_b32 s25, s9
	s_mov_b32 s11, 0xd2511f53
	;; [unrolled: 1-line block ×13, first 2 shown]
	s_movk_i32 s9, 0x204
	s_mov_b32 s53, 0x3ff71547
	s_mov_b32 s55, 0xbfe62e42
	;; [unrolled: 1-line block ×4, first 2 shown]
	v_mov_b32_e32 v18, 0x6b47b09a
	v_mov_b32_e32 v20, 0xd7f4df2e
	v_mov_b32_e32 v22, 0x16291751
	v_mov_b32_e32 v24, 0x9b27acf1
	v_mov_b32_e32 v26, 0x998ef7b6
	v_mov_b32_e32 v28, 0x55555780
	v_mov_b32_e32 v30, 0xfca7ab0c
	v_mov_b32_e32 v32, 0x623fde64
	v_mov_b32_e32 v34, 0x7c89e6b0
	v_mov_b32_e32 v36, 0x14761f6e
	v_mov_b32_e32 v38, 0x1852b7b0
	v_mov_b32_e32 v40, 0x11122322
	v_mov_b32_e32 v42, 0x555502a1
	v_mov_b32_e32 v44, 0x55555511
	v_mov_b32_e32 v46, 11
	v_mov_b32_e32 v48, 0x6fdffd2b
	v_mov_b32_e32 v50, 0xd5f14825
	v_mov_b32_e32 v52, 0xcdfe9424
	v_mov_b32_e32 v54, 0x67754fff
	v_mov_b32_e32 v56, 0xe625be09
	v_mov_b32_e32 v58, 0xca1d4f33
	v_mov_b32_e32 v60, 0x7294bff9
	v_mov_b32_e32 v62, 0x67b90b37
	v_mov_b32_e32 v64, 0x7e3c325b
	v_mov_b32_e32 v66, 0x81b5a67
	v_mov_b32_e32 v68, 0xc9be45de
	v_mov_b32_e32 v89, 0x260
	v_mov_b32_e32 v90, 0xffffff80
	v_mov_b32_e32 v91, 0x3ff00000
	v_mov_b32_e32 v92, 0x7ff80000
	v_mov_b32_e32 v93, 0xfff00000
	v_mov_b32_e32 v94, 0x7ff00000
	v_mov_b32_e32 v95, v17
	v_mov_b32_e32 v19, 0x3fc38538
	v_mov_b32_e32 v21, 0x3fc7474d
	v_mov_b32_e32 v23, 0x3fcc71c0
	v_mov_b32_e32 v25, 0x3fd24924
	v_mov_b32_e32 v27, 0x3fd99999
	v_mov_b32_e32 v29, 0x3fe55555
	v_mov_b32_e32 v31, 0x3e928af3
	v_mov_b32_e32 v33, 0x3ec71dee
	v_mov_b32_e32 v35, 0x3efa0199
	v_mov_b32_e32 v37, 0x3f2a01a0
	v_mov_b32_e32 v39, 0x3f56c16c
	v_mov_b32_e32 v41, 0x3f811111
	v_mov_b32_e32 v43, 0x3fa55555
	v_mov_b32_e32 v45, 0x3fc55555
	v_mov_b32_e32 v47, 0x3fe00000
	v_mov_b32_e32 v49, 0xbf7e2fe7
	v_mov_b32_e32 v51, 0x3fb50782
	v_mov_b32_e32 v53, 0xbfe32d2c
	v_mov_b32_e32 v55, 0x400466bc
	v_mov_b32_e32 v57, 0xc014abbc
	v_mov_b32_e32 v59, 0x3f5f9c89
	v_mov_b32_e32 v61, 0xbf9a6d1e
	v_mov_b32_e32 v63, 0x3fce1f50
	v_mov_b32_e32 v65, 0xbff55d3c
	v_mov_b32_e32 v67, 0x40103c1f
	v_mov_b32_e32 v69, 0xc013bd3c
	s_mov_b32 s63, 0x40900000
	s_mov_b32 s65, 0xc090cc00
	;; [unrolled: 1-line block ×18, first 2 shown]
	v_writelane_b32 v134, s1, 13
                                        ; implicit-def: $sgpr18_sgpr19
                                        ; implicit-def: $sgpr16_sgpr17
	v_writelane_b32 v134, s45, 14
	s_branch .LBB82_5
.LBB82_2:                               ;   in Loop: Header=BB82_5 Depth=1
	s_or_b64 exec, exec, s[2:3]
.LBB82_3:                               ;   in Loop: Header=BB82_5 Depth=1
	s_or_b64 exec, exec, s[0:1]
	v_cvt_f32_u32_e32 v2, v75
	v_readlane_b32 s0, v134, 0
	v_lshlrev_b64 v[0:1], 1, v[70:71]
	v_readlane_b32 s1, v134, 1
	v_mov_b32_e32 v3, s1
	v_cvt_f16_f32_e32 v2, v2
	v_add_co_u32_e32 v0, vcc, s0, v0
	v_addc_co_u32_e32 v1, vcc, v3, v1, vcc
	v_add_u32_e32 v95, s45, v95
	v_cmp_le_u32_e32 vcc, s33, v95
	s_andn2_b64 s[16:17], s[16:17], exec
	s_orn2_b64 s[0:1], vcc, exec
	global_store_short v[0:1], v2, off
.LBB82_4:                               ;   in Loop: Header=BB82_5 Depth=1
	s_or_b64 exec, exec, s[26:27]
	s_and_b64 s[0:1], exec, s[0:1]
	s_or_b64 s[4:5], s[0:1], s[4:5]
	s_andn2_b64 s[0:1], s[18:19], exec
	s_and_b64 s[2:3], s[16:17], exec
	s_or_b64 s[18:19], s[0:1], s[2:3]
	s_andn2_b64 exec, exec, s[4:5]
	s_cbranch_execz .LBB82_46
.LBB82_5:                               ; =>This Loop Header: Depth=1
                                        ;     Child Loop BB82_13 Depth 2
                                        ;     Child Loop BB82_42 Depth 2
	v_sub_u32_e32 v0, s33, v95
	v_cmp_lt_i32_e32 vcc, 0, v0
	v_pk_mov_b32 v[70:71], 0, 0
	s_and_saveexec_b64 s[0:1], vcc
	s_cbranch_execz .LBB82_7
; %bb.6:                                ;   in Loop: Header=BB82_5 Depth=1
	v_mul_hi_u32 v0, v95, v13
	v_mul_lo_u32 v1, v0, s8
	v_sub_u32_e32 v1, v95, v1
	v_add_u32_e32 v2, 1, v0
	v_cmp_le_u32_e64 s[2:3], s8, v1
	v_cndmask_b32_e64 v0, v0, v2, s[2:3]
	v_subrev_u32_e32 v2, s8, v1
	v_cndmask_b32_e64 v1, v1, v2, s[2:3]
	v_add_u32_e32 v2, 1, v0
	v_cmp_le_u32_e64 s[2:3], s8, v1
	v_cndmask_b32_e64 v1, v0, v2, s[2:3]
	v_mul_lo_u32 v0, v1, s8
	v_readlane_b32 s2, v134, 2
	v_sub_u32_e32 v0, v95, v0
	v_readlane_b32 s3, v134, 3
	v_mul_lo_u32 v0, v0, s3
	v_mad_u64_u32 v[70:71], s[2:3], v1, s2, v[0:1]
	v_mov_b32_e32 v71, v14
.LBB82_7:                               ;   in Loop: Header=BB82_5 Depth=1
	s_or_b64 exec, exec, s[0:1]
	v_mul_lo_u32 v0, v95, s25
	v_cndmask_b32_e32 v0, 0, v0, vcc
	v_mov_b32_e32 v1, v14
	v_lshlrev_b64 v[0:1], 1, v[0:1]
	v_add_co_u32_e32 v0, vcc, s24, v0
	v_addc_co_u32_e32 v1, vcc, v88, v1, vcc
	global_load_ushort v6, v[0:1], off
	s_mov_b64 s[0:1], -1
	s_or_b64 s[16:17], s[16:17], exec
	s_waitcnt vmcnt(0)
	v_cmp_le_f16_e32 vcc, 0, v6
	s_and_b64 s[2:3], s[60:61], vcc
	s_and_saveexec_b64 s[26:27], s[2:3]
	s_cbranch_execz .LBB82_4
; %bb.8:                                ;   in Loop: Header=BB82_5 Depth=1
	v_readlane_b32 s0, v134, 10
	v_readlane_b32 s1, v134, 11
	s_and_b64 vcc, exec, s[0:1]
	v_readlane_b32 s0, v134, 4
	v_readlane_b32 s1, v134, 5
	;; [unrolled: 1-line block ×4, first 2 shown]
	v_pk_mov_b32 v[0:1], s[2:3], s[2:3] op_sel:[0,1]
	v_pk_mov_b32 v[72:73], s[0:1], s[0:1] op_sel:[0,1]
	s_cbranch_vccnz .LBB82_10
; %bb.9:                                ;   in Loop: Header=BB82_5 Depth=1
	v_readlane_b32 s0, v134, 4
	v_readlane_b32 s2, v134, 6
	;; [unrolled: 1-line block ×3, first 2 shown]
	v_pk_mov_b32 v[0:1], s[2:3], s[2:3] op_sel:[0,1]
	v_readlane_b32 s1, v134, 5
	flat_load_dwordx2 v[0:1], v[0:1]
	v_pk_mov_b32 v[2:3], s[0:1], s[0:1] op_sel:[0,1]
	flat_load_dwordx2 v[72:73], v[2:3]
	v_readlane_b32 s0, v134, 8
	v_readlane_b32 s1, v134, 9
	v_mov_b32_e32 v2, s1
	s_waitcnt vmcnt(0) lgkmcnt(0)
	v_add_co_u32_e32 v0, vcc, s0, v0
	v_addc_co_u32_e32 v1, vcc, v1, v2, vcc
.LBB82_10:                              ;   in Loop: Header=BB82_5 Depth=1
	v_alignbit_b32 v97, v1, v0, 2
	v_and_b32_e32 v15, 3, v0
	v_lshrrev_b32_e32 v98, 2, v1
	v_mad_u64_u32 v[0:1], s[0:1], v97, s11, 0
	v_xor_b32_e32 v3, v16, v72
	v_mov_b32_e32 v2, v73
	v_xor_b32_e32 v1, v1, v73
	s_mov_b32 s0, 0xbb67ae85
	v_xor_b32_e32 v3, v3, v98
	v_add_co_u32_e32 v100, vcc, s0, v2
	v_mad_u64_u32 v[4:5], s[0:1], v3, s11, 0
	v_mad_u64_u32 v[8:9], s[0:1], v1, s10, 0
	v_add_co_u32_e32 v99, vcc, 0x9e3779b9, v72
	v_xor_b32_e32 v1, v12, v9
	v_xor_b32_e32 v3, v100, v5
	s_mov_b32 s0, 0x3c6ef372
	v_xor_b32_e32 v1, v1, v99
	v_xor_b32_e32 v3, v3, v0
	v_add_co_u32_e32 v101, vcc, s0, v72
	s_mov_b32 s0, 0x76cf5d0a
	v_add_co_u32_e32 v102, vcc, s0, v2
	v_mad_u64_u32 v[0:1], s[0:1], v1, s11, 0
	v_mad_u64_u32 v[10:11], s[0:1], v3, s10, 0
	v_xor_b32_e32 v3, v101, v11
	v_xor_b32_e32 v1, v102, v1
	s_mov_b32 s0, 0xdaa66d2b
	v_xor_b32_e32 v3, v3, v8
	v_xor_b32_e32 v1, v1, v4
	v_add_co_u32_e32 v104, vcc, s0, v72
	s_mov_b32 s0, 0x32370b8f
	v_add_co_u32_e32 v105, vcc, s0, v2
	v_mad_u64_u32 v[4:5], s[0:1], v3, s11, 0
	v_mad_u64_u32 v[8:9], s[0:1], v1, s10, 0
	;; [unrolled: 10-line block ×7, first 2 shown]
	v_xor_b32_e32 v1, v103, v1
	v_xor_b32_e32 v1, v1, v8
	;; [unrolled: 1-line block ×4, first 2 shown]
	v_mad_u64_u32 v[4:5], s[0:1], v1, s11, 0
	v_mov_b32_e32 v3, v4
	v_cvt_f32_f16_e32 v4, v6
	v_mad_u64_u32 v[8:9], s[0:1], v7, s10, 0
	v_add_u32_e32 v106, 0x8ff34781, v72
	v_add_u32_e32 v96, 0x96a522ad, v73
	v_xor_b32_e32 v0, v9, v0
	v_xor_b32_e32 v2, v5, v2
	s_movk_i32 s0, 0x5400
	v_mov_b32_e32 v1, v8
	v_xor_b32_e32 v0, v106, v0
	v_xor_b32_e32 v2, v96, v2
	v_cvt_f64_f32_e32 v[4:5], v4
	v_cmp_ngt_f16_e32 vcc, s0, v6
                                        ; implicit-def: $vgpr75
	s_and_saveexec_b64 s[0:1], vcc
	s_xor_b64 s[50:51], exec, s[0:1]
	s_cbranch_execz .LBB82_39
; %bb.11:                               ;   in Loop: Header=BB82_5 Depth=1
	s_movk_i32 s0, 0x6bd0
	v_cmp_ge_f16_e32 vcc, s0, v6
                                        ; implicit-def: $vgpr75
	s_and_saveexec_b64 s[0:1], vcc
	s_xor_b64 s[6:7], exec, s[0:1]
	s_cbranch_execz .LBB82_26
; %bb.12:                               ;   in Loop: Header=BB82_5 Depth=1
	s_mov_b32 s12, 0xae147ae1
	s_mov_b32 s13, 0xc00ae147
	v_div_scale_f64 v[6:7], s[0:1], v[4:5], v[4:5], s[12:13]
	v_rcp_f64_e32 v[8:9], v[6:7]
	s_mov_b32 s0, 0
	v_mul_f64 v[76:77], v[4:5], s[22:23]
	s_brev_b32 s1, 8
	v_cmp_gt_f64_e64 s[2:3], s[0:1], v[76:77]
	v_cndmask_b32_e64 v78, 0, 1, s[2:3]
	v_fma_f64 v[74:75], -v[6:7], v[8:9], 1.0
	v_lshlrev_b32_e32 v78, 8, v78
	v_fmac_f64_e32 v[8:9], v[8:9], v[74:75]
	v_ldexp_f64 v[76:77], v[76:77], v78
	v_fma_f64 v[74:75], -v[6:7], v[8:9], 1.0
	v_rsq_f64_e32 v[78:79], v[76:77]
	v_div_scale_f64 v[10:11], vcc, s[12:13], v[4:5], s[12:13]
	v_fmac_f64_e32 v[8:9], v[8:9], v[74:75]
	v_mul_f64 v[74:75], v[10:11], v[8:9]
	v_fma_f64 v[6:7], -v[6:7], v[74:75], v[10:11]
	s_nop 0
	v_div_fmas_f64 v[6:7], v[6:7], v[8:9], v[74:75]
	v_mul_f64 v[8:9], v[76:77], v[78:79]
	v_mul_f64 v[10:11], v[78:79], 0.5
	v_fma_f64 v[74:75], -v[10:11], v[8:9], 0.5
	v_fmac_f64_e32 v[8:9], v[8:9], v[74:75]
	v_fma_f64 v[78:79], -v[8:9], v[8:9], v[76:77]
	v_fmac_f64_e32 v[10:11], v[10:11], v[74:75]
	v_fmac_f64_e32 v[8:9], v[78:79], v[10:11]
	v_fma_f64 v[74:75], -v[8:9], v[8:9], v[76:77]
	v_fmac_f64_e32 v[8:9], v[74:75], v[10:11]
	v_cndmask_b32_e64 v10, 0, v90, s[2:3]
	v_ldexp_f64 v[8:9], v[8:9], v10
	v_cmp_class_f64_e32 vcc, v[76:77], v89
	s_mov_b32 s2, 0x54442d18
	v_cndmask_b32_e32 v9, v9, v77, vcc
	v_cndmask_b32_e32 v8, v8, v76, vcc
	s_mov_b32 s3, 0x400921fb
	v_div_scale_f64 v[10:11], s[0:1], v[8:9], v[8:9], s[2:3]
	v_rcp_f64_e32 v[76:77], v[10:11]
	s_mov_b32 s0, 0x95810625
	v_div_fixup_f64 v[6:7], v[6:7], v[4:5], s[12:13]
	s_mov_b32 s1, 0x3fe88b43
	v_fma_f64 v[78:79], -v[10:11], v[76:77], 1.0
	v_fmac_f64_e32 v[76:77], v[76:77], v[78:79]
	v_fma_f64 v[78:79], -v[10:11], v[76:77], 1.0
	v_fmac_f64_e32 v[76:77], v[76:77], v[78:79]
	v_div_scale_f64 v[78:79], vcc, s[2:3], v[8:9], s[2:3]
	v_mul_f64 v[80:81], v[78:79], v[76:77]
	v_fma_f64 v[10:11], -v[10:11], v[80:81], v[78:79]
	v_add_f64 v[6:7], v[6:7], s[0:1]
	s_nop 0
	v_div_fmas_f64 v[10:11], v[10:11], v[76:77], v[80:81]
	v_div_fixup_f64 v[76:77], v[10:11], v[8:9], s[2:3]
	v_frexp_mant_f64_e32 v[8:9], v[6:7]
	v_cmp_gt_f64_e32 vcc, s[28:29], v[8:9]
	v_mov_b32_e32 v74, 0
	v_cndmask_b32_e64 v75, v91, 2.0, vcc
	v_frexp_exp_i32_f64_e32 v10, v[6:7]
	v_mul_f64 v[8:9], v[8:9], v[74:75]
	v_subbrev_co_u32_e32 v75, vcc, 0, v10, vcc
	v_add_f64 v[10:11], v[8:9], 1.0
	v_rcp_f64_e32 v[80:81], v[10:11]
	v_add_f64 v[84:85], v[10:11], -1.0
	v_add_f64 v[82:83], v[8:9], -1.0
	v_add_f64 v[8:9], v[8:9], -v[84:85]
	v_fma_f64 v[84:85], -v[10:11], v[80:81], 1.0
	v_fmac_f64_e32 v[80:81], v[84:85], v[80:81]
	v_fma_f64 v[84:85], -v[10:11], v[80:81], 1.0
	v_fmac_f64_e32 v[80:81], v[84:85], v[80:81]
	v_mul_f64 v[84:85], v[82:83], v[80:81]
	v_mul_f64 v[86:87], v[10:11], v[84:85]
	v_fma_f64 v[10:11], v[84:85], v[10:11], -v[86:87]
	v_fmac_f64_e32 v[10:11], v[84:85], v[8:9]
	v_add_f64 v[8:9], v[86:87], v[10:11]
	v_add_f64 v[116:117], v[82:83], -v[8:9]
	v_add_f64 v[86:87], v[8:9], -v[86:87]
	;; [unrolled: 1-line block ×5, first 2 shown]
	v_add_f64 v[8:9], v[10:11], v[8:9]
	v_add_f64 v[8:9], v[116:117], v[8:9]
	v_mul_f64 v[8:9], v[80:81], v[8:9]
	v_add_f64 v[10:11], v[84:85], v[8:9]
	v_add_f64 v[80:81], v[10:11], -v[84:85]
	v_add_f64 v[8:9], v[8:9], -v[80:81]
	v_mul_f64 v[80:81], v[10:11], v[10:11]
	v_pk_mov_b32 v[82:83], s[30:31], s[30:31] op_sel:[0,1]
	v_fma_f64 v[84:85], s[34:35], v[80:81], v[82:83]
	v_fma_f64 v[84:85], v[80:81], v[84:85], s[36:37]
	;; [unrolled: 1-line block ×5, first 2 shown]
	s_mov_b32 s45, s29
	v_fma_f64 v[84:85], v[80:81], v[84:85], s[44:45]
	v_ldexp_f64 v[86:87], v[10:11], 1
	v_mul_f64 v[10:11], v[10:11], v[80:81]
	v_mul_f64 v[10:11], v[10:11], v[84:85]
	v_add_f64 v[80:81], v[86:87], v[10:11]
	v_add_f64 v[84:85], v[80:81], -v[86:87]
	v_ldexp_f64 v[8:9], v[8:9], 1
	v_add_f64 v[10:11], v[10:11], -v[84:85]
	v_add_f64 v[8:9], v[8:9], v[10:11]
	v_add_f64 v[10:11], v[80:81], v[8:9]
	v_add_f64 v[80:81], v[10:11], -v[80:81]
	v_add_f64 v[8:9], v[8:9], -v[80:81]
	v_cvt_f64_i32_e32 v[80:81], v75
	v_mul_f64 v[84:85], v[80:81], s[46:47]
	v_fma_f64 v[86:87], v[80:81], s[46:47], -v[84:85]
	v_fmac_f64_e32 v[86:87], s[48:49], v[80:81]
	v_add_f64 v[80:81], v[84:85], v[86:87]
	v_add_f64 v[84:85], v[80:81], -v[84:85]
	v_add_f64 v[84:85], v[86:87], -v[84:85]
	v_add_f64 v[86:87], v[80:81], v[10:11]
	v_add_f64 v[116:117], v[86:87], -v[80:81]
	v_add_f64 v[118:119], v[86:87], -v[116:117]
	;; [unrolled: 1-line block ×4, first 2 shown]
	v_add_f64 v[10:11], v[10:11], v[80:81]
	v_add_f64 v[80:81], v[84:85], v[8:9]
	v_add_f64 v[116:117], v[80:81], -v[84:85]
	v_add_f64 v[118:119], v[80:81], -v[116:117]
	v_add_f64 v[10:11], v[80:81], v[10:11]
	v_add_f64 v[84:85], v[84:85], -v[118:119]
	v_add_f64 v[8:9], v[8:9], -v[116:117]
	v_add_f64 v[80:81], v[86:87], v[10:11]
	v_add_f64 v[8:9], v[8:9], v[84:85]
	v_add_f64 v[84:85], v[80:81], -v[86:87]
	v_add_f64 v[10:11], v[10:11], -v[84:85]
	v_add_f64 v[8:9], v[8:9], v[10:11]
	v_add_f64 v[8:9], v[80:81], v[8:9]
	v_cmp_class_f64_e64 vcc, v[6:7], s9
	v_cndmask_b32_e32 v8, v8, v6, vcc
	v_cndmask_b32_e32 v9, v9, v7, vcc
	v_cmp_ngt_f64_e32 vcc, 0, v[6:7]
	v_cndmask_b32_e32 v9, v92, v9, vcc
	v_cmp_nge_f64_e32 vcc, 0, v[6:7]
	v_cndmask_b32_e32 v8, 0, v8, vcc
	v_cmp_neq_f64_e32 vcc, 0, v[6:7]
	v_cndmask_b32_e32 v9, v93, v9, vcc
	v_add_f64 v[6:7], v[8:9], -v[4:5]
	v_frexp_mant_f64_e32 v[8:9], v[76:77]
	v_cmp_gt_f64_e32 vcc, s[28:29], v[8:9]
	v_cndmask_b32_e64 v75, v91, 2.0, vcc
	v_frexp_exp_i32_f64_e32 v10, v[76:77]
	v_mul_f64 v[8:9], v[8:9], v[74:75]
	v_subbrev_co_u32_e32 v75, vcc, 0, v10, vcc
	v_add_f64 v[10:11], v[8:9], 1.0
	v_rcp_f64_e32 v[80:81], v[10:11]
	v_add_f64 v[86:87], v[10:11], -1.0
	v_add_f64 v[84:85], v[8:9], -1.0
	v_add_f64 v[8:9], v[8:9], -v[86:87]
	v_fma_f64 v[86:87], -v[10:11], v[80:81], 1.0
	v_fmac_f64_e32 v[80:81], v[86:87], v[80:81]
	v_fma_f64 v[86:87], -v[10:11], v[80:81], 1.0
	v_fmac_f64_e32 v[80:81], v[86:87], v[80:81]
	v_mul_f64 v[86:87], v[84:85], v[80:81]
	v_mul_f64 v[116:117], v[10:11], v[86:87]
	v_fma_f64 v[10:11], v[86:87], v[10:11], -v[116:117]
	v_fmac_f64_e32 v[10:11], v[86:87], v[8:9]
	v_add_f64 v[8:9], v[116:117], v[10:11]
	v_add_f64 v[118:119], v[84:85], -v[8:9]
	v_add_f64 v[116:117], v[8:9], -v[116:117]
	;; [unrolled: 1-line block ×5, first 2 shown]
	v_add_f64 v[8:9], v[10:11], v[8:9]
	v_add_f64 v[8:9], v[118:119], v[8:9]
	v_mul_f64 v[8:9], v[80:81], v[8:9]
	v_add_f64 v[10:11], v[86:87], v[8:9]
	v_add_f64 v[80:81], v[10:11], -v[86:87]
	v_add_f64 v[8:9], v[8:9], -v[80:81]
	v_mul_f64 v[80:81], v[10:11], v[10:11]
	v_fma_f64 v[84:85], s[34:35], v[80:81], v[82:83]
	v_fma_f64 v[84:85], v[80:81], v[84:85], s[36:37]
	;; [unrolled: 1-line block ×6, first 2 shown]
	v_ldexp_f64 v[86:87], v[10:11], 1
	v_mul_f64 v[10:11], v[10:11], v[80:81]
	v_mul_f64 v[10:11], v[10:11], v[84:85]
	v_add_f64 v[80:81], v[86:87], v[10:11]
	v_add_f64 v[84:85], v[80:81], -v[86:87]
	v_ldexp_f64 v[8:9], v[8:9], 1
	v_add_f64 v[10:11], v[10:11], -v[84:85]
	v_add_f64 v[8:9], v[8:9], v[10:11]
	v_add_f64 v[10:11], v[80:81], v[8:9]
	v_add_f64 v[80:81], v[10:11], -v[80:81]
	v_add_f64 v[8:9], v[8:9], -v[80:81]
	v_cvt_f64_i32_e32 v[80:81], v75
	v_mul_f64 v[84:85], v[80:81], s[46:47]
	v_fma_f64 v[86:87], v[80:81], s[46:47], -v[84:85]
	v_fmac_f64_e32 v[86:87], s[48:49], v[80:81]
	v_add_f64 v[80:81], v[84:85], v[86:87]
	v_add_f64 v[84:85], v[80:81], -v[84:85]
	v_add_f64 v[84:85], v[86:87], -v[84:85]
	v_add_f64 v[86:87], v[80:81], v[10:11]
	v_add_f64 v[116:117], v[86:87], -v[80:81]
	v_add_f64 v[118:119], v[86:87], -v[116:117]
	;; [unrolled: 1-line block ×4, first 2 shown]
	v_add_f64 v[10:11], v[10:11], v[80:81]
	v_add_f64 v[80:81], v[84:85], v[8:9]
	v_add_f64 v[116:117], v[80:81], -v[84:85]
	v_add_f64 v[118:119], v[80:81], -v[116:117]
	v_add_f64 v[10:11], v[80:81], v[10:11]
	v_add_f64 v[84:85], v[84:85], -v[118:119]
	v_add_f64 v[8:9], v[8:9], -v[116:117]
	v_add_f64 v[80:81], v[86:87], v[10:11]
	v_add_f64 v[8:9], v[8:9], v[84:85]
	v_add_f64 v[84:85], v[80:81], -v[86:87]
	v_add_f64 v[10:11], v[10:11], -v[84:85]
	s_mov_b32 s0, 0
	v_add_f64 v[8:9], v[8:9], v[10:11]
	s_mov_b32 s1, 0x7ff00000
	v_add_f64 v[8:9], v[80:81], v[8:9]
	v_cmp_eq_f64_e32 vcc, s[0:1], v[76:77]
	v_cndmask_b32_e32 v8, v8, v76, vcc
	v_cndmask_b32_e32 v9, v9, v77, vcc
	v_cmp_neq_f64_e32 vcc, 0, v[76:77]
	v_cndmask_b32_e32 v9, v93, v9, vcc
	v_cndmask_b32_e32 v8, 0, v8, vcc
	v_mul_f64 v[78:79], v[76:77], v[4:5]
	v_add_f64 v[80:81], v[6:7], -v[8:9]
	v_frexp_exp_i32_f64_e32 v6, v[4:5]
	v_frexp_mant_f64_e32 v[4:5], v[4:5]
	v_cmp_gt_f64_e32 vcc, s[28:29], v[4:5]
	v_cndmask_b32_e64 v75, v91, 2.0, vcc
	v_mul_f64 v[4:5], v[4:5], v[74:75]
	v_subbrev_co_u32_e32 v75, vcc, 0, v6, vcc
	v_add_f64 v[6:7], v[4:5], 1.0
	v_rcp_f64_e32 v[8:9], v[6:7]
	v_add_f64 v[84:85], v[6:7], -1.0
	v_add_f64 v[10:11], v[4:5], -1.0
	v_add_f64 v[4:5], v[4:5], -v[84:85]
	v_fma_f64 v[84:85], -v[6:7], v[8:9], 1.0
	v_fmac_f64_e32 v[8:9], v[84:85], v[8:9]
	v_fma_f64 v[84:85], -v[6:7], v[8:9], 1.0
	v_fmac_f64_e32 v[8:9], v[84:85], v[8:9]
	v_mul_f64 v[84:85], v[10:11], v[8:9]
	v_mul_f64 v[86:87], v[6:7], v[84:85]
	v_fma_f64 v[6:7], v[84:85], v[6:7], -v[86:87]
	v_fmac_f64_e32 v[6:7], v[84:85], v[4:5]
	v_add_f64 v[4:5], v[86:87], v[6:7]
	v_add_f64 v[116:117], v[10:11], -v[4:5]
	v_add_f64 v[86:87], v[4:5], -v[86:87]
	;; [unrolled: 1-line block ×5, first 2 shown]
	v_add_f64 v[4:5], v[6:7], v[4:5]
	v_add_f64 v[4:5], v[116:117], v[4:5]
	v_mul_f64 v[4:5], v[8:9], v[4:5]
	v_add_f64 v[6:7], v[84:85], v[4:5]
	v_add_f64 v[8:9], v[6:7], -v[84:85]
	v_add_f64 v[4:5], v[4:5], -v[8:9]
	v_mul_f64 v[8:9], v[6:7], v[6:7]
	v_fmac_f64_e32 v[82:83], s[34:35], v[8:9]
	v_fma_f64 v[10:11], v[8:9], v[82:83], s[36:37]
	v_fma_f64 v[10:11], v[8:9], v[10:11], s[38:39]
	;; [unrolled: 1-line block ×5, first 2 shown]
	v_ldexp_f64 v[82:83], v[6:7], 1
	v_mul_f64 v[6:7], v[6:7], v[8:9]
	v_mul_f64 v[6:7], v[6:7], v[10:11]
	v_add_f64 v[8:9], v[82:83], v[6:7]
	v_add_f64 v[10:11], v[8:9], -v[82:83]
	v_ldexp_f64 v[4:5], v[4:5], 1
	v_add_f64 v[6:7], v[6:7], -v[10:11]
	v_add_f64 v[4:5], v[4:5], v[6:7]
	v_add_f64 v[6:7], v[8:9], v[4:5]
	v_add_f64 v[8:9], v[6:7], -v[8:9]
	v_add_f64 v[4:5], v[4:5], -v[8:9]
	v_cvt_f64_i32_e32 v[8:9], v75
	v_mul_f64 v[10:11], v[8:9], s[46:47]
	v_fma_f64 v[82:83], v[8:9], s[46:47], -v[10:11]
	v_fmac_f64_e32 v[82:83], s[48:49], v[8:9]
	v_add_f64 v[8:9], v[10:11], v[82:83]
	v_add_f64 v[10:11], v[8:9], -v[10:11]
	v_add_f64 v[10:11], v[82:83], -v[10:11]
	v_add_f64 v[82:83], v[8:9], v[6:7]
	v_add_f64 v[84:85], v[82:83], -v[8:9]
	v_add_f64 v[86:87], v[82:83], -v[84:85]
	;; [unrolled: 1-line block ×4, first 2 shown]
	v_add_f64 v[6:7], v[6:7], v[8:9]
	v_add_f64 v[8:9], v[10:11], v[4:5]
	v_add_f64 v[84:85], v[8:9], -v[10:11]
	v_add_f64 v[86:87], v[8:9], -v[84:85]
	v_add_f64 v[6:7], v[8:9], v[6:7]
	v_add_f64 v[10:11], v[10:11], -v[86:87]
	v_add_f64 v[4:5], v[4:5], -v[84:85]
	v_add_f64 v[8:9], v[82:83], v[6:7]
	v_add_f64 v[4:5], v[4:5], v[10:11]
	v_add_f64 v[10:11], v[8:9], -v[82:83]
	v_add_f64 v[6:7], v[6:7], -v[10:11]
	v_add_f64 v[4:5], v[4:5], v[6:7]
	v_add_f64 v[82:83], v[8:9], v[4:5]
	s_mov_b64 s[12:13], 0
	s_mov_b64 s[14:15], 0
	v_mov_b32_e32 v116, v17
                                        ; implicit-def: $vgpr75
.LBB82_13:                              ;   Parent Loop BB82_5 Depth=1
                                        ; =>  This Inner Loop Header: Depth=2
	v_add_u32_e32 v117, 1, v15
	v_pk_mov_b32 v[10:11], v[2:3], v[2:3] op_sel:[0,1]
	v_cmp_eq_u32_e32 vcc, 4, v117
	v_pk_mov_b32 v[8:9], v[0:1], v[0:1] op_sel:[0,1]
	v_mov_b32_e32 v87, v0
	v_mov_b32_e32 v86, v1
	;; [unrolled: 1-line block ×4, first 2 shown]
	s_and_saveexec_b64 s[0:1], vcc
	s_cbranch_execz .LBB82_15
; %bb.14:                               ;   in Loop: Header=BB82_13 Depth=2
	v_add_co_u32_e32 v97, vcc, 1, v97
	v_cndmask_b32_e64 v4, 0, 1, vcc
	v_addc_co_u32_e32 v98, vcc, 0, v98, vcc
	v_cmp_eq_u32_e32 vcc, 0, v98
	v_cndmask_b32_e32 v4, 0, v4, vcc
	v_add_u32_e32 v116, v4, v116
	v_cmp_eq_u32_e32 vcc, 0, v116
	v_cndmask_b32_e32 v4, 0, v4, vcc
	v_add_u32_e32 v74, v4, v74
	v_mad_u64_u32 v[4:5], s[2:3], v97, s11, 0
	v_mad_u64_u32 v[6:7], s[2:3], v116, s10, 0
	v_xor_b32_e32 v5, v5, v73
	v_xor_b32_e32 v7, v7, v72
	v_xor_b32_e32 v5, v74, v5
	v_xor_b32_e32 v7, v98, v7
	v_mad_u64_u32 v[10:11], s[2:3], v5, s10, 0
	v_mad_u64_u32 v[8:9], s[2:3], v7, s11, 0
	v_xor_b32_e32 v5, v99, v11
	v_xor_b32_e32 v5, v5, v6
	v_xor_b32_e32 v6, v100, v9
	v_xor_b32_e32 v6, v6, v4
	;; [unrolled: 6-line block ×10, first 2 shown]
	v_mov_b32_e32 v117, 0
	v_mov_b32_e32 v9, v86
	;; [unrolled: 1-line block ×5, first 2 shown]
.LBB82_15:                              ;   in Loop: Header=BB82_13 Depth=2
	s_or_b64 exec, exec, s[0:1]
	v_add_u32_e32 v118, 1, v117
	v_pk_mov_b32 v[4:5], v[8:9], v[8:9] op_sel:[0,1]
	v_cmp_eq_u32_e32 vcc, 4, v118
	v_pk_mov_b32 v[6:7], v[10:11], v[10:11] op_sel:[0,1]
	s_and_saveexec_b64 s[0:1], vcc
	s_cbranch_execz .LBB82_17
; %bb.16:                               ;   in Loop: Header=BB82_13 Depth=2
	v_add_co_u32_e32 v97, vcc, 1, v97
	v_cndmask_b32_e64 v4, 0, 1, vcc
	v_addc_co_u32_e32 v98, vcc, 0, v98, vcc
	v_cmp_eq_u32_e32 vcc, 0, v98
	v_cndmask_b32_e32 v4, 0, v4, vcc
	v_add_u32_e32 v116, v4, v116
	v_cmp_eq_u32_e32 vcc, 0, v116
	v_cndmask_b32_e32 v4, 0, v4, vcc
	v_add_u32_e32 v74, v4, v74
	v_mad_u64_u32 v[4:5], s[2:3], v97, s11, 0
	v_mad_u64_u32 v[6:7], s[2:3], v116, s10, 0
	v_xor_b32_e32 v5, v5, v73
	v_xor_b32_e32 v7, v7, v72
	v_xor_b32_e32 v5, v74, v5
	v_xor_b32_e32 v7, v98, v7
	v_mad_u64_u32 v[86:87], s[2:3], v5, s10, 0
	v_mad_u64_u32 v[84:85], s[2:3], v7, s11, 0
	v_xor_b32_e32 v5, v99, v87
	v_xor_b32_e32 v5, v5, v6
	v_xor_b32_e32 v6, v100, v85
	v_xor_b32_e32 v6, v6, v4
	v_mad_u64_u32 v[4:5], s[2:3], v5, s11, 0
	v_mad_u64_u32 v[6:7], s[2:3], v6, s10, 0
	v_xor_b32_e32 v5, v102, v5
	v_xor_b32_e32 v7, v101, v7
	v_xor_b32_e32 v5, v5, v84
	v_xor_b32_e32 v7, v7, v86
	v_mad_u64_u32 v[86:87], s[2:3], v5, s10, 0
	v_mad_u64_u32 v[84:85], s[2:3], v7, s11, 0
	v_xor_b32_e32 v5, v104, v87
	v_xor_b32_e32 v5, v5, v6
	v_xor_b32_e32 v6, v105, v85
	v_xor_b32_e32 v6, v6, v4
	v_mad_u64_u32 v[4:5], s[2:3], v5, s11, 0
	v_mad_u64_u32 v[6:7], s[2:3], v6, s10, 0
	v_xor_b32_e32 v5, v108, v5
	v_xor_b32_e32 v7, v107, v7
	v_xor_b32_e32 v5, v5, v84
	v_xor_b32_e32 v7, v7, v86
	v_mad_u64_u32 v[86:87], s[2:3], v5, s10, 0
	v_mad_u64_u32 v[84:85], s[2:3], v7, s11, 0
	v_xor_b32_e32 v5, v109, v87
	v_xor_b32_e32 v5, v5, v6
	v_xor_b32_e32 v6, v110, v85
	v_xor_b32_e32 v6, v6, v4
	v_mad_u64_u32 v[4:5], s[2:3], v5, s11, 0
	v_mad_u64_u32 v[6:7], s[2:3], v6, s10, 0
	v_xor_b32_e32 v5, v112, v5
	v_xor_b32_e32 v7, v111, v7
	v_xor_b32_e32 v5, v5, v84
	v_xor_b32_e32 v7, v7, v86
	v_mad_u64_u32 v[86:87], s[2:3], v5, s10, 0
	v_mad_u64_u32 v[84:85], s[2:3], v7, s11, 0
	v_xor_b32_e32 v5, v113, v87
	v_xor_b32_e32 v5, v5, v6
	v_xor_b32_e32 v6, v114, v85
	v_xor_b32_e32 v4, v6, v4
	v_mad_u64_u32 v[6:7], s[2:3], v5, s11, 0
	v_mad_u64_u32 v[4:5], s[2:3], v4, s10, 0
	v_xor_b32_e32 v5, v103, v5
	v_xor_b32_e32 v7, v115, v7
	v_xor_b32_e32 v5, v5, v86
	v_xor_b32_e32 v7, v7, v84
	v_mad_u64_u32 v[84:85], s[2:3], v5, s11, 0
	v_mad_u64_u32 v[86:87], s[2:3], v7, s10, 0
	v_xor_b32_e32 v4, v87, v4
	v_xor_b32_e32 v5, v85, v6
	v_xor_b32_e32 v4, v106, v4
	v_xor_b32_e32 v6, v96, v5
	v_mov_b32_e32 v118, 0
	v_mov_b32_e32 v5, v86
	v_mov_b32_e32 v7, v84
	v_mov_b32_e32 v87, v4
	v_mov_b32_e32 v85, v6
.LBB82_17:                              ;   in Loop: Header=BB82_13 Depth=2
	s_or_b64 exec, exec, s[0:1]
	v_cmp_eq_u32_e32 vcc, 1, v15
	v_cndmask_b32_e32 v0, v0, v1, vcc
	v_cmp_eq_u32_e32 vcc, 2, v15
	v_cndmask_b32_e32 v0, v0, v2, vcc
	v_cmp_eq_u32_e32 vcc, 3, v15
	v_cndmask_b32_e32 v2, v0, v3, vcc
	v_cmp_eq_u32_e32 vcc, 1, v117
	v_cndmask_b32_e32 v0, v8, v9, vcc
	v_cmp_eq_u32_e32 vcc, 2, v117
	v_cndmask_b32_e32 v0, v0, v10, vcc
	v_cmp_eq_u32_e32 vcc, 3, v117
	v_cndmask_b32_e32 v0, v0, v11, vcc
	v_lshrrev_b32_e32 v0, 11, v0
	v_cvt_f64_u32_e32 v[0:1], v0
	v_ldexp_f64 v[0:1], v[0:1], 32
	v_cvt_f64_u32_e32 v[2:3], v2
	v_add_f64 v[0:1], v[0:1], v[2:3]
	v_mov_b32_e32 v2, 0
	v_mov_b32_e32 v3, 0x3ca00000
	v_fmac_f64_e32 v[2:3], 0x3ca00000, v[0:1]
	v_add_f64 v[0:1], -v[2:3], 1.0
	v_div_scale_f64 v[8:9], s[0:1], v[2:3], v[2:3], v[0:1]
	v_rcp_f64_e32 v[10:11], v[8:9]
	v_mov_b32_e32 v119, 2
	v_fma_f64 v[120:121], -v[8:9], v[10:11], 1.0
	v_fmac_f64_e32 v[10:11], v[10:11], v[120:121]
	v_fma_f64 v[120:121], -v[8:9], v[10:11], 1.0
	v_fmac_f64_e32 v[10:11], v[10:11], v[120:121]
	v_div_scale_f64 v[120:121], vcc, v[0:1], v[2:3], v[0:1]
	v_mul_f64 v[122:123], v[120:121], v[10:11]
	v_fma_f64 v[8:9], -v[8:9], v[122:123], v[120:121]
	s_nop 1
	v_div_fmas_f64 v[8:9], v[8:9], v[10:11], v[122:123]
	v_div_fixup_f64 v[0:1], v[8:9], v[2:3], v[0:1]
	v_frexp_mant_f64_e32 v[2:3], v[0:1]
	v_cmp_gt_f64_e32 vcc, s[28:29], v[2:3]
	v_cndmask_b32_e64 v15, v91, 2.0, vcc
	v_frexp_exp_i32_f64_e32 v8, v[0:1]
	v_mul_f64 v[2:3], v[2:3], v[14:15]
	v_subbrev_co_u32_e32 v15, vcc, 0, v8, vcc
	v_add_f64 v[8:9], v[2:3], 1.0
	v_rcp_f64_e32 v[10:11], v[8:9]
	v_add_f64 v[122:123], v[8:9], -1.0
	v_add_f64 v[120:121], v[2:3], -1.0
	v_add_f64 v[2:3], v[2:3], -v[122:123]
	v_fma_f64 v[122:123], -v[8:9], v[10:11], 1.0
	v_fmac_f64_e32 v[10:11], v[122:123], v[10:11]
	v_fma_f64 v[122:123], -v[8:9], v[10:11], 1.0
	v_fmac_f64_e32 v[10:11], v[122:123], v[10:11]
	v_mul_f64 v[122:123], v[120:121], v[10:11]
	v_mul_f64 v[124:125], v[8:9], v[122:123]
	v_fma_f64 v[8:9], v[122:123], v[8:9], -v[124:125]
	v_fmac_f64_e32 v[8:9], v[122:123], v[2:3]
	v_add_f64 v[2:3], v[124:125], v[8:9]
	v_add_f64 v[126:127], v[120:121], -v[2:3]
	v_add_f64 v[124:125], v[2:3], -v[124:125]
	;; [unrolled: 1-line block ×5, first 2 shown]
	v_add_f64 v[2:3], v[8:9], v[2:3]
	v_add_f64 v[2:3], v[126:127], v[2:3]
	v_mul_f64 v[2:3], v[10:11], v[2:3]
	v_add_f64 v[8:9], v[122:123], v[2:3]
	v_add_f64 v[10:11], v[8:9], -v[122:123]
	v_add_f64 v[2:3], v[2:3], -v[10:11]
	v_mul_f64 v[10:11], v[8:9], v[8:9]
	v_pk_mov_b32 v[120:121], v[18:19], v[18:19] op_sel:[0,1]
	v_fmac_f64_e32 v[120:121], s[34:35], v[10:11]
	v_pk_mov_b32 v[122:123], v[20:21], v[20:21] op_sel:[0,1]
	v_fmac_f64_e32 v[122:123], v[10:11], v[120:121]
	;; [unrolled: 2-line block ×6, first 2 shown]
	v_ldexp_f64 v[120:121], v[8:9], 1
	v_mul_f64 v[8:9], v[8:9], v[10:11]
	v_mul_f64 v[8:9], v[8:9], v[122:123]
	v_add_f64 v[10:11], v[120:121], v[8:9]
	v_add_f64 v[120:121], v[10:11], -v[120:121]
	v_ldexp_f64 v[2:3], v[2:3], 1
	v_add_f64 v[8:9], v[8:9], -v[120:121]
	v_add_f64 v[2:3], v[2:3], v[8:9]
	v_add_f64 v[8:9], v[10:11], v[2:3]
	v_add_f64 v[10:11], v[8:9], -v[10:11]
	v_add_f64 v[2:3], v[2:3], -v[10:11]
	v_cvt_f64_i32_e32 v[10:11], v15
	v_mul_f64 v[120:121], v[10:11], s[46:47]
	v_fma_f64 v[122:123], v[10:11], s[46:47], -v[120:121]
	v_fmac_f64_e32 v[122:123], s[48:49], v[10:11]
	v_add_f64 v[10:11], v[120:121], v[122:123]
	v_add_f64 v[120:121], v[10:11], -v[120:121]
	v_add_f64 v[120:121], v[122:123], -v[120:121]
	v_add_f64 v[122:123], v[10:11], v[8:9]
	v_add_f64 v[124:125], v[122:123], -v[10:11]
	v_add_f64 v[126:127], v[122:123], -v[124:125]
	;; [unrolled: 1-line block ×4, first 2 shown]
	v_add_f64 v[8:9], v[8:9], v[10:11]
	v_add_f64 v[10:11], v[120:121], v[2:3]
	v_add_f64 v[124:125], v[10:11], -v[120:121]
	v_add_f64 v[126:127], v[10:11], -v[124:125]
	v_add_f64 v[8:9], v[10:11], v[8:9]
	v_add_f64 v[120:121], v[120:121], -v[126:127]
	v_add_f64 v[2:3], v[2:3], -v[124:125]
	v_add_f64 v[10:11], v[122:123], v[8:9]
	v_add_f64 v[2:3], v[2:3], v[120:121]
	v_add_f64 v[120:121], v[10:11], -v[122:123]
	v_add_f64 v[8:9], v[8:9], -v[120:121]
	v_add_f64 v[2:3], v[2:3], v[8:9]
	v_add_f64 v[2:3], v[10:11], v[2:3]
	v_cmp_class_f64_e64 vcc, v[0:1], s9
	v_cndmask_b32_e32 v2, v2, v0, vcc
	v_cndmask_b32_e32 v3, v3, v1, vcc
	v_cmp_ngt_f64_e32 vcc, 0, v[0:1]
	v_cndmask_b32_e32 v3, v92, v3, vcc
	v_cmp_nge_f64_e32 vcc, 0, v[0:1]
	v_cndmask_b32_e32 v2, 0, v2, vcc
	v_cmp_neq_f64_e32 vcc, 0, v[0:1]
	v_cndmask_b32_e32 v3, v93, v3, vcc
	v_add_f64 v[0:1], v[78:79], -v[2:3]
	v_div_scale_f64 v[2:3], s[0:1], v[76:77], v[76:77], v[0:1]
	v_rcp_f64_e32 v[8:9], v[2:3]
	v_fma_f64 v[10:11], -v[2:3], v[8:9], 1.0
	v_fmac_f64_e32 v[8:9], v[8:9], v[10:11]
	v_fma_f64 v[10:11], -v[2:3], v[8:9], 1.0
	v_fmac_f64_e32 v[8:9], v[8:9], v[10:11]
	v_div_scale_f64 v[10:11], vcc, v[0:1], v[76:77], v[0:1]
	v_mul_f64 v[120:121], v[10:11], v[8:9]
	v_fma_f64 v[2:3], -v[2:3], v[120:121], v[10:11]
	s_nop 1
	v_div_fmas_f64 v[2:3], v[2:3], v[8:9], v[120:121]
	v_div_fixup_f64 v[10:11], v[2:3], v[76:77], v[0:1]
	v_add_f64 v[0:1], v[10:11], 0.5
	v_floor_f64_e32 v[8:9], v[0:1]
	v_cmp_ngt_f64_e32 vcc, 0, v[8:9]
	s_and_saveexec_b64 s[0:1], vcc
	s_cbranch_execz .LBB82_23
; %bb.18:                               ;   in Loop: Header=BB82_13 Depth=2
	v_add_u32_e32 v15, 1, v118
	v_pk_mov_b32 v[0:1], v[4:5], v[4:5] op_sel:[0,1]
	v_cmp_eq_u32_e32 vcc, 4, v15
	v_pk_mov_b32 v[2:3], v[6:7], v[6:7] op_sel:[0,1]
	s_and_saveexec_b64 s[2:3], vcc
	s_cbranch_execz .LBB82_20
; %bb.19:                               ;   in Loop: Header=BB82_13 Depth=2
	v_add_co_u32_e32 v97, vcc, 1, v97
	v_cndmask_b32_e64 v0, 0, 1, vcc
	v_addc_co_u32_e32 v98, vcc, 0, v98, vcc
	v_cmp_eq_u32_e32 vcc, 0, v98
	v_cndmask_b32_e32 v0, 0, v0, vcc
	v_add_u32_e32 v116, v0, v116
	v_cmp_eq_u32_e32 vcc, 0, v116
	v_cndmask_b32_e32 v0, 0, v0, vcc
	v_add_u32_e32 v74, v0, v74
	v_mad_u64_u32 v[0:1], vcc, v97, s11, 0
	v_mad_u64_u32 v[2:3], vcc, v116, s10, 0
	v_xor_b32_e32 v1, v1, v73
	v_xor_b32_e32 v3, v3, v72
	v_xor_b32_e32 v1, v74, v1
	v_xor_b32_e32 v3, v98, v3
	v_mad_u64_u32 v[86:87], vcc, v1, s10, 0
	v_mad_u64_u32 v[84:85], vcc, v3, s11, 0
	v_xor_b32_e32 v1, v99, v87
	v_xor_b32_e32 v1, v1, v2
	v_xor_b32_e32 v2, v100, v85
	v_xor_b32_e32 v2, v2, v0
	;; [unrolled: 6-line block ×10, first 2 shown]
	v_mov_b32_e32 v15, 0
	v_mov_b32_e32 v1, v86
	;; [unrolled: 1-line block ×5, first 2 shown]
.LBB82_20:                              ;   in Loop: Header=BB82_13 Depth=2
	s_or_b64 exec, exec, s[2:3]
	v_add_u32_e32 v117, 1, v15
	v_cmp_eq_u32_e32 vcc, 4, v117
	s_and_saveexec_b64 s[2:3], vcc
	s_cbranch_execz .LBB82_22
; %bb.21:                               ;   in Loop: Header=BB82_13 Depth=2
	v_add_co_u32_e32 v97, vcc, 1, v97
	v_cndmask_b32_e64 v84, 0, 1, vcc
	v_addc_co_u32_e32 v98, vcc, 0, v98, vcc
	v_cmp_eq_u32_e32 vcc, 0, v98
	v_cndmask_b32_e32 v84, 0, v84, vcc
	v_add_u32_e32 v116, v84, v116
	v_cmp_eq_u32_e32 vcc, 0, v116
	v_cndmask_b32_e32 v84, 0, v84, vcc
	v_add_u32_e32 v74, v84, v74
	v_mad_u64_u32 v[84:85], vcc, v97, s11, 0
	v_mad_u64_u32 v[86:87], vcc, v116, s10, 0
	v_xor_b32_e32 v85, v85, v73
	v_xor_b32_e32 v87, v87, v72
	v_xor_b32_e32 v85, v74, v85
	v_xor_b32_e32 v87, v98, v87
	v_mad_u64_u32 v[122:123], vcc, v85, s10, 0
	v_mad_u64_u32 v[120:121], vcc, v87, s11, 0
	v_xor_b32_e32 v85, v99, v123
	v_xor_b32_e32 v85, v85, v86
	v_xor_b32_e32 v86, v100, v121
	v_xor_b32_e32 v86, v86, v84
	;; [unrolled: 6-line block ×9, first 2 shown]
	v_mad_u64_u32 v[84:85], vcc, v84, s11, 0
	v_mad_u64_u32 v[86:87], vcc, v86, s10, 0
	v_xor_b32_e32 v87, v87, v126
	v_xor_b32_e32 v85, v85, v124
	v_mov_b32_e32 v117, 0
	v_xor_b32_e32 v87, v106, v87
	v_xor_b32_e32 v85, v96, v85
.LBB82_22:                              ;   in Loop: Header=BB82_13 Depth=2
	s_or_b64 exec, exec, s[2:3]
	v_cmp_eq_u32_e32 vcc, 1, v118
	v_cndmask_b32_e32 v4, v4, v5, vcc
	v_cmp_eq_u32_e32 vcc, 2, v118
	v_cndmask_b32_e32 v4, v4, v6, vcc
	;; [unrolled: 2-line block ×6, first 2 shown]
	v_lshrrev_b32_e32 v0, 11, v0
	v_cvt_f64_u32_e32 v[0:1], v0
	v_ldexp_f64 v[0:1], v[0:1], 32
	v_cvt_f64_u32_e32 v[2:3], v4
	v_add_f64 v[0:1], v[0:1], v[2:3]
	v_mov_b32_e32 v2, 0
	v_mov_b32_e32 v3, 0x3ca00000
	v_fma_f64 v[4:5], -v[76:77], v[10:11], v[78:79]
	v_fmac_f64_e32 v[2:3], 0x3ca00000, v[0:1]
	v_mul_f64 v[0:1], v[4:5], s[52:53]
	v_rndne_f64_e32 v[0:1], v[0:1]
	s_mov_b32 s54, s46
	v_fma_f64 v[6:7], s[54:55], v[0:1], v[4:5]
	s_mov_b32 s56, s48
	v_fmac_f64_e32 v[6:7], s[56:57], v[0:1]
	v_pk_mov_b32 v[10:11], v[30:31], v[30:31] op_sel:[0,1]
	v_fmac_f64_e32 v[10:11], s[58:59], v[6:7]
	v_pk_mov_b32 v[118:119], v[32:33], v[32:33] op_sel:[0,1]
	;; [unrolled: 2-line block ×9, first 2 shown]
	v_fmac_f64_e32 v[10:11], v[6:7], v[118:119]
	v_fma_f64 v[10:11], v[6:7], v[10:11], 1.0
	v_fma_f64 v[6:7], v[6:7], v[10:11], 1.0
	v_cvt_i32_f64_e32 v0, v[0:1]
	v_ldexp_f64 v[0:1], v[6:7], v0
	v_add_f64 v[0:1], v[0:1], 1.0
	v_cmp_nlt_f64_e32 vcc, s[62:63], v[4:5]
	v_cmp_ngt_f64_e64 s[2:3], s[64:65], v[4:5]
	v_cndmask_b32_e32 v1, v94, v1, vcc
	s_and_b64 vcc, s[2:3], vcc
	v_cndmask_b32_e64 v1, v91, v1, s[2:3]
	v_cndmask_b32_e32 v0, 0, v0, vcc
	v_mul_f64 v[0:1], v[0:1], v[0:1]
	v_div_scale_f64 v[6:7], s[2:3], v[0:1], v[0:1], v[2:3]
	v_rcp_f64_e32 v[10:11], v[6:7]
	s_mov_b32 s45, s29
	v_fma_f64 v[118:119], -v[6:7], v[10:11], 1.0
	v_fmac_f64_e32 v[10:11], v[10:11], v[118:119]
	v_fma_f64 v[118:119], -v[6:7], v[10:11], 1.0
	v_fmac_f64_e32 v[10:11], v[10:11], v[118:119]
	v_div_scale_f64 v[118:119], vcc, v[2:3], v[0:1], v[2:3]
	v_mul_f64 v[120:121], v[118:119], v[10:11]
	v_fma_f64 v[6:7], -v[6:7], v[120:121], v[118:119]
	s_nop 1
	v_div_fmas_f64 v[6:7], v[6:7], v[10:11], v[120:121]
	v_div_fixup_f64 v[2:3], v[6:7], v[0:1], v[2:3]
	v_frexp_mant_f64_e32 v[0:1], v[2:3]
	v_cmp_gt_f64_e32 vcc, s[28:29], v[0:1]
	v_cndmask_b32_e64 v15, v91, 2.0, vcc
	v_frexp_exp_i32_f64_e32 v6, v[2:3]
	v_mul_f64 v[0:1], v[0:1], v[14:15]
	v_subbrev_co_u32_e32 v15, vcc, 0, v6, vcc
	v_add_f64 v[6:7], v[0:1], 1.0
	v_rcp_f64_e32 v[10:11], v[6:7]
	v_add_f64 v[120:121], v[6:7], -1.0
	v_add_f64 v[118:119], v[0:1], -1.0
	v_add_f64 v[0:1], v[0:1], -v[120:121]
	v_fma_f64 v[120:121], -v[6:7], v[10:11], 1.0
	v_fmac_f64_e32 v[10:11], v[120:121], v[10:11]
	v_fma_f64 v[120:121], -v[6:7], v[10:11], 1.0
	v_fmac_f64_e32 v[10:11], v[120:121], v[10:11]
	v_mul_f64 v[120:121], v[118:119], v[10:11]
	v_mul_f64 v[122:123], v[6:7], v[120:121]
	v_fma_f64 v[6:7], v[120:121], v[6:7], -v[122:123]
	v_fmac_f64_e32 v[6:7], v[120:121], v[0:1]
	v_add_f64 v[0:1], v[122:123], v[6:7]
	v_add_f64 v[124:125], v[118:119], -v[0:1]
	v_add_f64 v[122:123], v[0:1], -v[122:123]
	;; [unrolled: 1-line block ×5, first 2 shown]
	v_add_f64 v[0:1], v[6:7], v[0:1]
	v_add_f64 v[0:1], v[124:125], v[0:1]
	v_mul_f64 v[0:1], v[10:11], v[0:1]
	v_add_f64 v[6:7], v[120:121], v[0:1]
	v_add_f64 v[10:11], v[6:7], -v[120:121]
	v_add_f64 v[10:11], v[0:1], -v[10:11]
	v_mul_f64 v[118:119], v[6:7], v[6:7]
	v_pk_mov_b32 v[0:1], s[30:31], s[30:31] op_sel:[0,1]
	v_fma_f64 v[120:121], s[34:35], v[118:119], v[0:1]
	v_fma_f64 v[120:121], v[118:119], v[120:121], s[36:37]
	;; [unrolled: 1-line block ×6, first 2 shown]
	v_ldexp_f64 v[122:123], v[6:7], 1
	v_mul_f64 v[6:7], v[6:7], v[118:119]
	v_mul_f64 v[6:7], v[6:7], v[120:121]
	v_add_f64 v[118:119], v[122:123], v[6:7]
	v_add_f64 v[120:121], v[118:119], -v[122:123]
	v_ldexp_f64 v[10:11], v[10:11], 1
	v_add_f64 v[6:7], v[6:7], -v[120:121]
	v_add_f64 v[6:7], v[10:11], v[6:7]
	v_add_f64 v[10:11], v[118:119], v[6:7]
	v_add_f64 v[118:119], v[10:11], -v[118:119]
	v_add_f64 v[6:7], v[6:7], -v[118:119]
	v_cvt_f64_i32_e32 v[118:119], v15
	v_mul_f64 v[120:121], v[118:119], s[46:47]
	v_fma_f64 v[122:123], v[118:119], s[46:47], -v[120:121]
	v_fmac_f64_e32 v[122:123], s[48:49], v[118:119]
	v_add_f64 v[118:119], v[120:121], v[122:123]
	v_add_f64 v[120:121], v[118:119], -v[120:121]
	v_add_f64 v[120:121], v[122:123], -v[120:121]
	v_add_f64 v[122:123], v[118:119], v[10:11]
	v_add_f64 v[124:125], v[122:123], -v[118:119]
	v_add_f64 v[126:127], v[122:123], -v[124:125]
	;; [unrolled: 1-line block ×4, first 2 shown]
	v_add_f64 v[10:11], v[10:11], v[118:119]
	v_add_f64 v[118:119], v[120:121], v[6:7]
	v_add_f64 v[124:125], v[118:119], -v[120:121]
	v_add_f64 v[126:127], v[118:119], -v[124:125]
	v_add_f64 v[10:11], v[118:119], v[10:11]
	v_add_f64 v[120:121], v[120:121], -v[126:127]
	v_add_f64 v[6:7], v[6:7], -v[124:125]
	v_add_f64 v[118:119], v[122:123], v[10:11]
	v_add_f64 v[6:7], v[6:7], v[120:121]
	v_add_f64 v[120:121], v[118:119], -v[122:123]
	v_add_f64 v[10:11], v[10:11], -v[120:121]
	v_add_f64 v[6:7], v[6:7], v[10:11]
	v_add_f64 v[6:7], v[118:119], v[6:7]
	v_cmp_class_f64_e64 vcc, v[2:3], s9
	v_cndmask_b32_e32 v15, v6, v2, vcc
	v_cndmask_b32_e32 v6, v7, v3, vcc
	v_cmp_neq_f64_e32 vcc, 0, v[2:3]
	v_cndmask_b32_e32 v3, v93, v6, vcc
	v_add_f64 v[6:7], v[8:9], 1.0
	v_add_f64 v[6:7], v[6:7], -1.0
	v_add_f64 v[118:119], v[6:7], s[66:67]
	v_div_scale_f64 v[10:11], s[2:3], v[118:119], v[118:119], s[68:69]
	v_rcp_f64_e32 v[120:121], v[10:11]
	v_cndmask_b32_e32 v2, 0, v15, vcc
	v_add_f64 v[2:3], v[4:5], v[2:3]
	v_fma_f64 v[4:5], v[82:83], v[8:9], v[80:81]
	v_fma_f64 v[122:123], -v[10:11], v[120:121], 1.0
	v_fmac_f64_e32 v[120:121], v[120:121], v[122:123]
	v_fma_f64 v[122:123], -v[10:11], v[120:121], 1.0
	v_fmac_f64_e32 v[120:121], v[120:121], v[122:123]
	v_div_scale_f64 v[122:123], vcc, s[68:69], v[118:119], s[68:69]
	v_mul_f64 v[124:125], v[122:123], v[120:121]
	v_fma_f64 v[122:123], -v[10:11], v[124:125], v[122:123]
	v_add_f64 v[10:11], v[6:7], s[70:71]
	v_div_scale_f64 v[126:127], s[2:3], v[10:11], v[10:11], s[72:73]
	v_rcp_f64_e32 v[128:129], v[126:127]
	v_div_fmas_f64 v[120:121], v[122:123], v[120:121], v[124:125]
	v_div_fixup_f64 v[118:119], v[120:121], v[118:119], s[68:69]
	v_add_f64 v[124:125], v[6:7], s[74:75]
	v_fma_f64 v[120:121], -v[126:127], v[128:129], 1.0
	v_fmac_f64_e32 v[128:129], v[128:129], v[120:121]
	v_fma_f64 v[120:121], -v[126:127], v[128:129], 1.0
	v_fmac_f64_e32 v[128:129], v[128:129], v[120:121]
	v_div_scale_f64 v[120:121], vcc, s[72:73], v[10:11], s[72:73]
	v_mul_f64 v[122:123], v[120:121], v[128:129]
	v_fma_f64 v[120:121], -v[126:127], v[122:123], v[120:121]
	v_div_scale_f64 v[126:127], s[2:3], v[124:125], v[124:125], s[76:77]
	v_rcp_f64_e32 v[130:131], v[126:127]
	v_div_fmas_f64 v[120:121], v[120:121], v[128:129], v[122:123]
	v_add_f64 v[118:119], v[118:119], 0
	v_div_fixup_f64 v[120:121], v[120:121], v[10:11], s[72:73]
	v_add_f64 v[118:119], v[120:121], v[118:119]
	v_fma_f64 v[120:121], -v[126:127], v[130:131], 1.0
	v_fmac_f64_e32 v[130:131], v[130:131], v[120:121]
	v_fma_f64 v[120:121], -v[126:127], v[130:131], 1.0
	v_fmac_f64_e32 v[130:131], v[130:131], v[120:121]
	v_div_scale_f64 v[120:121], vcc, s[76:77], v[124:125], s[76:77]
	v_mul_f64 v[122:123], v[120:121], v[130:131]
	v_fma_f64 v[120:121], -v[126:127], v[122:123], v[120:121]
	v_add_f64 v[126:127], v[6:7], s[78:79]
	v_div_scale_f64 v[128:129], s[2:3], v[126:127], v[126:127], s[80:81]
	v_rcp_f64_e32 v[132:133], v[128:129]
	v_div_fmas_f64 v[120:121], v[120:121], v[130:131], v[122:123]
	v_div_fixup_f64 v[120:121], v[120:121], v[124:125], s[76:77]
	v_add_f64 v[118:119], v[118:119], v[120:121]
	v_fma_f64 v[120:121], -v[128:129], v[132:133], 1.0
	v_fmac_f64_e32 v[132:133], v[132:133], v[120:121]
	v_fma_f64 v[120:121], -v[128:129], v[132:133], 1.0
	v_fmac_f64_e32 v[132:133], v[132:133], v[120:121]
	v_div_scale_f64 v[120:121], vcc, s[80:81], v[126:127], s[80:81]
	v_mul_f64 v[122:123], v[120:121], v[132:133]
	v_add_f64 v[124:125], v[6:7], 4.0
	v_fma_f64 v[120:121], -v[128:129], v[122:123], v[120:121]
	v_div_scale_f64 v[128:129], s[2:3], v[124:125], v[124:125], s[82:83]
	v_rcp_f64_e32 v[130:131], v[128:129]
	v_div_fmas_f64 v[120:121], v[120:121], v[132:133], v[122:123]
	v_div_fixup_f64 v[120:121], v[120:121], v[126:127], s[80:81]
	v_add_f64 v[118:119], v[120:121], v[118:119]
	v_fma_f64 v[120:121], -v[128:129], v[130:131], 1.0
	v_fmac_f64_e32 v[130:131], v[130:131], v[120:121]
	v_fma_f64 v[120:121], -v[128:129], v[130:131], 1.0
	v_fmac_f64_e32 v[130:131], v[130:131], v[120:121]
	v_div_scale_f64 v[120:121], vcc, s[82:83], v[124:125], s[82:83]
	v_mul_f64 v[122:123], v[120:121], v[130:131]
	v_add_f64 v[126:127], v[6:7], s[22:23]
	v_fma_f64 v[120:121], -v[128:129], v[122:123], v[120:121]
	v_div_scale_f64 v[128:129], s[2:3], v[126:127], v[126:127], s[84:85]
	v_rcp_f64_e32 v[132:133], v[128:129]
	v_div_fmas_f64 v[120:121], v[120:121], v[130:131], v[122:123]
	v_div_fixup_f64 v[120:121], v[120:121], v[124:125], s[82:83]
	v_add_f64 v[118:119], v[118:119], v[120:121]
	v_fma_f64 v[120:121], -v[128:129], v[132:133], 1.0
	v_fmac_f64_e32 v[132:133], v[132:133], v[120:121]
	v_fma_f64 v[120:121], -v[128:129], v[132:133], 1.0
	v_fmac_f64_e32 v[132:133], v[132:133], v[120:121]
	v_div_scale_f64 v[120:121], vcc, s[84:85], v[126:127], s[84:85]
	v_mul_f64 v[122:123], v[120:121], v[132:133]
	v_add_f64 v[124:125], v[6:7], 2.0
	v_fma_f64 v[120:121], -v[128:129], v[122:123], v[120:121]
	v_div_scale_f64 v[128:129], s[2:3], v[124:125], v[124:125], s[86:87]
	v_rcp_f64_e32 v[130:131], v[128:129]
	v_div_fmas_f64 v[120:121], v[120:121], v[132:133], v[122:123]
	v_div_fixup_f64 v[120:121], v[120:121], v[126:127], s[84:85]
	v_add_f64 v[118:119], v[120:121], v[118:119]
	v_fma_f64 v[120:121], -v[128:129], v[130:131], 1.0
	v_fmac_f64_e32 v[130:131], v[130:131], v[120:121]
	v_fma_f64 v[120:121], -v[128:129], v[130:131], 1.0
	v_fmac_f64_e32 v[130:131], v[130:131], v[120:121]
	v_div_scale_f64 v[120:121], vcc, s[86:87], v[124:125], s[86:87]
	v_mul_f64 v[122:123], v[120:121], v[130:131]
	v_add_f64 v[126:127], v[6:7], 1.0
	v_fma_f64 v[120:121], -v[128:129], v[122:123], v[120:121]
	v_div_scale_f64 v[128:129], s[2:3], v[126:127], v[126:127], s[88:89]
	v_rcp_f64_e32 v[132:133], v[128:129]
	v_div_fmas_f64 v[120:121], v[120:121], v[130:131], v[122:123]
	v_div_fixup_f64 v[120:121], v[120:121], v[124:125], s[86:87]
	v_add_f64 v[118:119], v[118:119], v[120:121]
	v_fma_f64 v[120:121], -v[128:129], v[132:133], 1.0
	v_fmac_f64_e32 v[132:133], v[132:133], v[120:121]
	v_fma_f64 v[120:121], -v[128:129], v[132:133], 1.0
	v_fmac_f64_e32 v[132:133], v[132:133], v[120:121]
	v_div_scale_f64 v[120:121], vcc, s[88:89], v[126:127], s[88:89]
	v_mul_f64 v[122:123], v[120:121], v[132:133]
	v_fma_f64 v[120:121], -v[128:129], v[122:123], v[120:121]
	v_add_f64 v[10:11], v[10:11], 0.5
	s_nop 0
	v_div_fmas_f64 v[120:121], v[120:121], v[132:133], v[122:123]
	v_div_fixup_f64 v[120:121], v[120:121], v[126:127], s[88:89]
	v_add_f64 v[118:119], v[120:121], v[118:119]
	v_add_f64 v[118:119], v[118:119], s[90:91]
	v_frexp_mant_f64_e32 v[120:121], v[118:119]
	v_cmp_gt_f64_e32 vcc, s[28:29], v[120:121]
	v_cndmask_b32_e64 v15, v91, 2.0, vcc
	v_frexp_exp_i32_f64_e32 v122, v[118:119]
	v_mul_f64 v[120:121], v[120:121], v[14:15]
	v_subbrev_co_u32_e32 v15, vcc, 0, v122, vcc
	v_add_f64 v[122:123], v[120:121], 1.0
	v_rcp_f64_e32 v[124:125], v[122:123]
	v_add_f64 v[128:129], v[122:123], -1.0
	v_add_f64 v[126:127], v[120:121], -1.0
	v_add_f64 v[120:121], v[120:121], -v[128:129]
	v_fma_f64 v[128:129], -v[122:123], v[124:125], 1.0
	v_fmac_f64_e32 v[124:125], v[128:129], v[124:125]
	v_fma_f64 v[128:129], -v[122:123], v[124:125], 1.0
	v_fmac_f64_e32 v[124:125], v[128:129], v[124:125]
	v_mul_f64 v[128:129], v[126:127], v[124:125]
	v_mul_f64 v[130:131], v[122:123], v[128:129]
	v_fma_f64 v[122:123], v[128:129], v[122:123], -v[130:131]
	v_fmac_f64_e32 v[122:123], v[128:129], v[120:121]
	v_add_f64 v[120:121], v[130:131], v[122:123]
	v_add_f64 v[132:133], v[126:127], -v[120:121]
	v_add_f64 v[130:131], v[120:121], -v[130:131]
	v_add_f64 v[126:127], v[126:127], -v[132:133]
	v_add_f64 v[120:121], v[126:127], -v[120:121]
	v_add_f64 v[122:123], v[130:131], -v[122:123]
	v_add_f64 v[120:121], v[122:123], v[120:121]
	v_add_f64 v[120:121], v[132:133], v[120:121]
	v_mul_f64 v[120:121], v[124:125], v[120:121]
	v_add_f64 v[122:123], v[128:129], v[120:121]
	v_add_f64 v[124:125], v[122:123], -v[128:129]
	v_add_f64 v[120:121], v[120:121], -v[124:125]
	v_mul_f64 v[124:125], v[122:123], v[122:123]
	v_fma_f64 v[126:127], s[34:35], v[124:125], v[0:1]
	v_fma_f64 v[126:127], v[124:125], v[126:127], s[36:37]
	;; [unrolled: 1-line block ×6, first 2 shown]
	v_ldexp_f64 v[128:129], v[122:123], 1
	v_mul_f64 v[122:123], v[122:123], v[124:125]
	v_mul_f64 v[122:123], v[122:123], v[126:127]
	v_add_f64 v[124:125], v[128:129], v[122:123]
	v_add_f64 v[126:127], v[124:125], -v[128:129]
	v_ldexp_f64 v[120:121], v[120:121], 1
	v_add_f64 v[122:123], v[122:123], -v[126:127]
	v_add_f64 v[120:121], v[120:121], v[122:123]
	v_add_f64 v[122:123], v[124:125], v[120:121]
	v_add_f64 v[124:125], v[122:123], -v[124:125]
	v_add_f64 v[120:121], v[120:121], -v[124:125]
	v_cvt_f64_i32_e32 v[124:125], v15
	v_mul_f64 v[126:127], v[124:125], s[46:47]
	v_fma_f64 v[128:129], v[124:125], s[46:47], -v[126:127]
	v_fmac_f64_e32 v[128:129], s[48:49], v[124:125]
	v_add_f64 v[124:125], v[126:127], v[128:129]
	v_add_f64 v[126:127], v[124:125], -v[126:127]
	v_add_f64 v[126:127], v[128:129], -v[126:127]
	v_add_f64 v[128:129], v[124:125], v[122:123]
	v_add_f64 v[130:131], v[128:129], -v[124:125]
	v_add_f64 v[132:133], v[128:129], -v[130:131]
	;; [unrolled: 1-line block ×4, first 2 shown]
	v_add_f64 v[122:123], v[122:123], v[124:125]
	v_add_f64 v[124:125], v[126:127], v[120:121]
	v_add_f64 v[130:131], v[124:125], -v[126:127]
	v_add_f64 v[132:133], v[124:125], -v[130:131]
	v_add_f64 v[122:123], v[124:125], v[122:123]
	v_add_f64 v[126:127], v[126:127], -v[132:133]
	v_add_f64 v[120:121], v[120:121], -v[130:131]
	v_add_f64 v[124:125], v[128:129], v[122:123]
	v_add_f64 v[120:121], v[120:121], v[126:127]
	v_add_f64 v[126:127], v[124:125], -v[128:129]
	v_add_f64 v[122:123], v[122:123], -v[126:127]
	v_add_f64 v[120:121], v[120:121], v[122:123]
	v_add_f64 v[120:121], v[124:125], v[120:121]
	v_cmp_class_f64_e64 vcc, v[118:119], s9
	v_div_scale_f64 v[122:123], s[2:3], s[20:21], s[20:21], v[10:11]
	v_cndmask_b32_e32 v121, v121, v119, vcc
	v_cndmask_b32_e32 v120, v120, v118, vcc
	v_rcp_f64_e32 v[124:125], v[122:123]
	v_add_f64 v[120:121], v[120:121], s[92:93]
	v_add_f64 v[120:121], v[120:121], s[94:95]
	v_cmp_ngt_f64_e32 vcc, 0, v[118:119]
	v_cndmask_b32_e32 v15, v92, v121, vcc
	v_cmp_nge_f64_e32 vcc, 0, v[118:119]
	v_cndmask_b32_e32 v120, 0, v120, vcc
	v_cmp_neq_f64_e32 vcc, 0, v[118:119]
	v_fma_f64 v[118:119], -v[122:123], v[124:125], 1.0
	v_fmac_f64_e32 v[124:125], v[124:125], v[118:119]
	v_fma_f64 v[118:119], -v[122:123], v[124:125], 1.0
	v_cndmask_b32_e32 v121, v93, v15, vcc
	v_fmac_f64_e32 v[124:125], v[124:125], v[118:119]
	v_div_scale_f64 v[118:119], vcc, v[10:11], s[20:21], v[10:11]
	v_mul_f64 v[126:127], v[118:119], v[124:125]
	v_fma_f64 v[118:119], -v[122:123], v[126:127], v[118:119]
	v_add_f64 v[6:7], v[6:7], 0.5
	s_nop 0
	v_div_fmas_f64 v[118:119], v[118:119], v[124:125], v[126:127]
	v_div_fixup_f64 v[10:11], v[118:119], s[20:21], v[10:11]
	v_frexp_mant_f64_e32 v[118:119], v[10:11]
	v_cmp_gt_f64_e32 vcc, s[28:29], v[118:119]
	v_cndmask_b32_e64 v15, v91, 2.0, vcc
	v_frexp_exp_i32_f64_e32 v122, v[10:11]
	v_mul_f64 v[118:119], v[118:119], v[14:15]
	v_subbrev_co_u32_e32 v15, vcc, 0, v122, vcc
	v_add_f64 v[122:123], v[118:119], 1.0
	v_rcp_f64_e32 v[124:125], v[122:123]
	v_add_f64 v[128:129], v[122:123], -1.0
	v_add_f64 v[126:127], v[118:119], -1.0
	v_add_f64 v[118:119], v[118:119], -v[128:129]
	v_fma_f64 v[128:129], -v[122:123], v[124:125], 1.0
	v_fmac_f64_e32 v[124:125], v[128:129], v[124:125]
	v_fma_f64 v[128:129], -v[122:123], v[124:125], 1.0
	v_fmac_f64_e32 v[124:125], v[128:129], v[124:125]
	v_mul_f64 v[128:129], v[126:127], v[124:125]
	v_mul_f64 v[130:131], v[122:123], v[128:129]
	v_fma_f64 v[122:123], v[128:129], v[122:123], -v[130:131]
	v_fmac_f64_e32 v[122:123], v[128:129], v[118:119]
	v_add_f64 v[118:119], v[130:131], v[122:123]
	v_add_f64 v[132:133], v[126:127], -v[118:119]
	v_add_f64 v[130:131], v[118:119], -v[130:131]
	;; [unrolled: 1-line block ×5, first 2 shown]
	v_add_f64 v[118:119], v[122:123], v[118:119]
	v_add_f64 v[118:119], v[132:133], v[118:119]
	v_mul_f64 v[118:119], v[124:125], v[118:119]
	v_add_f64 v[122:123], v[128:129], v[118:119]
	v_add_f64 v[124:125], v[122:123], -v[128:129]
	v_add_f64 v[118:119], v[118:119], -v[124:125]
	v_mul_f64 v[124:125], v[122:123], v[122:123]
	v_fmac_f64_e32 v[0:1], s[34:35], v[124:125]
	v_fma_f64 v[0:1], v[124:125], v[0:1], s[36:37]
	v_fma_f64 v[0:1], v[124:125], v[0:1], s[38:39]
	v_fma_f64 v[0:1], v[124:125], v[0:1], s[40:41]
	v_fma_f64 v[0:1], v[124:125], v[0:1], s[42:43]
	v_fma_f64 v[0:1], v[124:125], v[0:1], s[44:45]
	v_ldexp_f64 v[126:127], v[122:123], 1
	v_mul_f64 v[122:123], v[122:123], v[124:125]
	v_mul_f64 v[0:1], v[122:123], v[0:1]
	v_add_f64 v[122:123], v[126:127], v[0:1]
	v_add_f64 v[124:125], v[122:123], -v[126:127]
	v_ldexp_f64 v[118:119], v[118:119], 1
	v_add_f64 v[0:1], v[0:1], -v[124:125]
	v_add_f64 v[0:1], v[118:119], v[0:1]
	v_add_f64 v[118:119], v[122:123], v[0:1]
	v_add_f64 v[122:123], v[118:119], -v[122:123]
	v_add_f64 v[0:1], v[0:1], -v[122:123]
	v_cvt_f64_i32_e32 v[122:123], v15
	v_mul_f64 v[124:125], v[122:123], s[46:47]
	v_fma_f64 v[126:127], v[122:123], s[46:47], -v[124:125]
	v_fmac_f64_e32 v[126:127], s[48:49], v[122:123]
	v_add_f64 v[122:123], v[124:125], v[126:127]
	v_add_f64 v[124:125], v[122:123], -v[124:125]
	v_add_f64 v[124:125], v[126:127], -v[124:125]
	v_add_f64 v[126:127], v[122:123], v[118:119]
	v_add_f64 v[128:129], v[126:127], -v[122:123]
	v_add_f64 v[130:131], v[126:127], -v[128:129]
	;; [unrolled: 1-line block ×4, first 2 shown]
	v_add_f64 v[118:119], v[118:119], v[122:123]
	v_add_f64 v[122:123], v[124:125], v[0:1]
	v_add_f64 v[128:129], v[122:123], -v[124:125]
	v_add_f64 v[130:131], v[122:123], -v[128:129]
	v_add_f64 v[118:119], v[122:123], v[118:119]
	v_add_f64 v[124:125], v[124:125], -v[130:131]
	v_add_f64 v[0:1], v[0:1], -v[128:129]
	v_add_f64 v[122:123], v[126:127], v[118:119]
	v_add_f64 v[0:1], v[0:1], v[124:125]
	v_add_f64 v[124:125], v[122:123], -v[126:127]
	v_add_f64 v[118:119], v[118:119], -v[124:125]
	v_add_f64 v[0:1], v[0:1], v[118:119]
	v_add_f64 v[0:1], v[122:123], v[0:1]
	v_cmp_class_f64_e64 vcc, v[10:11], s9
	v_cndmask_b32_e32 v0, v0, v10, vcc
	v_cndmask_b32_e32 v1, v1, v11, vcc
	v_cmp_ngt_f64_e32 vcc, 0, v[10:11]
	v_cndmask_b32_e32 v1, v92, v1, vcc
	v_cmp_nge_f64_e32 vcc, 0, v[10:11]
	v_cndmask_b32_e32 v0, 0, v0, vcc
	v_cmp_neq_f64_e32 vcc, 0, v[10:11]
	v_cndmask_b32_e32 v1, v93, v1, vcc
	v_fmac_f64_e32 v[120:121], v[6:7], v[0:1]
	v_add_f64 v[0:1], v[4:5], -v[120:121]
	v_cvt_u32_f64_e32 v4, v[8:9]
	v_cmp_le_f64_e32 vcc, v[2:3], v[0:1]
	v_cndmask_b32_e64 v119, 0, 1, vcc
	v_cndmask_b32_e32 v75, v75, v4, vcc
	v_mov_b32_e32 v118, v117
.LBB82_23:                              ;   in Loop: Header=BB82_13 Depth=2
	s_or_b64 exec, exec, s[0:1]
	v_cmp_gt_i32_e32 vcc, 2, v119
	s_or_b64 s[14:15], vcc, s[14:15]
	v_mov_b32_e32 v15, v118
	v_mov_b32_e32 v0, v87
	;; [unrolled: 1-line block ×5, first 2 shown]
	s_andn2_b64 exec, exec, s[14:15]
	s_cbranch_execnz .LBB82_13
; %bb.24:                               ;   in Loop: Header=BB82_13 Depth=2
	s_or_b64 exec, exec, s[14:15]
	v_cmp_ne_u32_e32 vcc, 0, v119
	s_or_b64 s[12:13], vcc, s[12:13]
	s_mov_b64 s[14:15], 0
	v_mov_b32_e32 v15, v118
	v_mov_b32_e32 v0, v87
	;; [unrolled: 1-line block ×5, first 2 shown]
	s_andn2_b64 exec, exec, s[12:13]
	s_cbranch_execnz .LBB82_13
; %bb.25:                               ;   in Loop: Header=BB82_5 Depth=1
	s_or_b64 exec, exec, s[12:13]
	v_readlane_b32 s45, v134, 14
                                        ; implicit-def: $vgpr72_vgpr73
                                        ; implicit-def: $vgpr15
                                        ; implicit-def: $vgpr97
                                        ; implicit-def: $vgpr98
                                        ; implicit-def: $vgpr106
                                        ; implicit-def: $vgpr96
                                        ; implicit-def: $vgpr3
                                        ; implicit-def: $vgpr4_vgpr5
                                        ; implicit-def: $vgpr99
                                        ; implicit-def: $vgpr100
                                        ; implicit-def: $vgpr101
                                        ; implicit-def: $vgpr102
                                        ; implicit-def: $vgpr104
                                        ; implicit-def: $vgpr105
                                        ; implicit-def: $vgpr107
                                        ; implicit-def: $vgpr108
                                        ; implicit-def: $vgpr109
                                        ; implicit-def: $vgpr110
                                        ; implicit-def: $vgpr111
                                        ; implicit-def: $vgpr112
                                        ; implicit-def: $vgpr113
                                        ; implicit-def: $vgpr114
                                        ; implicit-def: $vgpr103
                                        ; implicit-def: $vgpr115
.LBB82_26:                              ;   in Loop: Header=BB82_5 Depth=1
	s_andn2_saveexec_b64 s[0:1], s[6:7]
	s_cbranch_execz .LBB82_38
; %bb.27:                               ;   in Loop: Header=BB82_5 Depth=1
	v_add_co_u32_e32 v6, vcc, 1, v97
	v_cndmask_b32_e64 v7, 0, 1, vcc
	v_addc_co_u32_e32 v10, vcc, 0, v98, vcc
	v_cmp_eq_u32_e32 vcc, 0, v10
	v_cndmask_b32_e32 v7, 0, v7, vcc
	v_add_u32_e32 v8, v7, v17
	v_cmp_eq_u32_e32 vcc, 0, v8
	v_cndmask_b32_e32 v11, 0, v7, vcc
	v_mad_u64_u32 v[6:7], s[2:3], v6, s11, 0
	v_mad_u64_u32 v[8:9], s[2:3], v8, s10, 0
	v_xor_b32_e32 v7, v7, v73
	v_xor_b32_e32 v9, v9, v72
	v_xor_b32_e32 v7, v11, v7
	v_xor_b32_e32 v9, v10, v9
	v_mad_u64_u32 v[72:73], s[2:3], v7, s10, 0
	v_mad_u64_u32 v[10:11], s[2:3], v9, s11, 0
	v_xor_b32_e32 v7, v99, v73
	v_xor_b32_e32 v7, v7, v8
	v_xor_b32_e32 v8, v100, v11
	v_xor_b32_e32 v8, v8, v6
	;; [unrolled: 6-line block ×8, first 2 shown]
	v_mad_u64_u32 v[74:75], s[2:3], v7, s11, 0
	v_mad_u64_u32 v[8:9], s[2:3], v6, s10, 0
	v_xor_b32_e32 v6, v115, v75
	v_xor_b32_e32 v6, v6, v10
	v_mad_u64_u32 v[6:7], s[2:3], v6, s10, 0
	v_xor_b32_e32 v7, v7, v8
	v_xor_b32_e32 v10, v106, v7
	v_cmp_lt_i32_e32 vcc, 1, v15
                                        ; implicit-def: $vgpr8
	s_and_saveexec_b64 s[2:3], vcc
	s_xor_b64 s[2:3], exec, s[2:3]
	s_cbranch_execz .LBB82_33
; %bb.28:                               ;   in Loop: Header=BB82_5 Depth=1
	v_cmp_lt_i32_e32 vcc, 2, v15
                                        ; implicit-def: $vgpr8
	s_and_saveexec_b64 s[6:7], vcc
	s_xor_b64 s[6:7], exec, s[6:7]
; %bb.29:                               ;   in Loop: Header=BB82_5 Depth=1
	v_xor_b32_e32 v0, v103, v9
	v_xor_b32_e32 v0, v0, v72
	v_mul_hi_u32 v0, v0, s11
	v_xor_b32_e32 v0, v0, v74
	v_xor_b32_e32 v8, v96, v0
; %bb.30:                               ;   in Loop: Header=BB82_5 Depth=1
	s_andn2_saveexec_b64 s[6:7], s[6:7]
; %bb.31:                               ;   in Loop: Header=BB82_5 Depth=1
	v_mov_b32_e32 v8, v6
	v_mov_b32_e32 v6, v10
	;; [unrolled: 1-line block ×4, first 2 shown]
; %bb.32:                               ;   in Loop: Header=BB82_5 Depth=1
	s_or_b64 exec, exec, s[6:7]
                                        ; implicit-def: $vgpr15
.LBB82_33:                              ;   in Loop: Header=BB82_5 Depth=1
	s_andn2_saveexec_b64 s[2:3], s[2:3]
	s_cbranch_execz .LBB82_37
; %bb.34:                               ;   in Loop: Header=BB82_5 Depth=1
	v_cmp_eq_u32_e32 vcc, 1, v15
	v_mov_b32_e32 v8, v3
	v_mov_b32_e32 v6, v2
	;; [unrolled: 1-line block ×3, first 2 shown]
	s_and_saveexec_b64 s[6:7], vcc
; %bb.35:                               ;   in Loop: Header=BB82_5 Depth=1
	v_mov_b32_e32 v8, v10
	v_mov_b32_e32 v6, v3
	;; [unrolled: 1-line block ×4, first 2 shown]
; %bb.36:                               ;   in Loop: Header=BB82_5 Depth=1
	s_or_b64 exec, exec, s[6:7]
	v_mov_b32_e32 v3, v0
	v_mov_b32_e32 v10, v7
.LBB82_37:                              ;   in Loop: Header=BB82_5 Depth=1
	s_or_b64 exec, exec, s[2:3]
	v_mov_b32_e32 v11, v14
	v_lshlrev_b64 v[0:1], 21, v[10:11]
	v_xor_b32_e32 v2, v0, v3
	v_cvt_f64_u32_e32 v[0:1], v1
	v_ldexp_f64 v[0:1], v[0:1], 32
	v_cvt_f64_u32_e32 v[2:3], v2
	v_add_f64 v[0:1], v[0:1], v[2:3]
	v_mov_b32_e32 v2, 0
	v_mov_b32_e32 v3, 0x3ca00000
	v_fmac_f64_e32 v[2:3], 0x3ca00000, v[0:1]
	v_mov_b32_e32 v9, v14
	v_lshlrev_b64 v[0:1], 21, v[8:9]
	v_frexp_mant_f64_e32 v[8:9], v[2:3]
	v_cmp_gt_f64_e32 vcc, s[28:29], v[8:9]
	v_cndmask_b32_e64 v15, v91, 2.0, vcc
	v_frexp_exp_i32_f64_e32 v10, v[2:3]
	v_mul_f64 v[8:9], v[8:9], v[14:15]
	v_subbrev_co_u32_e32 v15, vcc, 0, v10, vcc
	v_add_f64 v[10:11], v[8:9], 1.0
	v_rcp_f64_e32 v[72:73], v[10:11]
	v_add_f64 v[76:77], v[10:11], -1.0
	v_add_f64 v[74:75], v[8:9], -1.0
	v_add_f64 v[8:9], v[8:9], -v[76:77]
	v_fma_f64 v[76:77], -v[10:11], v[72:73], 1.0
	v_fmac_f64_e32 v[72:73], v[76:77], v[72:73]
	v_fma_f64 v[76:77], -v[10:11], v[72:73], 1.0
	v_fmac_f64_e32 v[72:73], v[76:77], v[72:73]
	v_mul_f64 v[76:77], v[74:75], v[72:73]
	v_mul_f64 v[78:79], v[10:11], v[76:77]
	v_fma_f64 v[10:11], v[76:77], v[10:11], -v[78:79]
	v_fmac_f64_e32 v[10:11], v[76:77], v[8:9]
	v_add_f64 v[8:9], v[78:79], v[10:11]
	v_add_f64 v[80:81], v[74:75], -v[8:9]
	v_add_f64 v[78:79], v[8:9], -v[78:79]
	;; [unrolled: 1-line block ×5, first 2 shown]
	v_add_f64 v[8:9], v[10:11], v[8:9]
	v_add_f64 v[8:9], v[80:81], v[8:9]
	v_mul_f64 v[8:9], v[72:73], v[8:9]
	v_add_f64 v[10:11], v[76:77], v[8:9]
	v_add_f64 v[72:73], v[10:11], -v[76:77]
	v_add_f64 v[8:9], v[8:9], -v[72:73]
	v_mul_f64 v[72:73], v[10:11], v[10:11]
	v_pk_mov_b32 v[74:75], v[18:19], v[18:19] op_sel:[0,1]
	v_fmac_f64_e32 v[74:75], s[34:35], v[72:73]
	v_pk_mov_b32 v[76:77], v[20:21], v[20:21] op_sel:[0,1]
	v_fmac_f64_e32 v[76:77], v[72:73], v[74:75]
	;; [unrolled: 2-line block ×6, first 2 shown]
	v_ldexp_f64 v[74:75], v[10:11], 1
	v_mul_f64 v[10:11], v[10:11], v[72:73]
	v_mul_f64 v[10:11], v[10:11], v[76:77]
	v_add_f64 v[72:73], v[74:75], v[10:11]
	v_add_f64 v[74:75], v[72:73], -v[74:75]
	v_ldexp_f64 v[8:9], v[8:9], 1
	v_add_f64 v[10:11], v[10:11], -v[74:75]
	v_add_f64 v[8:9], v[8:9], v[10:11]
	v_add_f64 v[10:11], v[72:73], v[8:9]
	v_add_f64 v[72:73], v[10:11], -v[72:73]
	v_add_f64 v[8:9], v[8:9], -v[72:73]
	v_cvt_f64_i32_e32 v[72:73], v15
	v_mul_f64 v[74:75], v[72:73], s[46:47]
	v_fma_f64 v[76:77], v[72:73], s[46:47], -v[74:75]
	v_fmac_f64_e32 v[76:77], s[48:49], v[72:73]
	v_add_f64 v[72:73], v[74:75], v[76:77]
	v_add_f64 v[74:75], v[72:73], -v[74:75]
	v_add_f64 v[74:75], v[76:77], -v[74:75]
	v_add_f64 v[76:77], v[72:73], v[10:11]
	v_add_f64 v[78:79], v[76:77], -v[72:73]
	v_add_f64 v[80:81], v[76:77], -v[78:79]
	;; [unrolled: 1-line block ×4, first 2 shown]
	v_add_f64 v[10:11], v[10:11], v[72:73]
	v_add_f64 v[72:73], v[74:75], v[8:9]
	v_add_f64 v[78:79], v[72:73], -v[74:75]
	v_add_f64 v[80:81], v[72:73], -v[78:79]
	v_add_f64 v[10:11], v[72:73], v[10:11]
	v_add_f64 v[74:75], v[74:75], -v[80:81]
	v_add_f64 v[8:9], v[8:9], -v[78:79]
	v_add_f64 v[72:73], v[76:77], v[10:11]
	v_add_f64 v[8:9], v[8:9], v[74:75]
	v_add_f64 v[74:75], v[72:73], -v[76:77]
	v_add_f64 v[10:11], v[10:11], -v[74:75]
	s_mov_b32 s12, 0
	v_add_f64 v[8:9], v[8:9], v[10:11]
	s_mov_b32 s13, 0x7ff00000
	v_add_f64 v[8:9], v[72:73], v[8:9]
	v_cmp_eq_f64_e32 vcc, s[12:13], v[2:3]
	v_cndmask_b32_e32 v9, v9, v3, vcc
	v_cndmask_b32_e32 v8, v8, v2, vcc
	v_mul_f64 v[8:9], v[8:9], -2.0
	v_cmp_neq_f64_e32 vcc, 0, v[2:3]
	s_mov_b32 s2, 0
	v_cndmask_b32_e32 v3, v94, v9, vcc
	v_cndmask_b32_e32 v2, 0, v8, vcc
	s_brev_b32 s3, 8
	v_cmp_gt_f64_e32 vcc, s[2:3], v[2:3]
	v_cndmask_b32_e64 v8, 0, 1, vcc
	v_lshlrev_b32_e32 v8, 8, v8
	v_ldexp_f64 v[2:3], v[2:3], v8
	v_xor_b32_e32 v6, v0, v6
	v_cvt_f64_u32_e32 v[0:1], v1
	v_rsq_f64_e32 v[8:9], v[2:3]
	v_ldexp_f64 v[0:1], v[0:1], 32
	v_cvt_f64_u32_e32 v[6:7], v6
	v_add_f64 v[0:1], v[0:1], v[6:7]
	v_mov_b32_e32 v6, 0
	v_mov_b32_e32 v7, 0x3cb00000
	v_fmac_f64_e32 v[6:7], 0x3cb00000, v[0:1]
	v_mul_f64 v[0:1], v[2:3], v[8:9]
	v_mul_f64 v[8:9], v[8:9], 0.5
	v_fma_f64 v[10:11], -v[8:9], v[0:1], 0.5
	v_fmac_f64_e32 v[0:1], v[0:1], v[10:11]
	v_fma_f64 v[72:73], -v[0:1], v[0:1], v[2:3]
	v_fmac_f64_e32 v[8:9], v[8:9], v[10:11]
	v_fmac_f64_e32 v[0:1], v[72:73], v[8:9]
	v_fma_f64 v[10:11], -v[0:1], v[0:1], v[2:3]
	v_fmac_f64_e32 v[0:1], v[10:11], v[8:9]
	v_cndmask_b32_e32 v8, 0, v90, vcc
	v_ldexp_f64 v[0:1], v[0:1], v8
	v_cmp_class_f64_e32 vcc, v[2:3], v89
	v_cndmask_b32_e32 v1, v1, v3, vcc
	v_cndmask_b32_e32 v0, v0, v2, vcc
	v_mul_f64 v[2:3], v[6:7], 0.5
	v_fract_f64_e32 v[8:9], v[2:3]
	v_add_f64 v[8:9], v[8:9], v[8:9]
	v_cmp_neq_f64_e32 vcc, s[12:13], v[2:3]
	v_cndmask_b32_e32 v2, 0, v8, vcc
	v_cndmask_b32_e32 v3, 0, v9, vcc
	v_cmp_lt_f64_e32 vcc, 1.0, v[6:7]
	v_cndmask_b32_e32 v3, v7, v3, vcc
	v_cndmask_b32_e32 v2, v6, v2, vcc
	v_add_f64 v[8:9], v[2:3], v[2:3]
	v_rndne_f64_e32 v[8:9], v[8:9]
	v_fmac_f64_e32 v[2:3], -0.5, v[8:9]
	s_mov_b32 s6, 0xf99eb0bb
	v_cvt_i32_f64_e32 v15, v[8:9]
	v_mul_f64 v[8:9], v[2:3], v[2:3]
	v_pk_mov_b32 v[10:11], v[48:49], v[48:49] op_sel:[0,1]
	s_mov_b32 s7, 0x3f3e357e
	v_fmac_f64_e32 v[10:11], s[6:7], v[8:9]
	v_pk_mov_b32 v[72:73], v[50:51], v[50:51] op_sel:[0,1]
	v_fmac_f64_e32 v[72:73], v[8:9], v[10:11]
	v_pk_mov_b32 v[10:11], v[52:53], v[52:53] op_sel:[0,1]
	;; [unrolled: 2-line block ×4, first 2 shown]
	v_fmac_f64_e32 v[10:11], v[8:9], v[72:73]
	v_mul_f64 v[72:73], v[2:3], v[8:9]
	s_mov_b32 s6, 0x54442d18
	v_mul_f64 v[10:11], v[72:73], v[10:11]
	s_mov_b32 s7, 0x400921fb
	v_fmac_f64_e32 v[10:11], s[6:7], v[2:3]
	s_mov_b32 s6, 0x2e21c33
	v_pk_mov_b32 v[2:3], v[58:59], v[58:59] op_sel:[0,1]
	s_mov_b32 s7, 0xbf1b1673
	v_fmac_f64_e32 v[2:3], s[6:7], v[8:9]
	v_pk_mov_b32 v[72:73], v[60:61], v[60:61] op_sel:[0,1]
	v_fmac_f64_e32 v[72:73], v[8:9], v[2:3]
	v_pk_mov_b32 v[2:3], v[62:63], v[62:63] op_sel:[0,1]
	;; [unrolled: 2-line block ×5, first 2 shown]
	v_fmac_f64_e32 v[72:73], v[8:9], v[2:3]
	v_fma_f64 v[2:3], v[8:9], v[72:73], 1.0
	v_and_b32_e32 v9, 1, v15
	v_lshlrev_b32_e32 v8, 30, v15
	v_cmp_eq_u32_e32 vcc, 0, v9
	v_cndmask_b32_e32 v10, v2, v10, vcc
	v_cndmask_b32_e32 v2, v3, v11, vcc
	v_xor_b32_e32 v3, v8, v7
	v_and_b32_e32 v3, 0x80000000, v3
	v_cmp_gt_f64_e32 vcc, s[2:3], v[4:5]
	v_xor_b32_e32 v11, v2, v3
	v_cndmask_b32_e64 v2, 0, 1, vcc
	v_lshlrev_b32_e32 v2, 8, v2
	v_ldexp_f64 v[2:3], v[4:5], v2
	v_rsq_f64_e32 v[8:9], v[2:3]
	v_cmp_lg_f64_e64 s[2:3], s[12:13], v[6:7]
	v_cndmask_b32_e64 v6, 0, v10, s[2:3]
	v_cndmask_b32_e64 v7, v92, v11, s[2:3]
	v_mul_f64 v[0:1], v[0:1], v[6:7]
	v_mul_f64 v[6:7], v[2:3], v[8:9]
	v_mul_f64 v[8:9], v[8:9], 0.5
	v_fma_f64 v[10:11], -v[8:9], v[6:7], 0.5
	v_fmac_f64_e32 v[6:7], v[6:7], v[10:11]
	v_fma_f64 v[72:73], -v[6:7], v[6:7], v[2:3]
	v_fmac_f64_e32 v[8:9], v[8:9], v[10:11]
	v_fmac_f64_e32 v[6:7], v[72:73], v[8:9]
	v_fma_f64 v[10:11], -v[6:7], v[6:7], v[2:3]
	v_fmac_f64_e32 v[6:7], v[10:11], v[8:9]
	v_cndmask_b32_e32 v8, 0, v90, vcc
	v_ldexp_f64 v[6:7], v[6:7], v8
	v_cmp_class_f64_e32 vcc, v[2:3], v89
	v_cndmask_b32_e32 v3, v7, v3, vcc
	v_cndmask_b32_e32 v2, v6, v2, vcc
	v_fmac_f64_e32 v[4:5], v[2:3], v[0:1]
	v_trunc_f64_e32 v[0:1], v[4:5]
	v_add_f64 v[2:3], v[4:5], -v[0:1]
	v_cmp_ge_f64_e64 vcc, |v[2:3]|, 0.5
	v_cndmask_b32_e32 v2, 0, v91, vcc
	s_brev_b32 s2, -2
	v_bfi_b32 v15, s2, v2, v5
	v_add_f64 v[0:1], v[0:1], v[14:15]
	v_cvt_u32_f64_e32 v75, v[0:1]
.LBB82_38:                              ;   in Loop: Header=BB82_5 Depth=1
	s_or_b64 exec, exec, s[0:1]
                                        ; implicit-def: $vgpr6
                                        ; implicit-def: $vgpr72_vgpr73
                                        ; implicit-def: $vgpr15
                                        ; implicit-def: $vgpr97
                                        ; implicit-def: $vgpr98
                                        ; implicit-def: $vgpr106
                                        ; implicit-def: $vgpr96
                                        ; implicit-def: $vgpr3
                                        ; implicit-def: $vgpr4_vgpr5
                                        ; implicit-def: $vgpr99
                                        ; implicit-def: $vgpr100
                                        ; implicit-def: $vgpr101
                                        ; implicit-def: $vgpr102
                                        ; implicit-def: $vgpr104
                                        ; implicit-def: $vgpr105
                                        ; implicit-def: $vgpr107
                                        ; implicit-def: $vgpr108
                                        ; implicit-def: $vgpr109
                                        ; implicit-def: $vgpr110
                                        ; implicit-def: $vgpr111
                                        ; implicit-def: $vgpr112
                                        ; implicit-def: $vgpr113
                                        ; implicit-def: $vgpr114
                                        ; implicit-def: $vgpr103
                                        ; implicit-def: $vgpr115
.LBB82_39:                              ;   in Loop: Header=BB82_5 Depth=1
	s_andn2_saveexec_b64 s[0:1], s[50:51]
	s_cbranch_execz .LBB82_3
; %bb.40:                               ;   in Loop: Header=BB82_5 Depth=1
	v_readlane_b32 s2, v134, 12
	v_readlane_b32 s3, v134, 13
	s_mov_b32 s2, s52
	v_mul_f64 v[8:9], v[4:5], s[2:3]
	v_rndne_f64_e32 v[10:11], v[8:9]
	s_mov_b32 s54, s46
	v_fma_f64 v[4:5], v[10:11], s[54:55], -v[4:5]
	s_mov_b32 s56, s48
	v_fmac_f64_e32 v[4:5], s[56:57], v[10:11]
	v_pk_mov_b32 v[8:9], v[30:31], v[30:31] op_sel:[0,1]
	v_fmac_f64_e32 v[8:9], s[58:59], v[4:5]
	v_pk_mov_b32 v[74:75], v[32:33], v[32:33] op_sel:[0,1]
	;; [unrolled: 2-line block ×9, first 2 shown]
	v_fmac_f64_e32 v[76:77], v[4:5], v[74:75]
	v_fma_f64 v[74:75], v[4:5], v[76:77], 1.0
	s_mov_b32 s2, 0xe400
	v_fma_f64 v[4:5], v[4:5], v[74:75], 1.0
	v_cvt_i32_f64_e32 v7, v[10:11]
	v_cmp_ngt_f16_e32 vcc, s2, v6
	s_movk_i32 s2, 0x6433
	s_mov_b32 s7, s3
	v_ldexp_f64 v[4:5], v[4:5], v7
	v_cmp_nlt_f16_e64 s[2:3], s2, v6
	v_mov_b32_e32 v8, 0
	v_cndmask_b32_e32 v5, v94, v5, vcc
	s_and_b64 vcc, s[2:3], vcc
	v_writelane_b32 v134, s6, 12
	v_mov_b32_e32 v9, 0x3ff00000
	v_mov_b32_e32 v78, 0
	v_cndmask_b32_e64 v11, 0, v5, s[2:3]
	v_cndmask_b32_e32 v10, 0, v4, vcc
	s_mov_b32 s12, -1
	s_mov_b64 s[2:3], 0
	v_mov_b32_e32 v79, v17
	v_writelane_b32 v134, s7, 13
	s_branch .LBB82_42
.LBB82_41:                              ;   in Loop: Header=BB82_42 Depth=2
	s_or_b64 exec, exec, s[6:7]
	v_cmp_eq_u32_e32 vcc, 1, v15
	v_cndmask_b32_e32 v0, v0, v1, vcc
	v_cmp_eq_u32_e32 vcc, 2, v15
	v_cndmask_b32_e32 v0, v0, v2, vcc
	v_cmp_eq_u32_e32 vcc, 3, v15
	v_cndmask_b32_e32 v2, v0, v3, vcc
	v_cmp_eq_u32_e32 vcc, 1, v80
	v_cndmask_b32_e32 v0, v4, v5, vcc
	v_cmp_eq_u32_e32 vcc, 2, v80
	v_cndmask_b32_e32 v0, v0, v6, vcc
	v_cmp_eq_u32_e32 vcc, 3, v80
	v_cndmask_b32_e32 v0, v0, v7, vcc
	v_lshrrev_b32_e32 v0, 11, v0
	v_cvt_f64_u32_e32 v[0:1], v0
	v_ldexp_f64 v[0:1], v[0:1], 32
	v_cvt_f64_u32_e32 v[2:3], v2
	v_add_f64 v[0:1], v[0:1], v[2:3]
	v_mov_b32_e32 v2, 0
	v_mov_b32_e32 v3, 0x3ca00000
	v_fmac_f64_e32 v[2:3], 0x3ca00000, v[0:1]
	v_mul_f64 v[8:9], v[8:9], v[2:3]
	v_cmp_ngt_f64_e32 vcc, v[8:9], v[10:11]
	s_add_i32 s12, s12, 1
	s_or_b64 s[2:3], vcc, s[2:3]
	v_mov_b32_e32 v75, s12
	v_mov_b32_e32 v15, v81
	;; [unrolled: 1-line block ×6, first 2 shown]
	s_andn2_b64 exec, exec, s[2:3]
	s_cbranch_execz .LBB82_2
.LBB82_42:                              ;   Parent Loop BB82_5 Depth=1
                                        ; =>  This Inner Loop Header: Depth=2
	v_add_u32_e32 v80, 1, v15
	v_pk_mov_b32 v[6:7], v[2:3], v[2:3] op_sel:[0,1]
	v_cmp_eq_u32_e32 vcc, 4, v80
	v_pk_mov_b32 v[4:5], v[0:1], v[0:1] op_sel:[0,1]
	v_mov_b32_e32 v77, v0
	v_mov_b32_e32 v76, v1
	;; [unrolled: 1-line block ×4, first 2 shown]
	s_and_saveexec_b64 s[6:7], vcc
	s_cbranch_execz .LBB82_44
; %bb.43:                               ;   in Loop: Header=BB82_42 Depth=2
	v_add_co_u32_e32 v97, vcc, 1, v97
	v_cndmask_b32_e64 v4, 0, 1, vcc
	v_addc_co_u32_e32 v98, vcc, 0, v98, vcc
	v_cmp_eq_u32_e32 vcc, 0, v98
	v_cndmask_b32_e32 v4, 0, v4, vcc
	v_add_u32_e32 v79, v4, v79
	v_cmp_eq_u32_e32 vcc, 0, v79
	v_cndmask_b32_e32 v4, 0, v4, vcc
	v_add_u32_e32 v78, v4, v78
	v_mad_u64_u32 v[4:5], s[14:15], v97, s11, 0
	v_mad_u64_u32 v[6:7], s[14:15], v79, s10, 0
	v_xor_b32_e32 v5, v5, v73
	v_xor_b32_e32 v7, v7, v72
	v_xor_b32_e32 v5, v78, v5
	v_xor_b32_e32 v7, v98, v7
	v_mad_u64_u32 v[76:77], s[14:15], v5, s10, 0
	v_mad_u64_u32 v[74:75], s[14:15], v7, s11, 0
	v_xor_b32_e32 v5, v99, v77
	v_xor_b32_e32 v5, v5, v6
	v_xor_b32_e32 v6, v100, v75
	v_xor_b32_e32 v6, v6, v4
	v_mad_u64_u32 v[4:5], s[14:15], v5, s11, 0
	v_mad_u64_u32 v[6:7], s[14:15], v6, s10, 0
	v_xor_b32_e32 v5, v102, v5
	v_xor_b32_e32 v7, v101, v7
	v_xor_b32_e32 v5, v5, v74
	v_xor_b32_e32 v7, v7, v76
	v_mad_u64_u32 v[76:77], s[14:15], v5, s10, 0
	v_mad_u64_u32 v[74:75], s[14:15], v7, s11, 0
	v_xor_b32_e32 v5, v104, v77
	v_xor_b32_e32 v5, v5, v6
	v_xor_b32_e32 v6, v105, v75
	v_xor_b32_e32 v6, v6, v4
	v_mad_u64_u32 v[4:5], s[14:15], v5, s11, 0
	v_mad_u64_u32 v[6:7], s[14:15], v6, s10, 0
	v_xor_b32_e32 v5, v108, v5
	v_xor_b32_e32 v7, v107, v7
	v_xor_b32_e32 v5, v5, v74
	v_xor_b32_e32 v7, v7, v76
	v_mad_u64_u32 v[76:77], s[14:15], v5, s10, 0
	v_mad_u64_u32 v[74:75], s[14:15], v7, s11, 0
	v_xor_b32_e32 v5, v109, v77
	v_xor_b32_e32 v5, v5, v6
	v_xor_b32_e32 v6, v110, v75
	v_xor_b32_e32 v6, v6, v4
	v_mad_u64_u32 v[4:5], s[14:15], v5, s11, 0
	v_mad_u64_u32 v[6:7], s[14:15], v6, s10, 0
	v_xor_b32_e32 v5, v112, v5
	v_xor_b32_e32 v7, v111, v7
	v_xor_b32_e32 v5, v5, v74
	v_xor_b32_e32 v7, v7, v76
	v_mad_u64_u32 v[76:77], s[14:15], v5, s10, 0
	v_mad_u64_u32 v[74:75], s[14:15], v7, s11, 0
	v_xor_b32_e32 v5, v113, v77
	v_xor_b32_e32 v5, v5, v6
	v_xor_b32_e32 v6, v114, v75
	v_xor_b32_e32 v4, v6, v4
	v_mad_u64_u32 v[6:7], s[14:15], v5, s11, 0
	v_mad_u64_u32 v[4:5], s[14:15], v4, s10, 0
	v_xor_b32_e32 v5, v103, v5
	v_xor_b32_e32 v7, v115, v7
	v_xor_b32_e32 v5, v5, v76
	v_xor_b32_e32 v7, v7, v74
	v_mad_u64_u32 v[74:75], s[14:15], v5, s11, 0
	v_mad_u64_u32 v[76:77], s[14:15], v7, s10, 0
	v_xor_b32_e32 v4, v77, v4
	v_xor_b32_e32 v5, v75, v6
	v_xor_b32_e32 v4, v106, v4
	v_xor_b32_e32 v6, v96, v5
	v_mov_b32_e32 v80, 0
	v_mov_b32_e32 v5, v76
	v_mov_b32_e32 v7, v74
	v_mov_b32_e32 v77, v4
	v_mov_b32_e32 v82, v6
.LBB82_44:                              ;   in Loop: Header=BB82_42 Depth=2
	s_or_b64 exec, exec, s[6:7]
	v_add_u32_e32 v81, 1, v80
	v_cmp_eq_u32_e32 vcc, 4, v81
	s_and_saveexec_b64 s[6:7], vcc
	s_cbranch_execz .LBB82_41
; %bb.45:                               ;   in Loop: Header=BB82_42 Depth=2
	v_add_co_u32_e32 v97, vcc, 1, v97
	v_cndmask_b32_e64 v74, 0, 1, vcc
	v_addc_co_u32_e32 v98, vcc, 0, v98, vcc
	v_cmp_eq_u32_e32 vcc, 0, v98
	v_cndmask_b32_e32 v74, 0, v74, vcc
	v_add_u32_e32 v79, v74, v79
	v_cmp_eq_u32_e32 vcc, 0, v79
	v_cndmask_b32_e32 v74, 0, v74, vcc
	v_add_u32_e32 v78, v74, v78
	v_mad_u64_u32 v[74:75], s[14:15], v97, s11, 0
	v_mad_u64_u32 v[76:77], s[14:15], v79, s10, 0
	v_xor_b32_e32 v75, v75, v73
	v_xor_b32_e32 v77, v77, v72
	v_xor_b32_e32 v75, v78, v75
	v_xor_b32_e32 v77, v98, v77
	v_mad_u64_u32 v[84:85], s[14:15], v75, s10, 0
	v_mad_u64_u32 v[82:83], s[14:15], v77, s11, 0
	v_xor_b32_e32 v75, v99, v85
	v_xor_b32_e32 v75, v75, v76
	v_xor_b32_e32 v76, v100, v83
	v_xor_b32_e32 v76, v76, v74
	;; [unrolled: 6-line block ×9, first 2 shown]
	v_mad_u64_u32 v[74:75], s[14:15], v74, s11, 0
	v_mad_u64_u32 v[76:77], s[14:15], v76, s10, 0
	v_xor_b32_e32 v77, v77, v116
	v_xor_b32_e32 v75, v75, v86
	v_mov_b32_e32 v81, 0
	v_xor_b32_e32 v77, v106, v77
	v_xor_b32_e32 v82, v96, v75
	s_branch .LBB82_41
.LBB82_46:
	s_or_b64 exec, exec, s[4:5]
	s_and_saveexec_b64 s[0:1], s[18:19]
	s_xor_b64 s[0:1], exec, s[0:1]
	s_cbranch_execnz .LBB82_48
.LBB82_47:
	s_endpgm
.LBB82_48:
	s_trap 2
	; divergent unreachable
	s_endpgm
	.section	.rodata,"a",@progbits
	.p2align	6, 0x0
	.amdhsa_kernel _ZN2at4cuda12_GLOBAL__N_121kernelPointwiseApply2IZN12_GLOBAL__N_119poisson_cuda_kernelIN3c104HalfEEEvRKNS_10TensorBaseES9_NS_15PhiloxCudaStateEEUlRS6_RKS6_E_S6_S6_jLi2ELi1ELi1ELi512ELi2EEEvNS0_6detail10TensorInfoIT0_T2_EENSG_IT1_SI_EESI_T_
		.amdhsa_group_segment_fixed_size 0
		.amdhsa_private_segment_fixed_size 0
		.amdhsa_kernarg_size 728
		.amdhsa_user_sgpr_count 6
		.amdhsa_user_sgpr_private_segment_buffer 1
		.amdhsa_user_sgpr_dispatch_ptr 0
		.amdhsa_user_sgpr_queue_ptr 0
		.amdhsa_user_sgpr_kernarg_segment_ptr 1
		.amdhsa_user_sgpr_dispatch_id 0
		.amdhsa_user_sgpr_flat_scratch_init 0
		.amdhsa_user_sgpr_kernarg_preload_length 0
		.amdhsa_user_sgpr_kernarg_preload_offset 0
		.amdhsa_user_sgpr_private_segment_size 0
		.amdhsa_uses_dynamic_stack 0
		.amdhsa_system_sgpr_private_segment_wavefront_offset 0
		.amdhsa_system_sgpr_workgroup_id_x 1
		.amdhsa_system_sgpr_workgroup_id_y 0
		.amdhsa_system_sgpr_workgroup_id_z 0
		.amdhsa_system_sgpr_workgroup_info 0
		.amdhsa_system_vgpr_workitem_id 0
		.amdhsa_next_free_vgpr 135
		.amdhsa_next_free_sgpr 96
		.amdhsa_accum_offset 136
		.amdhsa_reserve_vcc 1
		.amdhsa_reserve_flat_scratch 0
		.amdhsa_float_round_mode_32 0
		.amdhsa_float_round_mode_16_64 0
		.amdhsa_float_denorm_mode_32 3
		.amdhsa_float_denorm_mode_16_64 3
		.amdhsa_dx10_clamp 1
		.amdhsa_ieee_mode 1
		.amdhsa_fp16_overflow 0
		.amdhsa_tg_split 0
		.amdhsa_exception_fp_ieee_invalid_op 0
		.amdhsa_exception_fp_denorm_src 0
		.amdhsa_exception_fp_ieee_div_zero 0
		.amdhsa_exception_fp_ieee_overflow 0
		.amdhsa_exception_fp_ieee_underflow 0
		.amdhsa_exception_fp_ieee_inexact 0
		.amdhsa_exception_int_div_zero 0
	.end_amdhsa_kernel
	.section	.text._ZN2at4cuda12_GLOBAL__N_121kernelPointwiseApply2IZN12_GLOBAL__N_119poisson_cuda_kernelIN3c104HalfEEEvRKNS_10TensorBaseES9_NS_15PhiloxCudaStateEEUlRS6_RKS6_E_S6_S6_jLi2ELi1ELi1ELi512ELi2EEEvNS0_6detail10TensorInfoIT0_T2_EENSG_IT1_SI_EESI_T_,"axG",@progbits,_ZN2at4cuda12_GLOBAL__N_121kernelPointwiseApply2IZN12_GLOBAL__N_119poisson_cuda_kernelIN3c104HalfEEEvRKNS_10TensorBaseES9_NS_15PhiloxCudaStateEEUlRS6_RKS6_E_S6_S6_jLi2ELi1ELi1ELi512ELi2EEEvNS0_6detail10TensorInfoIT0_T2_EENSG_IT1_SI_EESI_T_,comdat
.Lfunc_end82:
	.size	_ZN2at4cuda12_GLOBAL__N_121kernelPointwiseApply2IZN12_GLOBAL__N_119poisson_cuda_kernelIN3c104HalfEEEvRKNS_10TensorBaseES9_NS_15PhiloxCudaStateEEUlRS6_RKS6_E_S6_S6_jLi2ELi1ELi1ELi512ELi2EEEvNS0_6detail10TensorInfoIT0_T2_EENSG_IT1_SI_EESI_T_, .Lfunc_end82-_ZN2at4cuda12_GLOBAL__N_121kernelPointwiseApply2IZN12_GLOBAL__N_119poisson_cuda_kernelIN3c104HalfEEEvRKNS_10TensorBaseES9_NS_15PhiloxCudaStateEEUlRS6_RKS6_E_S6_S6_jLi2ELi1ELi1ELi512ELi2EEEvNS0_6detail10TensorInfoIT0_T2_EENSG_IT1_SI_EESI_T_
                                        ; -- End function
	.section	.AMDGPU.csdata,"",@progbits
; Kernel info:
; codeLenInByte = 13464
; NumSgprs: 100
; NumVgprs: 135
; NumAgprs: 0
; TotalNumVgprs: 135
; ScratchSize: 0
; MemoryBound: 0
; FloatMode: 240
; IeeeMode: 1
; LDSByteSize: 0 bytes/workgroup (compile time only)
; SGPRBlocks: 12
; VGPRBlocks: 16
; NumSGPRsForWavesPerEU: 100
; NumVGPRsForWavesPerEU: 135
; AccumOffset: 136
; Occupancy: 3
; WaveLimiterHint : 1
; COMPUTE_PGM_RSRC2:SCRATCH_EN: 0
; COMPUTE_PGM_RSRC2:USER_SGPR: 6
; COMPUTE_PGM_RSRC2:TRAP_HANDLER: 0
; COMPUTE_PGM_RSRC2:TGID_X_EN: 1
; COMPUTE_PGM_RSRC2:TGID_Y_EN: 0
; COMPUTE_PGM_RSRC2:TGID_Z_EN: 0
; COMPUTE_PGM_RSRC2:TIDIG_COMP_CNT: 0
; COMPUTE_PGM_RSRC3_GFX90A:ACCUM_OFFSET: 33
; COMPUTE_PGM_RSRC3_GFX90A:TG_SPLIT: 0
	.section	.text._ZN2at4cuda12_GLOBAL__N_121kernelPointwiseApply2IZN12_GLOBAL__N_119poisson_cuda_kernelIN3c104HalfEEEvRKNS_10TensorBaseES9_NS_15PhiloxCudaStateEEUlRS6_RKS6_E_S6_S6_jLi2ELi2ELi1ELi512ELi2EEEvNS0_6detail10TensorInfoIT0_T2_EENSG_IT1_SI_EESI_T_,"axG",@progbits,_ZN2at4cuda12_GLOBAL__N_121kernelPointwiseApply2IZN12_GLOBAL__N_119poisson_cuda_kernelIN3c104HalfEEEvRKNS_10TensorBaseES9_NS_15PhiloxCudaStateEEUlRS6_RKS6_E_S6_S6_jLi2ELi2ELi1ELi512ELi2EEEvNS0_6detail10TensorInfoIT0_T2_EENSG_IT1_SI_EESI_T_,comdat
	.globl	_ZN2at4cuda12_GLOBAL__N_121kernelPointwiseApply2IZN12_GLOBAL__N_119poisson_cuda_kernelIN3c104HalfEEEvRKNS_10TensorBaseES9_NS_15PhiloxCudaStateEEUlRS6_RKS6_E_S6_S6_jLi2ELi2ELi1ELi512ELi2EEEvNS0_6detail10TensorInfoIT0_T2_EENSG_IT1_SI_EESI_T_ ; -- Begin function _ZN2at4cuda12_GLOBAL__N_121kernelPointwiseApply2IZN12_GLOBAL__N_119poisson_cuda_kernelIN3c104HalfEEEvRKNS_10TensorBaseES9_NS_15PhiloxCudaStateEEUlRS6_RKS6_E_S6_S6_jLi2ELi2ELi1ELi512ELi2EEEvNS0_6detail10TensorInfoIT0_T2_EENSG_IT1_SI_EESI_T_
	.p2align	8
	.type	_ZN2at4cuda12_GLOBAL__N_121kernelPointwiseApply2IZN12_GLOBAL__N_119poisson_cuda_kernelIN3c104HalfEEEvRKNS_10TensorBaseES9_NS_15PhiloxCudaStateEEUlRS6_RKS6_E_S6_S6_jLi2ELi2ELi1ELi512ELi2EEEvNS0_6detail10TensorInfoIT0_T2_EENSG_IT1_SI_EESI_T_,@function
_ZN2at4cuda12_GLOBAL__N_121kernelPointwiseApply2IZN12_GLOBAL__N_119poisson_cuda_kernelIN3c104HalfEEEvRKNS_10TensorBaseES9_NS_15PhiloxCudaStateEEUlRS6_RKS6_E_S6_S6_jLi2ELi2ELi1ELi512ELi2EEEvNS0_6detail10TensorInfoIT0_T2_EENSG_IT1_SI_EESI_T_: ; @_ZN2at4cuda12_GLOBAL__N_121kernelPointwiseApply2IZN12_GLOBAL__N_119poisson_cuda_kernelIN3c104HalfEEEvRKNS_10TensorBaseES9_NS_15PhiloxCudaStateEEUlRS6_RKS6_E_S6_S6_jLi2ELi2ELi1ELi512ELi2EEEvNS0_6detail10TensorInfoIT0_T2_EENSG_IT1_SI_EESI_T_
; %bb.0:
	s_load_dword s2, s[4:5], 0x1e4
	s_load_dword s16, s[4:5], 0x1b0
	s_add_u32 s0, s4, 0x1d8
	s_addc_u32 s1, s5, 0
	s_waitcnt lgkmcnt(0)
	s_and_b32 s2, s2, 0xffff
	s_mul_i32 s6, s6, s2
	v_add_u32_e32 v17, s6, v0
	v_cmp_gt_u32_e32 vcc, s16, v17
	s_and_saveexec_b64 s[6:7], vcc
	s_cbranch_execz .LBB83_49
; %bb.1:
	s_load_dwordx2 s[6:7], s[4:5], 0x0
	s_load_dwordx4 s[12:15], s[4:5], 0x1b8
                                        ; implicit-def: $vgpr136 : SGPR spill to VGPR lane
	s_mov_b32 s10, 0xcd9e8d57
	s_mov_b32 s24, 0
	;; [unrolled: 1-line block ×3, first 2 shown]
	s_waitcnt lgkmcnt(0)
	v_writelane_b32 v136, s6, 0
	v_writelane_b32 v136, s7, 1
	s_load_dword s8, s[4:5], 0xc
	s_load_dwordx2 s[6:7], s[4:5], 0x6c
	s_mov_b32 s34, 0x6b47b09a
	s_mov_b32 s36, 0xbf559e2b
	;; [unrolled: 1-line block ×3, first 2 shown]
	s_waitcnt lgkmcnt(0)
	v_cvt_f32_u32_e32 v0, s8
	v_writelane_b32 v136, s6, 2
	v_writelane_b32 v136, s7, 3
	s_load_dwordx2 s[18:19], s[4:5], 0xd8
	s_load_dword s9, s[4:5], 0xe4
	s_load_dwordx2 s[6:7], s[4:5], 0x144
	v_rcp_iflag_f32_e32 v0, v0
	s_mov_b32 s40, 0x16291751
	s_mov_b32 s42, 0x9b27acf1
	s_waitcnt lgkmcnt(0)
	v_cvt_f32_u32_e32 v1, s9
	v_writelane_b32 v136, s6, 4
	v_writelane_b32 v136, s7, 5
	s_load_dwordx2 s[6:7], s[4:5], 0x1c8
	v_rcp_iflag_f32_e32 v1, v1
	v_mul_f32_e32 v0, 0x4f7ffffe, v0
	v_cvt_u32_f32_e32 v0, v0
	s_mov_b32 s44, 0x998ef7b6
	s_waitcnt lgkmcnt(0)
	v_writelane_b32 v136, s6, 6
	v_writelane_b32 v136, s7, 7
	s_load_dword s3, s[0:1], 0x0
	s_load_dword s6, s[4:5], 0x1d0
	s_getpc_b64 s[0:1]
	s_add_u32 s0, s0, .str@rel32@lo+4
	s_addc_u32 s1, s1, .str@rel32@hi+12
	s_cmp_eq_u64 s[0:1], 0
	v_mul_f32_e32 v1, 0x4f7ffffe, v1
	s_cselect_b64 s[0:1], -1, 0
	s_waitcnt lgkmcnt(0)
	s_bitcmp1_b32 s6, 0
	v_mad_u64_u32 v[12:13], s[6:7], v17, s10, 0
	v_cvt_u32_f32_e32 v1, v1
	s_mul_i32 s17, s3, s2
	s_cselect_b64 s[2:3], -1, 0
	s_sub_i32 s6, 0, s8
	v_mul_lo_u32 v2, s6, v0
	v_mul_hi_u32 v2, v0, v2
	s_sub_i32 s6, 0, s9
	v_writelane_b32 v136, s12, 8
	v_mov_b32_e32 v16, v13
	v_add_u32_e32 v13, v0, v2
	v_mul_lo_u32 v0, s6, v1
	v_writelane_b32 v136, s13, 9
	v_mul_hi_u32 v0, v1, v0
	v_writelane_b32 v136, s14, 10
	v_add_u32_e32 v88, v1, v0
	v_cndmask_b32_e64 v0, 0, 1, s[2:3]
	v_writelane_b32 v136, s15, 11
	s_xor_b64 s[62:63], s[0:1], -1
	v_cmp_ne_u32_e64 s[0:1], 1, v0
	v_writelane_b32 v136, s0, 12
	v_writelane_b32 v136, s1, 13
	s_mov_b32 s1, 0xbff71547
	s_mov_b32 s48, 0xfefa39ef
	;; [unrolled: 1-line block ×19, first 2 shown]
	s_movk_i32 s92, 0xf950
	s_mov_b32 s94, 0xc864beb5
	s_mov_b32 s22, 0
	;; [unrolled: 1-line block ×3, first 2 shown]
	v_writelane_b32 v136, s0, 14
	s_mov_b64 s[4:5], 0
	v_mov_b32_e32 v14, 0
	s_mov_b32 s11, 0xd2511f53
	s_mov_b32 s25, 0x40080000
	s_mov_b32 s31, 0x3fe55555
	s_mov_b32 s35, 0x3fc38538
	s_mov_b32 s37, 0x3fc3ab76
	s_mov_b32 s39, 0x3fc7474d
	s_mov_b32 s41, 0x3fcc71c0
	s_mov_b32 s43, 0x3fd24924
	s_mov_b32 s45, 0x3fd99999
	s_mov_b32 s46, 0x55555780
	s_mov_b32 s49, 0x3fe62e42
	s_mov_b32 s51, 0x3c7abc9e
	s_movk_i32 s33, 0x204
	s_mov_b32 s55, 0x3ff71547
	s_mov_b32 s57, 0xbfe62e42
	;; [unrolled: 1-line block ×4, first 2 shown]
	v_mov_b32_e32 v18, 0x6b47b09a
	v_mov_b32_e32 v20, 0xd7f4df2e
	;; [unrolled: 1-line block ×60, first 2 shown]
	s_mov_b32 s65, 0x40900000
	s_mov_b32 s67, 0xc090cc00
	;; [unrolled: 1-line block ×18, first 2 shown]
	v_writelane_b32 v136, s1, 15
                                        ; implicit-def: $sgpr26_sgpr27
                                        ; implicit-def: $sgpr28_sgpr29
	v_writelane_b32 v136, s17, 16
	s_branch .LBB83_5
.LBB83_2:                               ;   in Loop: Header=BB83_5 Depth=1
	s_or_b64 exec, exec, s[2:3]
.LBB83_3:                               ;   in Loop: Header=BB83_5 Depth=1
	s_or_b64 exec, exec, s[0:1]
	v_cvt_f32_u32_e32 v2, v75
	v_readlane_b32 s0, v136, 0
	v_lshlrev_b64 v[0:1], 1, v[70:71]
	v_readlane_b32 s1, v136, 1
	v_mov_b32_e32 v3, s1
	v_cvt_f16_f32_e32 v2, v2
	v_add_co_u32_e32 v0, vcc, s0, v0
	v_addc_co_u32_e32 v1, vcc, v3, v1, vcc
	v_add_u32_e32 v96, s17, v96
	v_cmp_le_u32_e32 vcc, s16, v96
	s_andn2_b64 s[28:29], s[28:29], exec
	s_orn2_b64 s[0:1], vcc, exec
	global_store_short v[0:1], v2, off
.LBB83_4:                               ;   in Loop: Header=BB83_5 Depth=1
	s_or_b64 exec, exec, s[52:53]
	s_and_b64 s[0:1], exec, s[0:1]
	s_or_b64 s[4:5], s[0:1], s[4:5]
	s_andn2_b64 s[0:1], s[26:27], exec
	s_and_b64 s[2:3], s[28:29], exec
	s_or_b64 s[26:27], s[0:1], s[2:3]
	s_andn2_b64 exec, exec, s[4:5]
	s_cbranch_execz .LBB83_48
.LBB83_5:                               ; =>This Loop Header: Depth=1
                                        ;     Child Loop BB83_15 Depth 2
                                        ;     Child Loop BB83_44 Depth 2
	v_sub_u32_e32 v0, s16, v96
	v_cmp_lt_i32_e32 vcc, 0, v0
	v_pk_mov_b32 v[0:1], 0, 0
	v_pk_mov_b32 v[70:71], v[0:1], v[0:1] op_sel:[0,1]
	s_and_saveexec_b64 s[0:1], vcc
	s_cbranch_execz .LBB83_7
; %bb.6:                                ;   in Loop: Header=BB83_5 Depth=1
	v_mul_hi_u32 v2, v96, v13
	v_mul_lo_u32 v3, v2, s8
	v_sub_u32_e32 v3, v96, v3
	v_add_u32_e32 v4, 1, v2
	v_cmp_le_u32_e64 s[2:3], s8, v3
	v_cndmask_b32_e64 v2, v2, v4, s[2:3]
	v_subrev_u32_e32 v4, s8, v3
	v_cndmask_b32_e64 v3, v3, v4, s[2:3]
	v_add_u32_e32 v4, 1, v2
	v_cmp_le_u32_e64 s[2:3], s8, v3
	v_cndmask_b32_e64 v3, v2, v4, s[2:3]
	v_mul_lo_u32 v2, v3, s8
	v_readlane_b32 s2, v136, 2
	v_sub_u32_e32 v2, v96, v2
	v_readlane_b32 s3, v136, 3
	v_mul_lo_u32 v2, v2, s3
	v_mad_u64_u32 v[70:71], s[2:3], v3, s2, v[2:3]
	v_mov_b32_e32 v71, v14
.LBB83_7:                               ;   in Loop: Header=BB83_5 Depth=1
	s_or_b64 exec, exec, s[0:1]
	s_and_saveexec_b64 s[0:1], vcc
	s_cbranch_execz .LBB83_9
; %bb.8:                                ;   in Loop: Header=BB83_5 Depth=1
	v_mul_hi_u32 v0, v96, v88
	v_mul_lo_u32 v1, v0, s9
	v_sub_u32_e32 v1, v96, v1
	v_add_u32_e32 v2, 1, v0
	v_cmp_le_u32_e32 vcc, s9, v1
	v_cndmask_b32_e32 v0, v0, v2, vcc
	v_subrev_u32_e32 v2, s9, v1
	v_cndmask_b32_e32 v1, v1, v2, vcc
	v_add_u32_e32 v2, 1, v0
	v_cmp_le_u32_e32 vcc, s9, v1
	v_cndmask_b32_e32 v1, v0, v2, vcc
	v_mul_lo_u32 v0, v1, s9
	v_readlane_b32 s2, v136, 4
	v_sub_u32_e32 v0, v96, v0
	v_readlane_b32 s3, v136, 5
	v_mul_lo_u32 v0, v0, s3
	v_mad_u64_u32 v[0:1], s[2:3], v1, s2, v[0:1]
	v_mov_b32_e32 v1, v14
.LBB83_9:                               ;   in Loop: Header=BB83_5 Depth=1
	s_or_b64 exec, exec, s[0:1]
	v_lshlrev_b64 v[0:1], 1, v[0:1]
	v_add_co_u32_e32 v0, vcc, s18, v0
	v_addc_co_u32_e32 v1, vcc, v89, v1, vcc
	global_load_ushort v6, v[0:1], off
	s_mov_b64 s[0:1], -1
	s_or_b64 s[28:29], s[28:29], exec
	s_waitcnt vmcnt(0)
	v_cmp_le_f16_e32 vcc, 0, v6
	s_and_b64 s[2:3], s[62:63], vcc
	s_and_saveexec_b64 s[52:53], s[2:3]
	s_cbranch_execz .LBB83_4
; %bb.10:                               ;   in Loop: Header=BB83_5 Depth=1
	v_readlane_b32 s0, v136, 12
	v_readlane_b32 s1, v136, 13
	s_and_b64 vcc, exec, s[0:1]
	v_readlane_b32 s0, v136, 8
	v_readlane_b32 s1, v136, 9
	v_readlane_b32 s2, v136, 10
	v_readlane_b32 s3, v136, 11
	v_pk_mov_b32 v[0:1], s[2:3], s[2:3] op_sel:[0,1]
	v_pk_mov_b32 v[72:73], s[0:1], s[0:1] op_sel:[0,1]
	s_cbranch_vccnz .LBB83_12
; %bb.11:                               ;   in Loop: Header=BB83_5 Depth=1
	v_readlane_b32 s0, v136, 8
	v_readlane_b32 s2, v136, 10
	;; [unrolled: 1-line block ×3, first 2 shown]
	v_pk_mov_b32 v[0:1], s[2:3], s[2:3] op_sel:[0,1]
	v_readlane_b32 s1, v136, 9
	flat_load_dwordx2 v[0:1], v[0:1]
	v_pk_mov_b32 v[2:3], s[0:1], s[0:1] op_sel:[0,1]
	flat_load_dwordx2 v[72:73], v[2:3]
	v_readlane_b32 s0, v136, 6
	v_readlane_b32 s1, v136, 7
	v_mov_b32_e32 v2, s1
	s_waitcnt vmcnt(0) lgkmcnt(0)
	v_add_co_u32_e32 v0, vcc, s0, v0
	v_addc_co_u32_e32 v1, vcc, v1, v2, vcc
.LBB83_12:                              ;   in Loop: Header=BB83_5 Depth=1
	v_alignbit_b32 v98, v1, v0, 2
	v_and_b32_e32 v15, 3, v0
	v_lshrrev_b32_e32 v99, 2, v1
	v_mad_u64_u32 v[0:1], s[0:1], v98, s11, 0
	v_xor_b32_e32 v3, v16, v72
	v_mov_b32_e32 v2, v73
	v_xor_b32_e32 v1, v1, v73
	s_mov_b32 s0, 0xbb67ae85
	v_xor_b32_e32 v3, v3, v99
	v_add_co_u32_e32 v101, vcc, s0, v2
	v_mad_u64_u32 v[4:5], s[0:1], v3, s11, 0
	v_mad_u64_u32 v[8:9], s[0:1], v1, s10, 0
	v_add_co_u32_e32 v100, vcc, 0x9e3779b9, v72
	v_xor_b32_e32 v1, v12, v9
	v_xor_b32_e32 v3, v101, v5
	s_mov_b32 s0, 0x3c6ef372
	v_xor_b32_e32 v1, v1, v100
	v_xor_b32_e32 v3, v3, v0
	v_add_co_u32_e32 v102, vcc, s0, v72
	s_mov_b32 s0, 0x76cf5d0a
	v_add_co_u32_e32 v103, vcc, s0, v2
	v_mad_u64_u32 v[0:1], s[0:1], v1, s11, 0
	v_mad_u64_u32 v[10:11], s[0:1], v3, s10, 0
	v_xor_b32_e32 v3, v102, v11
	v_xor_b32_e32 v1, v103, v1
	s_mov_b32 s0, 0xdaa66d2b
	v_xor_b32_e32 v3, v3, v8
	v_xor_b32_e32 v1, v1, v4
	v_add_co_u32_e32 v105, vcc, s0, v72
	s_mov_b32 s0, 0x32370b8f
	v_add_co_u32_e32 v106, vcc, s0, v2
	v_mad_u64_u32 v[4:5], s[0:1], v3, s11, 0
	v_mad_u64_u32 v[8:9], s[0:1], v1, s10, 0
	;; [unrolled: 10-line block ×7, first 2 shown]
	v_xor_b32_e32 v1, v104, v1
	v_xor_b32_e32 v1, v1, v8
	;; [unrolled: 1-line block ×4, first 2 shown]
	v_mad_u64_u32 v[4:5], s[0:1], v1, s11, 0
	v_mov_b32_e32 v3, v4
	v_cvt_f32_f16_e32 v4, v6
	v_mad_u64_u32 v[8:9], s[0:1], v7, s10, 0
	v_add_u32_e32 v107, 0x8ff34781, v72
	v_add_u32_e32 v97, 0x96a522ad, v73
	v_xor_b32_e32 v0, v9, v0
	v_xor_b32_e32 v2, v5, v2
	s_movk_i32 s0, 0x5400
	v_mov_b32_e32 v1, v8
	v_xor_b32_e32 v0, v107, v0
	v_xor_b32_e32 v2, v97, v2
	v_cvt_f64_f32_e32 v[4:5], v4
	v_cmp_ngt_f16_e32 vcc, s0, v6
                                        ; implicit-def: $vgpr75
	s_and_saveexec_b64 s[0:1], vcc
	s_xor_b64 s[6:7], exec, s[0:1]
	s_cbranch_execz .LBB83_41
; %bb.13:                               ;   in Loop: Header=BB83_5 Depth=1
	s_movk_i32 s0, 0x6bd0
	v_cmp_ge_f16_e32 vcc, s0, v6
                                        ; implicit-def: $vgpr75
	s_and_saveexec_b64 s[0:1], vcc
	s_xor_b64 s[12:13], exec, s[0:1]
	s_cbranch_execz .LBB83_28
; %bb.14:                               ;   in Loop: Header=BB83_5 Depth=1
	s_mov_b32 s14, 0xae147ae1
	s_mov_b32 s15, 0xc00ae147
	v_div_scale_f64 v[6:7], s[0:1], v[4:5], v[4:5], s[14:15]
	v_rcp_f64_e32 v[8:9], v[6:7]
	s_mov_b32 s0, 0
	v_mul_f64 v[76:77], v[4:5], s[24:25]
	s_brev_b32 s1, 8
	v_cmp_gt_f64_e64 s[2:3], s[0:1], v[76:77]
	v_cndmask_b32_e64 v78, 0, 1, s[2:3]
	v_fma_f64 v[74:75], -v[6:7], v[8:9], 1.0
	v_lshlrev_b32_e32 v78, 8, v78
	v_fmac_f64_e32 v[8:9], v[8:9], v[74:75]
	v_ldexp_f64 v[76:77], v[76:77], v78
	v_fma_f64 v[74:75], -v[6:7], v[8:9], 1.0
	v_rsq_f64_e32 v[78:79], v[76:77]
	v_div_scale_f64 v[10:11], vcc, s[14:15], v[4:5], s[14:15]
	v_fmac_f64_e32 v[8:9], v[8:9], v[74:75]
	v_mul_f64 v[74:75], v[10:11], v[8:9]
	v_fma_f64 v[6:7], -v[6:7], v[74:75], v[10:11]
	s_nop 0
	v_div_fmas_f64 v[6:7], v[6:7], v[8:9], v[74:75]
	v_mul_f64 v[8:9], v[76:77], v[78:79]
	v_mul_f64 v[10:11], v[78:79], 0.5
	v_fma_f64 v[74:75], -v[10:11], v[8:9], 0.5
	v_fmac_f64_e32 v[8:9], v[8:9], v[74:75]
	v_fma_f64 v[78:79], -v[8:9], v[8:9], v[76:77]
	v_fmac_f64_e32 v[10:11], v[10:11], v[74:75]
	v_fmac_f64_e32 v[8:9], v[78:79], v[10:11]
	v_fma_f64 v[74:75], -v[8:9], v[8:9], v[76:77]
	v_fmac_f64_e32 v[8:9], v[74:75], v[10:11]
	v_cndmask_b32_e64 v10, 0, v91, s[2:3]
	v_ldexp_f64 v[8:9], v[8:9], v10
	v_cmp_class_f64_e32 vcc, v[76:77], v90
	s_mov_b32 s2, 0x54442d18
	v_cndmask_b32_e32 v9, v9, v77, vcc
	v_cndmask_b32_e32 v8, v8, v76, vcc
	s_mov_b32 s3, 0x400921fb
	v_div_scale_f64 v[10:11], s[0:1], v[8:9], v[8:9], s[2:3]
	v_rcp_f64_e32 v[76:77], v[10:11]
	s_mov_b32 s0, 0x95810625
	v_div_fixup_f64 v[6:7], v[6:7], v[4:5], s[14:15]
	s_mov_b32 s1, 0x3fe88b43
	v_fma_f64 v[78:79], -v[10:11], v[76:77], 1.0
	v_fmac_f64_e32 v[76:77], v[76:77], v[78:79]
	v_fma_f64 v[78:79], -v[10:11], v[76:77], 1.0
	v_fmac_f64_e32 v[76:77], v[76:77], v[78:79]
	v_div_scale_f64 v[78:79], vcc, s[2:3], v[8:9], s[2:3]
	v_mul_f64 v[80:81], v[78:79], v[76:77]
	v_fma_f64 v[10:11], -v[10:11], v[80:81], v[78:79]
	v_add_f64 v[6:7], v[6:7], s[0:1]
	s_nop 0
	v_div_fmas_f64 v[10:11], v[10:11], v[76:77], v[80:81]
	v_div_fixup_f64 v[76:77], v[10:11], v[8:9], s[2:3]
	v_frexp_mant_f64_e32 v[8:9], v[6:7]
	v_cmp_gt_f64_e32 vcc, s[30:31], v[8:9]
	v_mov_b32_e32 v74, 0
	v_cndmask_b32_e64 v75, v92, 2.0, vcc
	v_frexp_exp_i32_f64_e32 v10, v[6:7]
	v_mul_f64 v[8:9], v[8:9], v[74:75]
	v_subbrev_co_u32_e32 v75, vcc, 0, v10, vcc
	v_add_f64 v[10:11], v[8:9], 1.0
	v_rcp_f64_e32 v[80:81], v[10:11]
	v_add_f64 v[84:85], v[10:11], -1.0
	v_add_f64 v[82:83], v[8:9], -1.0
	v_add_f64 v[8:9], v[8:9], -v[84:85]
	v_fma_f64 v[84:85], -v[10:11], v[80:81], 1.0
	v_fmac_f64_e32 v[80:81], v[84:85], v[80:81]
	v_fma_f64 v[84:85], -v[10:11], v[80:81], 1.0
	v_fmac_f64_e32 v[80:81], v[84:85], v[80:81]
	v_mul_f64 v[84:85], v[82:83], v[80:81]
	v_mul_f64 v[86:87], v[10:11], v[84:85]
	v_fma_f64 v[10:11], v[84:85], v[10:11], -v[86:87]
	v_fmac_f64_e32 v[10:11], v[84:85], v[8:9]
	v_add_f64 v[8:9], v[86:87], v[10:11]
	v_add_f64 v[118:119], v[82:83], -v[8:9]
	v_add_f64 v[86:87], v[8:9], -v[86:87]
	;; [unrolled: 1-line block ×5, first 2 shown]
	v_add_f64 v[8:9], v[10:11], v[8:9]
	v_add_f64 v[8:9], v[118:119], v[8:9]
	v_mul_f64 v[8:9], v[80:81], v[8:9]
	v_add_f64 v[10:11], v[84:85], v[8:9]
	v_add_f64 v[80:81], v[10:11], -v[84:85]
	v_add_f64 v[8:9], v[8:9], -v[80:81]
	v_mul_f64 v[80:81], v[10:11], v[10:11]
	v_pk_mov_b32 v[82:83], s[34:35], s[34:35] op_sel:[0,1]
	v_fma_f64 v[84:85], s[36:37], v[80:81], v[82:83]
	v_fma_f64 v[84:85], v[80:81], v[84:85], s[38:39]
	v_fma_f64 v[84:85], v[80:81], v[84:85], s[40:41]
	v_fma_f64 v[84:85], v[80:81], v[84:85], s[42:43]
	v_fma_f64 v[84:85], v[80:81], v[84:85], s[44:45]
	s_mov_b32 s47, s31
	v_fma_f64 v[84:85], v[80:81], v[84:85], s[46:47]
	v_ldexp_f64 v[86:87], v[10:11], 1
	v_mul_f64 v[10:11], v[10:11], v[80:81]
	v_mul_f64 v[10:11], v[10:11], v[84:85]
	v_add_f64 v[80:81], v[86:87], v[10:11]
	v_add_f64 v[84:85], v[80:81], -v[86:87]
	v_ldexp_f64 v[8:9], v[8:9], 1
	v_add_f64 v[10:11], v[10:11], -v[84:85]
	v_add_f64 v[8:9], v[8:9], v[10:11]
	v_add_f64 v[10:11], v[80:81], v[8:9]
	v_add_f64 v[80:81], v[10:11], -v[80:81]
	v_add_f64 v[8:9], v[8:9], -v[80:81]
	v_cvt_f64_i32_e32 v[80:81], v75
	v_mul_f64 v[84:85], v[80:81], s[48:49]
	v_fma_f64 v[86:87], v[80:81], s[48:49], -v[84:85]
	v_fmac_f64_e32 v[86:87], s[50:51], v[80:81]
	v_add_f64 v[80:81], v[84:85], v[86:87]
	v_add_f64 v[84:85], v[80:81], -v[84:85]
	v_add_f64 v[84:85], v[86:87], -v[84:85]
	v_add_f64 v[86:87], v[80:81], v[10:11]
	v_add_f64 v[118:119], v[86:87], -v[80:81]
	v_add_f64 v[120:121], v[86:87], -v[118:119]
	;; [unrolled: 1-line block ×4, first 2 shown]
	v_add_f64 v[10:11], v[10:11], v[80:81]
	v_add_f64 v[80:81], v[84:85], v[8:9]
	v_add_f64 v[118:119], v[80:81], -v[84:85]
	v_add_f64 v[120:121], v[80:81], -v[118:119]
	v_add_f64 v[10:11], v[80:81], v[10:11]
	v_add_f64 v[84:85], v[84:85], -v[120:121]
	v_add_f64 v[8:9], v[8:9], -v[118:119]
	v_add_f64 v[80:81], v[86:87], v[10:11]
	v_add_f64 v[8:9], v[8:9], v[84:85]
	v_add_f64 v[84:85], v[80:81], -v[86:87]
	v_add_f64 v[10:11], v[10:11], -v[84:85]
	v_add_f64 v[8:9], v[8:9], v[10:11]
	v_add_f64 v[8:9], v[80:81], v[8:9]
	v_cmp_class_f64_e64 vcc, v[6:7], s33
	v_cndmask_b32_e32 v8, v8, v6, vcc
	v_cndmask_b32_e32 v9, v9, v7, vcc
	v_cmp_ngt_f64_e32 vcc, 0, v[6:7]
	v_cndmask_b32_e32 v9, v93, v9, vcc
	v_cmp_nge_f64_e32 vcc, 0, v[6:7]
	v_cndmask_b32_e32 v8, 0, v8, vcc
	v_cmp_neq_f64_e32 vcc, 0, v[6:7]
	v_cndmask_b32_e32 v9, v94, v9, vcc
	v_add_f64 v[6:7], v[8:9], -v[4:5]
	v_frexp_mant_f64_e32 v[8:9], v[76:77]
	v_cmp_gt_f64_e32 vcc, s[30:31], v[8:9]
	v_cndmask_b32_e64 v75, v92, 2.0, vcc
	v_frexp_exp_i32_f64_e32 v10, v[76:77]
	v_mul_f64 v[8:9], v[8:9], v[74:75]
	v_subbrev_co_u32_e32 v75, vcc, 0, v10, vcc
	v_add_f64 v[10:11], v[8:9], 1.0
	v_rcp_f64_e32 v[80:81], v[10:11]
	v_add_f64 v[86:87], v[10:11], -1.0
	v_add_f64 v[84:85], v[8:9], -1.0
	v_add_f64 v[8:9], v[8:9], -v[86:87]
	v_fma_f64 v[86:87], -v[10:11], v[80:81], 1.0
	v_fmac_f64_e32 v[80:81], v[86:87], v[80:81]
	v_fma_f64 v[86:87], -v[10:11], v[80:81], 1.0
	v_fmac_f64_e32 v[80:81], v[86:87], v[80:81]
	v_mul_f64 v[86:87], v[84:85], v[80:81]
	v_mul_f64 v[118:119], v[10:11], v[86:87]
	v_fma_f64 v[10:11], v[86:87], v[10:11], -v[118:119]
	v_fmac_f64_e32 v[10:11], v[86:87], v[8:9]
	v_add_f64 v[8:9], v[118:119], v[10:11]
	v_add_f64 v[120:121], v[84:85], -v[8:9]
	v_add_f64 v[118:119], v[8:9], -v[118:119]
	;; [unrolled: 1-line block ×5, first 2 shown]
	v_add_f64 v[8:9], v[10:11], v[8:9]
	v_add_f64 v[8:9], v[120:121], v[8:9]
	v_mul_f64 v[8:9], v[80:81], v[8:9]
	v_add_f64 v[10:11], v[86:87], v[8:9]
	v_add_f64 v[80:81], v[10:11], -v[86:87]
	v_add_f64 v[8:9], v[8:9], -v[80:81]
	v_mul_f64 v[80:81], v[10:11], v[10:11]
	v_fma_f64 v[84:85], s[36:37], v[80:81], v[82:83]
	v_fma_f64 v[84:85], v[80:81], v[84:85], s[38:39]
	;; [unrolled: 1-line block ×6, first 2 shown]
	v_ldexp_f64 v[86:87], v[10:11], 1
	v_mul_f64 v[10:11], v[10:11], v[80:81]
	v_mul_f64 v[10:11], v[10:11], v[84:85]
	v_add_f64 v[80:81], v[86:87], v[10:11]
	v_add_f64 v[84:85], v[80:81], -v[86:87]
	v_ldexp_f64 v[8:9], v[8:9], 1
	v_add_f64 v[10:11], v[10:11], -v[84:85]
	v_add_f64 v[8:9], v[8:9], v[10:11]
	v_add_f64 v[10:11], v[80:81], v[8:9]
	v_add_f64 v[80:81], v[10:11], -v[80:81]
	v_add_f64 v[8:9], v[8:9], -v[80:81]
	v_cvt_f64_i32_e32 v[80:81], v75
	v_mul_f64 v[84:85], v[80:81], s[48:49]
	v_fma_f64 v[86:87], v[80:81], s[48:49], -v[84:85]
	v_fmac_f64_e32 v[86:87], s[50:51], v[80:81]
	v_add_f64 v[80:81], v[84:85], v[86:87]
	v_add_f64 v[84:85], v[80:81], -v[84:85]
	v_add_f64 v[84:85], v[86:87], -v[84:85]
	v_add_f64 v[86:87], v[80:81], v[10:11]
	v_add_f64 v[118:119], v[86:87], -v[80:81]
	v_add_f64 v[120:121], v[86:87], -v[118:119]
	;; [unrolled: 1-line block ×4, first 2 shown]
	v_add_f64 v[10:11], v[10:11], v[80:81]
	v_add_f64 v[80:81], v[84:85], v[8:9]
	v_add_f64 v[118:119], v[80:81], -v[84:85]
	v_add_f64 v[120:121], v[80:81], -v[118:119]
	v_add_f64 v[10:11], v[80:81], v[10:11]
	v_add_f64 v[84:85], v[84:85], -v[120:121]
	v_add_f64 v[8:9], v[8:9], -v[118:119]
	v_add_f64 v[80:81], v[86:87], v[10:11]
	v_add_f64 v[8:9], v[8:9], v[84:85]
	v_add_f64 v[84:85], v[80:81], -v[86:87]
	v_add_f64 v[10:11], v[10:11], -v[84:85]
	s_mov_b32 s0, 0
	v_add_f64 v[8:9], v[8:9], v[10:11]
	s_mov_b32 s1, 0x7ff00000
	v_add_f64 v[8:9], v[80:81], v[8:9]
	v_cmp_eq_f64_e32 vcc, s[0:1], v[76:77]
	v_cndmask_b32_e32 v8, v8, v76, vcc
	v_cndmask_b32_e32 v9, v9, v77, vcc
	v_cmp_neq_f64_e32 vcc, 0, v[76:77]
	v_cndmask_b32_e32 v9, v94, v9, vcc
	v_cndmask_b32_e32 v8, 0, v8, vcc
	v_mul_f64 v[78:79], v[76:77], v[4:5]
	v_add_f64 v[80:81], v[6:7], -v[8:9]
	v_frexp_exp_i32_f64_e32 v6, v[4:5]
	v_frexp_mant_f64_e32 v[4:5], v[4:5]
	v_cmp_gt_f64_e32 vcc, s[30:31], v[4:5]
	v_cndmask_b32_e64 v75, v92, 2.0, vcc
	v_mul_f64 v[4:5], v[4:5], v[74:75]
	v_subbrev_co_u32_e32 v75, vcc, 0, v6, vcc
	v_add_f64 v[6:7], v[4:5], 1.0
	v_rcp_f64_e32 v[8:9], v[6:7]
	v_add_f64 v[84:85], v[6:7], -1.0
	v_add_f64 v[10:11], v[4:5], -1.0
	v_add_f64 v[4:5], v[4:5], -v[84:85]
	v_fma_f64 v[84:85], -v[6:7], v[8:9], 1.0
	v_fmac_f64_e32 v[8:9], v[84:85], v[8:9]
	v_fma_f64 v[84:85], -v[6:7], v[8:9], 1.0
	v_fmac_f64_e32 v[8:9], v[84:85], v[8:9]
	v_mul_f64 v[84:85], v[10:11], v[8:9]
	v_mul_f64 v[86:87], v[6:7], v[84:85]
	v_fma_f64 v[6:7], v[84:85], v[6:7], -v[86:87]
	v_fmac_f64_e32 v[6:7], v[84:85], v[4:5]
	v_add_f64 v[4:5], v[86:87], v[6:7]
	v_add_f64 v[118:119], v[10:11], -v[4:5]
	v_add_f64 v[86:87], v[4:5], -v[86:87]
	;; [unrolled: 1-line block ×5, first 2 shown]
	v_add_f64 v[4:5], v[6:7], v[4:5]
	v_add_f64 v[4:5], v[118:119], v[4:5]
	v_mul_f64 v[4:5], v[8:9], v[4:5]
	v_add_f64 v[6:7], v[84:85], v[4:5]
	v_add_f64 v[8:9], v[6:7], -v[84:85]
	v_add_f64 v[4:5], v[4:5], -v[8:9]
	v_mul_f64 v[8:9], v[6:7], v[6:7]
	v_fmac_f64_e32 v[82:83], s[36:37], v[8:9]
	v_fma_f64 v[10:11], v[8:9], v[82:83], s[38:39]
	v_fma_f64 v[10:11], v[8:9], v[10:11], s[40:41]
	;; [unrolled: 1-line block ×5, first 2 shown]
	v_ldexp_f64 v[82:83], v[6:7], 1
	v_mul_f64 v[6:7], v[6:7], v[8:9]
	v_mul_f64 v[6:7], v[6:7], v[10:11]
	v_add_f64 v[8:9], v[82:83], v[6:7]
	v_add_f64 v[10:11], v[8:9], -v[82:83]
	v_ldexp_f64 v[4:5], v[4:5], 1
	v_add_f64 v[6:7], v[6:7], -v[10:11]
	v_add_f64 v[4:5], v[4:5], v[6:7]
	v_add_f64 v[6:7], v[8:9], v[4:5]
	v_add_f64 v[8:9], v[6:7], -v[8:9]
	v_add_f64 v[4:5], v[4:5], -v[8:9]
	v_cvt_f64_i32_e32 v[8:9], v75
	v_mul_f64 v[10:11], v[8:9], s[48:49]
	v_fma_f64 v[82:83], v[8:9], s[48:49], -v[10:11]
	v_fmac_f64_e32 v[82:83], s[50:51], v[8:9]
	v_add_f64 v[8:9], v[10:11], v[82:83]
	v_add_f64 v[10:11], v[8:9], -v[10:11]
	v_add_f64 v[10:11], v[82:83], -v[10:11]
	v_add_f64 v[82:83], v[8:9], v[6:7]
	v_add_f64 v[84:85], v[82:83], -v[8:9]
	v_add_f64 v[86:87], v[82:83], -v[84:85]
	v_add_f64 v[8:9], v[8:9], -v[86:87]
	v_add_f64 v[6:7], v[6:7], -v[84:85]
	v_add_f64 v[6:7], v[6:7], v[8:9]
	v_add_f64 v[8:9], v[10:11], v[4:5]
	v_add_f64 v[84:85], v[8:9], -v[10:11]
	v_add_f64 v[86:87], v[8:9], -v[84:85]
	v_add_f64 v[6:7], v[8:9], v[6:7]
	v_add_f64 v[10:11], v[10:11], -v[86:87]
	v_add_f64 v[4:5], v[4:5], -v[84:85]
	v_add_f64 v[8:9], v[82:83], v[6:7]
	v_add_f64 v[4:5], v[4:5], v[10:11]
	v_add_f64 v[10:11], v[8:9], -v[82:83]
	v_add_f64 v[6:7], v[6:7], -v[10:11]
	v_add_f64 v[4:5], v[4:5], v[6:7]
	s_mov_b32 s19, s16
	v_add_f64 v[82:83], v[8:9], v[4:5]
	s_mov_b64 s[16:17], 0
	s_mov_b64 s[14:15], 0
	v_mov_b32_e32 v117, v17
                                        ; implicit-def: $vgpr75
.LBB83_15:                              ;   Parent Loop BB83_5 Depth=1
                                        ; =>  This Inner Loop Header: Depth=2
	v_add_u32_e32 v118, 1, v15
	v_pk_mov_b32 v[10:11], v[2:3], v[2:3] op_sel:[0,1]
	v_cmp_eq_u32_e32 vcc, 4, v118
	v_pk_mov_b32 v[8:9], v[0:1], v[0:1] op_sel:[0,1]
	v_mov_b32_e32 v87, v0
	v_mov_b32_e32 v86, v1
	;; [unrolled: 1-line block ×4, first 2 shown]
	s_and_saveexec_b64 s[0:1], vcc
	s_cbranch_execz .LBB83_17
; %bb.16:                               ;   in Loop: Header=BB83_15 Depth=2
	v_add_co_u32_e32 v98, vcc, 1, v98
	v_cndmask_b32_e64 v4, 0, 1, vcc
	v_addc_co_u32_e32 v99, vcc, 0, v99, vcc
	v_cmp_eq_u32_e32 vcc, 0, v99
	v_cndmask_b32_e32 v4, 0, v4, vcc
	v_add_u32_e32 v117, v4, v117
	v_cmp_eq_u32_e32 vcc, 0, v117
	v_cndmask_b32_e32 v4, 0, v4, vcc
	v_add_u32_e32 v74, v4, v74
	v_mad_u64_u32 v[4:5], s[2:3], v98, s11, 0
	v_mad_u64_u32 v[6:7], s[2:3], v117, s10, 0
	v_xor_b32_e32 v5, v5, v73
	v_xor_b32_e32 v7, v7, v72
	v_xor_b32_e32 v5, v74, v5
	v_xor_b32_e32 v7, v99, v7
	v_mad_u64_u32 v[10:11], s[2:3], v5, s10, 0
	v_mad_u64_u32 v[8:9], s[2:3], v7, s11, 0
	v_xor_b32_e32 v5, v100, v11
	v_xor_b32_e32 v5, v5, v6
	v_xor_b32_e32 v6, v101, v9
	v_xor_b32_e32 v6, v6, v4
	v_mad_u64_u32 v[4:5], s[2:3], v5, s11, 0
	v_mad_u64_u32 v[6:7], s[2:3], v6, s10, 0
	v_xor_b32_e32 v5, v103, v5
	v_xor_b32_e32 v7, v102, v7
	v_xor_b32_e32 v5, v5, v8
	v_xor_b32_e32 v7, v7, v10
	v_mad_u64_u32 v[10:11], s[2:3], v5, s10, 0
	v_mad_u64_u32 v[8:9], s[2:3], v7, s11, 0
	v_xor_b32_e32 v5, v105, v11
	v_xor_b32_e32 v5, v5, v6
	v_xor_b32_e32 v6, v106, v9
	v_xor_b32_e32 v6, v6, v4
	v_mad_u64_u32 v[4:5], s[2:3], v5, s11, 0
	v_mad_u64_u32 v[6:7], s[2:3], v6, s10, 0
	v_xor_b32_e32 v5, v109, v5
	v_xor_b32_e32 v7, v108, v7
	v_xor_b32_e32 v5, v5, v8
	v_xor_b32_e32 v7, v7, v10
	v_mad_u64_u32 v[10:11], s[2:3], v5, s10, 0
	v_mad_u64_u32 v[8:9], s[2:3], v7, s11, 0
	v_xor_b32_e32 v5, v110, v11
	v_xor_b32_e32 v5, v5, v6
	v_xor_b32_e32 v6, v111, v9
	v_xor_b32_e32 v6, v6, v4
	v_mad_u64_u32 v[4:5], s[2:3], v5, s11, 0
	v_mad_u64_u32 v[6:7], s[2:3], v6, s10, 0
	v_xor_b32_e32 v5, v113, v5
	v_xor_b32_e32 v7, v112, v7
	v_xor_b32_e32 v5, v5, v8
	v_xor_b32_e32 v7, v7, v10
	v_mad_u64_u32 v[10:11], s[2:3], v5, s10, 0
	v_mad_u64_u32 v[8:9], s[2:3], v7, s11, 0
	v_xor_b32_e32 v5, v114, v11
	v_xor_b32_e32 v5, v5, v6
	v_xor_b32_e32 v6, v115, v9
	v_xor_b32_e32 v6, v6, v4
	v_mad_u64_u32 v[4:5], s[2:3], v5, s11, 0
	v_mad_u64_u32 v[6:7], s[2:3], v6, s10, 0
	v_xor_b32_e32 v7, v104, v7
	v_xor_b32_e32 v5, v116, v5
	v_xor_b32_e32 v7, v7, v10
	v_xor_b32_e32 v5, v5, v8
	v_mad_u64_u32 v[84:85], s[2:3], v7, s11, 0
	v_mad_u64_u32 v[86:87], s[2:3], v5, s10, 0
	v_xor_b32_e32 v5, v87, v6
	v_xor_b32_e32 v4, v85, v4
	v_xor_b32_e32 v8, v107, v5
	v_xor_b32_e32 v10, v97, v4
	v_mov_b32_e32 v118, 0
	v_mov_b32_e32 v9, v86
	;; [unrolled: 1-line block ×5, first 2 shown]
.LBB83_17:                              ;   in Loop: Header=BB83_15 Depth=2
	s_or_b64 exec, exec, s[0:1]
	v_add_u32_e32 v119, 1, v118
	v_pk_mov_b32 v[4:5], v[8:9], v[8:9] op_sel:[0,1]
	v_cmp_eq_u32_e32 vcc, 4, v119
	v_pk_mov_b32 v[6:7], v[10:11], v[10:11] op_sel:[0,1]
	s_and_saveexec_b64 s[0:1], vcc
	s_cbranch_execz .LBB83_19
; %bb.18:                               ;   in Loop: Header=BB83_15 Depth=2
	v_add_co_u32_e32 v98, vcc, 1, v98
	v_cndmask_b32_e64 v4, 0, 1, vcc
	v_addc_co_u32_e32 v99, vcc, 0, v99, vcc
	v_cmp_eq_u32_e32 vcc, 0, v99
	v_cndmask_b32_e32 v4, 0, v4, vcc
	v_add_u32_e32 v117, v4, v117
	v_cmp_eq_u32_e32 vcc, 0, v117
	v_cndmask_b32_e32 v4, 0, v4, vcc
	v_add_u32_e32 v74, v4, v74
	v_mad_u64_u32 v[4:5], s[2:3], v98, s11, 0
	v_mad_u64_u32 v[6:7], s[2:3], v117, s10, 0
	v_xor_b32_e32 v5, v5, v73
	v_xor_b32_e32 v7, v7, v72
	v_xor_b32_e32 v5, v74, v5
	v_xor_b32_e32 v7, v99, v7
	v_mad_u64_u32 v[86:87], s[2:3], v5, s10, 0
	v_mad_u64_u32 v[84:85], s[2:3], v7, s11, 0
	v_xor_b32_e32 v5, v100, v87
	v_xor_b32_e32 v5, v5, v6
	v_xor_b32_e32 v6, v101, v85
	v_xor_b32_e32 v6, v6, v4
	;; [unrolled: 6-line block ×10, first 2 shown]
	v_mov_b32_e32 v119, 0
	v_mov_b32_e32 v5, v86
	;; [unrolled: 1-line block ×5, first 2 shown]
.LBB83_19:                              ;   in Loop: Header=BB83_15 Depth=2
	s_or_b64 exec, exec, s[0:1]
	v_cmp_eq_u32_e32 vcc, 1, v15
	v_cndmask_b32_e32 v0, v0, v1, vcc
	v_cmp_eq_u32_e32 vcc, 2, v15
	v_cndmask_b32_e32 v0, v0, v2, vcc
	;; [unrolled: 2-line block ×6, first 2 shown]
	v_lshrrev_b32_e32 v0, 11, v0
	v_cvt_f64_u32_e32 v[0:1], v0
	v_ldexp_f64 v[0:1], v[0:1], 32
	v_cvt_f64_u32_e32 v[2:3], v2
	v_add_f64 v[0:1], v[0:1], v[2:3]
	v_mov_b32_e32 v2, 0
	v_mov_b32_e32 v3, 0x3ca00000
	v_fmac_f64_e32 v[2:3], 0x3ca00000, v[0:1]
	v_add_f64 v[0:1], -v[2:3], 1.0
	v_div_scale_f64 v[8:9], s[0:1], v[2:3], v[2:3], v[0:1]
	v_rcp_f64_e32 v[10:11], v[8:9]
	v_fma_f64 v[120:121], -v[8:9], v[10:11], 1.0
	v_fmac_f64_e32 v[10:11], v[10:11], v[120:121]
	v_fma_f64 v[120:121], -v[8:9], v[10:11], 1.0
	v_fmac_f64_e32 v[10:11], v[10:11], v[120:121]
	v_div_scale_f64 v[120:121], vcc, v[0:1], v[2:3], v[0:1]
	v_mul_f64 v[122:123], v[120:121], v[10:11]
	v_fma_f64 v[8:9], -v[8:9], v[122:123], v[120:121]
	s_nop 1
	v_div_fmas_f64 v[8:9], v[8:9], v[10:11], v[122:123]
	v_div_fixup_f64 v[0:1], v[8:9], v[2:3], v[0:1]
	v_frexp_mant_f64_e32 v[2:3], v[0:1]
	v_cmp_gt_f64_e32 vcc, s[30:31], v[2:3]
	v_cndmask_b32_e64 v15, v92, 2.0, vcc
	v_frexp_exp_i32_f64_e32 v8, v[0:1]
	v_mul_f64 v[2:3], v[2:3], v[14:15]
	v_subbrev_co_u32_e32 v15, vcc, 0, v8, vcc
	v_add_f64 v[8:9], v[2:3], 1.0
	v_rcp_f64_e32 v[10:11], v[8:9]
	v_add_f64 v[122:123], v[8:9], -1.0
	v_add_f64 v[120:121], v[2:3], -1.0
	v_add_f64 v[2:3], v[2:3], -v[122:123]
	v_fma_f64 v[122:123], -v[8:9], v[10:11], 1.0
	v_fmac_f64_e32 v[10:11], v[122:123], v[10:11]
	v_fma_f64 v[122:123], -v[8:9], v[10:11], 1.0
	v_fmac_f64_e32 v[10:11], v[122:123], v[10:11]
	v_mul_f64 v[122:123], v[120:121], v[10:11]
	v_mul_f64 v[124:125], v[8:9], v[122:123]
	v_fma_f64 v[8:9], v[122:123], v[8:9], -v[124:125]
	v_fmac_f64_e32 v[8:9], v[122:123], v[2:3]
	v_add_f64 v[2:3], v[124:125], v[8:9]
	v_add_f64 v[126:127], v[120:121], -v[2:3]
	v_add_f64 v[124:125], v[2:3], -v[124:125]
	;; [unrolled: 1-line block ×5, first 2 shown]
	v_add_f64 v[2:3], v[8:9], v[2:3]
	v_add_f64 v[2:3], v[126:127], v[2:3]
	v_mul_f64 v[2:3], v[10:11], v[2:3]
	v_add_f64 v[8:9], v[122:123], v[2:3]
	v_add_f64 v[10:11], v[8:9], -v[122:123]
	v_add_f64 v[2:3], v[2:3], -v[10:11]
	v_mul_f64 v[10:11], v[8:9], v[8:9]
	v_pk_mov_b32 v[120:121], v[18:19], v[18:19] op_sel:[0,1]
	v_fmac_f64_e32 v[120:121], s[36:37], v[10:11]
	v_pk_mov_b32 v[122:123], v[20:21], v[20:21] op_sel:[0,1]
	v_fmac_f64_e32 v[122:123], v[10:11], v[120:121]
	;; [unrolled: 2-line block ×6, first 2 shown]
	v_ldexp_f64 v[120:121], v[8:9], 1
	v_mul_f64 v[8:9], v[8:9], v[10:11]
	v_mul_f64 v[8:9], v[8:9], v[122:123]
	v_add_f64 v[10:11], v[120:121], v[8:9]
	v_add_f64 v[120:121], v[10:11], -v[120:121]
	v_ldexp_f64 v[2:3], v[2:3], 1
	v_add_f64 v[8:9], v[8:9], -v[120:121]
	v_add_f64 v[2:3], v[2:3], v[8:9]
	v_add_f64 v[8:9], v[10:11], v[2:3]
	v_add_f64 v[10:11], v[8:9], -v[10:11]
	v_add_f64 v[2:3], v[2:3], -v[10:11]
	v_cvt_f64_i32_e32 v[10:11], v15
	v_mul_f64 v[120:121], v[10:11], s[48:49]
	v_fma_f64 v[122:123], v[10:11], s[48:49], -v[120:121]
	v_fmac_f64_e32 v[122:123], s[50:51], v[10:11]
	v_add_f64 v[10:11], v[120:121], v[122:123]
	v_add_f64 v[120:121], v[10:11], -v[120:121]
	v_add_f64 v[120:121], v[122:123], -v[120:121]
	v_add_f64 v[122:123], v[10:11], v[8:9]
	v_add_f64 v[124:125], v[122:123], -v[10:11]
	v_add_f64 v[126:127], v[122:123], -v[124:125]
	;; [unrolled: 1-line block ×4, first 2 shown]
	v_add_f64 v[8:9], v[8:9], v[10:11]
	v_add_f64 v[10:11], v[120:121], v[2:3]
	v_add_f64 v[124:125], v[10:11], -v[120:121]
	v_add_f64 v[126:127], v[10:11], -v[124:125]
	v_add_f64 v[8:9], v[10:11], v[8:9]
	v_add_f64 v[120:121], v[120:121], -v[126:127]
	v_add_f64 v[2:3], v[2:3], -v[124:125]
	v_add_f64 v[10:11], v[122:123], v[8:9]
	v_add_f64 v[2:3], v[2:3], v[120:121]
	v_add_f64 v[120:121], v[10:11], -v[122:123]
	v_add_f64 v[8:9], v[8:9], -v[120:121]
	v_add_f64 v[2:3], v[2:3], v[8:9]
	v_add_f64 v[2:3], v[10:11], v[2:3]
	v_cmp_class_f64_e64 vcc, v[0:1], s33
	v_cndmask_b32_e32 v2, v2, v0, vcc
	v_cndmask_b32_e32 v3, v3, v1, vcc
	v_cmp_ngt_f64_e32 vcc, 0, v[0:1]
	v_cndmask_b32_e32 v3, v93, v3, vcc
	v_cmp_nge_f64_e32 vcc, 0, v[0:1]
	v_cndmask_b32_e32 v2, 0, v2, vcc
	v_cmp_neq_f64_e32 vcc, 0, v[0:1]
	v_cndmask_b32_e32 v3, v94, v3, vcc
	v_add_f64 v[0:1], v[78:79], -v[2:3]
	v_div_scale_f64 v[2:3], s[0:1], v[76:77], v[76:77], v[0:1]
	v_rcp_f64_e32 v[8:9], v[2:3]
	v_fma_f64 v[10:11], -v[2:3], v[8:9], 1.0
	v_fmac_f64_e32 v[8:9], v[8:9], v[10:11]
	v_fma_f64 v[10:11], -v[2:3], v[8:9], 1.0
	v_fmac_f64_e32 v[8:9], v[8:9], v[10:11]
	v_div_scale_f64 v[10:11], vcc, v[0:1], v[76:77], v[0:1]
	v_mul_f64 v[120:121], v[10:11], v[8:9]
	v_fma_f64 v[2:3], -v[2:3], v[120:121], v[10:11]
	s_nop 1
	v_div_fmas_f64 v[2:3], v[2:3], v[8:9], v[120:121]
	v_div_fixup_f64 v[10:11], v[2:3], v[76:77], v[0:1]
	v_add_f64 v[0:1], v[10:11], 0.5
	v_floor_f64_e32 v[8:9], v[0:1]
	v_cmp_ngt_f64_e32 vcc, 0, v[8:9]
	v_mov_b32_e32 v120, 2
	s_and_saveexec_b64 s[0:1], vcc
	s_cbranch_execz .LBB83_25
; %bb.20:                               ;   in Loop: Header=BB83_15 Depth=2
	v_add_u32_e32 v15, 1, v119
	v_pk_mov_b32 v[0:1], v[4:5], v[4:5] op_sel:[0,1]
	v_cmp_eq_u32_e32 vcc, 4, v15
	v_pk_mov_b32 v[2:3], v[6:7], v[6:7] op_sel:[0,1]
	s_and_saveexec_b64 s[2:3], vcc
	s_cbranch_execz .LBB83_22
; %bb.21:                               ;   in Loop: Header=BB83_15 Depth=2
	v_add_co_u32_e32 v98, vcc, 1, v98
	v_cndmask_b32_e64 v0, 0, 1, vcc
	v_addc_co_u32_e32 v99, vcc, 0, v99, vcc
	v_cmp_eq_u32_e32 vcc, 0, v99
	v_cndmask_b32_e32 v0, 0, v0, vcc
	v_add_u32_e32 v117, v0, v117
	v_cmp_eq_u32_e32 vcc, 0, v117
	v_cndmask_b32_e32 v0, 0, v0, vcc
	v_add_u32_e32 v74, v0, v74
	v_mad_u64_u32 v[0:1], vcc, v98, s11, 0
	v_mad_u64_u32 v[2:3], vcc, v117, s10, 0
	v_xor_b32_e32 v1, v1, v73
	v_xor_b32_e32 v3, v3, v72
	v_xor_b32_e32 v1, v74, v1
	v_xor_b32_e32 v3, v99, v3
	v_mad_u64_u32 v[86:87], vcc, v1, s10, 0
	v_mad_u64_u32 v[84:85], vcc, v3, s11, 0
	v_xor_b32_e32 v1, v100, v87
	v_xor_b32_e32 v1, v1, v2
	v_xor_b32_e32 v2, v101, v85
	v_xor_b32_e32 v2, v2, v0
	;; [unrolled: 6-line block ×10, first 2 shown]
	v_mov_b32_e32 v15, 0
	v_mov_b32_e32 v1, v86
	;; [unrolled: 1-line block ×5, first 2 shown]
.LBB83_22:                              ;   in Loop: Header=BB83_15 Depth=2
	s_or_b64 exec, exec, s[2:3]
	v_add_u32_e32 v118, 1, v15
	v_cmp_eq_u32_e32 vcc, 4, v118
	s_and_saveexec_b64 s[2:3], vcc
	s_cbranch_execz .LBB83_24
; %bb.23:                               ;   in Loop: Header=BB83_15 Depth=2
	v_add_co_u32_e32 v98, vcc, 1, v98
	v_cndmask_b32_e64 v84, 0, 1, vcc
	v_addc_co_u32_e32 v99, vcc, 0, v99, vcc
	v_cmp_eq_u32_e32 vcc, 0, v99
	v_cndmask_b32_e32 v84, 0, v84, vcc
	v_add_u32_e32 v117, v84, v117
	v_cmp_eq_u32_e32 vcc, 0, v117
	v_cndmask_b32_e32 v84, 0, v84, vcc
	v_add_u32_e32 v74, v84, v74
	v_mad_u64_u32 v[84:85], vcc, v98, s11, 0
	v_mad_u64_u32 v[86:87], vcc, v117, s10, 0
	v_xor_b32_e32 v85, v85, v73
	v_xor_b32_e32 v87, v87, v72
	v_xor_b32_e32 v85, v74, v85
	v_xor_b32_e32 v87, v99, v87
	v_mad_u64_u32 v[122:123], vcc, v85, s10, 0
	v_mad_u64_u32 v[120:121], vcc, v87, s11, 0
	v_xor_b32_e32 v85, v100, v123
	v_xor_b32_e32 v85, v85, v86
	v_xor_b32_e32 v86, v101, v121
	v_xor_b32_e32 v86, v86, v84
	;; [unrolled: 6-line block ×9, first 2 shown]
	v_mad_u64_u32 v[84:85], vcc, v84, s11, 0
	v_mad_u64_u32 v[86:87], vcc, v86, s10, 0
	v_xor_b32_e32 v87, v87, v126
	v_xor_b32_e32 v85, v85, v124
	v_mov_b32_e32 v118, 0
	v_xor_b32_e32 v87, v107, v87
	v_xor_b32_e32 v85, v97, v85
.LBB83_24:                              ;   in Loop: Header=BB83_15 Depth=2
	s_or_b64 exec, exec, s[2:3]
	v_cmp_eq_u32_e32 vcc, 1, v119
	v_cndmask_b32_e32 v4, v4, v5, vcc
	v_cmp_eq_u32_e32 vcc, 2, v119
	v_cndmask_b32_e32 v4, v4, v6, vcc
	;; [unrolled: 2-line block ×6, first 2 shown]
	v_lshrrev_b32_e32 v0, 11, v0
	v_cvt_f64_u32_e32 v[0:1], v0
	v_ldexp_f64 v[0:1], v[0:1], 32
	v_cvt_f64_u32_e32 v[2:3], v4
	v_add_f64 v[0:1], v[0:1], v[2:3]
	v_mov_b32_e32 v2, 0
	v_mov_b32_e32 v3, 0x3ca00000
	v_fma_f64 v[4:5], -v[76:77], v[10:11], v[78:79]
	v_fmac_f64_e32 v[2:3], 0x3ca00000, v[0:1]
	v_mul_f64 v[0:1], v[4:5], s[54:55]
	v_rndne_f64_e32 v[0:1], v[0:1]
	s_mov_b32 s56, s48
	v_fma_f64 v[6:7], s[56:57], v[0:1], v[4:5]
	s_mov_b32 s58, s50
	v_fmac_f64_e32 v[6:7], s[58:59], v[0:1]
	v_pk_mov_b32 v[10:11], v[30:31], v[30:31] op_sel:[0,1]
	v_fmac_f64_e32 v[10:11], s[60:61], v[6:7]
	v_pk_mov_b32 v[120:121], v[32:33], v[32:33] op_sel:[0,1]
	;; [unrolled: 2-line block ×9, first 2 shown]
	v_fmac_f64_e32 v[10:11], v[6:7], v[120:121]
	v_fma_f64 v[10:11], v[6:7], v[10:11], 1.0
	v_fma_f64 v[6:7], v[6:7], v[10:11], 1.0
	v_cvt_i32_f64_e32 v0, v[0:1]
	v_ldexp_f64 v[0:1], v[6:7], v0
	v_add_f64 v[0:1], v[0:1], 1.0
	v_cmp_nlt_f64_e32 vcc, s[64:65], v[4:5]
	v_cmp_ngt_f64_e64 s[2:3], s[66:67], v[4:5]
	v_cndmask_b32_e32 v1, v95, v1, vcc
	s_and_b64 vcc, s[2:3], vcc
	v_cndmask_b32_e64 v1, v92, v1, s[2:3]
	v_cndmask_b32_e32 v0, 0, v0, vcc
	v_mul_f64 v[0:1], v[0:1], v[0:1]
	v_div_scale_f64 v[6:7], s[2:3], v[0:1], v[0:1], v[2:3]
	v_rcp_f64_e32 v[10:11], v[6:7]
	s_mov_b32 s47, s31
	v_fma_f64 v[120:121], -v[6:7], v[10:11], 1.0
	v_fmac_f64_e32 v[10:11], v[10:11], v[120:121]
	v_fma_f64 v[120:121], -v[6:7], v[10:11], 1.0
	v_fmac_f64_e32 v[10:11], v[10:11], v[120:121]
	v_div_scale_f64 v[120:121], vcc, v[2:3], v[0:1], v[2:3]
	v_mul_f64 v[122:123], v[120:121], v[10:11]
	v_fma_f64 v[6:7], -v[6:7], v[122:123], v[120:121]
	s_nop 1
	v_div_fmas_f64 v[6:7], v[6:7], v[10:11], v[122:123]
	v_div_fixup_f64 v[2:3], v[6:7], v[0:1], v[2:3]
	v_frexp_mant_f64_e32 v[0:1], v[2:3]
	v_cmp_gt_f64_e32 vcc, s[30:31], v[0:1]
	v_cndmask_b32_e64 v15, v92, 2.0, vcc
	v_frexp_exp_i32_f64_e32 v6, v[2:3]
	v_mul_f64 v[0:1], v[0:1], v[14:15]
	v_subbrev_co_u32_e32 v15, vcc, 0, v6, vcc
	v_add_f64 v[6:7], v[0:1], 1.0
	v_rcp_f64_e32 v[10:11], v[6:7]
	v_add_f64 v[122:123], v[6:7], -1.0
	v_add_f64 v[120:121], v[0:1], -1.0
	v_add_f64 v[0:1], v[0:1], -v[122:123]
	v_fma_f64 v[122:123], -v[6:7], v[10:11], 1.0
	v_fmac_f64_e32 v[10:11], v[122:123], v[10:11]
	v_fma_f64 v[122:123], -v[6:7], v[10:11], 1.0
	v_fmac_f64_e32 v[10:11], v[122:123], v[10:11]
	v_mul_f64 v[122:123], v[120:121], v[10:11]
	v_mul_f64 v[124:125], v[6:7], v[122:123]
	v_fma_f64 v[6:7], v[122:123], v[6:7], -v[124:125]
	v_fmac_f64_e32 v[6:7], v[122:123], v[0:1]
	v_add_f64 v[0:1], v[124:125], v[6:7]
	v_add_f64 v[126:127], v[120:121], -v[0:1]
	v_add_f64 v[124:125], v[0:1], -v[124:125]
	v_add_f64 v[120:121], v[120:121], -v[126:127]
	v_add_f64 v[0:1], v[120:121], -v[0:1]
	v_add_f64 v[6:7], v[124:125], -v[6:7]
	v_add_f64 v[0:1], v[6:7], v[0:1]
	v_add_f64 v[0:1], v[126:127], v[0:1]
	v_mul_f64 v[0:1], v[10:11], v[0:1]
	v_add_f64 v[6:7], v[122:123], v[0:1]
	v_add_f64 v[10:11], v[6:7], -v[122:123]
	v_add_f64 v[10:11], v[0:1], -v[10:11]
	v_mul_f64 v[120:121], v[6:7], v[6:7]
	v_pk_mov_b32 v[0:1], s[34:35], s[34:35] op_sel:[0,1]
	v_fma_f64 v[122:123], s[36:37], v[120:121], v[0:1]
	v_fma_f64 v[122:123], v[120:121], v[122:123], s[38:39]
	;; [unrolled: 1-line block ×6, first 2 shown]
	v_ldexp_f64 v[124:125], v[6:7], 1
	v_mul_f64 v[6:7], v[6:7], v[120:121]
	v_mul_f64 v[6:7], v[6:7], v[122:123]
	v_add_f64 v[120:121], v[124:125], v[6:7]
	v_add_f64 v[122:123], v[120:121], -v[124:125]
	v_ldexp_f64 v[10:11], v[10:11], 1
	v_add_f64 v[6:7], v[6:7], -v[122:123]
	v_add_f64 v[6:7], v[10:11], v[6:7]
	v_add_f64 v[10:11], v[120:121], v[6:7]
	v_add_f64 v[120:121], v[10:11], -v[120:121]
	v_add_f64 v[6:7], v[6:7], -v[120:121]
	v_cvt_f64_i32_e32 v[120:121], v15
	v_mul_f64 v[122:123], v[120:121], s[48:49]
	v_fma_f64 v[124:125], v[120:121], s[48:49], -v[122:123]
	v_fmac_f64_e32 v[124:125], s[50:51], v[120:121]
	v_add_f64 v[120:121], v[122:123], v[124:125]
	v_add_f64 v[122:123], v[120:121], -v[122:123]
	v_add_f64 v[122:123], v[124:125], -v[122:123]
	v_add_f64 v[124:125], v[120:121], v[10:11]
	v_add_f64 v[126:127], v[124:125], -v[120:121]
	v_add_f64 v[128:129], v[124:125], -v[126:127]
	;; [unrolled: 1-line block ×4, first 2 shown]
	v_add_f64 v[10:11], v[10:11], v[120:121]
	v_add_f64 v[120:121], v[122:123], v[6:7]
	v_add_f64 v[126:127], v[120:121], -v[122:123]
	v_add_f64 v[128:129], v[120:121], -v[126:127]
	v_add_f64 v[10:11], v[120:121], v[10:11]
	v_add_f64 v[122:123], v[122:123], -v[128:129]
	v_add_f64 v[6:7], v[6:7], -v[126:127]
	v_add_f64 v[120:121], v[124:125], v[10:11]
	v_add_f64 v[6:7], v[6:7], v[122:123]
	v_add_f64 v[122:123], v[120:121], -v[124:125]
	v_add_f64 v[10:11], v[10:11], -v[122:123]
	v_add_f64 v[6:7], v[6:7], v[10:11]
	v_add_f64 v[6:7], v[120:121], v[6:7]
	v_cmp_class_f64_e64 vcc, v[2:3], s33
	v_cndmask_b32_e32 v15, v6, v2, vcc
	v_cndmask_b32_e32 v6, v7, v3, vcc
	v_cmp_neq_f64_e32 vcc, 0, v[2:3]
	v_cndmask_b32_e32 v3, v94, v6, vcc
	v_add_f64 v[6:7], v[8:9], 1.0
	v_add_f64 v[6:7], v[6:7], -1.0
	v_add_f64 v[120:121], v[6:7], s[68:69]
	v_div_scale_f64 v[10:11], s[2:3], v[120:121], v[120:121], s[70:71]
	v_rcp_f64_e32 v[122:123], v[10:11]
	v_cndmask_b32_e32 v2, 0, v15, vcc
	v_add_f64 v[2:3], v[4:5], v[2:3]
	v_fma_f64 v[4:5], v[82:83], v[8:9], v[80:81]
	v_fma_f64 v[124:125], -v[10:11], v[122:123], 1.0
	v_fmac_f64_e32 v[122:123], v[122:123], v[124:125]
	v_fma_f64 v[124:125], -v[10:11], v[122:123], 1.0
	v_fmac_f64_e32 v[122:123], v[122:123], v[124:125]
	v_div_scale_f64 v[124:125], vcc, s[70:71], v[120:121], s[70:71]
	v_mul_f64 v[126:127], v[124:125], v[122:123]
	v_fma_f64 v[124:125], -v[10:11], v[126:127], v[124:125]
	v_add_f64 v[10:11], v[6:7], s[72:73]
	v_div_scale_f64 v[128:129], s[2:3], v[10:11], v[10:11], s[74:75]
	v_rcp_f64_e32 v[130:131], v[128:129]
	v_div_fmas_f64 v[122:123], v[124:125], v[122:123], v[126:127]
	v_div_fixup_f64 v[120:121], v[122:123], v[120:121], s[70:71]
	v_add_f64 v[126:127], v[6:7], s[76:77]
	v_fma_f64 v[122:123], -v[128:129], v[130:131], 1.0
	v_fmac_f64_e32 v[130:131], v[130:131], v[122:123]
	v_fma_f64 v[122:123], -v[128:129], v[130:131], 1.0
	v_fmac_f64_e32 v[130:131], v[130:131], v[122:123]
	v_div_scale_f64 v[122:123], vcc, s[74:75], v[10:11], s[74:75]
	v_mul_f64 v[124:125], v[122:123], v[130:131]
	v_fma_f64 v[122:123], -v[128:129], v[124:125], v[122:123]
	v_div_scale_f64 v[128:129], s[2:3], v[126:127], v[126:127], s[78:79]
	v_rcp_f64_e32 v[132:133], v[128:129]
	v_div_fmas_f64 v[122:123], v[122:123], v[130:131], v[124:125]
	v_add_f64 v[120:121], v[120:121], 0
	v_div_fixup_f64 v[122:123], v[122:123], v[10:11], s[74:75]
	v_add_f64 v[120:121], v[122:123], v[120:121]
	v_fma_f64 v[122:123], -v[128:129], v[132:133], 1.0
	v_fmac_f64_e32 v[132:133], v[132:133], v[122:123]
	v_fma_f64 v[122:123], -v[128:129], v[132:133], 1.0
	v_fmac_f64_e32 v[132:133], v[132:133], v[122:123]
	v_div_scale_f64 v[122:123], vcc, s[78:79], v[126:127], s[78:79]
	v_mul_f64 v[124:125], v[122:123], v[132:133]
	v_fma_f64 v[122:123], -v[128:129], v[124:125], v[122:123]
	v_add_f64 v[128:129], v[6:7], s[80:81]
	v_div_scale_f64 v[130:131], s[2:3], v[128:129], v[128:129], s[82:83]
	v_rcp_f64_e32 v[134:135], v[130:131]
	v_div_fmas_f64 v[122:123], v[122:123], v[132:133], v[124:125]
	v_div_fixup_f64 v[122:123], v[122:123], v[126:127], s[78:79]
	v_add_f64 v[120:121], v[120:121], v[122:123]
	v_fma_f64 v[122:123], -v[130:131], v[134:135], 1.0
	v_fmac_f64_e32 v[134:135], v[134:135], v[122:123]
	v_fma_f64 v[122:123], -v[130:131], v[134:135], 1.0
	v_fmac_f64_e32 v[134:135], v[134:135], v[122:123]
	v_div_scale_f64 v[122:123], vcc, s[82:83], v[128:129], s[82:83]
	v_mul_f64 v[124:125], v[122:123], v[134:135]
	v_add_f64 v[126:127], v[6:7], 4.0
	v_fma_f64 v[122:123], -v[130:131], v[124:125], v[122:123]
	v_div_scale_f64 v[130:131], s[2:3], v[126:127], v[126:127], s[84:85]
	v_rcp_f64_e32 v[132:133], v[130:131]
	v_div_fmas_f64 v[122:123], v[122:123], v[134:135], v[124:125]
	v_div_fixup_f64 v[122:123], v[122:123], v[128:129], s[82:83]
	v_add_f64 v[120:121], v[122:123], v[120:121]
	v_fma_f64 v[122:123], -v[130:131], v[132:133], 1.0
	v_fmac_f64_e32 v[132:133], v[132:133], v[122:123]
	v_fma_f64 v[122:123], -v[130:131], v[132:133], 1.0
	v_fmac_f64_e32 v[132:133], v[132:133], v[122:123]
	v_div_scale_f64 v[122:123], vcc, s[84:85], v[126:127], s[84:85]
	v_mul_f64 v[124:125], v[122:123], v[132:133]
	v_add_f64 v[128:129], v[6:7], s[24:25]
	v_fma_f64 v[122:123], -v[130:131], v[124:125], v[122:123]
	v_div_scale_f64 v[130:131], s[2:3], v[128:129], v[128:129], s[86:87]
	v_rcp_f64_e32 v[134:135], v[130:131]
	v_div_fmas_f64 v[122:123], v[122:123], v[132:133], v[124:125]
	v_div_fixup_f64 v[122:123], v[122:123], v[126:127], s[84:85]
	v_add_f64 v[120:121], v[120:121], v[122:123]
	v_fma_f64 v[122:123], -v[130:131], v[134:135], 1.0
	v_fmac_f64_e32 v[134:135], v[134:135], v[122:123]
	v_fma_f64 v[122:123], -v[130:131], v[134:135], 1.0
	v_fmac_f64_e32 v[134:135], v[134:135], v[122:123]
	v_div_scale_f64 v[122:123], vcc, s[86:87], v[128:129], s[86:87]
	v_mul_f64 v[124:125], v[122:123], v[134:135]
	v_add_f64 v[126:127], v[6:7], 2.0
	v_fma_f64 v[122:123], -v[130:131], v[124:125], v[122:123]
	v_div_scale_f64 v[130:131], s[2:3], v[126:127], v[126:127], s[88:89]
	v_rcp_f64_e32 v[132:133], v[130:131]
	v_div_fmas_f64 v[122:123], v[122:123], v[134:135], v[124:125]
	v_div_fixup_f64 v[122:123], v[122:123], v[128:129], s[86:87]
	v_add_f64 v[120:121], v[122:123], v[120:121]
	v_fma_f64 v[122:123], -v[130:131], v[132:133], 1.0
	v_fmac_f64_e32 v[132:133], v[132:133], v[122:123]
	v_fma_f64 v[122:123], -v[130:131], v[132:133], 1.0
	v_fmac_f64_e32 v[132:133], v[132:133], v[122:123]
	v_div_scale_f64 v[122:123], vcc, s[88:89], v[126:127], s[88:89]
	v_mul_f64 v[124:125], v[122:123], v[132:133]
	v_add_f64 v[128:129], v[6:7], 1.0
	v_fma_f64 v[122:123], -v[130:131], v[124:125], v[122:123]
	v_div_scale_f64 v[130:131], s[2:3], v[128:129], v[128:129], s[90:91]
	v_rcp_f64_e32 v[134:135], v[130:131]
	v_div_fmas_f64 v[122:123], v[122:123], v[132:133], v[124:125]
	v_div_fixup_f64 v[122:123], v[122:123], v[126:127], s[88:89]
	v_add_f64 v[120:121], v[120:121], v[122:123]
	v_fma_f64 v[122:123], -v[130:131], v[134:135], 1.0
	v_fmac_f64_e32 v[134:135], v[134:135], v[122:123]
	v_fma_f64 v[122:123], -v[130:131], v[134:135], 1.0
	v_fmac_f64_e32 v[134:135], v[134:135], v[122:123]
	v_div_scale_f64 v[122:123], vcc, s[90:91], v[128:129], s[90:91]
	v_mul_f64 v[124:125], v[122:123], v[134:135]
	v_fma_f64 v[122:123], -v[130:131], v[124:125], v[122:123]
	v_add_f64 v[10:11], v[10:11], 0.5
	s_nop 0
	v_div_fmas_f64 v[122:123], v[122:123], v[134:135], v[124:125]
	v_div_fixup_f64 v[122:123], v[122:123], v[128:129], s[90:91]
	v_add_f64 v[120:121], v[122:123], v[120:121]
	v_add_f64 v[120:121], v[120:121], s[92:93]
	v_frexp_mant_f64_e32 v[122:123], v[120:121]
	v_cmp_gt_f64_e32 vcc, s[30:31], v[122:123]
	v_cndmask_b32_e64 v15, v92, 2.0, vcc
	v_mul_f64 v[122:123], v[122:123], v[14:15]
	v_add_f64 v[124:125], v[122:123], 1.0
	v_rcp_f64_e32 v[126:127], v[124:125]
	v_add_f64 v[130:131], v[124:125], -1.0
	v_add_f64 v[128:129], v[122:123], -1.0
	v_add_f64 v[122:123], v[122:123], -v[130:131]
	v_fma_f64 v[130:131], -v[124:125], v[126:127], 1.0
	v_fmac_f64_e32 v[126:127], v[130:131], v[126:127]
	v_fma_f64 v[130:131], -v[124:125], v[126:127], 1.0
	v_fmac_f64_e32 v[126:127], v[130:131], v[126:127]
	v_mul_f64 v[130:131], v[128:129], v[126:127]
	v_mul_f64 v[132:133], v[124:125], v[130:131]
	v_fma_f64 v[124:125], v[130:131], v[124:125], -v[132:133]
	v_fmac_f64_e32 v[124:125], v[130:131], v[122:123]
	v_add_f64 v[122:123], v[132:133], v[124:125]
	v_add_f64 v[134:135], v[128:129], -v[122:123]
	v_add_f64 v[132:133], v[122:123], -v[132:133]
	;; [unrolled: 1-line block ×5, first 2 shown]
	v_add_f64 v[122:123], v[124:125], v[122:123]
	v_add_f64 v[122:123], v[134:135], v[122:123]
	v_mul_f64 v[122:123], v[126:127], v[122:123]
	v_add_f64 v[124:125], v[130:131], v[122:123]
	v_add_f64 v[126:127], v[124:125], -v[130:131]
	v_add_f64 v[122:123], v[122:123], -v[126:127]
	v_mul_f64 v[126:127], v[124:125], v[124:125]
	v_fma_f64 v[128:129], s[36:37], v[126:127], v[0:1]
	v_fma_f64 v[128:129], v[126:127], v[128:129], s[38:39]
	;; [unrolled: 1-line block ×6, first 2 shown]
	v_ldexp_f64 v[130:131], v[124:125], 1
	v_mul_f64 v[124:125], v[124:125], v[126:127]
	v_mul_f64 v[124:125], v[124:125], v[128:129]
	v_add_f64 v[126:127], v[130:131], v[124:125]
	v_add_f64 v[128:129], v[126:127], -v[130:131]
	v_ldexp_f64 v[122:123], v[122:123], 1
	v_add_f64 v[124:125], v[124:125], -v[128:129]
	v_add_f64 v[122:123], v[122:123], v[124:125]
	v_frexp_exp_i32_f64_e32 v119, v[120:121]
	v_add_f64 v[124:125], v[126:127], v[122:123]
	v_subbrev_co_u32_e32 v15, vcc, 0, v119, vcc
	v_add_f64 v[126:127], v[124:125], -v[126:127]
	v_add_f64 v[122:123], v[122:123], -v[126:127]
	v_cvt_f64_i32_e32 v[126:127], v15
	v_mul_f64 v[128:129], v[126:127], s[48:49]
	v_fma_f64 v[130:131], v[126:127], s[48:49], -v[128:129]
	v_fmac_f64_e32 v[130:131], s[50:51], v[126:127]
	v_add_f64 v[126:127], v[128:129], v[130:131]
	v_add_f64 v[128:129], v[126:127], -v[128:129]
	v_add_f64 v[128:129], v[130:131], -v[128:129]
	v_add_f64 v[130:131], v[126:127], v[124:125]
	v_add_f64 v[132:133], v[130:131], -v[126:127]
	v_add_f64 v[134:135], v[130:131], -v[132:133]
	;; [unrolled: 1-line block ×4, first 2 shown]
	v_add_f64 v[124:125], v[124:125], v[126:127]
	v_add_f64 v[126:127], v[128:129], v[122:123]
	v_add_f64 v[132:133], v[126:127], -v[128:129]
	v_add_f64 v[134:135], v[126:127], -v[132:133]
	v_add_f64 v[124:125], v[126:127], v[124:125]
	v_add_f64 v[128:129], v[128:129], -v[134:135]
	v_add_f64 v[122:123], v[122:123], -v[132:133]
	v_add_f64 v[126:127], v[130:131], v[124:125]
	v_add_f64 v[122:123], v[122:123], v[128:129]
	v_add_f64 v[128:129], v[126:127], -v[130:131]
	v_add_f64 v[124:125], v[124:125], -v[128:129]
	v_add_f64 v[122:123], v[122:123], v[124:125]
	v_add_f64 v[122:123], v[126:127], v[122:123]
	v_cmp_class_f64_e64 vcc, v[120:121], s33
	v_div_scale_f64 v[124:125], s[2:3], s[20:21], s[20:21], v[10:11]
	v_cndmask_b32_e32 v123, v123, v121, vcc
	v_cndmask_b32_e32 v122, v122, v120, vcc
	v_rcp_f64_e32 v[126:127], v[124:125]
	v_add_f64 v[122:123], v[122:123], s[94:95]
	v_add_f64 v[122:123], v[122:123], s[22:23]
	v_cmp_ngt_f64_e32 vcc, 0, v[120:121]
	v_cndmask_b32_e32 v15, v93, v123, vcc
	v_cmp_nge_f64_e32 vcc, 0, v[120:121]
	v_cndmask_b32_e32 v122, 0, v122, vcc
	v_cmp_neq_f64_e32 vcc, 0, v[120:121]
	v_fma_f64 v[120:121], -v[124:125], v[126:127], 1.0
	v_fmac_f64_e32 v[126:127], v[126:127], v[120:121]
	v_fma_f64 v[120:121], -v[124:125], v[126:127], 1.0
	v_cndmask_b32_e32 v123, v94, v15, vcc
	v_fmac_f64_e32 v[126:127], v[126:127], v[120:121]
	v_div_scale_f64 v[120:121], vcc, v[10:11], s[20:21], v[10:11]
	v_mul_f64 v[128:129], v[120:121], v[126:127]
	v_fma_f64 v[120:121], -v[124:125], v[128:129], v[120:121]
	v_add_f64 v[6:7], v[6:7], 0.5
	s_nop 0
	v_div_fmas_f64 v[120:121], v[120:121], v[126:127], v[128:129]
	v_div_fixup_f64 v[10:11], v[120:121], s[20:21], v[10:11]
	v_frexp_mant_f64_e32 v[120:121], v[10:11]
	v_cmp_gt_f64_e32 vcc, s[30:31], v[120:121]
	v_cndmask_b32_e64 v15, v92, 2.0, vcc
	v_mul_f64 v[120:121], v[120:121], v[14:15]
	v_add_f64 v[124:125], v[120:121], 1.0
	v_rcp_f64_e32 v[126:127], v[124:125]
	v_add_f64 v[130:131], v[124:125], -1.0
	v_add_f64 v[128:129], v[120:121], -1.0
	v_add_f64 v[120:121], v[120:121], -v[130:131]
	v_fma_f64 v[130:131], -v[124:125], v[126:127], 1.0
	v_fmac_f64_e32 v[126:127], v[130:131], v[126:127]
	v_fma_f64 v[130:131], -v[124:125], v[126:127], 1.0
	v_fmac_f64_e32 v[126:127], v[130:131], v[126:127]
	v_mul_f64 v[130:131], v[128:129], v[126:127]
	v_mul_f64 v[132:133], v[124:125], v[130:131]
	v_fma_f64 v[124:125], v[130:131], v[124:125], -v[132:133]
	v_fmac_f64_e32 v[124:125], v[130:131], v[120:121]
	v_add_f64 v[120:121], v[132:133], v[124:125]
	v_add_f64 v[134:135], v[128:129], -v[120:121]
	v_add_f64 v[132:133], v[120:121], -v[132:133]
	;; [unrolled: 1-line block ×5, first 2 shown]
	v_add_f64 v[120:121], v[124:125], v[120:121]
	v_add_f64 v[120:121], v[134:135], v[120:121]
	v_mul_f64 v[120:121], v[126:127], v[120:121]
	v_add_f64 v[124:125], v[130:131], v[120:121]
	v_add_f64 v[126:127], v[124:125], -v[130:131]
	v_add_f64 v[120:121], v[120:121], -v[126:127]
	v_mul_f64 v[126:127], v[124:125], v[124:125]
	v_fmac_f64_e32 v[0:1], s[36:37], v[126:127]
	v_fma_f64 v[0:1], v[126:127], v[0:1], s[38:39]
	v_fma_f64 v[0:1], v[126:127], v[0:1], s[40:41]
	v_fma_f64 v[0:1], v[126:127], v[0:1], s[42:43]
	v_fma_f64 v[0:1], v[126:127], v[0:1], s[44:45]
	v_fma_f64 v[0:1], v[126:127], v[0:1], s[46:47]
	v_ldexp_f64 v[128:129], v[124:125], 1
	v_mul_f64 v[124:125], v[124:125], v[126:127]
	v_mul_f64 v[0:1], v[124:125], v[0:1]
	v_add_f64 v[124:125], v[128:129], v[0:1]
	v_add_f64 v[126:127], v[124:125], -v[128:129]
	v_ldexp_f64 v[120:121], v[120:121], 1
	v_add_f64 v[0:1], v[0:1], -v[126:127]
	v_add_f64 v[0:1], v[120:121], v[0:1]
	v_frexp_exp_i32_f64_e32 v119, v[10:11]
	v_add_f64 v[120:121], v[124:125], v[0:1]
	v_subbrev_co_u32_e32 v15, vcc, 0, v119, vcc
	v_add_f64 v[124:125], v[120:121], -v[124:125]
	v_add_f64 v[0:1], v[0:1], -v[124:125]
	v_cvt_f64_i32_e32 v[124:125], v15
	v_mul_f64 v[126:127], v[124:125], s[48:49]
	v_fma_f64 v[128:129], v[124:125], s[48:49], -v[126:127]
	v_fmac_f64_e32 v[128:129], s[50:51], v[124:125]
	v_add_f64 v[124:125], v[126:127], v[128:129]
	v_add_f64 v[126:127], v[124:125], -v[126:127]
	v_add_f64 v[126:127], v[128:129], -v[126:127]
	v_add_f64 v[128:129], v[124:125], v[120:121]
	v_add_f64 v[130:131], v[128:129], -v[124:125]
	v_add_f64 v[132:133], v[128:129], -v[130:131]
	;; [unrolled: 1-line block ×4, first 2 shown]
	v_add_f64 v[120:121], v[120:121], v[124:125]
	v_add_f64 v[124:125], v[126:127], v[0:1]
	v_add_f64 v[130:131], v[124:125], -v[126:127]
	v_add_f64 v[132:133], v[124:125], -v[130:131]
	v_add_f64 v[120:121], v[124:125], v[120:121]
	v_add_f64 v[126:127], v[126:127], -v[132:133]
	v_add_f64 v[0:1], v[0:1], -v[130:131]
	v_add_f64 v[124:125], v[128:129], v[120:121]
	v_add_f64 v[0:1], v[0:1], v[126:127]
	v_add_f64 v[126:127], v[124:125], -v[128:129]
	v_add_f64 v[120:121], v[120:121], -v[126:127]
	v_add_f64 v[0:1], v[0:1], v[120:121]
	v_add_f64 v[0:1], v[124:125], v[0:1]
	v_cmp_class_f64_e64 vcc, v[10:11], s33
	v_cndmask_b32_e32 v0, v0, v10, vcc
	v_cndmask_b32_e32 v1, v1, v11, vcc
	v_cmp_ngt_f64_e32 vcc, 0, v[10:11]
	v_cndmask_b32_e32 v1, v93, v1, vcc
	v_cmp_nge_f64_e32 vcc, 0, v[10:11]
	v_cndmask_b32_e32 v0, 0, v0, vcc
	v_cmp_neq_f64_e32 vcc, 0, v[10:11]
	v_cndmask_b32_e32 v1, v94, v1, vcc
	v_fmac_f64_e32 v[122:123], v[6:7], v[0:1]
	v_add_f64 v[0:1], v[4:5], -v[122:123]
	v_cvt_u32_f64_e32 v4, v[8:9]
	v_cmp_le_f64_e32 vcc, v[2:3], v[0:1]
	v_cndmask_b32_e64 v120, 0, 1, vcc
	v_cndmask_b32_e32 v75, v75, v4, vcc
	v_mov_b32_e32 v119, v118
.LBB83_25:                              ;   in Loop: Header=BB83_15 Depth=2
	s_or_b64 exec, exec, s[0:1]
	v_cmp_gt_i32_e32 vcc, 2, v120
	s_or_b64 s[14:15], vcc, s[14:15]
	v_mov_b32_e32 v15, v119
	v_mov_b32_e32 v0, v87
	;; [unrolled: 1-line block ×5, first 2 shown]
	s_andn2_b64 exec, exec, s[14:15]
	s_cbranch_execnz .LBB83_15
; %bb.26:                               ;   in Loop: Header=BB83_15 Depth=2
	s_or_b64 exec, exec, s[14:15]
	v_cmp_ne_u32_e32 vcc, 0, v120
	s_or_b64 s[16:17], vcc, s[16:17]
	s_mov_b64 s[14:15], 0
	v_mov_b32_e32 v15, v119
	v_mov_b32_e32 v0, v87
	;; [unrolled: 1-line block ×5, first 2 shown]
	s_andn2_b64 exec, exec, s[16:17]
	s_cbranch_execnz .LBB83_15
; %bb.27:                               ;   in Loop: Header=BB83_5 Depth=1
	s_or_b64 exec, exec, s[16:17]
	s_mov_b32 s16, s19
	v_readlane_b32 s17, v136, 16
                                        ; implicit-def: $vgpr72_vgpr73
                                        ; implicit-def: $vgpr15
                                        ; implicit-def: $vgpr98
                                        ; implicit-def: $vgpr99
                                        ; implicit-def: $vgpr107
                                        ; implicit-def: $vgpr97
                                        ; implicit-def: $vgpr3
                                        ; implicit-def: $vgpr4_vgpr5
                                        ; implicit-def: $vgpr100
                                        ; implicit-def: $vgpr101
                                        ; implicit-def: $vgpr102
                                        ; implicit-def: $vgpr103
                                        ; implicit-def: $vgpr105
                                        ; implicit-def: $vgpr106
                                        ; implicit-def: $vgpr108
                                        ; implicit-def: $vgpr109
                                        ; implicit-def: $vgpr110
                                        ; implicit-def: $vgpr111
                                        ; implicit-def: $vgpr112
                                        ; implicit-def: $vgpr113
                                        ; implicit-def: $vgpr114
                                        ; implicit-def: $vgpr115
                                        ; implicit-def: $vgpr104
                                        ; implicit-def: $vgpr116
.LBB83_28:                              ;   in Loop: Header=BB83_5 Depth=1
	s_andn2_saveexec_b64 s[0:1], s[12:13]
	s_cbranch_execz .LBB83_40
; %bb.29:                               ;   in Loop: Header=BB83_5 Depth=1
	v_add_co_u32_e32 v6, vcc, 1, v98
	v_cndmask_b32_e64 v7, 0, 1, vcc
	v_addc_co_u32_e32 v10, vcc, 0, v99, vcc
	v_cmp_eq_u32_e32 vcc, 0, v10
	v_cndmask_b32_e32 v7, 0, v7, vcc
	v_add_u32_e32 v8, v7, v17
	v_cmp_eq_u32_e32 vcc, 0, v8
	v_cndmask_b32_e32 v11, 0, v7, vcc
	v_mad_u64_u32 v[6:7], s[2:3], v6, s11, 0
	v_mad_u64_u32 v[8:9], s[2:3], v8, s10, 0
	v_xor_b32_e32 v7, v7, v73
	v_xor_b32_e32 v9, v9, v72
	v_xor_b32_e32 v7, v11, v7
	v_xor_b32_e32 v9, v10, v9
	v_mad_u64_u32 v[72:73], s[2:3], v7, s10, 0
	v_mad_u64_u32 v[10:11], s[2:3], v9, s11, 0
	v_xor_b32_e32 v7, v100, v73
	v_xor_b32_e32 v7, v7, v8
	v_xor_b32_e32 v8, v101, v11
	v_xor_b32_e32 v8, v8, v6
	;; [unrolled: 6-line block ×8, first 2 shown]
	v_mad_u64_u32 v[74:75], s[2:3], v7, s11, 0
	v_mad_u64_u32 v[8:9], s[2:3], v6, s10, 0
	v_xor_b32_e32 v6, v116, v75
	v_xor_b32_e32 v6, v6, v10
	v_mad_u64_u32 v[6:7], s[2:3], v6, s10, 0
	v_xor_b32_e32 v7, v7, v8
	v_xor_b32_e32 v10, v107, v7
	v_cmp_lt_i32_e32 vcc, 1, v15
                                        ; implicit-def: $vgpr8
	s_and_saveexec_b64 s[2:3], vcc
	s_xor_b64 s[2:3], exec, s[2:3]
	s_cbranch_execz .LBB83_35
; %bb.30:                               ;   in Loop: Header=BB83_5 Depth=1
	v_cmp_lt_i32_e32 vcc, 2, v15
                                        ; implicit-def: $vgpr8
	s_and_saveexec_b64 s[12:13], vcc
	s_xor_b64 s[12:13], exec, s[12:13]
; %bb.31:                               ;   in Loop: Header=BB83_5 Depth=1
	v_xor_b32_e32 v0, v104, v9
	v_xor_b32_e32 v0, v0, v72
	v_mul_hi_u32 v0, v0, s11
	v_xor_b32_e32 v0, v0, v74
	v_xor_b32_e32 v8, v97, v0
; %bb.32:                               ;   in Loop: Header=BB83_5 Depth=1
	s_andn2_saveexec_b64 s[12:13], s[12:13]
; %bb.33:                               ;   in Loop: Header=BB83_5 Depth=1
	v_mov_b32_e32 v8, v6
	v_mov_b32_e32 v6, v10
	;; [unrolled: 1-line block ×4, first 2 shown]
; %bb.34:                               ;   in Loop: Header=BB83_5 Depth=1
	s_or_b64 exec, exec, s[12:13]
                                        ; implicit-def: $vgpr15
.LBB83_35:                              ;   in Loop: Header=BB83_5 Depth=1
	s_andn2_saveexec_b64 s[2:3], s[2:3]
	s_cbranch_execz .LBB83_39
; %bb.36:                               ;   in Loop: Header=BB83_5 Depth=1
	v_cmp_eq_u32_e32 vcc, 1, v15
	v_mov_b32_e32 v8, v3
	v_mov_b32_e32 v6, v2
	;; [unrolled: 1-line block ×3, first 2 shown]
	s_and_saveexec_b64 s[12:13], vcc
; %bb.37:                               ;   in Loop: Header=BB83_5 Depth=1
	v_mov_b32_e32 v8, v10
	v_mov_b32_e32 v6, v3
	;; [unrolled: 1-line block ×4, first 2 shown]
; %bb.38:                               ;   in Loop: Header=BB83_5 Depth=1
	s_or_b64 exec, exec, s[12:13]
	v_mov_b32_e32 v3, v0
	v_mov_b32_e32 v10, v7
.LBB83_39:                              ;   in Loop: Header=BB83_5 Depth=1
	s_or_b64 exec, exec, s[2:3]
	v_mov_b32_e32 v11, v14
	v_lshlrev_b64 v[0:1], 21, v[10:11]
	v_xor_b32_e32 v2, v0, v3
	v_cvt_f64_u32_e32 v[0:1], v1
	v_ldexp_f64 v[0:1], v[0:1], 32
	v_cvt_f64_u32_e32 v[2:3], v2
	v_add_f64 v[0:1], v[0:1], v[2:3]
	v_mov_b32_e32 v2, 0
	v_mov_b32_e32 v3, 0x3ca00000
	v_fmac_f64_e32 v[2:3], 0x3ca00000, v[0:1]
	v_mov_b32_e32 v9, v14
	v_lshlrev_b64 v[0:1], 21, v[8:9]
	v_frexp_mant_f64_e32 v[8:9], v[2:3]
	v_cmp_gt_f64_e32 vcc, s[30:31], v[8:9]
	v_cndmask_b32_e64 v15, v92, 2.0, vcc
	v_frexp_exp_i32_f64_e32 v10, v[2:3]
	v_mul_f64 v[8:9], v[8:9], v[14:15]
	v_subbrev_co_u32_e32 v15, vcc, 0, v10, vcc
	v_add_f64 v[10:11], v[8:9], 1.0
	v_rcp_f64_e32 v[72:73], v[10:11]
	v_add_f64 v[76:77], v[10:11], -1.0
	v_add_f64 v[74:75], v[8:9], -1.0
	v_add_f64 v[8:9], v[8:9], -v[76:77]
	v_fma_f64 v[76:77], -v[10:11], v[72:73], 1.0
	v_fmac_f64_e32 v[72:73], v[76:77], v[72:73]
	v_fma_f64 v[76:77], -v[10:11], v[72:73], 1.0
	v_fmac_f64_e32 v[72:73], v[76:77], v[72:73]
	v_mul_f64 v[76:77], v[74:75], v[72:73]
	v_mul_f64 v[78:79], v[10:11], v[76:77]
	v_fma_f64 v[10:11], v[76:77], v[10:11], -v[78:79]
	v_fmac_f64_e32 v[10:11], v[76:77], v[8:9]
	v_add_f64 v[8:9], v[78:79], v[10:11]
	v_add_f64 v[80:81], v[74:75], -v[8:9]
	v_add_f64 v[78:79], v[8:9], -v[78:79]
	;; [unrolled: 1-line block ×5, first 2 shown]
	v_add_f64 v[8:9], v[10:11], v[8:9]
	v_add_f64 v[8:9], v[80:81], v[8:9]
	v_mul_f64 v[8:9], v[72:73], v[8:9]
	v_add_f64 v[10:11], v[76:77], v[8:9]
	v_add_f64 v[72:73], v[10:11], -v[76:77]
	v_add_f64 v[8:9], v[8:9], -v[72:73]
	v_mul_f64 v[72:73], v[10:11], v[10:11]
	v_pk_mov_b32 v[74:75], v[18:19], v[18:19] op_sel:[0,1]
	v_fmac_f64_e32 v[74:75], s[36:37], v[72:73]
	v_pk_mov_b32 v[76:77], v[20:21], v[20:21] op_sel:[0,1]
	v_fmac_f64_e32 v[76:77], v[72:73], v[74:75]
	v_pk_mov_b32 v[74:75], v[22:23], v[22:23] op_sel:[0,1]
	v_fmac_f64_e32 v[74:75], v[72:73], v[76:77]
	v_pk_mov_b32 v[76:77], v[24:25], v[24:25] op_sel:[0,1]
	v_fmac_f64_e32 v[76:77], v[72:73], v[74:75]
	v_pk_mov_b32 v[74:75], v[26:27], v[26:27] op_sel:[0,1]
	v_fmac_f64_e32 v[74:75], v[72:73], v[76:77]
	v_pk_mov_b32 v[76:77], v[28:29], v[28:29] op_sel:[0,1]
	v_fmac_f64_e32 v[76:77], v[72:73], v[74:75]
	v_ldexp_f64 v[74:75], v[10:11], 1
	v_mul_f64 v[10:11], v[10:11], v[72:73]
	v_mul_f64 v[10:11], v[10:11], v[76:77]
	v_add_f64 v[72:73], v[74:75], v[10:11]
	v_add_f64 v[74:75], v[72:73], -v[74:75]
	v_ldexp_f64 v[8:9], v[8:9], 1
	v_add_f64 v[10:11], v[10:11], -v[74:75]
	v_add_f64 v[8:9], v[8:9], v[10:11]
	v_add_f64 v[10:11], v[72:73], v[8:9]
	v_add_f64 v[72:73], v[10:11], -v[72:73]
	v_add_f64 v[8:9], v[8:9], -v[72:73]
	v_cvt_f64_i32_e32 v[72:73], v15
	v_mul_f64 v[74:75], v[72:73], s[48:49]
	v_fma_f64 v[76:77], v[72:73], s[48:49], -v[74:75]
	v_fmac_f64_e32 v[76:77], s[50:51], v[72:73]
	v_add_f64 v[72:73], v[74:75], v[76:77]
	v_add_f64 v[74:75], v[72:73], -v[74:75]
	v_add_f64 v[74:75], v[76:77], -v[74:75]
	v_add_f64 v[76:77], v[72:73], v[10:11]
	v_add_f64 v[78:79], v[76:77], -v[72:73]
	v_add_f64 v[80:81], v[76:77], -v[78:79]
	;; [unrolled: 1-line block ×4, first 2 shown]
	v_add_f64 v[10:11], v[10:11], v[72:73]
	v_add_f64 v[72:73], v[74:75], v[8:9]
	v_add_f64 v[78:79], v[72:73], -v[74:75]
	v_add_f64 v[80:81], v[72:73], -v[78:79]
	v_add_f64 v[10:11], v[72:73], v[10:11]
	v_add_f64 v[74:75], v[74:75], -v[80:81]
	v_add_f64 v[8:9], v[8:9], -v[78:79]
	v_add_f64 v[72:73], v[76:77], v[10:11]
	v_add_f64 v[8:9], v[8:9], v[74:75]
	v_add_f64 v[74:75], v[72:73], -v[76:77]
	v_add_f64 v[10:11], v[10:11], -v[74:75]
	s_mov_b32 s14, 0
	v_add_f64 v[8:9], v[8:9], v[10:11]
	s_mov_b32 s15, 0x7ff00000
	v_add_f64 v[8:9], v[72:73], v[8:9]
	v_cmp_eq_f64_e32 vcc, s[14:15], v[2:3]
	v_cndmask_b32_e32 v9, v9, v3, vcc
	v_cndmask_b32_e32 v8, v8, v2, vcc
	v_mul_f64 v[8:9], v[8:9], -2.0
	v_cmp_neq_f64_e32 vcc, 0, v[2:3]
	s_mov_b32 s2, 0
	v_cndmask_b32_e32 v3, v95, v9, vcc
	v_cndmask_b32_e32 v2, 0, v8, vcc
	s_brev_b32 s3, 8
	v_cmp_gt_f64_e32 vcc, s[2:3], v[2:3]
	v_cndmask_b32_e64 v8, 0, 1, vcc
	v_lshlrev_b32_e32 v8, 8, v8
	v_ldexp_f64 v[2:3], v[2:3], v8
	v_xor_b32_e32 v6, v0, v6
	v_cvt_f64_u32_e32 v[0:1], v1
	v_rsq_f64_e32 v[8:9], v[2:3]
	v_ldexp_f64 v[0:1], v[0:1], 32
	v_cvt_f64_u32_e32 v[6:7], v6
	v_add_f64 v[0:1], v[0:1], v[6:7]
	v_mov_b32_e32 v6, 0
	v_mov_b32_e32 v7, 0x3cb00000
	v_fmac_f64_e32 v[6:7], 0x3cb00000, v[0:1]
	v_mul_f64 v[0:1], v[2:3], v[8:9]
	v_mul_f64 v[8:9], v[8:9], 0.5
	v_fma_f64 v[10:11], -v[8:9], v[0:1], 0.5
	v_fmac_f64_e32 v[0:1], v[0:1], v[10:11]
	v_fma_f64 v[72:73], -v[0:1], v[0:1], v[2:3]
	v_fmac_f64_e32 v[8:9], v[8:9], v[10:11]
	v_fmac_f64_e32 v[0:1], v[72:73], v[8:9]
	v_fma_f64 v[10:11], -v[0:1], v[0:1], v[2:3]
	v_fmac_f64_e32 v[0:1], v[10:11], v[8:9]
	v_cndmask_b32_e32 v8, 0, v91, vcc
	v_ldexp_f64 v[0:1], v[0:1], v8
	v_cmp_class_f64_e32 vcc, v[2:3], v90
	v_cndmask_b32_e32 v1, v1, v3, vcc
	v_cndmask_b32_e32 v0, v0, v2, vcc
	v_mul_f64 v[2:3], v[6:7], 0.5
	v_fract_f64_e32 v[8:9], v[2:3]
	v_add_f64 v[8:9], v[8:9], v[8:9]
	v_cmp_neq_f64_e32 vcc, s[14:15], v[2:3]
	v_cndmask_b32_e32 v2, 0, v8, vcc
	v_cndmask_b32_e32 v3, 0, v9, vcc
	v_cmp_lt_f64_e32 vcc, 1.0, v[6:7]
	v_cndmask_b32_e32 v3, v7, v3, vcc
	v_cndmask_b32_e32 v2, v6, v2, vcc
	v_add_f64 v[8:9], v[2:3], v[2:3]
	v_rndne_f64_e32 v[8:9], v[8:9]
	v_fmac_f64_e32 v[2:3], -0.5, v[8:9]
	s_mov_b32 s12, 0xf99eb0bb
	v_cvt_i32_f64_e32 v15, v[8:9]
	v_mul_f64 v[8:9], v[2:3], v[2:3]
	v_pk_mov_b32 v[10:11], v[48:49], v[48:49] op_sel:[0,1]
	s_mov_b32 s13, 0x3f3e357e
	v_fmac_f64_e32 v[10:11], s[12:13], v[8:9]
	v_pk_mov_b32 v[72:73], v[50:51], v[50:51] op_sel:[0,1]
	v_fmac_f64_e32 v[72:73], v[8:9], v[10:11]
	v_pk_mov_b32 v[10:11], v[52:53], v[52:53] op_sel:[0,1]
	;; [unrolled: 2-line block ×4, first 2 shown]
	v_fmac_f64_e32 v[10:11], v[8:9], v[72:73]
	v_mul_f64 v[72:73], v[2:3], v[8:9]
	s_mov_b32 s12, 0x54442d18
	v_mul_f64 v[10:11], v[72:73], v[10:11]
	s_mov_b32 s13, 0x400921fb
	v_fmac_f64_e32 v[10:11], s[12:13], v[2:3]
	s_mov_b32 s12, 0x2e21c33
	v_pk_mov_b32 v[2:3], v[58:59], v[58:59] op_sel:[0,1]
	s_mov_b32 s13, 0xbf1b1673
	v_fmac_f64_e32 v[2:3], s[12:13], v[8:9]
	v_pk_mov_b32 v[72:73], v[60:61], v[60:61] op_sel:[0,1]
	v_fmac_f64_e32 v[72:73], v[8:9], v[2:3]
	v_pk_mov_b32 v[2:3], v[62:63], v[62:63] op_sel:[0,1]
	;; [unrolled: 2-line block ×5, first 2 shown]
	v_fmac_f64_e32 v[72:73], v[8:9], v[2:3]
	v_fma_f64 v[2:3], v[8:9], v[72:73], 1.0
	v_and_b32_e32 v9, 1, v15
	v_lshlrev_b32_e32 v8, 30, v15
	v_cmp_eq_u32_e32 vcc, 0, v9
	v_cndmask_b32_e32 v10, v2, v10, vcc
	v_cndmask_b32_e32 v2, v3, v11, vcc
	v_xor_b32_e32 v3, v8, v7
	v_and_b32_e32 v3, 0x80000000, v3
	v_cmp_gt_f64_e32 vcc, s[2:3], v[4:5]
	v_xor_b32_e32 v11, v2, v3
	v_cndmask_b32_e64 v2, 0, 1, vcc
	v_lshlrev_b32_e32 v2, 8, v2
	v_ldexp_f64 v[2:3], v[4:5], v2
	v_rsq_f64_e32 v[8:9], v[2:3]
	v_cmp_lg_f64_e64 s[2:3], s[14:15], v[6:7]
	v_cndmask_b32_e64 v6, 0, v10, s[2:3]
	v_cndmask_b32_e64 v7, v93, v11, s[2:3]
	v_mul_f64 v[0:1], v[0:1], v[6:7]
	v_mul_f64 v[6:7], v[2:3], v[8:9]
	v_mul_f64 v[8:9], v[8:9], 0.5
	v_fma_f64 v[10:11], -v[8:9], v[6:7], 0.5
	v_fmac_f64_e32 v[6:7], v[6:7], v[10:11]
	v_fma_f64 v[72:73], -v[6:7], v[6:7], v[2:3]
	v_fmac_f64_e32 v[8:9], v[8:9], v[10:11]
	v_fmac_f64_e32 v[6:7], v[72:73], v[8:9]
	v_fma_f64 v[10:11], -v[6:7], v[6:7], v[2:3]
	v_fmac_f64_e32 v[6:7], v[10:11], v[8:9]
	v_cndmask_b32_e32 v8, 0, v91, vcc
	v_ldexp_f64 v[6:7], v[6:7], v8
	v_cmp_class_f64_e32 vcc, v[2:3], v90
	v_cndmask_b32_e32 v3, v7, v3, vcc
	v_cndmask_b32_e32 v2, v6, v2, vcc
	v_fmac_f64_e32 v[4:5], v[2:3], v[0:1]
	v_trunc_f64_e32 v[0:1], v[4:5]
	v_add_f64 v[2:3], v[4:5], -v[0:1]
	v_cmp_ge_f64_e64 vcc, |v[2:3]|, 0.5
	v_cndmask_b32_e32 v2, 0, v92, vcc
	s_brev_b32 s2, -2
	v_bfi_b32 v15, s2, v2, v5
	v_add_f64 v[0:1], v[0:1], v[14:15]
	v_cvt_u32_f64_e32 v75, v[0:1]
.LBB83_40:                              ;   in Loop: Header=BB83_5 Depth=1
	s_or_b64 exec, exec, s[0:1]
                                        ; implicit-def: $vgpr6
                                        ; implicit-def: $vgpr72_vgpr73
                                        ; implicit-def: $vgpr15
                                        ; implicit-def: $vgpr98
                                        ; implicit-def: $vgpr99
                                        ; implicit-def: $vgpr107
                                        ; implicit-def: $vgpr97
                                        ; implicit-def: $vgpr3
                                        ; implicit-def: $vgpr4_vgpr5
                                        ; implicit-def: $vgpr100
                                        ; implicit-def: $vgpr101
                                        ; implicit-def: $vgpr102
                                        ; implicit-def: $vgpr103
                                        ; implicit-def: $vgpr105
                                        ; implicit-def: $vgpr106
                                        ; implicit-def: $vgpr108
                                        ; implicit-def: $vgpr109
                                        ; implicit-def: $vgpr110
                                        ; implicit-def: $vgpr111
                                        ; implicit-def: $vgpr112
                                        ; implicit-def: $vgpr113
                                        ; implicit-def: $vgpr114
                                        ; implicit-def: $vgpr115
                                        ; implicit-def: $vgpr104
                                        ; implicit-def: $vgpr116
.LBB83_41:                              ;   in Loop: Header=BB83_5 Depth=1
	s_andn2_saveexec_b64 s[0:1], s[6:7]
	s_cbranch_execz .LBB83_3
; %bb.42:                               ;   in Loop: Header=BB83_5 Depth=1
	v_readlane_b32 s2, v136, 14
	v_readlane_b32 s3, v136, 15
	s_mov_b32 s2, s54
	v_mul_f64 v[8:9], v[4:5], s[2:3]
	v_rndne_f64_e32 v[10:11], v[8:9]
	s_mov_b32 s56, s48
	v_fma_f64 v[4:5], v[10:11], s[56:57], -v[4:5]
	s_mov_b32 s58, s50
	v_fmac_f64_e32 v[4:5], s[58:59], v[10:11]
	v_pk_mov_b32 v[8:9], v[30:31], v[30:31] op_sel:[0,1]
	v_fmac_f64_e32 v[8:9], s[60:61], v[4:5]
	v_pk_mov_b32 v[74:75], v[32:33], v[32:33] op_sel:[0,1]
	;; [unrolled: 2-line block ×9, first 2 shown]
	v_fmac_f64_e32 v[76:77], v[4:5], v[74:75]
	v_fma_f64 v[74:75], v[4:5], v[76:77], 1.0
	s_mov_b32 s2, 0xe400
	v_fma_f64 v[4:5], v[4:5], v[74:75], 1.0
	v_cvt_i32_f64_e32 v7, v[10:11]
	v_cmp_ngt_f16_e32 vcc, s2, v6
	s_movk_i32 s2, 0x6433
	s_mov_b32 s7, s3
	v_ldexp_f64 v[4:5], v[4:5], v7
	v_cmp_nlt_f16_e64 s[2:3], s2, v6
	v_mov_b32_e32 v8, 0
	v_cndmask_b32_e32 v5, v95, v5, vcc
	s_and_b64 vcc, s[2:3], vcc
	v_writelane_b32 v136, s6, 14
	v_mov_b32_e32 v9, 0x3ff00000
	v_mov_b32_e32 v78, 0
	v_cndmask_b32_e64 v11, 0, v5, s[2:3]
	v_cndmask_b32_e32 v10, 0, v4, vcc
	s_mov_b32 s12, -1
	s_mov_b64 s[2:3], 0
	v_mov_b32_e32 v79, v17
	v_writelane_b32 v136, s7, 15
	s_branch .LBB83_44
.LBB83_43:                              ;   in Loop: Header=BB83_44 Depth=2
	s_or_b64 exec, exec, s[6:7]
	v_cmp_eq_u32_e32 vcc, 1, v15
	v_cndmask_b32_e32 v0, v0, v1, vcc
	v_cmp_eq_u32_e32 vcc, 2, v15
	v_cndmask_b32_e32 v0, v0, v2, vcc
	;; [unrolled: 2-line block ×6, first 2 shown]
	v_lshrrev_b32_e32 v0, 11, v0
	v_cvt_f64_u32_e32 v[0:1], v0
	v_ldexp_f64 v[0:1], v[0:1], 32
	v_cvt_f64_u32_e32 v[2:3], v2
	v_add_f64 v[0:1], v[0:1], v[2:3]
	v_mov_b32_e32 v2, 0
	v_mov_b32_e32 v3, 0x3ca00000
	v_fmac_f64_e32 v[2:3], 0x3ca00000, v[0:1]
	v_mul_f64 v[8:9], v[8:9], v[2:3]
	v_cmp_ngt_f64_e32 vcc, v[8:9], v[10:11]
	s_add_i32 s12, s12, 1
	s_or_b64 s[2:3], vcc, s[2:3]
	v_mov_b32_e32 v75, s12
	v_mov_b32_e32 v15, v81
	;; [unrolled: 1-line block ×6, first 2 shown]
	s_andn2_b64 exec, exec, s[2:3]
	s_cbranch_execz .LBB83_2
.LBB83_44:                              ;   Parent Loop BB83_5 Depth=1
                                        ; =>  This Inner Loop Header: Depth=2
	v_add_u32_e32 v80, 1, v15
	v_pk_mov_b32 v[6:7], v[2:3], v[2:3] op_sel:[0,1]
	v_cmp_eq_u32_e32 vcc, 4, v80
	v_pk_mov_b32 v[4:5], v[0:1], v[0:1] op_sel:[0,1]
	v_mov_b32_e32 v77, v0
	v_mov_b32_e32 v76, v1
	;; [unrolled: 1-line block ×4, first 2 shown]
	s_and_saveexec_b64 s[6:7], vcc
	s_cbranch_execz .LBB83_46
; %bb.45:                               ;   in Loop: Header=BB83_44 Depth=2
	v_add_co_u32_e32 v98, vcc, 1, v98
	v_cndmask_b32_e64 v4, 0, 1, vcc
	v_addc_co_u32_e32 v99, vcc, 0, v99, vcc
	v_cmp_eq_u32_e32 vcc, 0, v99
	v_cndmask_b32_e32 v4, 0, v4, vcc
	v_add_u32_e32 v79, v4, v79
	v_cmp_eq_u32_e32 vcc, 0, v79
	v_cndmask_b32_e32 v4, 0, v4, vcc
	v_add_u32_e32 v78, v4, v78
	v_mad_u64_u32 v[4:5], s[14:15], v98, s11, 0
	v_mad_u64_u32 v[6:7], s[14:15], v79, s10, 0
	v_xor_b32_e32 v5, v5, v73
	v_xor_b32_e32 v7, v7, v72
	v_xor_b32_e32 v5, v78, v5
	v_xor_b32_e32 v7, v99, v7
	v_mad_u64_u32 v[76:77], s[14:15], v5, s10, 0
	v_mad_u64_u32 v[74:75], s[14:15], v7, s11, 0
	v_xor_b32_e32 v5, v100, v77
	v_xor_b32_e32 v5, v5, v6
	v_xor_b32_e32 v6, v101, v75
	v_xor_b32_e32 v6, v6, v4
	;; [unrolled: 6-line block ×10, first 2 shown]
	v_mov_b32_e32 v80, 0
	v_mov_b32_e32 v5, v76
	;; [unrolled: 1-line block ×5, first 2 shown]
.LBB83_46:                              ;   in Loop: Header=BB83_44 Depth=2
	s_or_b64 exec, exec, s[6:7]
	v_add_u32_e32 v81, 1, v80
	v_cmp_eq_u32_e32 vcc, 4, v81
	s_and_saveexec_b64 s[6:7], vcc
	s_cbranch_execz .LBB83_43
; %bb.47:                               ;   in Loop: Header=BB83_44 Depth=2
	v_add_co_u32_e32 v98, vcc, 1, v98
	v_cndmask_b32_e64 v74, 0, 1, vcc
	v_addc_co_u32_e32 v99, vcc, 0, v99, vcc
	v_cmp_eq_u32_e32 vcc, 0, v99
	v_cndmask_b32_e32 v74, 0, v74, vcc
	v_add_u32_e32 v79, v74, v79
	v_cmp_eq_u32_e32 vcc, 0, v79
	v_cndmask_b32_e32 v74, 0, v74, vcc
	v_add_u32_e32 v78, v74, v78
	v_mad_u64_u32 v[74:75], s[14:15], v98, s11, 0
	v_mad_u64_u32 v[76:77], s[14:15], v79, s10, 0
	v_xor_b32_e32 v75, v75, v73
	v_xor_b32_e32 v77, v77, v72
	v_xor_b32_e32 v75, v78, v75
	v_xor_b32_e32 v77, v99, v77
	v_mad_u64_u32 v[84:85], s[14:15], v75, s10, 0
	v_mad_u64_u32 v[82:83], s[14:15], v77, s11, 0
	v_xor_b32_e32 v75, v100, v85
	v_xor_b32_e32 v75, v75, v76
	v_xor_b32_e32 v76, v101, v83
	v_xor_b32_e32 v76, v76, v74
	;; [unrolled: 6-line block ×9, first 2 shown]
	v_mad_u64_u32 v[74:75], s[14:15], v74, s11, 0
	v_mad_u64_u32 v[76:77], s[14:15], v76, s10, 0
	v_xor_b32_e32 v77, v77, v118
	v_xor_b32_e32 v75, v75, v86
	v_mov_b32_e32 v81, 0
	v_xor_b32_e32 v77, v107, v77
	v_xor_b32_e32 v82, v97, v75
	s_branch .LBB83_43
.LBB83_48:
	s_or_b64 exec, exec, s[4:5]
	s_and_saveexec_b64 s[0:1], s[26:27]
	s_xor_b64 s[0:1], exec, s[0:1]
	s_cbranch_execnz .LBB83_50
.LBB83_49:
	s_endpgm
.LBB83_50:
	s_trap 2
	; divergent unreachable
	s_endpgm
	.section	.rodata,"a",@progbits
	.p2align	6, 0x0
	.amdhsa_kernel _ZN2at4cuda12_GLOBAL__N_121kernelPointwiseApply2IZN12_GLOBAL__N_119poisson_cuda_kernelIN3c104HalfEEEvRKNS_10TensorBaseES9_NS_15PhiloxCudaStateEEUlRS6_RKS6_E_S6_S6_jLi2ELi2ELi1ELi512ELi2EEEvNS0_6detail10TensorInfoIT0_T2_EENSG_IT1_SI_EESI_T_
		.amdhsa_group_segment_fixed_size 0
		.amdhsa_private_segment_fixed_size 0
		.amdhsa_kernarg_size 728
		.amdhsa_user_sgpr_count 6
		.amdhsa_user_sgpr_private_segment_buffer 1
		.amdhsa_user_sgpr_dispatch_ptr 0
		.amdhsa_user_sgpr_queue_ptr 0
		.amdhsa_user_sgpr_kernarg_segment_ptr 1
		.amdhsa_user_sgpr_dispatch_id 0
		.amdhsa_user_sgpr_flat_scratch_init 0
		.amdhsa_user_sgpr_kernarg_preload_length 0
		.amdhsa_user_sgpr_kernarg_preload_offset 0
		.amdhsa_user_sgpr_private_segment_size 0
		.amdhsa_uses_dynamic_stack 0
		.amdhsa_system_sgpr_private_segment_wavefront_offset 0
		.amdhsa_system_sgpr_workgroup_id_x 1
		.amdhsa_system_sgpr_workgroup_id_y 0
		.amdhsa_system_sgpr_workgroup_id_z 0
		.amdhsa_system_sgpr_workgroup_info 0
		.amdhsa_system_vgpr_workitem_id 0
		.amdhsa_next_free_vgpr 137
		.amdhsa_next_free_sgpr 96
		.amdhsa_accum_offset 140
		.amdhsa_reserve_vcc 1
		.amdhsa_reserve_flat_scratch 0
		.amdhsa_float_round_mode_32 0
		.amdhsa_float_round_mode_16_64 0
		.amdhsa_float_denorm_mode_32 3
		.amdhsa_float_denorm_mode_16_64 3
		.amdhsa_dx10_clamp 1
		.amdhsa_ieee_mode 1
		.amdhsa_fp16_overflow 0
		.amdhsa_tg_split 0
		.amdhsa_exception_fp_ieee_invalid_op 0
		.amdhsa_exception_fp_denorm_src 0
		.amdhsa_exception_fp_ieee_div_zero 0
		.amdhsa_exception_fp_ieee_overflow 0
		.amdhsa_exception_fp_ieee_underflow 0
		.amdhsa_exception_fp_ieee_inexact 0
		.amdhsa_exception_int_div_zero 0
	.end_amdhsa_kernel
	.section	.text._ZN2at4cuda12_GLOBAL__N_121kernelPointwiseApply2IZN12_GLOBAL__N_119poisson_cuda_kernelIN3c104HalfEEEvRKNS_10TensorBaseES9_NS_15PhiloxCudaStateEEUlRS6_RKS6_E_S6_S6_jLi2ELi2ELi1ELi512ELi2EEEvNS0_6detail10TensorInfoIT0_T2_EENSG_IT1_SI_EESI_T_,"axG",@progbits,_ZN2at4cuda12_GLOBAL__N_121kernelPointwiseApply2IZN12_GLOBAL__N_119poisson_cuda_kernelIN3c104HalfEEEvRKNS_10TensorBaseES9_NS_15PhiloxCudaStateEEUlRS6_RKS6_E_S6_S6_jLi2ELi2ELi1ELi512ELi2EEEvNS0_6detail10TensorInfoIT0_T2_EENSG_IT1_SI_EESI_T_,comdat
.Lfunc_end83:
	.size	_ZN2at4cuda12_GLOBAL__N_121kernelPointwiseApply2IZN12_GLOBAL__N_119poisson_cuda_kernelIN3c104HalfEEEvRKNS_10TensorBaseES9_NS_15PhiloxCudaStateEEUlRS6_RKS6_E_S6_S6_jLi2ELi2ELi1ELi512ELi2EEEvNS0_6detail10TensorInfoIT0_T2_EENSG_IT1_SI_EESI_T_, .Lfunc_end83-_ZN2at4cuda12_GLOBAL__N_121kernelPointwiseApply2IZN12_GLOBAL__N_119poisson_cuda_kernelIN3c104HalfEEEvRKNS_10TensorBaseES9_NS_15PhiloxCudaStateEEUlRS6_RKS6_E_S6_S6_jLi2ELi2ELi1ELi512ELi2EEEvNS0_6detail10TensorInfoIT0_T2_EENSG_IT1_SI_EESI_T_
                                        ; -- End function
	.section	.AMDGPU.csdata,"",@progbits
; Kernel info:
; codeLenInByte = 13644
; NumSgprs: 100
; NumVgprs: 137
; NumAgprs: 0
; TotalNumVgprs: 137
; ScratchSize: 0
; MemoryBound: 0
; FloatMode: 240
; IeeeMode: 1
; LDSByteSize: 0 bytes/workgroup (compile time only)
; SGPRBlocks: 12
; VGPRBlocks: 17
; NumSGPRsForWavesPerEU: 100
; NumVGPRsForWavesPerEU: 137
; AccumOffset: 140
; Occupancy: 3
; WaveLimiterHint : 1
; COMPUTE_PGM_RSRC2:SCRATCH_EN: 0
; COMPUTE_PGM_RSRC2:USER_SGPR: 6
; COMPUTE_PGM_RSRC2:TRAP_HANDLER: 0
; COMPUTE_PGM_RSRC2:TGID_X_EN: 1
; COMPUTE_PGM_RSRC2:TGID_Y_EN: 0
; COMPUTE_PGM_RSRC2:TGID_Z_EN: 0
; COMPUTE_PGM_RSRC2:TIDIG_COMP_CNT: 0
; COMPUTE_PGM_RSRC3_GFX90A:ACCUM_OFFSET: 34
; COMPUTE_PGM_RSRC3_GFX90A:TG_SPLIT: 0
	.section	.text._ZN2at4cuda12_GLOBAL__N_121kernelPointwiseApply2IZN12_GLOBAL__N_119poisson_cuda_kernelIN3c104HalfEEEvRKNS_10TensorBaseES9_NS_15PhiloxCudaStateEEUlRS6_RKS6_E_S6_S6_jLi2ELin1ELi1ELi512ELi2EEEvNS0_6detail10TensorInfoIT0_T2_EENSG_IT1_SI_EESI_T_,"axG",@progbits,_ZN2at4cuda12_GLOBAL__N_121kernelPointwiseApply2IZN12_GLOBAL__N_119poisson_cuda_kernelIN3c104HalfEEEvRKNS_10TensorBaseES9_NS_15PhiloxCudaStateEEUlRS6_RKS6_E_S6_S6_jLi2ELin1ELi1ELi512ELi2EEEvNS0_6detail10TensorInfoIT0_T2_EENSG_IT1_SI_EESI_T_,comdat
	.globl	_ZN2at4cuda12_GLOBAL__N_121kernelPointwiseApply2IZN12_GLOBAL__N_119poisson_cuda_kernelIN3c104HalfEEEvRKNS_10TensorBaseES9_NS_15PhiloxCudaStateEEUlRS6_RKS6_E_S6_S6_jLi2ELin1ELi1ELi512ELi2EEEvNS0_6detail10TensorInfoIT0_T2_EENSG_IT1_SI_EESI_T_ ; -- Begin function _ZN2at4cuda12_GLOBAL__N_121kernelPointwiseApply2IZN12_GLOBAL__N_119poisson_cuda_kernelIN3c104HalfEEEvRKNS_10TensorBaseES9_NS_15PhiloxCudaStateEEUlRS6_RKS6_E_S6_S6_jLi2ELin1ELi1ELi512ELi2EEEvNS0_6detail10TensorInfoIT0_T2_EENSG_IT1_SI_EESI_T_
	.p2align	8
	.type	_ZN2at4cuda12_GLOBAL__N_121kernelPointwiseApply2IZN12_GLOBAL__N_119poisson_cuda_kernelIN3c104HalfEEEvRKNS_10TensorBaseES9_NS_15PhiloxCudaStateEEUlRS6_RKS6_E_S6_S6_jLi2ELin1ELi1ELi512ELi2EEEvNS0_6detail10TensorInfoIT0_T2_EENSG_IT1_SI_EESI_T_,@function
_ZN2at4cuda12_GLOBAL__N_121kernelPointwiseApply2IZN12_GLOBAL__N_119poisson_cuda_kernelIN3c104HalfEEEvRKNS_10TensorBaseES9_NS_15PhiloxCudaStateEEUlRS6_RKS6_E_S6_S6_jLi2ELin1ELi1ELi512ELi2EEEvNS0_6detail10TensorInfoIT0_T2_EENSG_IT1_SI_EESI_T_: ; @_ZN2at4cuda12_GLOBAL__N_121kernelPointwiseApply2IZN12_GLOBAL__N_119poisson_cuda_kernelIN3c104HalfEEEvRKNS_10TensorBaseES9_NS_15PhiloxCudaStateEEUlRS6_RKS6_E_S6_S6_jLi2ELin1ELi1ELi512ELi2EEEvNS0_6detail10TensorInfoIT0_T2_EENSG_IT1_SI_EESI_T_
; %bb.0:
	s_load_dword s2, s[4:5], 0x1e4
	s_load_dword s33, s[4:5], 0x1b0
	s_add_u32 s0, s4, 0x1d8
	s_addc_u32 s1, s5, 0
	s_waitcnt lgkmcnt(0)
	s_and_b32 s2, s2, 0xffff
	s_mul_i32 s6, s6, s2
	v_add_u32_e32 v17, s6, v0
	v_cmp_gt_u32_e32 vcc, s33, v17
	s_and_saveexec_b64 s[6:7], vcc
	s_cbranch_execz .LBB84_52
; %bb.1:
	s_load_dwordx2 s[18:19], s[4:5], 0x1c8
	s_load_dwordx4 s[8:11], s[4:5], 0x1b8
                                        ; implicit-def: $vgpr134 : SGPR spill to VGPR lane
	s_load_dword s7, s[4:5], 0x1a8
	s_load_dwordx2 s[64:65], s[4:5], 0xd8
	s_add_u32 s6, s4, 0xd8
                                        ; kill: killed $sgpr4 killed $sgpr5
	s_mov_b32 s26, 0
	s_waitcnt lgkmcnt(0)
	v_writelane_b32 v134, s8, 0
	v_writelane_b32 v134, s9, 1
	;; [unrolled: 1-line block ×4, first 2 shown]
	s_load_dword s11, s[0:1], 0x0
	s_load_dword s3, s[4:5], 0x1d0
	s_load_dword s30, s[4:5], 0x144
	s_addc_u32 s10, s5, 0
	s_load_dwordx2 s[0:1], s[4:5], 0x0
	s_cmp_gt_i32 s7, 1
	s_mov_b32 s9, 0xcd9e8d57
	s_mov_b32 s34, 0x55555555
	;; [unrolled: 1-line block ×3, first 2 shown]
	s_waitcnt lgkmcnt(0)
	v_writelane_b32 v134, s0, 4
	v_writelane_b32 v134, s1, 5
	s_load_dword s8, s[4:5], 0xc
	s_load_dwordx2 s[0:1], s[4:5], 0x6c
	s_mov_b32 s38, 0xbf559e2b
	s_mov_b32 s40, 0xd7f4df2e
	;; [unrolled: 1-line block ×3, first 2 shown]
	s_waitcnt lgkmcnt(0)
	v_cvt_f32_u32_e32 v0, s8
	v_writelane_b32 v134, s0, 6
	v_writelane_b32 v134, s1, 7
	s_cselect_b64 s[0:1], -1, 0
	v_rcp_iflag_f32_e32 v0, v0
	v_writelane_b32 v134, s0, 8
	v_writelane_b32 v134, s1, 9
	s_getpc_b64 s[0:1]
	s_add_u32 s0, s0, .str@rel32@lo+4
	s_addc_u32 s1, s1, .str@rel32@hi+12
	s_cmp_eq_u64 s[0:1], 0
	s_cselect_b64 s[0:1], -1, 0
	s_bitcmp1_b32 s3, 0
	v_mul_f32_e32 v0, 0x4f7ffffe, v0
	s_cselect_b64 s[4:5], -1, 0
	v_cvt_u32_f32_e32 v0, v0
	v_writelane_b32 v134, s4, 10
	v_writelane_b32 v134, s5, 11
	v_mad_u64_u32 v[12:13], s[4:5], v17, s9, 0
	s_mul_i32 s4, s11, s2
	s_sub_i32 s2, 0, s8
	v_mul_lo_u32 v1, s2, v0
	s_add_i32 s2, s7, 1
	s_mov_b32 s3, 0
	v_writelane_b32 v134, s2, 12
	s_add_i32 s2, s7, -1
	s_lshl_b64 s[2:3], s[2:3], 2
	s_add_u32 s2, s2, s6
	s_addc_u32 s3, s3, s10
	s_add_u32 s2, s2, 8
	s_addc_u32 s3, s3, 0
	v_writelane_b32 v134, s2, 13
	v_writelane_b32 v134, s3, 14
	s_xor_b64 s[0:1], s[0:1], -1
	v_writelane_b32 v134, s0, 15
	v_mul_hi_u32 v1, v0, v1
	s_mov_b32 s44, 0x9b27acf1
	s_mov_b32 s46, 0x998ef7b6
	;; [unrolled: 1-line block ×6, first 2 shown]
	v_writelane_b32 v134, s1, 16
	s_mov_b32 s66, 0
	s_mov_b32 s68, 0
	;; [unrolled: 1-line block ×14, first 2 shown]
	s_movk_i32 s94, 0xf950
	s_mov_b32 s24, 0xc864beb5
	s_mov_b32 s22, 0
	s_mov_b32 s28, 0x8b145769
	s_mov_b64 s[16:17], 0
	v_mov_b32_e32 v14, 0
	v_mov_b32_e32 v16, v13
	v_add_u32_e32 v13, v0, v1
	s_mov_b32 s10, 0xd2511f53
	s_mov_b32 s27, 0x40080000
	;; [unrolled: 1-line block ×12, first 2 shown]
	s_movk_i32 s11, 0x204
	s_mov_b32 s57, 0x3ff71547
	s_mov_b32 s59, 0xbfe62e42
	;; [unrolled: 1-line block ×4, first 2 shown]
	v_mov_b32_e32 v18, 0x6b47b09a
	v_mov_b32_e32 v20, 0xd7f4df2e
	;; [unrolled: 1-line block ×27, first 2 shown]
	s_mov_b32 s65, s4
	v_mov_b32_e32 v89, 0x260
	v_mov_b32_e32 v90, 0xffffff80
	;; [unrolled: 1-line block ×33, first 2 shown]
	s_mov_b32 s67, 0x40900000
	s_mov_b32 s69, 0xc090cc00
	;; [unrolled: 1-line block ×19, first 2 shown]
	v_writelane_b32 v134, s18, 17
                                        ; implicit-def: $sgpr2_sgpr3
                                        ; implicit-def: $sgpr54_sgpr55
	v_writelane_b32 v134, s19, 18
	s_branch .LBB84_5
.LBB84_2:                               ;   in Loop: Header=BB84_5 Depth=1
	s_or_b64 exec, exec, s[0:1]
	s_mov_b32 s30, s13
.LBB84_3:                               ;   in Loop: Header=BB84_5 Depth=1
	s_or_b64 exec, exec, s[4:5]
	v_cvt_f32_u32_e32 v2, v75
	v_readlane_b32 s0, v134, 4
	v_lshlrev_b64 v[0:1], 1, v[70:71]
	v_readlane_b32 s1, v134, 5
	v_mov_b32_e32 v3, s1
	v_cvt_f16_f32_e32 v2, v2
	v_add_co_u32_e32 v0, vcc, s0, v0
	v_addc_co_u32_e32 v1, vcc, v3, v1, vcc
	v_add_u32_e32 v95, s65, v95
	v_cmp_le_u32_e32 vcc, s33, v95
	s_andn2_b64 s[54:55], s[54:55], exec
	s_orn2_b64 s[0:1], vcc, exec
	global_store_short v[0:1], v2, off
.LBB84_4:                               ;   in Loop: Header=BB84_5 Depth=1
	s_or_b64 exec, exec, s[20:21]
	s_and_b64 s[0:1], exec, s[0:1]
	s_or_b64 s[16:17], s[0:1], s[16:17]
	s_andn2_b64 s[0:1], s[2:3], exec
	s_and_b64 s[2:3], s[54:55], exec
	s_or_b64 s[2:3], s[0:1], s[2:3]
	s_andn2_b64 exec, exec, s[16:17]
	s_cbranch_execz .LBB84_51
.LBB84_5:                               ; =>This Loop Header: Depth=1
                                        ;     Child Loop BB84_10 Depth 2
                                        ;     Child Loop BB84_18 Depth 2
                                        ;     Child Loop BB84_47 Depth 2
	v_sub_u32_e32 v0, s33, v95
	v_cmp_lt_i32_e32 vcc, 0, v0
	v_pk_mov_b32 v[0:1], 0, 0
	v_pk_mov_b32 v[70:71], v[0:1], v[0:1] op_sel:[0,1]
	s_and_saveexec_b64 s[4:5], vcc
	s_cbranch_execz .LBB84_7
; %bb.6:                                ;   in Loop: Header=BB84_5 Depth=1
	v_mul_hi_u32 v2, v95, v13
	v_mul_lo_u32 v3, v2, s8
	v_sub_u32_e32 v3, v95, v3
	v_add_u32_e32 v4, 1, v2
	v_cmp_le_u32_e64 s[0:1], s8, v3
	v_cndmask_b32_e64 v2, v2, v4, s[0:1]
	v_subrev_u32_e32 v4, s8, v3
	v_cndmask_b32_e64 v3, v3, v4, s[0:1]
	v_add_u32_e32 v4, 1, v2
	v_cmp_le_u32_e64 s[0:1], s8, v3
	v_cndmask_b32_e64 v3, v2, v4, s[0:1]
	v_mul_lo_u32 v2, v3, s8
	v_readlane_b32 s0, v134, 6
	v_sub_u32_e32 v2, v95, v2
	v_readlane_b32 s1, v134, 7
	v_mul_lo_u32 v2, v2, s1
	v_mad_u64_u32 v[70:71], s[0:1], v3, s0, v[2:3]
	v_mov_b32_e32 v71, v14
.LBB84_7:                               ;   in Loop: Header=BB84_5 Depth=1
	s_or_b64 exec, exec, s[4:5]
	s_and_saveexec_b64 s[0:1], vcc
	s_cbranch_execz .LBB84_12
; %bb.8:                                ;   in Loop: Header=BB84_5 Depth=1
	v_readlane_b32 s4, v134, 8
	v_readlane_b32 s5, v134, 9
	s_andn2_b64 vcc, exec, s[4:5]
	v_mov_b32_e32 v0, 0
	v_mov_b32_e32 v2, v95
	s_cbranch_vccnz .LBB84_11
; %bb.9:                                ;   in Loop: Header=BB84_5 Depth=1
	v_readlane_b32 s4, v134, 13
	v_mov_b32_e32 v0, 0
	v_readlane_b32 s5, v134, 14
	v_readlane_b32 s6, v134, 12
	v_mov_b32_e32 v2, v95
.LBB84_10:                              ;   Parent Loop BB84_5 Depth=1
                                        ; =>  This Inner Loop Header: Depth=2
	s_load_dword s7, s[4:5], 0x0
	s_load_dword s12, s[4:5], 0x64
	v_mov_b32_e32 v1, v2
	s_add_i32 s6, s6, -1
	s_waitcnt lgkmcnt(0)
	v_cvt_f32_u32_e32 v2, s7
	s_sub_i32 s13, 0, s7
	s_add_u32 s4, s4, -4
	s_addc_u32 s5, s5, -1
	v_rcp_iflag_f32_e32 v2, v2
	s_cmp_gt_u32 s6, 2
	v_mul_f32_e32 v2, 0x4f7ffffe, v2
	v_cvt_u32_f32_e32 v2, v2
	v_mul_lo_u32 v3, s13, v2
	v_mul_hi_u32 v3, v2, v3
	v_add_u32_e32 v2, v2, v3
	v_mul_hi_u32 v2, v1, v2
	v_mul_lo_u32 v3, v2, s7
	v_sub_u32_e32 v3, v1, v3
	v_add_u32_e32 v4, 1, v2
	v_subrev_u32_e32 v5, s7, v3
	v_cmp_le_u32_e32 vcc, s7, v3
	v_cndmask_b32_e32 v2, v2, v4, vcc
	v_cndmask_b32_e32 v3, v3, v5, vcc
	v_add_u32_e32 v4, 1, v2
	v_cmp_le_u32_e32 vcc, s7, v3
	v_cndmask_b32_e32 v2, v2, v4, vcc
	v_mul_lo_u32 v3, v2, s7
	v_sub_u32_e32 v1, v1, v3
	v_mad_u64_u32 v[0:1], s[12:13], s12, v1, v[0:1]
	s_cbranch_scc1 .LBB84_10
.LBB84_11:                              ;   in Loop: Header=BB84_5 Depth=1
	v_mad_u64_u32 v[0:1], s[4:5], s30, v2, v[0:1]
	v_mov_b32_e32 v1, v14
.LBB84_12:                              ;   in Loop: Header=BB84_5 Depth=1
	s_or_b64 exec, exec, s[0:1]
	v_lshlrev_b64 v[0:1], 1, v[0:1]
	v_add_co_u32_e32 v0, vcc, s64, v0
	v_addc_co_u32_e32 v1, vcc, v88, v1, vcc
	global_load_ushort v6, v[0:1], off
	v_readlane_b32 s4, v134, 15
	v_readlane_b32 s5, v134, 16
	s_mov_b64 s[0:1], -1
	s_or_b64 s[54:55], s[54:55], exec
	s_waitcnt vmcnt(0)
	v_cmp_le_f16_e32 vcc, 0, v6
	s_and_b64 s[4:5], s[4:5], vcc
	s_and_saveexec_b64 s[20:21], s[4:5]
	s_cbranch_execz .LBB84_4
; %bb.13:                               ;   in Loop: Header=BB84_5 Depth=1
	v_readlane_b32 s0, v134, 10
	v_readlane_b32 s4, v134, 0
	;; [unrolled: 1-line block ×6, first 2 shown]
	s_andn2_b64 vcc, exec, s[0:1]
	v_pk_mov_b32 v[0:1], s[6:7], s[6:7] op_sel:[0,1]
	v_pk_mov_b32 v[72:73], s[4:5], s[4:5] op_sel:[0,1]
	s_cbranch_vccnz .LBB84_15
; %bb.14:                               ;   in Loop: Header=BB84_5 Depth=1
	v_readlane_b32 s4, v134, 0
	v_readlane_b32 s6, v134, 2
	;; [unrolled: 1-line block ×3, first 2 shown]
	v_pk_mov_b32 v[0:1], s[6:7], s[6:7] op_sel:[0,1]
	v_readlane_b32 s5, v134, 1
	flat_load_dwordx2 v[0:1], v[0:1]
	v_pk_mov_b32 v[2:3], s[4:5], s[4:5] op_sel:[0,1]
	flat_load_dwordx2 v[72:73], v[2:3]
	v_mov_b32_e32 v2, s19
	s_waitcnt vmcnt(0) lgkmcnt(0)
	v_add_co_u32_e32 v0, vcc, s18, v0
	v_addc_co_u32_e32 v1, vcc, v1, v2, vcc
.LBB84_15:                              ;   in Loop: Header=BB84_5 Depth=1
	v_alignbit_b32 v97, v1, v0, 2
	v_and_b32_e32 v15, 3, v0
	v_lshrrev_b32_e32 v98, 2, v1
	v_mad_u64_u32 v[0:1], s[0:1], v97, s10, 0
	v_xor_b32_e32 v3, v16, v72
	v_mov_b32_e32 v2, v73
	v_xor_b32_e32 v1, v1, v73
	s_mov_b32 s0, 0xbb67ae85
	v_xor_b32_e32 v3, v3, v98
	v_add_co_u32_e32 v100, vcc, s0, v2
	v_mad_u64_u32 v[4:5], s[0:1], v3, s10, 0
	v_mad_u64_u32 v[8:9], s[0:1], v1, s9, 0
	v_add_co_u32_e32 v99, vcc, 0x9e3779b9, v72
	v_xor_b32_e32 v1, v12, v9
	v_xor_b32_e32 v3, v100, v5
	s_mov_b32 s0, 0x3c6ef372
	v_xor_b32_e32 v1, v1, v99
	v_xor_b32_e32 v3, v3, v0
	v_add_co_u32_e32 v101, vcc, s0, v72
	s_mov_b32 s0, 0x76cf5d0a
	v_add_co_u32_e32 v102, vcc, s0, v2
	v_mad_u64_u32 v[0:1], s[0:1], v1, s10, 0
	v_mad_u64_u32 v[10:11], s[0:1], v3, s9, 0
	v_xor_b32_e32 v3, v101, v11
	v_xor_b32_e32 v1, v102, v1
	s_mov_b32 s0, 0xdaa66d2b
	v_xor_b32_e32 v3, v3, v8
	v_xor_b32_e32 v1, v1, v4
	v_add_co_u32_e32 v104, vcc, s0, v72
	s_mov_b32 s0, 0x32370b8f
	v_add_co_u32_e32 v105, vcc, s0, v2
	v_mad_u64_u32 v[4:5], s[0:1], v3, s10, 0
	v_mad_u64_u32 v[8:9], s[0:1], v1, s9, 0
	;; [unrolled: 10-line block ×7, first 2 shown]
	v_xor_b32_e32 v1, v103, v1
	v_xor_b32_e32 v1, v1, v8
	;; [unrolled: 1-line block ×4, first 2 shown]
	v_mad_u64_u32 v[4:5], s[0:1], v1, s10, 0
	v_mov_b32_e32 v3, v4
	v_cvt_f32_f16_e32 v4, v6
	v_mad_u64_u32 v[8:9], s[0:1], v7, s9, 0
	v_add_u32_e32 v106, 0x8ff34781, v72
	v_add_u32_e32 v96, 0x96a522ad, v73
	v_xor_b32_e32 v0, v9, v0
	v_xor_b32_e32 v2, v5, v2
	s_movk_i32 s0, 0x5400
	v_mov_b32_e32 v1, v8
	v_xor_b32_e32 v0, v106, v0
	v_xor_b32_e32 v2, v96, v2
	v_cvt_f64_f32_e32 v[4:5], v4
	v_cmp_ngt_f16_e32 vcc, s0, v6
                                        ; implicit-def: $vgpr75
	s_and_saveexec_b64 s[0:1], vcc
	s_xor_b64 s[6:7], exec, s[0:1]
	s_cbranch_execz .LBB84_44
; %bb.16:                               ;   in Loop: Header=BB84_5 Depth=1
	s_movk_i32 s0, 0x6bd0
	v_cmp_ge_f16_e32 vcc, s0, v6
                                        ; implicit-def: $vgpr75
	s_and_saveexec_b64 s[0:1], vcc
	s_xor_b64 s[12:13], exec, s[0:1]
	s_cbranch_execz .LBB84_31
; %bb.17:                               ;   in Loop: Header=BB84_5 Depth=1
	s_mov_b32 s4, 0xae147ae1
	s_mov_b32 s5, 0xc00ae147
	v_div_scale_f64 v[6:7], s[0:1], v[4:5], v[4:5], s[4:5]
	v_rcp_f64_e32 v[8:9], v[6:7]
	s_mov_b32 s0, 0
	v_mul_f64 v[76:77], v[4:5], s[26:27]
	s_brev_b32 s1, 8
	v_cmp_gt_f64_e64 s[0:1], s[0:1], v[76:77]
	v_cndmask_b32_e64 v78, 0, 1, s[0:1]
	v_fma_f64 v[74:75], -v[6:7], v[8:9], 1.0
	v_lshlrev_b32_e32 v78, 8, v78
	v_fmac_f64_e32 v[8:9], v[8:9], v[74:75]
	v_ldexp_f64 v[76:77], v[76:77], v78
	v_fma_f64 v[74:75], -v[6:7], v[8:9], 1.0
	v_rsq_f64_e32 v[78:79], v[76:77]
	v_div_scale_f64 v[10:11], vcc, s[4:5], v[4:5], s[4:5]
	v_fmac_f64_e32 v[8:9], v[8:9], v[74:75]
	v_mul_f64 v[74:75], v[10:11], v[8:9]
	v_fma_f64 v[6:7], -v[6:7], v[74:75], v[10:11]
	s_nop 0
	v_div_fmas_f64 v[6:7], v[6:7], v[8:9], v[74:75]
	v_mul_f64 v[8:9], v[76:77], v[78:79]
	v_mul_f64 v[10:11], v[78:79], 0.5
	v_fma_f64 v[74:75], -v[10:11], v[8:9], 0.5
	v_fmac_f64_e32 v[8:9], v[8:9], v[74:75]
	v_fma_f64 v[78:79], -v[8:9], v[8:9], v[76:77]
	v_fmac_f64_e32 v[10:11], v[10:11], v[74:75]
	v_fmac_f64_e32 v[8:9], v[78:79], v[10:11]
	v_fma_f64 v[74:75], -v[8:9], v[8:9], v[76:77]
	v_fmac_f64_e32 v[8:9], v[74:75], v[10:11]
	v_cndmask_b32_e64 v10, 0, v90, s[0:1]
	v_ldexp_f64 v[8:9], v[8:9], v10
	v_cmp_class_f64_e32 vcc, v[76:77], v89
	s_mov_b32 s14, 0x54442d18
	v_cndmask_b32_e32 v9, v9, v77, vcc
	v_cndmask_b32_e32 v8, v8, v76, vcc
	s_mov_b32 s15, 0x400921fb
	v_div_scale_f64 v[10:11], s[0:1], v[8:9], v[8:9], s[14:15]
	v_rcp_f64_e32 v[76:77], v[10:11]
	s_mov_b32 s0, 0x95810625
	v_div_fixup_f64 v[6:7], v[6:7], v[4:5], s[4:5]
	s_mov_b32 s1, 0x3fe88b43
	v_fma_f64 v[78:79], -v[10:11], v[76:77], 1.0
	v_fmac_f64_e32 v[76:77], v[76:77], v[78:79]
	v_fma_f64 v[78:79], -v[10:11], v[76:77], 1.0
	v_fmac_f64_e32 v[76:77], v[76:77], v[78:79]
	v_div_scale_f64 v[78:79], vcc, s[14:15], v[8:9], s[14:15]
	v_mul_f64 v[80:81], v[78:79], v[76:77]
	v_fma_f64 v[10:11], -v[10:11], v[80:81], v[78:79]
	v_add_f64 v[6:7], v[6:7], s[0:1]
	s_nop 0
	v_div_fmas_f64 v[10:11], v[10:11], v[76:77], v[80:81]
	v_div_fixup_f64 v[76:77], v[10:11], v[8:9], s[14:15]
	v_frexp_mant_f64_e32 v[8:9], v[6:7]
	v_cmp_gt_f64_e32 vcc, s[34:35], v[8:9]
	v_mov_b32_e32 v74, 0
	v_cndmask_b32_e64 v75, v91, 2.0, vcc
	v_frexp_exp_i32_f64_e32 v10, v[6:7]
	v_mul_f64 v[8:9], v[8:9], v[74:75]
	v_subbrev_co_u32_e32 v75, vcc, 0, v10, vcc
	v_add_f64 v[10:11], v[8:9], 1.0
	v_rcp_f64_e32 v[80:81], v[10:11]
	v_add_f64 v[84:85], v[10:11], -1.0
	v_add_f64 v[82:83], v[8:9], -1.0
	v_add_f64 v[8:9], v[8:9], -v[84:85]
	v_fma_f64 v[84:85], -v[10:11], v[80:81], 1.0
	v_fmac_f64_e32 v[80:81], v[84:85], v[80:81]
	v_fma_f64 v[84:85], -v[10:11], v[80:81], 1.0
	v_fmac_f64_e32 v[80:81], v[84:85], v[80:81]
	v_mul_f64 v[84:85], v[82:83], v[80:81]
	v_mul_f64 v[86:87], v[10:11], v[84:85]
	v_fma_f64 v[10:11], v[84:85], v[10:11], -v[86:87]
	v_fmac_f64_e32 v[10:11], v[84:85], v[8:9]
	v_add_f64 v[8:9], v[86:87], v[10:11]
	v_add_f64 v[116:117], v[82:83], -v[8:9]
	v_add_f64 v[86:87], v[8:9], -v[86:87]
	;; [unrolled: 1-line block ×5, first 2 shown]
	v_add_f64 v[8:9], v[10:11], v[8:9]
	v_add_f64 v[8:9], v[116:117], v[8:9]
	v_mul_f64 v[8:9], v[80:81], v[8:9]
	v_add_f64 v[10:11], v[84:85], v[8:9]
	v_add_f64 v[80:81], v[10:11], -v[84:85]
	v_add_f64 v[8:9], v[8:9], -v[80:81]
	v_mul_f64 v[80:81], v[10:11], v[10:11]
	v_pk_mov_b32 v[82:83], s[36:37], s[36:37] op_sel:[0,1]
	v_fma_f64 v[84:85], s[38:39], v[80:81], v[82:83]
	v_fma_f64 v[84:85], v[80:81], v[84:85], s[40:41]
	;; [unrolled: 1-line block ×5, first 2 shown]
	s_mov_b32 s49, s35
	v_fma_f64 v[84:85], v[80:81], v[84:85], s[48:49]
	v_ldexp_f64 v[86:87], v[10:11], 1
	v_mul_f64 v[10:11], v[10:11], v[80:81]
	v_mul_f64 v[10:11], v[10:11], v[84:85]
	v_add_f64 v[80:81], v[86:87], v[10:11]
	v_add_f64 v[84:85], v[80:81], -v[86:87]
	v_ldexp_f64 v[8:9], v[8:9], 1
	v_add_f64 v[10:11], v[10:11], -v[84:85]
	v_add_f64 v[8:9], v[8:9], v[10:11]
	v_add_f64 v[10:11], v[80:81], v[8:9]
	v_add_f64 v[80:81], v[10:11], -v[80:81]
	v_add_f64 v[8:9], v[8:9], -v[80:81]
	v_cvt_f64_i32_e32 v[80:81], v75
	v_mul_f64 v[84:85], v[80:81], s[50:51]
	v_fma_f64 v[86:87], v[80:81], s[50:51], -v[84:85]
	v_fmac_f64_e32 v[86:87], s[52:53], v[80:81]
	v_add_f64 v[80:81], v[84:85], v[86:87]
	v_add_f64 v[84:85], v[80:81], -v[84:85]
	v_add_f64 v[84:85], v[86:87], -v[84:85]
	v_add_f64 v[86:87], v[80:81], v[10:11]
	v_add_f64 v[116:117], v[86:87], -v[80:81]
	v_add_f64 v[118:119], v[86:87], -v[116:117]
	;; [unrolled: 1-line block ×4, first 2 shown]
	v_add_f64 v[10:11], v[10:11], v[80:81]
	v_add_f64 v[80:81], v[84:85], v[8:9]
	v_add_f64 v[116:117], v[80:81], -v[84:85]
	v_add_f64 v[118:119], v[80:81], -v[116:117]
	v_add_f64 v[10:11], v[80:81], v[10:11]
	v_add_f64 v[84:85], v[84:85], -v[118:119]
	v_add_f64 v[8:9], v[8:9], -v[116:117]
	v_add_f64 v[80:81], v[86:87], v[10:11]
	v_add_f64 v[8:9], v[8:9], v[84:85]
	v_add_f64 v[84:85], v[80:81], -v[86:87]
	v_add_f64 v[10:11], v[10:11], -v[84:85]
	v_add_f64 v[8:9], v[8:9], v[10:11]
	v_add_f64 v[8:9], v[80:81], v[8:9]
	v_cmp_class_f64_e64 vcc, v[6:7], s11
	v_cndmask_b32_e32 v8, v8, v6, vcc
	v_cndmask_b32_e32 v9, v9, v7, vcc
	v_cmp_ngt_f64_e32 vcc, 0, v[6:7]
	v_cndmask_b32_e32 v9, v92, v9, vcc
	v_cmp_nge_f64_e32 vcc, 0, v[6:7]
	v_cndmask_b32_e32 v8, 0, v8, vcc
	v_cmp_neq_f64_e32 vcc, 0, v[6:7]
	v_cndmask_b32_e32 v9, v93, v9, vcc
	v_add_f64 v[6:7], v[8:9], -v[4:5]
	v_frexp_mant_f64_e32 v[8:9], v[76:77]
	v_cmp_gt_f64_e32 vcc, s[34:35], v[8:9]
	v_cndmask_b32_e64 v75, v91, 2.0, vcc
	v_frexp_exp_i32_f64_e32 v10, v[76:77]
	v_mul_f64 v[8:9], v[8:9], v[74:75]
	v_subbrev_co_u32_e32 v75, vcc, 0, v10, vcc
	v_add_f64 v[10:11], v[8:9], 1.0
	v_rcp_f64_e32 v[80:81], v[10:11]
	v_add_f64 v[86:87], v[10:11], -1.0
	v_add_f64 v[84:85], v[8:9], -1.0
	v_add_f64 v[8:9], v[8:9], -v[86:87]
	v_fma_f64 v[86:87], -v[10:11], v[80:81], 1.0
	v_fmac_f64_e32 v[80:81], v[86:87], v[80:81]
	v_fma_f64 v[86:87], -v[10:11], v[80:81], 1.0
	v_fmac_f64_e32 v[80:81], v[86:87], v[80:81]
	v_mul_f64 v[86:87], v[84:85], v[80:81]
	v_mul_f64 v[116:117], v[10:11], v[86:87]
	v_fma_f64 v[10:11], v[86:87], v[10:11], -v[116:117]
	v_fmac_f64_e32 v[10:11], v[86:87], v[8:9]
	v_add_f64 v[8:9], v[116:117], v[10:11]
	v_add_f64 v[118:119], v[84:85], -v[8:9]
	v_add_f64 v[116:117], v[8:9], -v[116:117]
	v_add_f64 v[84:85], v[84:85], -v[118:119]
	v_add_f64 v[8:9], v[84:85], -v[8:9]
	v_add_f64 v[10:11], v[116:117], -v[10:11]
	v_add_f64 v[8:9], v[10:11], v[8:9]
	v_add_f64 v[8:9], v[118:119], v[8:9]
	v_mul_f64 v[8:9], v[80:81], v[8:9]
	v_add_f64 v[10:11], v[86:87], v[8:9]
	v_add_f64 v[80:81], v[10:11], -v[86:87]
	v_add_f64 v[8:9], v[8:9], -v[80:81]
	v_mul_f64 v[80:81], v[10:11], v[10:11]
	v_fma_f64 v[84:85], s[38:39], v[80:81], v[82:83]
	v_fma_f64 v[84:85], v[80:81], v[84:85], s[40:41]
	;; [unrolled: 1-line block ×6, first 2 shown]
	v_ldexp_f64 v[86:87], v[10:11], 1
	v_mul_f64 v[10:11], v[10:11], v[80:81]
	v_mul_f64 v[10:11], v[10:11], v[84:85]
	v_add_f64 v[80:81], v[86:87], v[10:11]
	v_add_f64 v[84:85], v[80:81], -v[86:87]
	v_ldexp_f64 v[8:9], v[8:9], 1
	v_add_f64 v[10:11], v[10:11], -v[84:85]
	v_add_f64 v[8:9], v[8:9], v[10:11]
	v_add_f64 v[10:11], v[80:81], v[8:9]
	v_add_f64 v[80:81], v[10:11], -v[80:81]
	v_add_f64 v[8:9], v[8:9], -v[80:81]
	v_cvt_f64_i32_e32 v[80:81], v75
	v_mul_f64 v[84:85], v[80:81], s[50:51]
	v_fma_f64 v[86:87], v[80:81], s[50:51], -v[84:85]
	v_fmac_f64_e32 v[86:87], s[52:53], v[80:81]
	v_add_f64 v[80:81], v[84:85], v[86:87]
	v_add_f64 v[84:85], v[80:81], -v[84:85]
	v_add_f64 v[84:85], v[86:87], -v[84:85]
	v_add_f64 v[86:87], v[80:81], v[10:11]
	v_add_f64 v[116:117], v[86:87], -v[80:81]
	v_add_f64 v[118:119], v[86:87], -v[116:117]
	;; [unrolled: 1-line block ×4, first 2 shown]
	v_add_f64 v[10:11], v[10:11], v[80:81]
	v_add_f64 v[80:81], v[84:85], v[8:9]
	v_add_f64 v[116:117], v[80:81], -v[84:85]
	v_add_f64 v[118:119], v[80:81], -v[116:117]
	v_add_f64 v[10:11], v[80:81], v[10:11]
	v_add_f64 v[84:85], v[84:85], -v[118:119]
	v_add_f64 v[8:9], v[8:9], -v[116:117]
	v_add_f64 v[80:81], v[86:87], v[10:11]
	v_add_f64 v[8:9], v[8:9], v[84:85]
	v_add_f64 v[84:85], v[80:81], -v[86:87]
	v_add_f64 v[10:11], v[10:11], -v[84:85]
	s_mov_b32 s0, 0
	v_add_f64 v[8:9], v[8:9], v[10:11]
	s_mov_b32 s1, 0x7ff00000
	v_add_f64 v[8:9], v[80:81], v[8:9]
	v_cmp_eq_f64_e32 vcc, s[0:1], v[76:77]
	v_cndmask_b32_e32 v8, v8, v76, vcc
	v_cndmask_b32_e32 v9, v9, v77, vcc
	v_cmp_neq_f64_e32 vcc, 0, v[76:77]
	v_cndmask_b32_e32 v9, v93, v9, vcc
	v_cndmask_b32_e32 v8, 0, v8, vcc
	v_mul_f64 v[78:79], v[76:77], v[4:5]
	v_add_f64 v[80:81], v[6:7], -v[8:9]
	v_frexp_exp_i32_f64_e32 v6, v[4:5]
	v_frexp_mant_f64_e32 v[4:5], v[4:5]
	v_cmp_gt_f64_e32 vcc, s[34:35], v[4:5]
	v_cndmask_b32_e64 v75, v91, 2.0, vcc
	v_mul_f64 v[4:5], v[4:5], v[74:75]
	v_subbrev_co_u32_e32 v75, vcc, 0, v6, vcc
	v_add_f64 v[6:7], v[4:5], 1.0
	v_rcp_f64_e32 v[8:9], v[6:7]
	v_add_f64 v[84:85], v[6:7], -1.0
	v_add_f64 v[10:11], v[4:5], -1.0
	v_add_f64 v[4:5], v[4:5], -v[84:85]
	v_fma_f64 v[84:85], -v[6:7], v[8:9], 1.0
	v_fmac_f64_e32 v[8:9], v[84:85], v[8:9]
	v_fma_f64 v[84:85], -v[6:7], v[8:9], 1.0
	v_fmac_f64_e32 v[8:9], v[84:85], v[8:9]
	v_mul_f64 v[84:85], v[10:11], v[8:9]
	v_mul_f64 v[86:87], v[6:7], v[84:85]
	v_fma_f64 v[6:7], v[84:85], v[6:7], -v[86:87]
	v_fmac_f64_e32 v[6:7], v[84:85], v[4:5]
	v_add_f64 v[4:5], v[86:87], v[6:7]
	v_add_f64 v[116:117], v[10:11], -v[4:5]
	v_add_f64 v[86:87], v[4:5], -v[86:87]
	;; [unrolled: 1-line block ×5, first 2 shown]
	v_add_f64 v[4:5], v[6:7], v[4:5]
	v_add_f64 v[4:5], v[116:117], v[4:5]
	v_mul_f64 v[4:5], v[8:9], v[4:5]
	v_add_f64 v[6:7], v[84:85], v[4:5]
	v_add_f64 v[8:9], v[6:7], -v[84:85]
	v_add_f64 v[4:5], v[4:5], -v[8:9]
	v_mul_f64 v[8:9], v[6:7], v[6:7]
	v_fmac_f64_e32 v[82:83], s[38:39], v[8:9]
	v_fma_f64 v[10:11], v[8:9], v[82:83], s[40:41]
	v_fma_f64 v[10:11], v[8:9], v[10:11], s[42:43]
	;; [unrolled: 1-line block ×5, first 2 shown]
	v_ldexp_f64 v[82:83], v[6:7], 1
	v_mul_f64 v[6:7], v[6:7], v[8:9]
	v_mul_f64 v[6:7], v[6:7], v[10:11]
	v_add_f64 v[8:9], v[82:83], v[6:7]
	v_add_f64 v[10:11], v[8:9], -v[82:83]
	v_ldexp_f64 v[4:5], v[4:5], 1
	v_add_f64 v[6:7], v[6:7], -v[10:11]
	v_add_f64 v[4:5], v[4:5], v[6:7]
	v_add_f64 v[6:7], v[8:9], v[4:5]
	v_add_f64 v[8:9], v[6:7], -v[8:9]
	v_add_f64 v[4:5], v[4:5], -v[8:9]
	v_cvt_f64_i32_e32 v[8:9], v75
	v_mul_f64 v[10:11], v[8:9], s[50:51]
	v_fma_f64 v[82:83], v[8:9], s[50:51], -v[10:11]
	v_fmac_f64_e32 v[82:83], s[52:53], v[8:9]
	v_add_f64 v[8:9], v[10:11], v[82:83]
	v_add_f64 v[10:11], v[8:9], -v[10:11]
	v_add_f64 v[10:11], v[82:83], -v[10:11]
	v_add_f64 v[82:83], v[8:9], v[6:7]
	v_add_f64 v[84:85], v[82:83], -v[8:9]
	v_add_f64 v[86:87], v[82:83], -v[84:85]
	;; [unrolled: 1-line block ×4, first 2 shown]
	v_add_f64 v[6:7], v[6:7], v[8:9]
	v_add_f64 v[8:9], v[10:11], v[4:5]
	v_add_f64 v[84:85], v[8:9], -v[10:11]
	v_add_f64 v[86:87], v[8:9], -v[84:85]
	v_add_f64 v[6:7], v[8:9], v[6:7]
	v_add_f64 v[10:11], v[10:11], -v[86:87]
	v_add_f64 v[4:5], v[4:5], -v[84:85]
	v_add_f64 v[8:9], v[82:83], v[6:7]
	v_add_f64 v[4:5], v[4:5], v[10:11]
	v_add_f64 v[10:11], v[8:9], -v[82:83]
	v_add_f64 v[6:7], v[6:7], -v[10:11]
	v_add_f64 v[4:5], v[4:5], v[6:7]
	v_add_f64 v[82:83], v[8:9], v[4:5]
	s_mov_b64 s[14:15], 0
	s_mov_b64 s[4:5], 0
	v_mov_b32_e32 v116, v17
                                        ; implicit-def: $vgpr75
.LBB84_18:                              ;   Parent Loop BB84_5 Depth=1
                                        ; =>  This Inner Loop Header: Depth=2
	v_add_u32_e32 v117, 1, v15
	v_pk_mov_b32 v[10:11], v[2:3], v[2:3] op_sel:[0,1]
	v_cmp_eq_u32_e32 vcc, 4, v117
	v_pk_mov_b32 v[8:9], v[0:1], v[0:1] op_sel:[0,1]
	v_mov_b32_e32 v87, v0
	v_mov_b32_e32 v86, v1
	;; [unrolled: 1-line block ×4, first 2 shown]
	s_and_saveexec_b64 s[0:1], vcc
	s_cbranch_execz .LBB84_20
; %bb.19:                               ;   in Loop: Header=BB84_18 Depth=2
	v_add_co_u32_e32 v97, vcc, 1, v97
	v_cndmask_b32_e64 v4, 0, 1, vcc
	v_addc_co_u32_e32 v98, vcc, 0, v98, vcc
	v_cmp_eq_u32_e32 vcc, 0, v98
	v_cndmask_b32_e32 v4, 0, v4, vcc
	v_add_u32_e32 v116, v4, v116
	v_cmp_eq_u32_e32 vcc, 0, v116
	v_cndmask_b32_e32 v4, 0, v4, vcc
	v_add_u32_e32 v74, v4, v74
	v_mad_u64_u32 v[4:5], s[18:19], v97, s10, 0
	v_mad_u64_u32 v[6:7], s[18:19], v116, s9, 0
	v_xor_b32_e32 v5, v5, v73
	v_xor_b32_e32 v7, v7, v72
	v_xor_b32_e32 v5, v74, v5
	v_xor_b32_e32 v7, v98, v7
	v_mad_u64_u32 v[10:11], s[18:19], v5, s9, 0
	v_mad_u64_u32 v[8:9], s[18:19], v7, s10, 0
	v_xor_b32_e32 v5, v99, v11
	v_xor_b32_e32 v5, v5, v6
	v_xor_b32_e32 v6, v100, v9
	v_xor_b32_e32 v6, v6, v4
	;; [unrolled: 6-line block ×10, first 2 shown]
	v_mov_b32_e32 v117, 0
	v_mov_b32_e32 v9, v86
	;; [unrolled: 1-line block ×5, first 2 shown]
.LBB84_20:                              ;   in Loop: Header=BB84_18 Depth=2
	s_or_b64 exec, exec, s[0:1]
	v_add_u32_e32 v118, 1, v117
	v_pk_mov_b32 v[4:5], v[8:9], v[8:9] op_sel:[0,1]
	v_cmp_eq_u32_e32 vcc, 4, v118
	v_pk_mov_b32 v[6:7], v[10:11], v[10:11] op_sel:[0,1]
	s_and_saveexec_b64 s[0:1], vcc
	s_cbranch_execz .LBB84_22
; %bb.21:                               ;   in Loop: Header=BB84_18 Depth=2
	v_add_co_u32_e32 v97, vcc, 1, v97
	v_cndmask_b32_e64 v4, 0, 1, vcc
	v_addc_co_u32_e32 v98, vcc, 0, v98, vcc
	v_cmp_eq_u32_e32 vcc, 0, v98
	v_cndmask_b32_e32 v4, 0, v4, vcc
	v_add_u32_e32 v116, v4, v116
	v_cmp_eq_u32_e32 vcc, 0, v116
	v_cndmask_b32_e32 v4, 0, v4, vcc
	v_add_u32_e32 v74, v4, v74
	v_mad_u64_u32 v[4:5], s[18:19], v97, s10, 0
	v_mad_u64_u32 v[6:7], s[18:19], v116, s9, 0
	v_xor_b32_e32 v5, v5, v73
	v_xor_b32_e32 v7, v7, v72
	v_xor_b32_e32 v5, v74, v5
	v_xor_b32_e32 v7, v98, v7
	v_mad_u64_u32 v[86:87], s[18:19], v5, s9, 0
	v_mad_u64_u32 v[84:85], s[18:19], v7, s10, 0
	v_xor_b32_e32 v5, v99, v87
	v_xor_b32_e32 v5, v5, v6
	v_xor_b32_e32 v6, v100, v85
	v_xor_b32_e32 v6, v6, v4
	;; [unrolled: 6-line block ×10, first 2 shown]
	v_mov_b32_e32 v118, 0
	v_mov_b32_e32 v5, v86
	;; [unrolled: 1-line block ×5, first 2 shown]
.LBB84_22:                              ;   in Loop: Header=BB84_18 Depth=2
	s_or_b64 exec, exec, s[0:1]
	v_cmp_eq_u32_e32 vcc, 1, v15
	v_cndmask_b32_e32 v0, v0, v1, vcc
	v_cmp_eq_u32_e32 vcc, 2, v15
	v_cndmask_b32_e32 v0, v0, v2, vcc
	;; [unrolled: 2-line block ×6, first 2 shown]
	v_lshrrev_b32_e32 v0, 11, v0
	v_cvt_f64_u32_e32 v[0:1], v0
	v_ldexp_f64 v[0:1], v[0:1], 32
	v_cvt_f64_u32_e32 v[2:3], v2
	v_add_f64 v[0:1], v[0:1], v[2:3]
	v_mov_b32_e32 v2, 0
	v_mov_b32_e32 v3, 0x3ca00000
	v_fmac_f64_e32 v[2:3], 0x3ca00000, v[0:1]
	v_add_f64 v[0:1], -v[2:3], 1.0
	v_div_scale_f64 v[8:9], s[0:1], v[2:3], v[2:3], v[0:1]
	v_rcp_f64_e32 v[10:11], v[8:9]
	v_mov_b32_e32 v119, 2
	v_fma_f64 v[120:121], -v[8:9], v[10:11], 1.0
	v_fmac_f64_e32 v[10:11], v[10:11], v[120:121]
	v_fma_f64 v[120:121], -v[8:9], v[10:11], 1.0
	v_fmac_f64_e32 v[10:11], v[10:11], v[120:121]
	v_div_scale_f64 v[120:121], vcc, v[0:1], v[2:3], v[0:1]
	v_mul_f64 v[122:123], v[120:121], v[10:11]
	v_fma_f64 v[8:9], -v[8:9], v[122:123], v[120:121]
	s_nop 1
	v_div_fmas_f64 v[8:9], v[8:9], v[10:11], v[122:123]
	v_div_fixup_f64 v[0:1], v[8:9], v[2:3], v[0:1]
	v_frexp_mant_f64_e32 v[2:3], v[0:1]
	v_cmp_gt_f64_e32 vcc, s[34:35], v[2:3]
	v_cndmask_b32_e64 v15, v91, 2.0, vcc
	v_frexp_exp_i32_f64_e32 v8, v[0:1]
	v_mul_f64 v[2:3], v[2:3], v[14:15]
	v_subbrev_co_u32_e32 v15, vcc, 0, v8, vcc
	v_add_f64 v[8:9], v[2:3], 1.0
	v_rcp_f64_e32 v[10:11], v[8:9]
	v_add_f64 v[122:123], v[8:9], -1.0
	v_add_f64 v[120:121], v[2:3], -1.0
	v_add_f64 v[2:3], v[2:3], -v[122:123]
	v_fma_f64 v[122:123], -v[8:9], v[10:11], 1.0
	v_fmac_f64_e32 v[10:11], v[122:123], v[10:11]
	v_fma_f64 v[122:123], -v[8:9], v[10:11], 1.0
	v_fmac_f64_e32 v[10:11], v[122:123], v[10:11]
	v_mul_f64 v[122:123], v[120:121], v[10:11]
	v_mul_f64 v[124:125], v[8:9], v[122:123]
	v_fma_f64 v[8:9], v[122:123], v[8:9], -v[124:125]
	v_fmac_f64_e32 v[8:9], v[122:123], v[2:3]
	v_add_f64 v[2:3], v[124:125], v[8:9]
	v_add_f64 v[126:127], v[120:121], -v[2:3]
	v_add_f64 v[124:125], v[2:3], -v[124:125]
	;; [unrolled: 1-line block ×5, first 2 shown]
	v_add_f64 v[2:3], v[8:9], v[2:3]
	v_add_f64 v[2:3], v[126:127], v[2:3]
	v_mul_f64 v[2:3], v[10:11], v[2:3]
	v_add_f64 v[8:9], v[122:123], v[2:3]
	v_add_f64 v[10:11], v[8:9], -v[122:123]
	v_add_f64 v[2:3], v[2:3], -v[10:11]
	v_mul_f64 v[10:11], v[8:9], v[8:9]
	v_pk_mov_b32 v[120:121], v[18:19], v[18:19] op_sel:[0,1]
	v_fmac_f64_e32 v[120:121], s[38:39], v[10:11]
	v_pk_mov_b32 v[122:123], v[20:21], v[20:21] op_sel:[0,1]
	v_fmac_f64_e32 v[122:123], v[10:11], v[120:121]
	;; [unrolled: 2-line block ×6, first 2 shown]
	v_ldexp_f64 v[120:121], v[8:9], 1
	v_mul_f64 v[8:9], v[8:9], v[10:11]
	v_mul_f64 v[8:9], v[8:9], v[122:123]
	v_add_f64 v[10:11], v[120:121], v[8:9]
	v_add_f64 v[120:121], v[10:11], -v[120:121]
	v_ldexp_f64 v[2:3], v[2:3], 1
	v_add_f64 v[8:9], v[8:9], -v[120:121]
	v_add_f64 v[2:3], v[2:3], v[8:9]
	v_add_f64 v[8:9], v[10:11], v[2:3]
	v_add_f64 v[10:11], v[8:9], -v[10:11]
	v_add_f64 v[2:3], v[2:3], -v[10:11]
	v_cvt_f64_i32_e32 v[10:11], v15
	v_mul_f64 v[120:121], v[10:11], s[50:51]
	v_fma_f64 v[122:123], v[10:11], s[50:51], -v[120:121]
	v_fmac_f64_e32 v[122:123], s[52:53], v[10:11]
	v_add_f64 v[10:11], v[120:121], v[122:123]
	v_add_f64 v[120:121], v[10:11], -v[120:121]
	v_add_f64 v[120:121], v[122:123], -v[120:121]
	v_add_f64 v[122:123], v[10:11], v[8:9]
	v_add_f64 v[124:125], v[122:123], -v[10:11]
	v_add_f64 v[126:127], v[122:123], -v[124:125]
	;; [unrolled: 1-line block ×4, first 2 shown]
	v_add_f64 v[8:9], v[8:9], v[10:11]
	v_add_f64 v[10:11], v[120:121], v[2:3]
	v_add_f64 v[124:125], v[10:11], -v[120:121]
	v_add_f64 v[126:127], v[10:11], -v[124:125]
	v_add_f64 v[8:9], v[10:11], v[8:9]
	v_add_f64 v[120:121], v[120:121], -v[126:127]
	v_add_f64 v[2:3], v[2:3], -v[124:125]
	v_add_f64 v[10:11], v[122:123], v[8:9]
	v_add_f64 v[2:3], v[2:3], v[120:121]
	v_add_f64 v[120:121], v[10:11], -v[122:123]
	v_add_f64 v[8:9], v[8:9], -v[120:121]
	v_add_f64 v[2:3], v[2:3], v[8:9]
	v_add_f64 v[2:3], v[10:11], v[2:3]
	v_cmp_class_f64_e64 vcc, v[0:1], s11
	v_cndmask_b32_e32 v2, v2, v0, vcc
	v_cndmask_b32_e32 v3, v3, v1, vcc
	v_cmp_ngt_f64_e32 vcc, 0, v[0:1]
	v_cndmask_b32_e32 v3, v92, v3, vcc
	v_cmp_nge_f64_e32 vcc, 0, v[0:1]
	v_cndmask_b32_e32 v2, 0, v2, vcc
	v_cmp_neq_f64_e32 vcc, 0, v[0:1]
	v_cndmask_b32_e32 v3, v93, v3, vcc
	v_add_f64 v[0:1], v[78:79], -v[2:3]
	v_div_scale_f64 v[2:3], s[0:1], v[76:77], v[76:77], v[0:1]
	v_rcp_f64_e32 v[8:9], v[2:3]
	v_fma_f64 v[10:11], -v[2:3], v[8:9], 1.0
	v_fmac_f64_e32 v[8:9], v[8:9], v[10:11]
	v_fma_f64 v[10:11], -v[2:3], v[8:9], 1.0
	v_fmac_f64_e32 v[8:9], v[8:9], v[10:11]
	v_div_scale_f64 v[10:11], vcc, v[0:1], v[76:77], v[0:1]
	v_mul_f64 v[120:121], v[10:11], v[8:9]
	v_fma_f64 v[2:3], -v[2:3], v[120:121], v[10:11]
	s_nop 1
	v_div_fmas_f64 v[2:3], v[2:3], v[8:9], v[120:121]
	v_div_fixup_f64 v[10:11], v[2:3], v[76:77], v[0:1]
	v_add_f64 v[0:1], v[10:11], 0.5
	v_floor_f64_e32 v[8:9], v[0:1]
	v_cmp_ngt_f64_e32 vcc, 0, v[8:9]
	s_and_saveexec_b64 s[18:19], vcc
	s_cbranch_execz .LBB84_28
; %bb.23:                               ;   in Loop: Header=BB84_18 Depth=2
	v_add_u32_e32 v15, 1, v118
	v_pk_mov_b32 v[0:1], v[4:5], v[4:5] op_sel:[0,1]
	v_cmp_eq_u32_e32 vcc, 4, v15
	v_pk_mov_b32 v[2:3], v[6:7], v[6:7] op_sel:[0,1]
	s_and_saveexec_b64 s[0:1], vcc
	s_cbranch_execz .LBB84_25
; %bb.24:                               ;   in Loop: Header=BB84_18 Depth=2
	v_add_co_u32_e32 v97, vcc, 1, v97
	v_cndmask_b32_e64 v0, 0, 1, vcc
	v_addc_co_u32_e32 v98, vcc, 0, v98, vcc
	v_cmp_eq_u32_e32 vcc, 0, v98
	v_cndmask_b32_e32 v0, 0, v0, vcc
	v_add_u32_e32 v116, v0, v116
	v_cmp_eq_u32_e32 vcc, 0, v116
	v_cndmask_b32_e32 v0, 0, v0, vcc
	v_add_u32_e32 v74, v0, v74
	v_mad_u64_u32 v[0:1], vcc, v97, s10, 0
	v_mad_u64_u32 v[2:3], vcc, v116, s9, 0
	v_xor_b32_e32 v1, v1, v73
	v_xor_b32_e32 v3, v3, v72
	v_xor_b32_e32 v1, v74, v1
	v_xor_b32_e32 v3, v98, v3
	v_mad_u64_u32 v[86:87], vcc, v1, s9, 0
	v_mad_u64_u32 v[84:85], vcc, v3, s10, 0
	v_xor_b32_e32 v1, v99, v87
	v_xor_b32_e32 v1, v1, v2
	v_xor_b32_e32 v2, v100, v85
	v_xor_b32_e32 v2, v2, v0
	;; [unrolled: 6-line block ×10, first 2 shown]
	v_mov_b32_e32 v15, 0
	v_mov_b32_e32 v1, v86
	;; [unrolled: 1-line block ×5, first 2 shown]
.LBB84_25:                              ;   in Loop: Header=BB84_18 Depth=2
	s_or_b64 exec, exec, s[0:1]
	v_add_u32_e32 v117, 1, v15
	v_cmp_eq_u32_e32 vcc, 4, v117
	s_and_saveexec_b64 s[0:1], vcc
	s_cbranch_execz .LBB84_27
; %bb.26:                               ;   in Loop: Header=BB84_18 Depth=2
	v_add_co_u32_e32 v97, vcc, 1, v97
	v_cndmask_b32_e64 v84, 0, 1, vcc
	v_addc_co_u32_e32 v98, vcc, 0, v98, vcc
	v_cmp_eq_u32_e32 vcc, 0, v98
	v_cndmask_b32_e32 v84, 0, v84, vcc
	v_add_u32_e32 v116, v84, v116
	v_cmp_eq_u32_e32 vcc, 0, v116
	v_cndmask_b32_e32 v84, 0, v84, vcc
	v_add_u32_e32 v74, v84, v74
	v_mad_u64_u32 v[84:85], vcc, v97, s10, 0
	v_mad_u64_u32 v[86:87], vcc, v116, s9, 0
	v_xor_b32_e32 v85, v85, v73
	v_xor_b32_e32 v87, v87, v72
	v_xor_b32_e32 v85, v74, v85
	v_xor_b32_e32 v87, v98, v87
	v_mad_u64_u32 v[122:123], vcc, v85, s9, 0
	v_mad_u64_u32 v[120:121], vcc, v87, s10, 0
	v_xor_b32_e32 v85, v99, v123
	v_xor_b32_e32 v85, v85, v86
	v_xor_b32_e32 v86, v100, v121
	v_xor_b32_e32 v86, v86, v84
	;; [unrolled: 6-line block ×9, first 2 shown]
	v_mad_u64_u32 v[84:85], vcc, v84, s10, 0
	v_mad_u64_u32 v[86:87], vcc, v86, s9, 0
	v_xor_b32_e32 v87, v87, v126
	v_xor_b32_e32 v85, v85, v124
	v_mov_b32_e32 v117, 0
	v_xor_b32_e32 v87, v106, v87
	v_xor_b32_e32 v85, v96, v85
.LBB84_27:                              ;   in Loop: Header=BB84_18 Depth=2
	s_or_b64 exec, exec, s[0:1]
	v_cmp_eq_u32_e32 vcc, 1, v118
	v_cndmask_b32_e32 v4, v4, v5, vcc
	v_cmp_eq_u32_e32 vcc, 2, v118
	v_cndmask_b32_e32 v4, v4, v6, vcc
	;; [unrolled: 2-line block ×6, first 2 shown]
	v_lshrrev_b32_e32 v0, 11, v0
	v_cvt_f64_u32_e32 v[0:1], v0
	v_ldexp_f64 v[0:1], v[0:1], 32
	v_cvt_f64_u32_e32 v[2:3], v4
	v_add_f64 v[0:1], v[0:1], v[2:3]
	v_mov_b32_e32 v2, 0
	v_mov_b32_e32 v3, 0x3ca00000
	v_fma_f64 v[4:5], -v[76:77], v[10:11], v[78:79]
	v_fmac_f64_e32 v[2:3], 0x3ca00000, v[0:1]
	v_mul_f64 v[0:1], v[4:5], s[56:57]
	v_rndne_f64_e32 v[0:1], v[0:1]
	s_mov_b32 s58, s50
	v_fma_f64 v[6:7], s[58:59], v[0:1], v[4:5]
	s_mov_b32 s60, s52
	v_fmac_f64_e32 v[6:7], s[60:61], v[0:1]
	v_pk_mov_b32 v[10:11], v[30:31], v[30:31] op_sel:[0,1]
	v_fmac_f64_e32 v[10:11], s[62:63], v[6:7]
	v_pk_mov_b32 v[118:119], v[32:33], v[32:33] op_sel:[0,1]
	;; [unrolled: 2-line block ×9, first 2 shown]
	v_fmac_f64_e32 v[10:11], v[6:7], v[118:119]
	v_fma_f64 v[10:11], v[6:7], v[10:11], 1.0
	v_fma_f64 v[6:7], v[6:7], v[10:11], 1.0
	v_cvt_i32_f64_e32 v0, v[0:1]
	v_ldexp_f64 v[0:1], v[6:7], v0
	v_add_f64 v[0:1], v[0:1], 1.0
	v_cmp_nlt_f64_e32 vcc, s[66:67], v[4:5]
	v_cmp_ngt_f64_e64 s[0:1], s[68:69], v[4:5]
	v_cndmask_b32_e32 v1, v94, v1, vcc
	s_and_b64 vcc, s[0:1], vcc
	v_cndmask_b32_e64 v1, v91, v1, s[0:1]
	v_cndmask_b32_e32 v0, 0, v0, vcc
	v_mul_f64 v[0:1], v[0:1], v[0:1]
	v_div_scale_f64 v[6:7], s[0:1], v[0:1], v[0:1], v[2:3]
	v_rcp_f64_e32 v[10:11], v[6:7]
	s_mov_b32 s49, s35
	v_fma_f64 v[118:119], -v[6:7], v[10:11], 1.0
	v_fmac_f64_e32 v[10:11], v[10:11], v[118:119]
	v_fma_f64 v[118:119], -v[6:7], v[10:11], 1.0
	v_fmac_f64_e32 v[10:11], v[10:11], v[118:119]
	v_div_scale_f64 v[118:119], vcc, v[2:3], v[0:1], v[2:3]
	v_mul_f64 v[120:121], v[118:119], v[10:11]
	v_fma_f64 v[6:7], -v[6:7], v[120:121], v[118:119]
	s_nop 1
	v_div_fmas_f64 v[6:7], v[6:7], v[10:11], v[120:121]
	v_div_fixup_f64 v[2:3], v[6:7], v[0:1], v[2:3]
	v_frexp_mant_f64_e32 v[0:1], v[2:3]
	v_cmp_gt_f64_e32 vcc, s[34:35], v[0:1]
	v_cndmask_b32_e64 v15, v91, 2.0, vcc
	v_frexp_exp_i32_f64_e32 v6, v[2:3]
	v_mul_f64 v[0:1], v[0:1], v[14:15]
	v_subbrev_co_u32_e32 v15, vcc, 0, v6, vcc
	v_add_f64 v[6:7], v[0:1], 1.0
	v_rcp_f64_e32 v[10:11], v[6:7]
	v_add_f64 v[120:121], v[6:7], -1.0
	v_add_f64 v[118:119], v[0:1], -1.0
	v_add_f64 v[0:1], v[0:1], -v[120:121]
	v_fma_f64 v[120:121], -v[6:7], v[10:11], 1.0
	v_fmac_f64_e32 v[10:11], v[120:121], v[10:11]
	v_fma_f64 v[120:121], -v[6:7], v[10:11], 1.0
	v_fmac_f64_e32 v[10:11], v[120:121], v[10:11]
	v_mul_f64 v[120:121], v[118:119], v[10:11]
	v_mul_f64 v[122:123], v[6:7], v[120:121]
	v_fma_f64 v[6:7], v[120:121], v[6:7], -v[122:123]
	v_fmac_f64_e32 v[6:7], v[120:121], v[0:1]
	v_add_f64 v[0:1], v[122:123], v[6:7]
	v_add_f64 v[124:125], v[118:119], -v[0:1]
	v_add_f64 v[122:123], v[0:1], -v[122:123]
	;; [unrolled: 1-line block ×5, first 2 shown]
	v_add_f64 v[0:1], v[6:7], v[0:1]
	v_add_f64 v[0:1], v[124:125], v[0:1]
	v_mul_f64 v[0:1], v[10:11], v[0:1]
	v_add_f64 v[6:7], v[120:121], v[0:1]
	v_add_f64 v[10:11], v[6:7], -v[120:121]
	v_add_f64 v[10:11], v[0:1], -v[10:11]
	v_mul_f64 v[118:119], v[6:7], v[6:7]
	v_pk_mov_b32 v[0:1], s[36:37], s[36:37] op_sel:[0,1]
	v_fma_f64 v[120:121], s[38:39], v[118:119], v[0:1]
	v_fma_f64 v[120:121], v[118:119], v[120:121], s[40:41]
	v_fma_f64 v[120:121], v[118:119], v[120:121], s[42:43]
	v_fma_f64 v[120:121], v[118:119], v[120:121], s[44:45]
	v_fma_f64 v[120:121], v[118:119], v[120:121], s[46:47]
	v_fma_f64 v[120:121], v[118:119], v[120:121], s[48:49]
	v_ldexp_f64 v[122:123], v[6:7], 1
	v_mul_f64 v[6:7], v[6:7], v[118:119]
	v_mul_f64 v[6:7], v[6:7], v[120:121]
	v_add_f64 v[118:119], v[122:123], v[6:7]
	v_add_f64 v[120:121], v[118:119], -v[122:123]
	v_ldexp_f64 v[10:11], v[10:11], 1
	v_add_f64 v[6:7], v[6:7], -v[120:121]
	v_add_f64 v[6:7], v[10:11], v[6:7]
	v_add_f64 v[10:11], v[118:119], v[6:7]
	v_add_f64 v[118:119], v[10:11], -v[118:119]
	v_add_f64 v[6:7], v[6:7], -v[118:119]
	v_cvt_f64_i32_e32 v[118:119], v15
	v_mul_f64 v[120:121], v[118:119], s[50:51]
	v_fma_f64 v[122:123], v[118:119], s[50:51], -v[120:121]
	v_fmac_f64_e32 v[122:123], s[52:53], v[118:119]
	v_add_f64 v[118:119], v[120:121], v[122:123]
	v_add_f64 v[120:121], v[118:119], -v[120:121]
	v_add_f64 v[120:121], v[122:123], -v[120:121]
	v_add_f64 v[122:123], v[118:119], v[10:11]
	v_add_f64 v[124:125], v[122:123], -v[118:119]
	v_add_f64 v[126:127], v[122:123], -v[124:125]
	;; [unrolled: 1-line block ×4, first 2 shown]
	v_add_f64 v[10:11], v[10:11], v[118:119]
	v_add_f64 v[118:119], v[120:121], v[6:7]
	v_add_f64 v[124:125], v[118:119], -v[120:121]
	v_add_f64 v[126:127], v[118:119], -v[124:125]
	v_add_f64 v[10:11], v[118:119], v[10:11]
	v_add_f64 v[120:121], v[120:121], -v[126:127]
	v_add_f64 v[6:7], v[6:7], -v[124:125]
	v_add_f64 v[118:119], v[122:123], v[10:11]
	v_add_f64 v[6:7], v[6:7], v[120:121]
	v_add_f64 v[120:121], v[118:119], -v[122:123]
	v_add_f64 v[10:11], v[10:11], -v[120:121]
	v_add_f64 v[6:7], v[6:7], v[10:11]
	v_add_f64 v[6:7], v[118:119], v[6:7]
	v_cmp_class_f64_e64 vcc, v[2:3], s11
	v_cndmask_b32_e32 v15, v6, v2, vcc
	v_cndmask_b32_e32 v6, v7, v3, vcc
	v_cmp_neq_f64_e32 vcc, 0, v[2:3]
	v_cndmask_b32_e32 v3, v93, v6, vcc
	v_add_f64 v[6:7], v[8:9], 1.0
	v_add_f64 v[6:7], v[6:7], -1.0
	v_add_f64 v[118:119], v[6:7], s[70:71]
	v_div_scale_f64 v[10:11], s[0:1], v[118:119], v[118:119], s[72:73]
	v_rcp_f64_e32 v[120:121], v[10:11]
	v_cndmask_b32_e32 v2, 0, v15, vcc
	v_add_f64 v[2:3], v[4:5], v[2:3]
	v_fma_f64 v[4:5], v[82:83], v[8:9], v[80:81]
	v_fma_f64 v[122:123], -v[10:11], v[120:121], 1.0
	v_fmac_f64_e32 v[120:121], v[120:121], v[122:123]
	v_fma_f64 v[122:123], -v[10:11], v[120:121], 1.0
	v_fmac_f64_e32 v[120:121], v[120:121], v[122:123]
	v_div_scale_f64 v[122:123], vcc, s[72:73], v[118:119], s[72:73]
	v_mul_f64 v[124:125], v[122:123], v[120:121]
	v_fma_f64 v[122:123], -v[10:11], v[124:125], v[122:123]
	v_add_f64 v[10:11], v[6:7], s[74:75]
	v_div_scale_f64 v[126:127], s[0:1], v[10:11], v[10:11], s[76:77]
	v_rcp_f64_e32 v[128:129], v[126:127]
	v_div_fmas_f64 v[120:121], v[122:123], v[120:121], v[124:125]
	v_div_fixup_f64 v[118:119], v[120:121], v[118:119], s[72:73]
	v_add_f64 v[124:125], v[6:7], s[78:79]
	v_fma_f64 v[120:121], -v[126:127], v[128:129], 1.0
	v_fmac_f64_e32 v[128:129], v[128:129], v[120:121]
	v_fma_f64 v[120:121], -v[126:127], v[128:129], 1.0
	v_fmac_f64_e32 v[128:129], v[128:129], v[120:121]
	v_div_scale_f64 v[120:121], vcc, s[76:77], v[10:11], s[76:77]
	v_mul_f64 v[122:123], v[120:121], v[128:129]
	v_fma_f64 v[120:121], -v[126:127], v[122:123], v[120:121]
	v_div_scale_f64 v[126:127], s[0:1], v[124:125], v[124:125], s[80:81]
	v_rcp_f64_e32 v[130:131], v[126:127]
	v_div_fmas_f64 v[120:121], v[120:121], v[128:129], v[122:123]
	v_add_f64 v[118:119], v[118:119], 0
	v_div_fixup_f64 v[120:121], v[120:121], v[10:11], s[76:77]
	v_add_f64 v[118:119], v[120:121], v[118:119]
	v_fma_f64 v[120:121], -v[126:127], v[130:131], 1.0
	v_fmac_f64_e32 v[130:131], v[130:131], v[120:121]
	v_fma_f64 v[120:121], -v[126:127], v[130:131], 1.0
	v_fmac_f64_e32 v[130:131], v[130:131], v[120:121]
	v_div_scale_f64 v[120:121], vcc, s[80:81], v[124:125], s[80:81]
	v_mul_f64 v[122:123], v[120:121], v[130:131]
	v_fma_f64 v[120:121], -v[126:127], v[122:123], v[120:121]
	v_add_f64 v[126:127], v[6:7], s[82:83]
	v_div_scale_f64 v[128:129], s[0:1], v[126:127], v[126:127], s[84:85]
	v_rcp_f64_e32 v[132:133], v[128:129]
	v_div_fmas_f64 v[120:121], v[120:121], v[130:131], v[122:123]
	v_div_fixup_f64 v[120:121], v[120:121], v[124:125], s[80:81]
	v_add_f64 v[118:119], v[118:119], v[120:121]
	v_fma_f64 v[120:121], -v[128:129], v[132:133], 1.0
	v_fmac_f64_e32 v[132:133], v[132:133], v[120:121]
	v_fma_f64 v[120:121], -v[128:129], v[132:133], 1.0
	v_fmac_f64_e32 v[132:133], v[132:133], v[120:121]
	v_div_scale_f64 v[120:121], vcc, s[84:85], v[126:127], s[84:85]
	v_mul_f64 v[122:123], v[120:121], v[132:133]
	v_add_f64 v[124:125], v[6:7], 4.0
	v_fma_f64 v[120:121], -v[128:129], v[122:123], v[120:121]
	v_div_scale_f64 v[128:129], s[0:1], v[124:125], v[124:125], s[86:87]
	v_rcp_f64_e32 v[130:131], v[128:129]
	v_div_fmas_f64 v[120:121], v[120:121], v[132:133], v[122:123]
	v_div_fixup_f64 v[120:121], v[120:121], v[126:127], s[84:85]
	v_add_f64 v[118:119], v[120:121], v[118:119]
	v_fma_f64 v[120:121], -v[128:129], v[130:131], 1.0
	v_fmac_f64_e32 v[130:131], v[130:131], v[120:121]
	v_fma_f64 v[120:121], -v[128:129], v[130:131], 1.0
	v_fmac_f64_e32 v[130:131], v[130:131], v[120:121]
	v_div_scale_f64 v[120:121], vcc, s[86:87], v[124:125], s[86:87]
	v_mul_f64 v[122:123], v[120:121], v[130:131]
	v_add_f64 v[126:127], v[6:7], s[26:27]
	v_fma_f64 v[120:121], -v[128:129], v[122:123], v[120:121]
	v_div_scale_f64 v[128:129], s[0:1], v[126:127], v[126:127], s[88:89]
	v_rcp_f64_e32 v[132:133], v[128:129]
	v_div_fmas_f64 v[120:121], v[120:121], v[130:131], v[122:123]
	v_div_fixup_f64 v[120:121], v[120:121], v[124:125], s[86:87]
	v_add_f64 v[118:119], v[118:119], v[120:121]
	v_fma_f64 v[120:121], -v[128:129], v[132:133], 1.0
	v_fmac_f64_e32 v[132:133], v[132:133], v[120:121]
	v_fma_f64 v[120:121], -v[128:129], v[132:133], 1.0
	v_fmac_f64_e32 v[132:133], v[132:133], v[120:121]
	v_div_scale_f64 v[120:121], vcc, s[88:89], v[126:127], s[88:89]
	v_mul_f64 v[122:123], v[120:121], v[132:133]
	v_add_f64 v[124:125], v[6:7], 2.0
	v_fma_f64 v[120:121], -v[128:129], v[122:123], v[120:121]
	v_div_scale_f64 v[128:129], s[0:1], v[124:125], v[124:125], s[90:91]
	v_rcp_f64_e32 v[130:131], v[128:129]
	v_div_fmas_f64 v[120:121], v[120:121], v[132:133], v[122:123]
	v_div_fixup_f64 v[120:121], v[120:121], v[126:127], s[88:89]
	v_add_f64 v[118:119], v[120:121], v[118:119]
	v_fma_f64 v[120:121], -v[128:129], v[130:131], 1.0
	v_fmac_f64_e32 v[130:131], v[130:131], v[120:121]
	v_fma_f64 v[120:121], -v[128:129], v[130:131], 1.0
	v_fmac_f64_e32 v[130:131], v[130:131], v[120:121]
	v_div_scale_f64 v[120:121], vcc, s[90:91], v[124:125], s[90:91]
	v_mul_f64 v[122:123], v[120:121], v[130:131]
	v_add_f64 v[126:127], v[6:7], 1.0
	v_fma_f64 v[120:121], -v[128:129], v[122:123], v[120:121]
	v_div_scale_f64 v[128:129], s[0:1], v[126:127], v[126:127], s[92:93]
	v_rcp_f64_e32 v[132:133], v[128:129]
	v_div_fmas_f64 v[120:121], v[120:121], v[130:131], v[122:123]
	v_div_fixup_f64 v[120:121], v[120:121], v[124:125], s[90:91]
	v_add_f64 v[118:119], v[118:119], v[120:121]
	v_fma_f64 v[120:121], -v[128:129], v[132:133], 1.0
	v_fmac_f64_e32 v[132:133], v[132:133], v[120:121]
	v_fma_f64 v[120:121], -v[128:129], v[132:133], 1.0
	v_fmac_f64_e32 v[132:133], v[132:133], v[120:121]
	v_div_scale_f64 v[120:121], vcc, s[92:93], v[126:127], s[92:93]
	v_mul_f64 v[122:123], v[120:121], v[132:133]
	v_fma_f64 v[120:121], -v[128:129], v[122:123], v[120:121]
	v_add_f64 v[10:11], v[10:11], 0.5
	s_nop 0
	v_div_fmas_f64 v[120:121], v[120:121], v[132:133], v[122:123]
	v_div_fixup_f64 v[120:121], v[120:121], v[126:127], s[92:93]
	v_add_f64 v[118:119], v[120:121], v[118:119]
	v_add_f64 v[118:119], v[118:119], s[94:95]
	v_frexp_mant_f64_e32 v[120:121], v[118:119]
	v_cmp_gt_f64_e32 vcc, s[34:35], v[120:121]
	v_cndmask_b32_e64 v15, v91, 2.0, vcc
	v_frexp_exp_i32_f64_e32 v122, v[118:119]
	v_mul_f64 v[120:121], v[120:121], v[14:15]
	v_subbrev_co_u32_e32 v15, vcc, 0, v122, vcc
	v_add_f64 v[122:123], v[120:121], 1.0
	v_rcp_f64_e32 v[124:125], v[122:123]
	v_add_f64 v[128:129], v[122:123], -1.0
	v_add_f64 v[126:127], v[120:121], -1.0
	v_add_f64 v[120:121], v[120:121], -v[128:129]
	v_fma_f64 v[128:129], -v[122:123], v[124:125], 1.0
	v_fmac_f64_e32 v[124:125], v[128:129], v[124:125]
	v_fma_f64 v[128:129], -v[122:123], v[124:125], 1.0
	v_fmac_f64_e32 v[124:125], v[128:129], v[124:125]
	v_mul_f64 v[128:129], v[126:127], v[124:125]
	v_mul_f64 v[130:131], v[122:123], v[128:129]
	v_fma_f64 v[122:123], v[128:129], v[122:123], -v[130:131]
	v_fmac_f64_e32 v[122:123], v[128:129], v[120:121]
	v_add_f64 v[120:121], v[130:131], v[122:123]
	v_add_f64 v[132:133], v[126:127], -v[120:121]
	v_add_f64 v[130:131], v[120:121], -v[130:131]
	v_add_f64 v[126:127], v[126:127], -v[132:133]
	v_add_f64 v[120:121], v[126:127], -v[120:121]
	v_add_f64 v[122:123], v[130:131], -v[122:123]
	v_add_f64 v[120:121], v[122:123], v[120:121]
	v_add_f64 v[120:121], v[132:133], v[120:121]
	v_mul_f64 v[120:121], v[124:125], v[120:121]
	v_add_f64 v[122:123], v[128:129], v[120:121]
	v_add_f64 v[124:125], v[122:123], -v[128:129]
	v_add_f64 v[120:121], v[120:121], -v[124:125]
	v_mul_f64 v[124:125], v[122:123], v[122:123]
	v_fma_f64 v[126:127], s[38:39], v[124:125], v[0:1]
	v_fma_f64 v[126:127], v[124:125], v[126:127], s[40:41]
	;; [unrolled: 1-line block ×6, first 2 shown]
	v_ldexp_f64 v[128:129], v[122:123], 1
	v_mul_f64 v[122:123], v[122:123], v[124:125]
	v_mul_f64 v[122:123], v[122:123], v[126:127]
	v_add_f64 v[124:125], v[128:129], v[122:123]
	v_add_f64 v[126:127], v[124:125], -v[128:129]
	v_ldexp_f64 v[120:121], v[120:121], 1
	v_add_f64 v[122:123], v[122:123], -v[126:127]
	v_add_f64 v[120:121], v[120:121], v[122:123]
	v_add_f64 v[122:123], v[124:125], v[120:121]
	v_add_f64 v[124:125], v[122:123], -v[124:125]
	v_add_f64 v[120:121], v[120:121], -v[124:125]
	v_cvt_f64_i32_e32 v[124:125], v15
	v_mul_f64 v[126:127], v[124:125], s[50:51]
	v_fma_f64 v[128:129], v[124:125], s[50:51], -v[126:127]
	v_fmac_f64_e32 v[128:129], s[52:53], v[124:125]
	v_add_f64 v[124:125], v[126:127], v[128:129]
	v_add_f64 v[126:127], v[124:125], -v[126:127]
	v_add_f64 v[126:127], v[128:129], -v[126:127]
	v_add_f64 v[128:129], v[124:125], v[122:123]
	v_add_f64 v[130:131], v[128:129], -v[124:125]
	v_add_f64 v[132:133], v[128:129], -v[130:131]
	;; [unrolled: 1-line block ×4, first 2 shown]
	v_add_f64 v[122:123], v[122:123], v[124:125]
	v_add_f64 v[124:125], v[126:127], v[120:121]
	v_add_f64 v[130:131], v[124:125], -v[126:127]
	v_add_f64 v[132:133], v[124:125], -v[130:131]
	v_add_f64 v[122:123], v[124:125], v[122:123]
	v_add_f64 v[126:127], v[126:127], -v[132:133]
	v_add_f64 v[120:121], v[120:121], -v[130:131]
	v_add_f64 v[124:125], v[128:129], v[122:123]
	v_add_f64 v[120:121], v[120:121], v[126:127]
	v_add_f64 v[126:127], v[124:125], -v[128:129]
	v_add_f64 v[122:123], v[122:123], -v[126:127]
	v_add_f64 v[120:121], v[120:121], v[122:123]
	v_add_f64 v[120:121], v[124:125], v[120:121]
	v_cmp_class_f64_e64 vcc, v[118:119], s11
	v_div_scale_f64 v[122:123], s[0:1], s[28:29], s[28:29], v[10:11]
	v_cndmask_b32_e32 v121, v121, v119, vcc
	v_cndmask_b32_e32 v120, v120, v118, vcc
	v_rcp_f64_e32 v[124:125], v[122:123]
	v_add_f64 v[120:121], v[120:121], s[24:25]
	v_add_f64 v[120:121], v[120:121], s[22:23]
	v_cmp_ngt_f64_e32 vcc, 0, v[118:119]
	v_cndmask_b32_e32 v15, v92, v121, vcc
	v_cmp_nge_f64_e32 vcc, 0, v[118:119]
	v_cndmask_b32_e32 v120, 0, v120, vcc
	v_cmp_neq_f64_e32 vcc, 0, v[118:119]
	v_fma_f64 v[118:119], -v[122:123], v[124:125], 1.0
	v_fmac_f64_e32 v[124:125], v[124:125], v[118:119]
	v_fma_f64 v[118:119], -v[122:123], v[124:125], 1.0
	v_cndmask_b32_e32 v121, v93, v15, vcc
	v_fmac_f64_e32 v[124:125], v[124:125], v[118:119]
	v_div_scale_f64 v[118:119], vcc, v[10:11], s[28:29], v[10:11]
	v_mul_f64 v[126:127], v[118:119], v[124:125]
	v_fma_f64 v[118:119], -v[122:123], v[126:127], v[118:119]
	v_add_f64 v[6:7], v[6:7], 0.5
	s_nop 0
	v_div_fmas_f64 v[118:119], v[118:119], v[124:125], v[126:127]
	v_div_fixup_f64 v[10:11], v[118:119], s[28:29], v[10:11]
	v_frexp_mant_f64_e32 v[118:119], v[10:11]
	v_cmp_gt_f64_e32 vcc, s[34:35], v[118:119]
	v_cndmask_b32_e64 v15, v91, 2.0, vcc
	v_frexp_exp_i32_f64_e32 v122, v[10:11]
	v_mul_f64 v[118:119], v[118:119], v[14:15]
	v_subbrev_co_u32_e32 v15, vcc, 0, v122, vcc
	v_add_f64 v[122:123], v[118:119], 1.0
	v_rcp_f64_e32 v[124:125], v[122:123]
	v_add_f64 v[128:129], v[122:123], -1.0
	v_add_f64 v[126:127], v[118:119], -1.0
	v_add_f64 v[118:119], v[118:119], -v[128:129]
	v_fma_f64 v[128:129], -v[122:123], v[124:125], 1.0
	v_fmac_f64_e32 v[124:125], v[128:129], v[124:125]
	v_fma_f64 v[128:129], -v[122:123], v[124:125], 1.0
	v_fmac_f64_e32 v[124:125], v[128:129], v[124:125]
	v_mul_f64 v[128:129], v[126:127], v[124:125]
	v_mul_f64 v[130:131], v[122:123], v[128:129]
	v_fma_f64 v[122:123], v[128:129], v[122:123], -v[130:131]
	v_fmac_f64_e32 v[122:123], v[128:129], v[118:119]
	v_add_f64 v[118:119], v[130:131], v[122:123]
	v_add_f64 v[132:133], v[126:127], -v[118:119]
	v_add_f64 v[130:131], v[118:119], -v[130:131]
	;; [unrolled: 1-line block ×5, first 2 shown]
	v_add_f64 v[118:119], v[122:123], v[118:119]
	v_add_f64 v[118:119], v[132:133], v[118:119]
	v_mul_f64 v[118:119], v[124:125], v[118:119]
	v_add_f64 v[122:123], v[128:129], v[118:119]
	v_add_f64 v[124:125], v[122:123], -v[128:129]
	v_add_f64 v[118:119], v[118:119], -v[124:125]
	v_mul_f64 v[124:125], v[122:123], v[122:123]
	v_fmac_f64_e32 v[0:1], s[38:39], v[124:125]
	v_fma_f64 v[0:1], v[124:125], v[0:1], s[40:41]
	v_fma_f64 v[0:1], v[124:125], v[0:1], s[42:43]
	;; [unrolled: 1-line block ×5, first 2 shown]
	v_ldexp_f64 v[126:127], v[122:123], 1
	v_mul_f64 v[122:123], v[122:123], v[124:125]
	v_mul_f64 v[0:1], v[122:123], v[0:1]
	v_add_f64 v[122:123], v[126:127], v[0:1]
	v_add_f64 v[124:125], v[122:123], -v[126:127]
	v_ldexp_f64 v[118:119], v[118:119], 1
	v_add_f64 v[0:1], v[0:1], -v[124:125]
	v_add_f64 v[0:1], v[118:119], v[0:1]
	v_add_f64 v[118:119], v[122:123], v[0:1]
	v_add_f64 v[122:123], v[118:119], -v[122:123]
	v_add_f64 v[0:1], v[0:1], -v[122:123]
	v_cvt_f64_i32_e32 v[122:123], v15
	v_mul_f64 v[124:125], v[122:123], s[50:51]
	v_fma_f64 v[126:127], v[122:123], s[50:51], -v[124:125]
	v_fmac_f64_e32 v[126:127], s[52:53], v[122:123]
	v_add_f64 v[122:123], v[124:125], v[126:127]
	v_add_f64 v[124:125], v[122:123], -v[124:125]
	v_add_f64 v[124:125], v[126:127], -v[124:125]
	v_add_f64 v[126:127], v[122:123], v[118:119]
	v_add_f64 v[128:129], v[126:127], -v[122:123]
	v_add_f64 v[130:131], v[126:127], -v[128:129]
	;; [unrolled: 1-line block ×4, first 2 shown]
	v_add_f64 v[118:119], v[118:119], v[122:123]
	v_add_f64 v[122:123], v[124:125], v[0:1]
	v_add_f64 v[128:129], v[122:123], -v[124:125]
	v_add_f64 v[130:131], v[122:123], -v[128:129]
	v_add_f64 v[118:119], v[122:123], v[118:119]
	v_add_f64 v[124:125], v[124:125], -v[130:131]
	v_add_f64 v[0:1], v[0:1], -v[128:129]
	v_add_f64 v[122:123], v[126:127], v[118:119]
	v_add_f64 v[0:1], v[0:1], v[124:125]
	v_add_f64 v[124:125], v[122:123], -v[126:127]
	v_add_f64 v[118:119], v[118:119], -v[124:125]
	v_add_f64 v[0:1], v[0:1], v[118:119]
	v_add_f64 v[0:1], v[122:123], v[0:1]
	v_cmp_class_f64_e64 vcc, v[10:11], s11
	v_cndmask_b32_e32 v0, v0, v10, vcc
	v_cndmask_b32_e32 v1, v1, v11, vcc
	v_cmp_ngt_f64_e32 vcc, 0, v[10:11]
	v_cndmask_b32_e32 v1, v92, v1, vcc
	v_cmp_nge_f64_e32 vcc, 0, v[10:11]
	v_cndmask_b32_e32 v0, 0, v0, vcc
	v_cmp_neq_f64_e32 vcc, 0, v[10:11]
	v_cndmask_b32_e32 v1, v93, v1, vcc
	v_fmac_f64_e32 v[120:121], v[6:7], v[0:1]
	v_add_f64 v[0:1], v[4:5], -v[120:121]
	v_cvt_u32_f64_e32 v4, v[8:9]
	v_cmp_le_f64_e32 vcc, v[2:3], v[0:1]
	v_cndmask_b32_e64 v119, 0, 1, vcc
	v_cndmask_b32_e32 v75, v75, v4, vcc
	v_mov_b32_e32 v118, v117
.LBB84_28:                              ;   in Loop: Header=BB84_18 Depth=2
	s_or_b64 exec, exec, s[18:19]
	v_cmp_gt_i32_e32 vcc, 2, v119
	s_or_b64 s[4:5], vcc, s[4:5]
	v_mov_b32_e32 v15, v118
	v_mov_b32_e32 v0, v87
	;; [unrolled: 1-line block ×5, first 2 shown]
	s_andn2_b64 exec, exec, s[4:5]
	s_cbranch_execnz .LBB84_18
; %bb.29:                               ;   in Loop: Header=BB84_18 Depth=2
	s_or_b64 exec, exec, s[4:5]
	v_cmp_ne_u32_e32 vcc, 0, v119
	s_or_b64 s[14:15], vcc, s[14:15]
	s_mov_b64 s[4:5], 0
	v_mov_b32_e32 v15, v118
	v_mov_b32_e32 v0, v87
	;; [unrolled: 1-line block ×5, first 2 shown]
	s_andn2_b64 exec, exec, s[14:15]
	s_cbranch_execnz .LBB84_18
; %bb.30:                               ;   in Loop: Header=BB84_5 Depth=1
	s_or_b64 exec, exec, s[14:15]
	v_readlane_b32 s18, v134, 17
	v_readlane_b32 s19, v134, 18
                                        ; implicit-def: $vgpr72_vgpr73
                                        ; implicit-def: $vgpr15
                                        ; implicit-def: $vgpr97
                                        ; implicit-def: $vgpr98
                                        ; implicit-def: $vgpr106
                                        ; implicit-def: $vgpr96
                                        ; implicit-def: $vgpr3
                                        ; implicit-def: $vgpr4_vgpr5
                                        ; implicit-def: $vgpr99
                                        ; implicit-def: $vgpr100
                                        ; implicit-def: $vgpr101
                                        ; implicit-def: $vgpr102
                                        ; implicit-def: $vgpr104
                                        ; implicit-def: $vgpr105
                                        ; implicit-def: $vgpr107
                                        ; implicit-def: $vgpr108
                                        ; implicit-def: $vgpr109
                                        ; implicit-def: $vgpr110
                                        ; implicit-def: $vgpr111
                                        ; implicit-def: $vgpr112
                                        ; implicit-def: $vgpr113
                                        ; implicit-def: $vgpr114
                                        ; implicit-def: $vgpr103
                                        ; implicit-def: $vgpr115
.LBB84_31:                              ;   in Loop: Header=BB84_5 Depth=1
	s_andn2_saveexec_b64 s[4:5], s[12:13]
	s_cbranch_execz .LBB84_43
; %bb.32:                               ;   in Loop: Header=BB84_5 Depth=1
	v_add_co_u32_e32 v6, vcc, 1, v97
	v_cndmask_b32_e64 v7, 0, 1, vcc
	v_addc_co_u32_e32 v10, vcc, 0, v98, vcc
	v_cmp_eq_u32_e32 vcc, 0, v10
	v_cndmask_b32_e32 v7, 0, v7, vcc
	v_add_u32_e32 v8, v7, v17
	v_cmp_eq_u32_e32 vcc, 0, v8
	v_cndmask_b32_e32 v11, 0, v7, vcc
	v_mad_u64_u32 v[6:7], s[0:1], v6, s10, 0
	v_mad_u64_u32 v[8:9], s[0:1], v8, s9, 0
	v_xor_b32_e32 v7, v7, v73
	v_xor_b32_e32 v9, v9, v72
	v_xor_b32_e32 v7, v11, v7
	v_xor_b32_e32 v9, v10, v9
	v_mad_u64_u32 v[72:73], s[0:1], v7, s9, 0
	v_mad_u64_u32 v[10:11], s[0:1], v9, s10, 0
	v_xor_b32_e32 v7, v99, v73
	v_xor_b32_e32 v7, v7, v8
	v_xor_b32_e32 v8, v100, v11
	v_xor_b32_e32 v8, v8, v6
	;; [unrolled: 6-line block ×8, first 2 shown]
	v_mad_u64_u32 v[74:75], s[0:1], v7, s10, 0
	v_mad_u64_u32 v[8:9], s[0:1], v6, s9, 0
	v_xor_b32_e32 v6, v115, v75
	v_xor_b32_e32 v6, v6, v10
	v_mad_u64_u32 v[6:7], s[0:1], v6, s9, 0
	v_xor_b32_e32 v7, v7, v8
	v_xor_b32_e32 v10, v106, v7
	v_cmp_lt_i32_e32 vcc, 1, v15
                                        ; implicit-def: $vgpr8
	s_and_saveexec_b64 s[0:1], vcc
	s_xor_b64 s[0:1], exec, s[0:1]
	s_cbranch_execz .LBB84_38
; %bb.33:                               ;   in Loop: Header=BB84_5 Depth=1
	v_cmp_lt_i32_e32 vcc, 2, v15
                                        ; implicit-def: $vgpr8
	s_and_saveexec_b64 s[12:13], vcc
	s_xor_b64 s[12:13], exec, s[12:13]
; %bb.34:                               ;   in Loop: Header=BB84_5 Depth=1
	v_xor_b32_e32 v0, v103, v9
	v_xor_b32_e32 v0, v0, v72
	v_mul_hi_u32 v0, v0, s10
	v_xor_b32_e32 v0, v0, v74
	v_xor_b32_e32 v8, v96, v0
; %bb.35:                               ;   in Loop: Header=BB84_5 Depth=1
	s_andn2_saveexec_b64 s[12:13], s[12:13]
; %bb.36:                               ;   in Loop: Header=BB84_5 Depth=1
	v_mov_b32_e32 v8, v6
	v_mov_b32_e32 v6, v10
	;; [unrolled: 1-line block ×4, first 2 shown]
; %bb.37:                               ;   in Loop: Header=BB84_5 Depth=1
	s_or_b64 exec, exec, s[12:13]
                                        ; implicit-def: $vgpr15
.LBB84_38:                              ;   in Loop: Header=BB84_5 Depth=1
	s_andn2_saveexec_b64 s[0:1], s[0:1]
	s_cbranch_execz .LBB84_42
; %bb.39:                               ;   in Loop: Header=BB84_5 Depth=1
	v_cmp_eq_u32_e32 vcc, 1, v15
	v_mov_b32_e32 v8, v3
	v_mov_b32_e32 v6, v2
	;; [unrolled: 1-line block ×3, first 2 shown]
	s_and_saveexec_b64 s[12:13], vcc
; %bb.40:                               ;   in Loop: Header=BB84_5 Depth=1
	v_mov_b32_e32 v8, v10
	v_mov_b32_e32 v6, v3
	;; [unrolled: 1-line block ×4, first 2 shown]
; %bb.41:                               ;   in Loop: Header=BB84_5 Depth=1
	s_or_b64 exec, exec, s[12:13]
	v_mov_b32_e32 v3, v0
	v_mov_b32_e32 v10, v7
.LBB84_42:                              ;   in Loop: Header=BB84_5 Depth=1
	s_or_b64 exec, exec, s[0:1]
	v_mov_b32_e32 v11, v14
	v_lshlrev_b64 v[0:1], 21, v[10:11]
	v_xor_b32_e32 v2, v0, v3
	v_cvt_f64_u32_e32 v[0:1], v1
	v_ldexp_f64 v[0:1], v[0:1], 32
	v_cvt_f64_u32_e32 v[2:3], v2
	v_add_f64 v[0:1], v[0:1], v[2:3]
	v_mov_b32_e32 v2, 0
	v_mov_b32_e32 v3, 0x3ca00000
	v_fmac_f64_e32 v[2:3], 0x3ca00000, v[0:1]
	v_mov_b32_e32 v9, v14
	v_lshlrev_b64 v[0:1], 21, v[8:9]
	v_frexp_mant_f64_e32 v[8:9], v[2:3]
	v_cmp_gt_f64_e32 vcc, s[34:35], v[8:9]
	v_cndmask_b32_e64 v15, v91, 2.0, vcc
	v_frexp_exp_i32_f64_e32 v10, v[2:3]
	v_mul_f64 v[8:9], v[8:9], v[14:15]
	v_subbrev_co_u32_e32 v15, vcc, 0, v10, vcc
	v_add_f64 v[10:11], v[8:9], 1.0
	v_rcp_f64_e32 v[72:73], v[10:11]
	v_add_f64 v[76:77], v[10:11], -1.0
	v_add_f64 v[74:75], v[8:9], -1.0
	v_add_f64 v[8:9], v[8:9], -v[76:77]
	v_fma_f64 v[76:77], -v[10:11], v[72:73], 1.0
	v_fmac_f64_e32 v[72:73], v[76:77], v[72:73]
	v_fma_f64 v[76:77], -v[10:11], v[72:73], 1.0
	v_fmac_f64_e32 v[72:73], v[76:77], v[72:73]
	v_mul_f64 v[76:77], v[74:75], v[72:73]
	v_mul_f64 v[78:79], v[10:11], v[76:77]
	v_fma_f64 v[10:11], v[76:77], v[10:11], -v[78:79]
	v_fmac_f64_e32 v[10:11], v[76:77], v[8:9]
	v_add_f64 v[8:9], v[78:79], v[10:11]
	v_add_f64 v[80:81], v[74:75], -v[8:9]
	v_add_f64 v[78:79], v[8:9], -v[78:79]
	;; [unrolled: 1-line block ×5, first 2 shown]
	v_add_f64 v[8:9], v[10:11], v[8:9]
	v_add_f64 v[8:9], v[80:81], v[8:9]
	v_mul_f64 v[8:9], v[72:73], v[8:9]
	v_add_f64 v[10:11], v[76:77], v[8:9]
	v_add_f64 v[72:73], v[10:11], -v[76:77]
	v_add_f64 v[8:9], v[8:9], -v[72:73]
	v_mul_f64 v[72:73], v[10:11], v[10:11]
	v_pk_mov_b32 v[74:75], v[18:19], v[18:19] op_sel:[0,1]
	v_fmac_f64_e32 v[74:75], s[38:39], v[72:73]
	v_pk_mov_b32 v[76:77], v[20:21], v[20:21] op_sel:[0,1]
	v_fmac_f64_e32 v[76:77], v[72:73], v[74:75]
	;; [unrolled: 2-line block ×6, first 2 shown]
	v_ldexp_f64 v[74:75], v[10:11], 1
	v_mul_f64 v[10:11], v[10:11], v[72:73]
	v_mul_f64 v[10:11], v[10:11], v[76:77]
	v_add_f64 v[72:73], v[74:75], v[10:11]
	v_add_f64 v[74:75], v[72:73], -v[74:75]
	v_ldexp_f64 v[8:9], v[8:9], 1
	v_add_f64 v[10:11], v[10:11], -v[74:75]
	v_add_f64 v[8:9], v[8:9], v[10:11]
	v_add_f64 v[10:11], v[72:73], v[8:9]
	v_add_f64 v[72:73], v[10:11], -v[72:73]
	v_add_f64 v[8:9], v[8:9], -v[72:73]
	v_cvt_f64_i32_e32 v[72:73], v15
	v_mul_f64 v[74:75], v[72:73], s[50:51]
	v_fma_f64 v[76:77], v[72:73], s[50:51], -v[74:75]
	v_fmac_f64_e32 v[76:77], s[52:53], v[72:73]
	v_add_f64 v[72:73], v[74:75], v[76:77]
	v_add_f64 v[74:75], v[72:73], -v[74:75]
	v_add_f64 v[74:75], v[76:77], -v[74:75]
	v_add_f64 v[76:77], v[72:73], v[10:11]
	v_add_f64 v[78:79], v[76:77], -v[72:73]
	v_add_f64 v[80:81], v[76:77], -v[78:79]
	;; [unrolled: 1-line block ×4, first 2 shown]
	v_add_f64 v[10:11], v[10:11], v[72:73]
	v_add_f64 v[72:73], v[74:75], v[8:9]
	v_add_f64 v[78:79], v[72:73], -v[74:75]
	v_add_f64 v[80:81], v[72:73], -v[78:79]
	v_add_f64 v[10:11], v[72:73], v[10:11]
	v_add_f64 v[74:75], v[74:75], -v[80:81]
	v_add_f64 v[8:9], v[8:9], -v[78:79]
	v_add_f64 v[72:73], v[76:77], v[10:11]
	v_add_f64 v[8:9], v[8:9], v[74:75]
	v_add_f64 v[74:75], v[72:73], -v[76:77]
	v_add_f64 v[10:11], v[10:11], -v[74:75]
	s_mov_b32 s14, 0
	v_add_f64 v[8:9], v[8:9], v[10:11]
	s_mov_b32 s15, 0x7ff00000
	v_add_f64 v[8:9], v[72:73], v[8:9]
	v_cmp_eq_f64_e32 vcc, s[14:15], v[2:3]
	v_cndmask_b32_e32 v9, v9, v3, vcc
	v_cndmask_b32_e32 v8, v8, v2, vcc
	v_mul_f64 v[8:9], v[8:9], -2.0
	v_cmp_neq_f64_e32 vcc, 0, v[2:3]
	s_mov_b32 s0, 0
	v_cndmask_b32_e32 v3, v94, v9, vcc
	v_cndmask_b32_e32 v2, 0, v8, vcc
	s_brev_b32 s1, 8
	v_cmp_gt_f64_e32 vcc, s[0:1], v[2:3]
	v_cndmask_b32_e64 v8, 0, 1, vcc
	v_lshlrev_b32_e32 v8, 8, v8
	v_ldexp_f64 v[2:3], v[2:3], v8
	v_xor_b32_e32 v6, v0, v6
	v_cvt_f64_u32_e32 v[0:1], v1
	v_rsq_f64_e32 v[8:9], v[2:3]
	v_ldexp_f64 v[0:1], v[0:1], 32
	v_cvt_f64_u32_e32 v[6:7], v6
	v_add_f64 v[0:1], v[0:1], v[6:7]
	v_mov_b32_e32 v6, 0
	v_mov_b32_e32 v7, 0x3cb00000
	v_fmac_f64_e32 v[6:7], 0x3cb00000, v[0:1]
	v_mul_f64 v[0:1], v[2:3], v[8:9]
	v_mul_f64 v[8:9], v[8:9], 0.5
	v_fma_f64 v[10:11], -v[8:9], v[0:1], 0.5
	v_fmac_f64_e32 v[0:1], v[0:1], v[10:11]
	v_fma_f64 v[72:73], -v[0:1], v[0:1], v[2:3]
	v_fmac_f64_e32 v[8:9], v[8:9], v[10:11]
	v_fmac_f64_e32 v[0:1], v[72:73], v[8:9]
	v_fma_f64 v[10:11], -v[0:1], v[0:1], v[2:3]
	v_fmac_f64_e32 v[0:1], v[10:11], v[8:9]
	v_cndmask_b32_e32 v8, 0, v90, vcc
	v_ldexp_f64 v[0:1], v[0:1], v8
	v_cmp_class_f64_e32 vcc, v[2:3], v89
	v_cndmask_b32_e32 v1, v1, v3, vcc
	v_cndmask_b32_e32 v0, v0, v2, vcc
	v_mul_f64 v[2:3], v[6:7], 0.5
	v_fract_f64_e32 v[8:9], v[2:3]
	v_add_f64 v[8:9], v[8:9], v[8:9]
	v_cmp_neq_f64_e32 vcc, s[14:15], v[2:3]
	v_cndmask_b32_e32 v2, 0, v8, vcc
	v_cndmask_b32_e32 v3, 0, v9, vcc
	v_cmp_lt_f64_e32 vcc, 1.0, v[6:7]
	v_cndmask_b32_e32 v3, v7, v3, vcc
	v_cndmask_b32_e32 v2, v6, v2, vcc
	v_add_f64 v[8:9], v[2:3], v[2:3]
	v_rndne_f64_e32 v[8:9], v[8:9]
	v_fmac_f64_e32 v[2:3], -0.5, v[8:9]
	s_mov_b32 s12, 0xf99eb0bb
	v_cvt_i32_f64_e32 v15, v[8:9]
	v_mul_f64 v[8:9], v[2:3], v[2:3]
	v_pk_mov_b32 v[10:11], v[48:49], v[48:49] op_sel:[0,1]
	s_mov_b32 s13, 0x3f3e357e
	v_fmac_f64_e32 v[10:11], s[12:13], v[8:9]
	v_pk_mov_b32 v[72:73], v[50:51], v[50:51] op_sel:[0,1]
	v_fmac_f64_e32 v[72:73], v[8:9], v[10:11]
	v_pk_mov_b32 v[10:11], v[52:53], v[52:53] op_sel:[0,1]
	;; [unrolled: 2-line block ×4, first 2 shown]
	v_fmac_f64_e32 v[10:11], v[8:9], v[72:73]
	v_mul_f64 v[72:73], v[2:3], v[8:9]
	s_mov_b32 s12, 0x54442d18
	v_mul_f64 v[10:11], v[72:73], v[10:11]
	s_mov_b32 s13, 0x400921fb
	v_fmac_f64_e32 v[10:11], s[12:13], v[2:3]
	s_mov_b32 s12, 0x2e21c33
	v_pk_mov_b32 v[2:3], v[58:59], v[58:59] op_sel:[0,1]
	s_mov_b32 s13, 0xbf1b1673
	v_fmac_f64_e32 v[2:3], s[12:13], v[8:9]
	v_pk_mov_b32 v[72:73], v[60:61], v[60:61] op_sel:[0,1]
	v_fmac_f64_e32 v[72:73], v[8:9], v[2:3]
	v_pk_mov_b32 v[2:3], v[62:63], v[62:63] op_sel:[0,1]
	;; [unrolled: 2-line block ×5, first 2 shown]
	v_fmac_f64_e32 v[72:73], v[8:9], v[2:3]
	v_fma_f64 v[2:3], v[8:9], v[72:73], 1.0
	v_and_b32_e32 v9, 1, v15
	v_lshlrev_b32_e32 v8, 30, v15
	v_cmp_eq_u32_e32 vcc, 0, v9
	v_cndmask_b32_e32 v10, v2, v10, vcc
	v_cndmask_b32_e32 v2, v3, v11, vcc
	v_xor_b32_e32 v3, v8, v7
	v_and_b32_e32 v3, 0x80000000, v3
	v_cmp_gt_f64_e32 vcc, s[0:1], v[4:5]
	v_xor_b32_e32 v11, v2, v3
	v_cndmask_b32_e64 v2, 0, 1, vcc
	v_lshlrev_b32_e32 v2, 8, v2
	v_ldexp_f64 v[2:3], v[4:5], v2
	v_rsq_f64_e32 v[8:9], v[2:3]
	v_cmp_lg_f64_e64 s[0:1], s[14:15], v[6:7]
	v_cndmask_b32_e64 v6, 0, v10, s[0:1]
	v_cndmask_b32_e64 v7, v92, v11, s[0:1]
	v_mul_f64 v[0:1], v[0:1], v[6:7]
	v_mul_f64 v[6:7], v[2:3], v[8:9]
	v_mul_f64 v[8:9], v[8:9], 0.5
	v_fma_f64 v[10:11], -v[8:9], v[6:7], 0.5
	v_fmac_f64_e32 v[6:7], v[6:7], v[10:11]
	v_fma_f64 v[72:73], -v[6:7], v[6:7], v[2:3]
	v_fmac_f64_e32 v[8:9], v[8:9], v[10:11]
	v_fmac_f64_e32 v[6:7], v[72:73], v[8:9]
	v_fma_f64 v[10:11], -v[6:7], v[6:7], v[2:3]
	v_fmac_f64_e32 v[6:7], v[10:11], v[8:9]
	v_cndmask_b32_e32 v8, 0, v90, vcc
	v_ldexp_f64 v[6:7], v[6:7], v8
	v_cmp_class_f64_e32 vcc, v[2:3], v89
	v_cndmask_b32_e32 v3, v7, v3, vcc
	v_cndmask_b32_e32 v2, v6, v2, vcc
	v_fmac_f64_e32 v[4:5], v[2:3], v[0:1]
	v_trunc_f64_e32 v[0:1], v[4:5]
	v_add_f64 v[2:3], v[4:5], -v[0:1]
	v_cmp_ge_f64_e64 vcc, |v[2:3]|, 0.5
	v_cndmask_b32_e32 v2, 0, v91, vcc
	s_brev_b32 s0, -2
	v_bfi_b32 v15, s0, v2, v5
	v_add_f64 v[0:1], v[0:1], v[14:15]
	v_cvt_u32_f64_e32 v75, v[0:1]
.LBB84_43:                              ;   in Loop: Header=BB84_5 Depth=1
	s_or_b64 exec, exec, s[4:5]
                                        ; implicit-def: $vgpr6
                                        ; implicit-def: $vgpr72_vgpr73
                                        ; implicit-def: $vgpr15
                                        ; implicit-def: $vgpr97
                                        ; implicit-def: $vgpr98
                                        ; implicit-def: $vgpr106
                                        ; implicit-def: $vgpr96
                                        ; implicit-def: $vgpr3
                                        ; implicit-def: $vgpr4_vgpr5
                                        ; implicit-def: $vgpr99
                                        ; implicit-def: $vgpr100
                                        ; implicit-def: $vgpr101
                                        ; implicit-def: $vgpr102
                                        ; implicit-def: $vgpr104
                                        ; implicit-def: $vgpr105
                                        ; implicit-def: $vgpr107
                                        ; implicit-def: $vgpr108
                                        ; implicit-def: $vgpr109
                                        ; implicit-def: $vgpr110
                                        ; implicit-def: $vgpr111
                                        ; implicit-def: $vgpr112
                                        ; implicit-def: $vgpr113
                                        ; implicit-def: $vgpr114
                                        ; implicit-def: $vgpr103
                                        ; implicit-def: $vgpr115
.LBB84_44:                              ;   in Loop: Header=BB84_5 Depth=1
	s_andn2_saveexec_b64 s[4:5], s[6:7]
	s_cbranch_execz .LBB84_3
; %bb.45:                               ;   in Loop: Header=BB84_5 Depth=1
	s_mov_b32 s13, s30
	s_mov_b32 s30, s56
	v_mul_f64 v[8:9], v[4:5], s[30:31]
	v_rndne_f64_e32 v[10:11], v[8:9]
	s_mov_b32 s58, s50
	v_fma_f64 v[4:5], v[10:11], s[58:59], -v[4:5]
	s_mov_b32 s60, s52
	v_fmac_f64_e32 v[4:5], s[60:61], v[10:11]
	v_pk_mov_b32 v[8:9], v[30:31], v[30:31] op_sel:[0,1]
	v_fmac_f64_e32 v[8:9], s[62:63], v[4:5]
	v_pk_mov_b32 v[74:75], v[32:33], v[32:33] op_sel:[0,1]
	;; [unrolled: 2-line block ×9, first 2 shown]
	v_fmac_f64_e32 v[76:77], v[4:5], v[74:75]
	v_fma_f64 v[74:75], v[4:5], v[76:77], 1.0
	s_mov_b32 s0, 0xe400
	v_fma_f64 v[4:5], v[4:5], v[74:75], 1.0
	v_cvt_i32_f64_e32 v7, v[10:11]
	v_cmp_ngt_f16_e32 vcc, s0, v6
	s_movk_i32 s0, 0x6433
	v_ldexp_f64 v[4:5], v[4:5], v7
	v_cmp_nlt_f16_e64 s[0:1], s0, v6
	v_mov_b32_e32 v8, 0
	v_cndmask_b32_e32 v5, v94, v5, vcc
	s_and_b64 vcc, s[0:1], vcc
	v_mov_b32_e32 v9, 0x3ff00000
	v_mov_b32_e32 v78, 0
	v_cndmask_b32_e64 v11, 0, v5, s[0:1]
	v_cndmask_b32_e32 v10, 0, v4, vcc
	s_mov_b32 s12, -1
	s_mov_b64 s[0:1], 0
	v_mov_b32_e32 v79, v17
	s_branch .LBB84_47
.LBB84_46:                              ;   in Loop: Header=BB84_47 Depth=2
	s_or_b64 exec, exec, s[6:7]
	v_cmp_eq_u32_e32 vcc, 1, v15
	v_cndmask_b32_e32 v0, v0, v1, vcc
	v_cmp_eq_u32_e32 vcc, 2, v15
	v_cndmask_b32_e32 v0, v0, v2, vcc
	;; [unrolled: 2-line block ×6, first 2 shown]
	v_lshrrev_b32_e32 v0, 11, v0
	v_cvt_f64_u32_e32 v[0:1], v0
	v_ldexp_f64 v[0:1], v[0:1], 32
	v_cvt_f64_u32_e32 v[2:3], v2
	v_add_f64 v[0:1], v[0:1], v[2:3]
	v_mov_b32_e32 v2, 0
	v_mov_b32_e32 v3, 0x3ca00000
	v_fmac_f64_e32 v[2:3], 0x3ca00000, v[0:1]
	v_mul_f64 v[8:9], v[8:9], v[2:3]
	v_cmp_ngt_f64_e32 vcc, v[8:9], v[10:11]
	s_add_i32 s12, s12, 1
	s_or_b64 s[0:1], vcc, s[0:1]
	v_mov_b32_e32 v75, s12
	v_mov_b32_e32 v15, v81
	;; [unrolled: 1-line block ×6, first 2 shown]
	s_andn2_b64 exec, exec, s[0:1]
	s_cbranch_execz .LBB84_2
.LBB84_47:                              ;   Parent Loop BB84_5 Depth=1
                                        ; =>  This Inner Loop Header: Depth=2
	v_add_u32_e32 v80, 1, v15
	v_pk_mov_b32 v[6:7], v[2:3], v[2:3] op_sel:[0,1]
	v_cmp_eq_u32_e32 vcc, 4, v80
	v_pk_mov_b32 v[4:5], v[0:1], v[0:1] op_sel:[0,1]
	v_mov_b32_e32 v77, v0
	v_mov_b32_e32 v76, v1
	;; [unrolled: 1-line block ×4, first 2 shown]
	s_and_saveexec_b64 s[6:7], vcc
	s_cbranch_execz .LBB84_49
; %bb.48:                               ;   in Loop: Header=BB84_47 Depth=2
	v_add_co_u32_e32 v97, vcc, 1, v97
	v_cndmask_b32_e64 v4, 0, 1, vcc
	v_addc_co_u32_e32 v98, vcc, 0, v98, vcc
	v_cmp_eq_u32_e32 vcc, 0, v98
	v_cndmask_b32_e32 v4, 0, v4, vcc
	v_add_u32_e32 v79, v4, v79
	v_cmp_eq_u32_e32 vcc, 0, v79
	v_cndmask_b32_e32 v4, 0, v4, vcc
	v_add_u32_e32 v78, v4, v78
	v_mad_u64_u32 v[4:5], s[14:15], v97, s10, 0
	v_mad_u64_u32 v[6:7], s[14:15], v79, s9, 0
	v_xor_b32_e32 v5, v5, v73
	v_xor_b32_e32 v7, v7, v72
	v_xor_b32_e32 v5, v78, v5
	v_xor_b32_e32 v7, v98, v7
	v_mad_u64_u32 v[76:77], s[14:15], v5, s9, 0
	v_mad_u64_u32 v[74:75], s[14:15], v7, s10, 0
	v_xor_b32_e32 v5, v99, v77
	v_xor_b32_e32 v5, v5, v6
	v_xor_b32_e32 v6, v100, v75
	v_xor_b32_e32 v6, v6, v4
	;; [unrolled: 6-line block ×10, first 2 shown]
	v_mov_b32_e32 v80, 0
	v_mov_b32_e32 v5, v76
	;; [unrolled: 1-line block ×5, first 2 shown]
.LBB84_49:                              ;   in Loop: Header=BB84_47 Depth=2
	s_or_b64 exec, exec, s[6:7]
	v_add_u32_e32 v81, 1, v80
	v_cmp_eq_u32_e32 vcc, 4, v81
	s_and_saveexec_b64 s[6:7], vcc
	s_cbranch_execz .LBB84_46
; %bb.50:                               ;   in Loop: Header=BB84_47 Depth=2
	v_add_co_u32_e32 v97, vcc, 1, v97
	v_cndmask_b32_e64 v74, 0, 1, vcc
	v_addc_co_u32_e32 v98, vcc, 0, v98, vcc
	v_cmp_eq_u32_e32 vcc, 0, v98
	v_cndmask_b32_e32 v74, 0, v74, vcc
	v_add_u32_e32 v79, v74, v79
	v_cmp_eq_u32_e32 vcc, 0, v79
	v_cndmask_b32_e32 v74, 0, v74, vcc
	v_add_u32_e32 v78, v74, v78
	v_mad_u64_u32 v[74:75], s[14:15], v97, s10, 0
	v_mad_u64_u32 v[76:77], s[14:15], v79, s9, 0
	v_xor_b32_e32 v75, v75, v73
	v_xor_b32_e32 v77, v77, v72
	v_xor_b32_e32 v75, v78, v75
	v_xor_b32_e32 v77, v98, v77
	v_mad_u64_u32 v[84:85], s[14:15], v75, s9, 0
	v_mad_u64_u32 v[82:83], s[14:15], v77, s10, 0
	v_xor_b32_e32 v75, v99, v85
	v_xor_b32_e32 v75, v75, v76
	v_xor_b32_e32 v76, v100, v83
	v_xor_b32_e32 v76, v76, v74
	;; [unrolled: 6-line block ×9, first 2 shown]
	v_mad_u64_u32 v[74:75], s[14:15], v74, s10, 0
	v_mad_u64_u32 v[76:77], s[14:15], v76, s9, 0
	v_xor_b32_e32 v77, v77, v116
	v_xor_b32_e32 v75, v75, v86
	v_mov_b32_e32 v81, 0
	v_xor_b32_e32 v77, v106, v77
	v_xor_b32_e32 v82, v96, v75
	s_branch .LBB84_46
.LBB84_51:
	s_or_b64 exec, exec, s[16:17]
	s_and_saveexec_b64 s[0:1], s[2:3]
	s_xor_b64 s[0:1], exec, s[0:1]
	s_cbranch_execnz .LBB84_53
.LBB84_52:
	s_endpgm
.LBB84_53:
	s_trap 2
	; divergent unreachable
	s_endpgm
	.section	.rodata,"a",@progbits
	.p2align	6, 0x0
	.amdhsa_kernel _ZN2at4cuda12_GLOBAL__N_121kernelPointwiseApply2IZN12_GLOBAL__N_119poisson_cuda_kernelIN3c104HalfEEEvRKNS_10TensorBaseES9_NS_15PhiloxCudaStateEEUlRS6_RKS6_E_S6_S6_jLi2ELin1ELi1ELi512ELi2EEEvNS0_6detail10TensorInfoIT0_T2_EENSG_IT1_SI_EESI_T_
		.amdhsa_group_segment_fixed_size 0
		.amdhsa_private_segment_fixed_size 0
		.amdhsa_kernarg_size 728
		.amdhsa_user_sgpr_count 6
		.amdhsa_user_sgpr_private_segment_buffer 1
		.amdhsa_user_sgpr_dispatch_ptr 0
		.amdhsa_user_sgpr_queue_ptr 0
		.amdhsa_user_sgpr_kernarg_segment_ptr 1
		.amdhsa_user_sgpr_dispatch_id 0
		.amdhsa_user_sgpr_flat_scratch_init 0
		.amdhsa_user_sgpr_kernarg_preload_length 0
		.amdhsa_user_sgpr_kernarg_preload_offset 0
		.amdhsa_user_sgpr_private_segment_size 0
		.amdhsa_uses_dynamic_stack 0
		.amdhsa_system_sgpr_private_segment_wavefront_offset 0
		.amdhsa_system_sgpr_workgroup_id_x 1
		.amdhsa_system_sgpr_workgroup_id_y 0
		.amdhsa_system_sgpr_workgroup_id_z 0
		.amdhsa_system_sgpr_workgroup_info 0
		.amdhsa_system_vgpr_workitem_id 0
		.amdhsa_next_free_vgpr 135
		.amdhsa_next_free_sgpr 96
		.amdhsa_accum_offset 136
		.amdhsa_reserve_vcc 1
		.amdhsa_reserve_flat_scratch 0
		.amdhsa_float_round_mode_32 0
		.amdhsa_float_round_mode_16_64 0
		.amdhsa_float_denorm_mode_32 3
		.amdhsa_float_denorm_mode_16_64 3
		.amdhsa_dx10_clamp 1
		.amdhsa_ieee_mode 1
		.amdhsa_fp16_overflow 0
		.amdhsa_tg_split 0
		.amdhsa_exception_fp_ieee_invalid_op 0
		.amdhsa_exception_fp_denorm_src 0
		.amdhsa_exception_fp_ieee_div_zero 0
		.amdhsa_exception_fp_ieee_overflow 0
		.amdhsa_exception_fp_ieee_underflow 0
		.amdhsa_exception_fp_ieee_inexact 0
		.amdhsa_exception_int_div_zero 0
	.end_amdhsa_kernel
	.section	.text._ZN2at4cuda12_GLOBAL__N_121kernelPointwiseApply2IZN12_GLOBAL__N_119poisson_cuda_kernelIN3c104HalfEEEvRKNS_10TensorBaseES9_NS_15PhiloxCudaStateEEUlRS6_RKS6_E_S6_S6_jLi2ELin1ELi1ELi512ELi2EEEvNS0_6detail10TensorInfoIT0_T2_EENSG_IT1_SI_EESI_T_,"axG",@progbits,_ZN2at4cuda12_GLOBAL__N_121kernelPointwiseApply2IZN12_GLOBAL__N_119poisson_cuda_kernelIN3c104HalfEEEvRKNS_10TensorBaseES9_NS_15PhiloxCudaStateEEUlRS6_RKS6_E_S6_S6_jLi2ELin1ELi1ELi512ELi2EEEvNS0_6detail10TensorInfoIT0_T2_EENSG_IT1_SI_EESI_T_,comdat
.Lfunc_end84:
	.size	_ZN2at4cuda12_GLOBAL__N_121kernelPointwiseApply2IZN12_GLOBAL__N_119poisson_cuda_kernelIN3c104HalfEEEvRKNS_10TensorBaseES9_NS_15PhiloxCudaStateEEUlRS6_RKS6_E_S6_S6_jLi2ELin1ELi1ELi512ELi2EEEvNS0_6detail10TensorInfoIT0_T2_EENSG_IT1_SI_EESI_T_, .Lfunc_end84-_ZN2at4cuda12_GLOBAL__N_121kernelPointwiseApply2IZN12_GLOBAL__N_119poisson_cuda_kernelIN3c104HalfEEEvRKNS_10TensorBaseES9_NS_15PhiloxCudaStateEEUlRS6_RKS6_E_S6_S6_jLi2ELin1ELi1ELi512ELi2EEEvNS0_6detail10TensorInfoIT0_T2_EENSG_IT1_SI_EESI_T_
                                        ; -- End function
	.section	.AMDGPU.csdata,"",@progbits
; Kernel info:
; codeLenInByte = 13756
; NumSgprs: 100
; NumVgprs: 135
; NumAgprs: 0
; TotalNumVgprs: 135
; ScratchSize: 0
; MemoryBound: 0
; FloatMode: 240
; IeeeMode: 1
; LDSByteSize: 0 bytes/workgroup (compile time only)
; SGPRBlocks: 12
; VGPRBlocks: 16
; NumSGPRsForWavesPerEU: 100
; NumVGPRsForWavesPerEU: 135
; AccumOffset: 136
; Occupancy: 3
; WaveLimiterHint : 1
; COMPUTE_PGM_RSRC2:SCRATCH_EN: 0
; COMPUTE_PGM_RSRC2:USER_SGPR: 6
; COMPUTE_PGM_RSRC2:TRAP_HANDLER: 0
; COMPUTE_PGM_RSRC2:TGID_X_EN: 1
; COMPUTE_PGM_RSRC2:TGID_Y_EN: 0
; COMPUTE_PGM_RSRC2:TGID_Z_EN: 0
; COMPUTE_PGM_RSRC2:TIDIG_COMP_CNT: 0
; COMPUTE_PGM_RSRC3_GFX90A:ACCUM_OFFSET: 33
; COMPUTE_PGM_RSRC3_GFX90A:TG_SPLIT: 0
	.section	.text._ZN2at4cuda12_GLOBAL__N_121kernelPointwiseApply2IZN12_GLOBAL__N_119poisson_cuda_kernelIN3c104HalfEEEvRKNS_10TensorBaseES9_NS_15PhiloxCudaStateEEUlRS6_RKS6_E_S6_S6_jLin1ELi1ELi1ELi512ELi2EEEvNS0_6detail10TensorInfoIT0_T2_EENSG_IT1_SI_EESI_T_,"axG",@progbits,_ZN2at4cuda12_GLOBAL__N_121kernelPointwiseApply2IZN12_GLOBAL__N_119poisson_cuda_kernelIN3c104HalfEEEvRKNS_10TensorBaseES9_NS_15PhiloxCudaStateEEUlRS6_RKS6_E_S6_S6_jLin1ELi1ELi1ELi512ELi2EEEvNS0_6detail10TensorInfoIT0_T2_EENSG_IT1_SI_EESI_T_,comdat
	.globl	_ZN2at4cuda12_GLOBAL__N_121kernelPointwiseApply2IZN12_GLOBAL__N_119poisson_cuda_kernelIN3c104HalfEEEvRKNS_10TensorBaseES9_NS_15PhiloxCudaStateEEUlRS6_RKS6_E_S6_S6_jLin1ELi1ELi1ELi512ELi2EEEvNS0_6detail10TensorInfoIT0_T2_EENSG_IT1_SI_EESI_T_ ; -- Begin function _ZN2at4cuda12_GLOBAL__N_121kernelPointwiseApply2IZN12_GLOBAL__N_119poisson_cuda_kernelIN3c104HalfEEEvRKNS_10TensorBaseES9_NS_15PhiloxCudaStateEEUlRS6_RKS6_E_S6_S6_jLin1ELi1ELi1ELi512ELi2EEEvNS0_6detail10TensorInfoIT0_T2_EENSG_IT1_SI_EESI_T_
	.p2align	8
	.type	_ZN2at4cuda12_GLOBAL__N_121kernelPointwiseApply2IZN12_GLOBAL__N_119poisson_cuda_kernelIN3c104HalfEEEvRKNS_10TensorBaseES9_NS_15PhiloxCudaStateEEUlRS6_RKS6_E_S6_S6_jLin1ELi1ELi1ELi512ELi2EEEvNS0_6detail10TensorInfoIT0_T2_EENSG_IT1_SI_EESI_T_,@function
_ZN2at4cuda12_GLOBAL__N_121kernelPointwiseApply2IZN12_GLOBAL__N_119poisson_cuda_kernelIN3c104HalfEEEvRKNS_10TensorBaseES9_NS_15PhiloxCudaStateEEUlRS6_RKS6_E_S6_S6_jLin1ELi1ELi1ELi512ELi2EEEvNS0_6detail10TensorInfoIT0_T2_EENSG_IT1_SI_EESI_T_: ; @_ZN2at4cuda12_GLOBAL__N_121kernelPointwiseApply2IZN12_GLOBAL__N_119poisson_cuda_kernelIN3c104HalfEEEvRKNS_10TensorBaseES9_NS_15PhiloxCudaStateEEUlRS6_RKS6_E_S6_S6_jLin1ELi1ELi1ELi512ELi2EEEvNS0_6detail10TensorInfoIT0_T2_EENSG_IT1_SI_EESI_T_
; %bb.0:
	s_load_dword s2, s[4:5], 0x1e4
	s_load_dword s33, s[4:5], 0x1b0
	s_add_u32 s0, s4, 0x1d8
	s_addc_u32 s1, s5, 0
	s_waitcnt lgkmcnt(0)
	s_and_b32 s2, s2, 0xffff
	s_mul_i32 s6, s6, s2
	v_add_u32_e32 v17, s6, v0
	v_cmp_gt_u32_e32 vcc, s33, v17
	s_and_saveexec_b64 s[6:7], vcc
	s_cbranch_execz .LBB85_50
; %bb.1:
	s_load_dword s18, s[4:5], 0x144
	s_load_dwordx4 s[8:11], s[4:5], 0x1b8
                                        ; implicit-def: $vgpr134 : SGPR spill to VGPR lane
                                        ; kill: killed $sgpr0 killed $sgpr1
	s_mov_b32 s24, 0
	s_mov_b32 s30, 0x55555555
	;; [unrolled: 1-line block ×4, first 2 shown]
	s_waitcnt lgkmcnt(0)
	v_writelane_b32 v134, s8, 0
	v_writelane_b32 v134, s9, 1
	;; [unrolled: 1-line block ×4, first 2 shown]
	s_load_dwordx2 s[64:65], s[4:5], 0xd8
	s_load_dword s3, s[4:5], 0xd0
	s_load_dword s9, s[0:1], 0x0
	s_load_dwordx2 s[6:7], s[4:5], 0x1c8
	s_mov_b32 s38, 0xd7f4df2e
	s_load_dwordx2 s[0:1], s[4:5], 0x0
	s_waitcnt lgkmcnt(0)
	s_cmp_gt_i32 s3, 1
	s_mul_i32 s19, s9, s2
	v_writelane_b32 v134, s6, 4
	v_writelane_b32 v134, s7, 5
	s_load_dword s8, s[4:5], 0x1d0
	s_load_dword s6, s[4:5], 0x6c
	s_mov_b32 s40, 0x16291751
	s_mov_b32 s42, 0x9b27acf1
	;; [unrolled: 1-line block ×4, first 2 shown]
	s_waitcnt lgkmcnt(0)
	v_writelane_b32 v134, s6, 6
	v_writelane_b32 v134, s0, 7
	;; [unrolled: 1-line block ×3, first 2 shown]
	s_cselect_b64 s[6:7], -1, 0
	s_getpc_b64 s[0:1]
	s_add_u32 s0, s0, .str@rel32@lo+4
	s_addc_u32 s1, s1, .str@rel32@hi+12
	s_cmp_eq_u64 s[0:1], 0
	s_cselect_b64 s[0:1], -1, 0
	s_bitcmp1_b32 s8, 0
	s_cselect_b64 s[10:11], -1, 0
	v_writelane_b32 v134, s10, 9
	s_mov_b32 s8, 0xcd9e8d57
	v_writelane_b32 v134, s11, 10
	v_mad_u64_u32 v[12:13], s[10:11], v17, s8, 0
	s_add_i32 s10, s3, 1
	s_add_i32 s2, s3, -1
	s_mov_b32 s3, 0
	s_lshl_b64 s[2:3], s[2:3], 2
	s_add_u32 s2, s2, s4
	s_addc_u32 s3, s3, s5
	s_add_u32 s2, s2, 8
	s_addc_u32 s3, s3, 0
	v_writelane_b32 v134, s2, 11
	v_writelane_b32 v134, s3, 12
	s_xor_b64 s[0:1], s[0:1], -1
	v_cndmask_b32_e64 v0, 0, 1, s[6:7]
	v_writelane_b32 v134, s0, 13
	s_mov_b32 s50, 0x3b39803f
	s_mov_b32 s54, 0x652b82fe
	;; [unrolled: 1-line block ×4, first 2 shown]
	v_writelane_b32 v134, s1, 14
	v_cmp_ne_u32_e64 s[0:1], 1, v0
	s_mov_b32 s66, 0
	s_mov_b32 s68, 0
	s_mov_b32 s70, 0x8f3faeef
	s_mov_b32 s72, 0
	s_mov_b32 s74, 0x4e4e324f
	s_mov_b32 s76, 0
	s_mov_b32 s78, 0x992b2855
	s_mov_b32 s80, 0
	s_mov_b32 s82, 0x7f8b9c81
	s_mov_b32 s84, 0x51a32f5d
	s_mov_b32 s86, 0x61d3b4d8
	s_mov_b32 s88, 0x8ed4171b
	s_mov_b32 s90, 0xb6c30b05
	s_movk_i32 s92, 0xf950
	s_mov_b32 s94, 0xc864beb5
	s_mov_b32 s22, 0
	;; [unrolled: 1-line block ×3, first 2 shown]
	s_mov_b64 s[16:17], 0
	v_mov_b32_e32 v14, 0
	v_mov_b32_e32 v16, v13
	s_mov_b32 s11, 0xd2511f53
	s_mov_b32 s25, 0x40080000
	;; [unrolled: 1-line block ×12, first 2 shown]
	s_movk_i32 s9, 0x204
	s_mov_b32 s55, 0x3ff71547
	s_mov_b32 s57, 0xbfe62e42
	;; [unrolled: 1-line block ×5, first 2 shown]
	v_mov_b32_e32 v18, 0x6b47b09a
	v_mov_b32_e32 v20, 0xd7f4df2e
	;; [unrolled: 1-line block ×60, first 2 shown]
	v_writelane_b32 v134, s0, 15
	s_mov_b32 s67, 0xc090cc00
	s_mov_b32 s69, 0x40200000
	s_mov_b32 s71, 0x3e843550
	s_mov_b32 s73, 0x401c0000
	s_mov_b32 s75, 0x3ee4f051
	s_mov_b32 s77, 0x40180000
	s_mov_b32 s79, 0xbfc1bcb2
	s_mov_b32 s81, 0x40140000
	s_mov_b32 s83, 0x402903c2
	s_mov_b32 s85, 0xc06613ae
	s_mov_b32 s87, 0x40881a96
	s_mov_b32 s89, 0xc093ac8e
	s_mov_b32 s91, 0x40852429
	s_mov_b32 s93, 0x3fefffff
	s_mov_b32 s95, 0x3fed67f1
	s_mov_b32 s23, 0xc01c0000
	s_mov_b32 s21, 0x4005bf0a
	s_mov_b32 s13, 0xbff71547
	v_writelane_b32 v134, s1, 16
                                        ; implicit-def: $sgpr26_sgpr27
                                        ; implicit-def: $sgpr28_sgpr29
	s_branch .LBB85_5
.LBB85_2:                               ;   in Loop: Header=BB85_5 Depth=1
	s_or_b64 exec, exec, s[2:3]
.LBB85_3:                               ;   in Loop: Header=BB85_5 Depth=1
	s_or_b64 exec, exec, s[0:1]
	v_cvt_f32_u32_e32 v2, v75
	v_readlane_b32 s0, v134, 7
	v_lshlrev_b64 v[0:1], 1, v[70:71]
	v_readlane_b32 s1, v134, 8
	v_mov_b32_e32 v3, s1
	v_cvt_f16_f32_e32 v2, v2
	v_add_co_u32_e32 v0, vcc, s0, v0
	v_addc_co_u32_e32 v1, vcc, v3, v1, vcc
	v_add_u32_e32 v94, s19, v94
	v_cmp_le_u32_e32 vcc, s33, v94
	s_andn2_b64 s[28:29], s[28:29], exec
	s_orn2_b64 s[0:1], vcc, exec
	global_store_short v[0:1], v2, off
.LBB85_4:                               ;   in Loop: Header=BB85_5 Depth=1
	s_or_b64 exec, exec, s[52:53]
	s_and_b64 s[0:1], exec, s[0:1]
	s_or_b64 s[16:17], s[0:1], s[16:17]
	s_andn2_b64 s[0:1], s[26:27], exec
	s_and_b64 s[2:3], s[28:29], exec
	s_or_b64 s[26:27], s[0:1], s[2:3]
	s_andn2_b64 exec, exec, s[16:17]
	s_cbranch_execz .LBB85_49
.LBB85_5:                               ; =>This Loop Header: Depth=1
                                        ;     Child Loop BB85_8 Depth 2
                                        ;     Child Loop BB85_16 Depth 2
	;; [unrolled: 1-line block ×3, first 2 shown]
	v_sub_u32_e32 v0, s33, v94
	v_cmp_lt_i32_e64 s[2:3], 0, v0
	v_pk_mov_b32 v[70:71], 0, 0
	s_and_saveexec_b64 s[0:1], s[2:3]
	s_cbranch_execz .LBB85_10
; %bb.6:                                ;   in Loop: Header=BB85_5 Depth=1
	v_readlane_b32 s4, v134, 15
	v_readlane_b32 s5, v134, 16
	s_and_b64 vcc, exec, s[4:5]
	v_mov_b32_e32 v0, 0
	v_mov_b32_e32 v2, v94
	s_cbranch_vccnz .LBB85_9
; %bb.7:                                ;   in Loop: Header=BB85_5 Depth=1
	v_readlane_b32 s4, v134, 11
	v_mov_b32_e32 v0, 0
	v_readlane_b32 s5, v134, 12
	s_mov_b32 s6, s10
	v_mov_b32_e32 v2, v94
.LBB85_8:                               ;   Parent Loop BB85_5 Depth=1
                                        ; =>  This Inner Loop Header: Depth=2
	s_load_dword s7, s[4:5], 0x0
	s_load_dword s12, s[4:5], 0x64
	v_mov_b32_e32 v1, v2
	s_add_i32 s6, s6, -1
	s_waitcnt lgkmcnt(0)
	v_cvt_f32_u32_e32 v2, s7
	s_sub_i32 s14, 0, s7
	s_add_u32 s4, s4, -4
	s_addc_u32 s5, s5, -1
	v_rcp_iflag_f32_e32 v2, v2
	s_cmp_gt_u32 s6, 2
	v_mul_f32_e32 v2, 0x4f7ffffe, v2
	v_cvt_u32_f32_e32 v2, v2
	v_mul_lo_u32 v3, s14, v2
	v_mul_hi_u32 v3, v2, v3
	v_add_u32_e32 v2, v2, v3
	v_mul_hi_u32 v2, v1, v2
	v_mul_lo_u32 v3, v2, s7
	v_sub_u32_e32 v3, v1, v3
	v_add_u32_e32 v4, 1, v2
	v_subrev_u32_e32 v5, s7, v3
	v_cmp_le_u32_e32 vcc, s7, v3
	v_cndmask_b32_e32 v2, v2, v4, vcc
	v_cndmask_b32_e32 v3, v3, v5, vcc
	v_add_u32_e32 v4, 1, v2
	v_cmp_le_u32_e32 vcc, s7, v3
	v_cndmask_b32_e32 v2, v2, v4, vcc
	v_mul_lo_u32 v3, v2, s7
	v_sub_u32_e32 v1, v1, v3
	v_mad_u64_u32 v[0:1], s[14:15], s12, v1, v[0:1]
	s_cbranch_scc1 .LBB85_8
.LBB85_9:                               ;   in Loop: Header=BB85_5 Depth=1
	v_readlane_b32 s4, v134, 6
	v_mad_u64_u32 v[70:71], s[4:5], s4, v2, v[0:1]
	v_mov_b32_e32 v71, v14
.LBB85_10:                              ;   in Loop: Header=BB85_5 Depth=1
	s_or_b64 exec, exec, s[0:1]
	v_mul_lo_u32 v0, v94, s18
	v_cndmask_b32_e64 v0, 0, v0, s[2:3]
	v_mov_b32_e32 v1, v14
	v_lshlrev_b64 v[0:1], 1, v[0:1]
	v_add_co_u32_e32 v0, vcc, s64, v0
	v_addc_co_u32_e32 v1, vcc, v13, v1, vcc
	global_load_ushort v6, v[0:1], off
	v_readlane_b32 s2, v134, 13
	v_readlane_b32 s3, v134, 14
	s_mov_b64 s[0:1], -1
	s_or_b64 s[28:29], s[28:29], exec
	s_waitcnt vmcnt(0)
	v_cmp_le_f16_e32 vcc, 0, v6
	s_and_b64 s[2:3], s[2:3], vcc
	s_and_saveexec_b64 s[52:53], s[2:3]
	s_cbranch_execz .LBB85_4
; %bb.11:                               ;   in Loop: Header=BB85_5 Depth=1
	v_readlane_b32 s0, v134, 9
	v_readlane_b32 s1, v134, 10
	s_andn2_b64 vcc, exec, s[0:1]
	v_readlane_b32 s0, v134, 0
	v_readlane_b32 s1, v134, 1
	;; [unrolled: 1-line block ×4, first 2 shown]
	v_pk_mov_b32 v[0:1], s[2:3], s[2:3] op_sel:[0,1]
	v_pk_mov_b32 v[72:73], s[0:1], s[0:1] op_sel:[0,1]
	s_cbranch_vccnz .LBB85_13
; %bb.12:                               ;   in Loop: Header=BB85_5 Depth=1
	v_readlane_b32 s0, v134, 0
	v_readlane_b32 s2, v134, 2
	;; [unrolled: 1-line block ×3, first 2 shown]
	v_pk_mov_b32 v[0:1], s[2:3], s[2:3] op_sel:[0,1]
	v_readlane_b32 s1, v134, 1
	flat_load_dwordx2 v[0:1], v[0:1]
	v_pk_mov_b32 v[2:3], s[0:1], s[0:1] op_sel:[0,1]
	flat_load_dwordx2 v[72:73], v[2:3]
	v_readlane_b32 s0, v134, 4
	v_readlane_b32 s1, v134, 5
	v_mov_b32_e32 v2, s1
	s_waitcnt vmcnt(0) lgkmcnt(0)
	v_add_co_u32_e32 v0, vcc, s0, v0
	v_addc_co_u32_e32 v1, vcc, v1, v2, vcc
.LBB85_13:                              ;   in Loop: Header=BB85_5 Depth=1
	v_alignbit_b32 v96, v1, v0, 2
	v_and_b32_e32 v15, 3, v0
	v_lshrrev_b32_e32 v97, 2, v1
	v_mad_u64_u32 v[0:1], s[0:1], v96, s11, 0
	v_xor_b32_e32 v3, v16, v72
	v_mov_b32_e32 v2, v73
	v_xor_b32_e32 v1, v1, v73
	s_mov_b32 s0, 0xbb67ae85
	v_xor_b32_e32 v3, v3, v97
	v_add_co_u32_e32 v99, vcc, s0, v2
	v_mad_u64_u32 v[4:5], s[0:1], v3, s11, 0
	v_mad_u64_u32 v[8:9], s[0:1], v1, s8, 0
	v_add_co_u32_e32 v98, vcc, 0x9e3779b9, v72
	v_xor_b32_e32 v1, v12, v9
	v_xor_b32_e32 v3, v99, v5
	s_mov_b32 s0, 0x3c6ef372
	v_xor_b32_e32 v1, v1, v98
	v_xor_b32_e32 v3, v3, v0
	v_add_co_u32_e32 v100, vcc, s0, v72
	s_mov_b32 s0, 0x76cf5d0a
	v_add_co_u32_e32 v101, vcc, s0, v2
	v_mad_u64_u32 v[0:1], s[0:1], v1, s11, 0
	v_mad_u64_u32 v[10:11], s[0:1], v3, s8, 0
	v_xor_b32_e32 v3, v100, v11
	v_xor_b32_e32 v1, v101, v1
	s_mov_b32 s0, 0xdaa66d2b
	v_xor_b32_e32 v3, v3, v8
	v_xor_b32_e32 v1, v1, v4
	v_add_co_u32_e32 v103, vcc, s0, v72
	s_mov_b32 s0, 0x32370b8f
	v_add_co_u32_e32 v104, vcc, s0, v2
	v_mad_u64_u32 v[4:5], s[0:1], v3, s11, 0
	v_mad_u64_u32 v[8:9], s[0:1], v1, s8, 0
	;; [unrolled: 10-line block ×7, first 2 shown]
	v_xor_b32_e32 v1, v102, v1
	v_xor_b32_e32 v1, v1, v8
	;; [unrolled: 1-line block ×4, first 2 shown]
	v_mad_u64_u32 v[4:5], s[0:1], v1, s11, 0
	v_mov_b32_e32 v3, v4
	v_cvt_f32_f16_e32 v4, v6
	v_mad_u64_u32 v[8:9], s[0:1], v7, s8, 0
	v_add_u32_e32 v105, 0x8ff34781, v72
	v_add_u32_e32 v95, 0x96a522ad, v73
	v_xor_b32_e32 v0, v9, v0
	v_xor_b32_e32 v2, v5, v2
	s_movk_i32 s0, 0x5400
	v_mov_b32_e32 v1, v8
	v_xor_b32_e32 v0, v105, v0
	v_xor_b32_e32 v2, v95, v2
	v_cvt_f64_f32_e32 v[4:5], v4
	v_cmp_ngt_f16_e32 vcc, s0, v6
                                        ; implicit-def: $vgpr75
	s_and_saveexec_b64 s[0:1], vcc
	s_xor_b64 s[4:5], exec, s[0:1]
	s_cbranch_execz .LBB85_42
; %bb.14:                               ;   in Loop: Header=BB85_5 Depth=1
	s_movk_i32 s0, 0x6bd0
	v_cmp_ge_f16_e32 vcc, s0, v6
                                        ; implicit-def: $vgpr75
	s_and_saveexec_b64 s[0:1], vcc
	s_xor_b64 s[14:15], exec, s[0:1]
	s_cbranch_execz .LBB85_29
; %bb.15:                               ;   in Loop: Header=BB85_5 Depth=1
	s_mov_b32 s6, 0xae147ae1
	s_mov_b32 s7, 0xc00ae147
	v_div_scale_f64 v[6:7], s[0:1], v[4:5], v[4:5], s[6:7]
	v_rcp_f64_e32 v[8:9], v[6:7]
	s_mov_b32 s0, 0
	v_mul_f64 v[76:77], v[4:5], s[24:25]
	s_brev_b32 s1, 8
	v_cmp_gt_f64_e64 s[2:3], s[0:1], v[76:77]
	v_cndmask_b32_e64 v78, 0, 1, s[2:3]
	v_fma_f64 v[74:75], -v[6:7], v[8:9], 1.0
	v_lshlrev_b32_e32 v78, 8, v78
	v_fmac_f64_e32 v[8:9], v[8:9], v[74:75]
	v_ldexp_f64 v[76:77], v[76:77], v78
	v_fma_f64 v[74:75], -v[6:7], v[8:9], 1.0
	v_rsq_f64_e32 v[78:79], v[76:77]
	v_div_scale_f64 v[10:11], vcc, s[6:7], v[4:5], s[6:7]
	v_fmac_f64_e32 v[8:9], v[8:9], v[74:75]
	v_mul_f64 v[74:75], v[10:11], v[8:9]
	v_fma_f64 v[6:7], -v[6:7], v[74:75], v[10:11]
	s_nop 0
	v_div_fmas_f64 v[6:7], v[6:7], v[8:9], v[74:75]
	v_mul_f64 v[8:9], v[76:77], v[78:79]
	v_mul_f64 v[10:11], v[78:79], 0.5
	v_fma_f64 v[74:75], -v[10:11], v[8:9], 0.5
	v_fmac_f64_e32 v[8:9], v[8:9], v[74:75]
	v_fma_f64 v[78:79], -v[8:9], v[8:9], v[76:77]
	v_fmac_f64_e32 v[10:11], v[10:11], v[74:75]
	v_fmac_f64_e32 v[8:9], v[78:79], v[10:11]
	v_fma_f64 v[74:75], -v[8:9], v[8:9], v[76:77]
	v_fmac_f64_e32 v[8:9], v[74:75], v[10:11]
	v_cndmask_b32_e64 v10, 0, v89, s[2:3]
	v_ldexp_f64 v[8:9], v[8:9], v10
	v_cmp_class_f64_e32 vcc, v[76:77], v88
	s_mov_b32 s2, 0x54442d18
	v_cndmask_b32_e32 v9, v9, v77, vcc
	v_cndmask_b32_e32 v8, v8, v76, vcc
	s_mov_b32 s3, 0x400921fb
	v_div_scale_f64 v[10:11], s[0:1], v[8:9], v[8:9], s[2:3]
	v_rcp_f64_e32 v[76:77], v[10:11]
	s_mov_b32 s0, 0x95810625
	v_div_fixup_f64 v[6:7], v[6:7], v[4:5], s[6:7]
	s_mov_b32 s1, 0x3fe88b43
	v_fma_f64 v[78:79], -v[10:11], v[76:77], 1.0
	v_fmac_f64_e32 v[76:77], v[76:77], v[78:79]
	v_fma_f64 v[78:79], -v[10:11], v[76:77], 1.0
	v_fmac_f64_e32 v[76:77], v[76:77], v[78:79]
	v_div_scale_f64 v[78:79], vcc, s[2:3], v[8:9], s[2:3]
	v_mul_f64 v[80:81], v[78:79], v[76:77]
	v_fma_f64 v[10:11], -v[10:11], v[80:81], v[78:79]
	v_add_f64 v[6:7], v[6:7], s[0:1]
	s_nop 0
	v_div_fmas_f64 v[10:11], v[10:11], v[76:77], v[80:81]
	v_div_fixup_f64 v[76:77], v[10:11], v[8:9], s[2:3]
	v_frexp_mant_f64_e32 v[8:9], v[6:7]
	v_cmp_gt_f64_e32 vcc, s[30:31], v[8:9]
	v_mov_b32_e32 v74, 0
	v_cndmask_b32_e64 v75, v90, 2.0, vcc
	v_frexp_exp_i32_f64_e32 v10, v[6:7]
	v_mul_f64 v[8:9], v[8:9], v[74:75]
	v_subbrev_co_u32_e32 v75, vcc, 0, v10, vcc
	v_add_f64 v[10:11], v[8:9], 1.0
	v_rcp_f64_e32 v[80:81], v[10:11]
	v_add_f64 v[84:85], v[10:11], -1.0
	v_add_f64 v[82:83], v[8:9], -1.0
	v_add_f64 v[8:9], v[8:9], -v[84:85]
	v_fma_f64 v[84:85], -v[10:11], v[80:81], 1.0
	v_fmac_f64_e32 v[80:81], v[84:85], v[80:81]
	v_fma_f64 v[84:85], -v[10:11], v[80:81], 1.0
	v_fmac_f64_e32 v[80:81], v[84:85], v[80:81]
	v_mul_f64 v[84:85], v[82:83], v[80:81]
	v_mul_f64 v[86:87], v[10:11], v[84:85]
	v_fma_f64 v[10:11], v[84:85], v[10:11], -v[86:87]
	v_fmac_f64_e32 v[10:11], v[84:85], v[8:9]
	v_add_f64 v[8:9], v[86:87], v[10:11]
	v_add_f64 v[116:117], v[82:83], -v[8:9]
	v_add_f64 v[86:87], v[8:9], -v[86:87]
	;; [unrolled: 1-line block ×5, first 2 shown]
	v_add_f64 v[8:9], v[10:11], v[8:9]
	v_add_f64 v[8:9], v[116:117], v[8:9]
	v_mul_f64 v[8:9], v[80:81], v[8:9]
	v_add_f64 v[10:11], v[84:85], v[8:9]
	v_add_f64 v[80:81], v[10:11], -v[84:85]
	v_add_f64 v[8:9], v[8:9], -v[80:81]
	v_mul_f64 v[80:81], v[10:11], v[10:11]
	v_pk_mov_b32 v[82:83], s[34:35], s[34:35] op_sel:[0,1]
	v_fma_f64 v[84:85], s[36:37], v[80:81], v[82:83]
	v_fma_f64 v[84:85], v[80:81], v[84:85], s[38:39]
	;; [unrolled: 1-line block ×5, first 2 shown]
	s_mov_b32 s47, s31
	v_fma_f64 v[84:85], v[80:81], v[84:85], s[46:47]
	v_ldexp_f64 v[86:87], v[10:11], 1
	v_mul_f64 v[10:11], v[10:11], v[80:81]
	v_mul_f64 v[10:11], v[10:11], v[84:85]
	v_add_f64 v[80:81], v[86:87], v[10:11]
	v_add_f64 v[84:85], v[80:81], -v[86:87]
	v_ldexp_f64 v[8:9], v[8:9], 1
	v_add_f64 v[10:11], v[10:11], -v[84:85]
	v_add_f64 v[8:9], v[8:9], v[10:11]
	v_add_f64 v[10:11], v[80:81], v[8:9]
	v_add_f64 v[80:81], v[10:11], -v[80:81]
	v_add_f64 v[8:9], v[8:9], -v[80:81]
	v_cvt_f64_i32_e32 v[80:81], v75
	v_mul_f64 v[84:85], v[80:81], s[48:49]
	v_fma_f64 v[86:87], v[80:81], s[48:49], -v[84:85]
	v_fmac_f64_e32 v[86:87], s[50:51], v[80:81]
	v_add_f64 v[80:81], v[84:85], v[86:87]
	v_add_f64 v[84:85], v[80:81], -v[84:85]
	v_add_f64 v[84:85], v[86:87], -v[84:85]
	v_add_f64 v[86:87], v[80:81], v[10:11]
	v_add_f64 v[116:117], v[86:87], -v[80:81]
	v_add_f64 v[118:119], v[86:87], -v[116:117]
	v_add_f64 v[80:81], v[80:81], -v[118:119]
	v_add_f64 v[10:11], v[10:11], -v[116:117]
	v_add_f64 v[10:11], v[10:11], v[80:81]
	v_add_f64 v[80:81], v[84:85], v[8:9]
	v_add_f64 v[116:117], v[80:81], -v[84:85]
	v_add_f64 v[118:119], v[80:81], -v[116:117]
	v_add_f64 v[10:11], v[80:81], v[10:11]
	v_add_f64 v[84:85], v[84:85], -v[118:119]
	v_add_f64 v[8:9], v[8:9], -v[116:117]
	v_add_f64 v[80:81], v[86:87], v[10:11]
	v_add_f64 v[8:9], v[8:9], v[84:85]
	v_add_f64 v[84:85], v[80:81], -v[86:87]
	v_add_f64 v[10:11], v[10:11], -v[84:85]
	v_add_f64 v[8:9], v[8:9], v[10:11]
	v_add_f64 v[8:9], v[80:81], v[8:9]
	v_cmp_class_f64_e64 vcc, v[6:7], s9
	v_cndmask_b32_e32 v8, v8, v6, vcc
	v_cndmask_b32_e32 v9, v9, v7, vcc
	v_cmp_ngt_f64_e32 vcc, 0, v[6:7]
	v_cndmask_b32_e32 v9, v91, v9, vcc
	v_cmp_nge_f64_e32 vcc, 0, v[6:7]
	v_cndmask_b32_e32 v8, 0, v8, vcc
	v_cmp_neq_f64_e32 vcc, 0, v[6:7]
	v_cndmask_b32_e32 v9, v92, v9, vcc
	v_add_f64 v[6:7], v[8:9], -v[4:5]
	v_frexp_mant_f64_e32 v[8:9], v[76:77]
	v_cmp_gt_f64_e32 vcc, s[30:31], v[8:9]
	v_cndmask_b32_e64 v75, v90, 2.0, vcc
	v_frexp_exp_i32_f64_e32 v10, v[76:77]
	v_mul_f64 v[8:9], v[8:9], v[74:75]
	v_subbrev_co_u32_e32 v75, vcc, 0, v10, vcc
	v_add_f64 v[10:11], v[8:9], 1.0
	v_rcp_f64_e32 v[80:81], v[10:11]
	v_add_f64 v[86:87], v[10:11], -1.0
	v_add_f64 v[84:85], v[8:9], -1.0
	v_add_f64 v[8:9], v[8:9], -v[86:87]
	v_fma_f64 v[86:87], -v[10:11], v[80:81], 1.0
	v_fmac_f64_e32 v[80:81], v[86:87], v[80:81]
	v_fma_f64 v[86:87], -v[10:11], v[80:81], 1.0
	v_fmac_f64_e32 v[80:81], v[86:87], v[80:81]
	v_mul_f64 v[86:87], v[84:85], v[80:81]
	v_mul_f64 v[116:117], v[10:11], v[86:87]
	v_fma_f64 v[10:11], v[86:87], v[10:11], -v[116:117]
	v_fmac_f64_e32 v[10:11], v[86:87], v[8:9]
	v_add_f64 v[8:9], v[116:117], v[10:11]
	v_add_f64 v[118:119], v[84:85], -v[8:9]
	v_add_f64 v[116:117], v[8:9], -v[116:117]
	;; [unrolled: 1-line block ×5, first 2 shown]
	v_add_f64 v[8:9], v[10:11], v[8:9]
	v_add_f64 v[8:9], v[118:119], v[8:9]
	v_mul_f64 v[8:9], v[80:81], v[8:9]
	v_add_f64 v[10:11], v[86:87], v[8:9]
	v_add_f64 v[80:81], v[10:11], -v[86:87]
	v_add_f64 v[8:9], v[8:9], -v[80:81]
	v_mul_f64 v[80:81], v[10:11], v[10:11]
	v_fma_f64 v[84:85], s[36:37], v[80:81], v[82:83]
	v_fma_f64 v[84:85], v[80:81], v[84:85], s[38:39]
	;; [unrolled: 1-line block ×6, first 2 shown]
	v_ldexp_f64 v[86:87], v[10:11], 1
	v_mul_f64 v[10:11], v[10:11], v[80:81]
	v_mul_f64 v[10:11], v[10:11], v[84:85]
	v_add_f64 v[80:81], v[86:87], v[10:11]
	v_add_f64 v[84:85], v[80:81], -v[86:87]
	v_ldexp_f64 v[8:9], v[8:9], 1
	v_add_f64 v[10:11], v[10:11], -v[84:85]
	v_add_f64 v[8:9], v[8:9], v[10:11]
	v_add_f64 v[10:11], v[80:81], v[8:9]
	v_add_f64 v[80:81], v[10:11], -v[80:81]
	v_add_f64 v[8:9], v[8:9], -v[80:81]
	v_cvt_f64_i32_e32 v[80:81], v75
	v_mul_f64 v[84:85], v[80:81], s[48:49]
	v_fma_f64 v[86:87], v[80:81], s[48:49], -v[84:85]
	v_fmac_f64_e32 v[86:87], s[50:51], v[80:81]
	v_add_f64 v[80:81], v[84:85], v[86:87]
	v_add_f64 v[84:85], v[80:81], -v[84:85]
	v_add_f64 v[84:85], v[86:87], -v[84:85]
	v_add_f64 v[86:87], v[80:81], v[10:11]
	v_add_f64 v[116:117], v[86:87], -v[80:81]
	v_add_f64 v[118:119], v[86:87], -v[116:117]
	;; [unrolled: 1-line block ×4, first 2 shown]
	v_add_f64 v[10:11], v[10:11], v[80:81]
	v_add_f64 v[80:81], v[84:85], v[8:9]
	v_add_f64 v[116:117], v[80:81], -v[84:85]
	v_add_f64 v[118:119], v[80:81], -v[116:117]
	v_add_f64 v[10:11], v[80:81], v[10:11]
	v_add_f64 v[84:85], v[84:85], -v[118:119]
	v_add_f64 v[8:9], v[8:9], -v[116:117]
	v_add_f64 v[80:81], v[86:87], v[10:11]
	v_add_f64 v[8:9], v[8:9], v[84:85]
	v_add_f64 v[84:85], v[80:81], -v[86:87]
	v_add_f64 v[10:11], v[10:11], -v[84:85]
	s_mov_b32 s0, 0
	v_add_f64 v[8:9], v[8:9], v[10:11]
	s_mov_b32 s1, 0x7ff00000
	v_add_f64 v[8:9], v[80:81], v[8:9]
	v_cmp_eq_f64_e32 vcc, s[0:1], v[76:77]
	v_cndmask_b32_e32 v8, v8, v76, vcc
	v_cndmask_b32_e32 v9, v9, v77, vcc
	v_cmp_neq_f64_e32 vcc, 0, v[76:77]
	v_cndmask_b32_e32 v9, v92, v9, vcc
	v_cndmask_b32_e32 v8, 0, v8, vcc
	v_mul_f64 v[78:79], v[76:77], v[4:5]
	v_add_f64 v[80:81], v[6:7], -v[8:9]
	v_frexp_exp_i32_f64_e32 v6, v[4:5]
	v_frexp_mant_f64_e32 v[4:5], v[4:5]
	v_cmp_gt_f64_e32 vcc, s[30:31], v[4:5]
	v_cndmask_b32_e64 v75, v90, 2.0, vcc
	v_mul_f64 v[4:5], v[4:5], v[74:75]
	v_subbrev_co_u32_e32 v75, vcc, 0, v6, vcc
	v_add_f64 v[6:7], v[4:5], 1.0
	v_rcp_f64_e32 v[8:9], v[6:7]
	v_add_f64 v[84:85], v[6:7], -1.0
	v_add_f64 v[10:11], v[4:5], -1.0
	v_add_f64 v[4:5], v[4:5], -v[84:85]
	v_fma_f64 v[84:85], -v[6:7], v[8:9], 1.0
	v_fmac_f64_e32 v[8:9], v[84:85], v[8:9]
	v_fma_f64 v[84:85], -v[6:7], v[8:9], 1.0
	v_fmac_f64_e32 v[8:9], v[84:85], v[8:9]
	v_mul_f64 v[84:85], v[10:11], v[8:9]
	v_mul_f64 v[86:87], v[6:7], v[84:85]
	v_fma_f64 v[6:7], v[84:85], v[6:7], -v[86:87]
	v_fmac_f64_e32 v[6:7], v[84:85], v[4:5]
	v_add_f64 v[4:5], v[86:87], v[6:7]
	v_add_f64 v[116:117], v[10:11], -v[4:5]
	v_add_f64 v[86:87], v[4:5], -v[86:87]
	;; [unrolled: 1-line block ×5, first 2 shown]
	v_add_f64 v[4:5], v[6:7], v[4:5]
	v_add_f64 v[4:5], v[116:117], v[4:5]
	v_mul_f64 v[4:5], v[8:9], v[4:5]
	v_add_f64 v[6:7], v[84:85], v[4:5]
	v_add_f64 v[8:9], v[6:7], -v[84:85]
	v_add_f64 v[4:5], v[4:5], -v[8:9]
	v_mul_f64 v[8:9], v[6:7], v[6:7]
	v_fmac_f64_e32 v[82:83], s[36:37], v[8:9]
	v_fma_f64 v[10:11], v[8:9], v[82:83], s[38:39]
	v_fma_f64 v[10:11], v[8:9], v[10:11], s[40:41]
	;; [unrolled: 1-line block ×5, first 2 shown]
	v_ldexp_f64 v[82:83], v[6:7], 1
	v_mul_f64 v[6:7], v[6:7], v[8:9]
	v_mul_f64 v[6:7], v[6:7], v[10:11]
	v_add_f64 v[8:9], v[82:83], v[6:7]
	v_add_f64 v[10:11], v[8:9], -v[82:83]
	v_ldexp_f64 v[4:5], v[4:5], 1
	v_add_f64 v[6:7], v[6:7], -v[10:11]
	v_add_f64 v[4:5], v[4:5], v[6:7]
	v_add_f64 v[6:7], v[8:9], v[4:5]
	v_add_f64 v[8:9], v[6:7], -v[8:9]
	v_add_f64 v[4:5], v[4:5], -v[8:9]
	v_cvt_f64_i32_e32 v[8:9], v75
	v_mul_f64 v[10:11], v[8:9], s[48:49]
	v_fma_f64 v[82:83], v[8:9], s[48:49], -v[10:11]
	v_fmac_f64_e32 v[82:83], s[50:51], v[8:9]
	v_add_f64 v[8:9], v[10:11], v[82:83]
	v_add_f64 v[10:11], v[8:9], -v[10:11]
	v_add_f64 v[10:11], v[82:83], -v[10:11]
	v_add_f64 v[82:83], v[8:9], v[6:7]
	v_add_f64 v[84:85], v[82:83], -v[8:9]
	v_add_f64 v[86:87], v[82:83], -v[84:85]
	;; [unrolled: 1-line block ×4, first 2 shown]
	v_add_f64 v[6:7], v[6:7], v[8:9]
	v_add_f64 v[8:9], v[10:11], v[4:5]
	v_add_f64 v[84:85], v[8:9], -v[10:11]
	v_add_f64 v[86:87], v[8:9], -v[84:85]
	v_add_f64 v[6:7], v[8:9], v[6:7]
	v_add_f64 v[10:11], v[10:11], -v[86:87]
	v_add_f64 v[4:5], v[4:5], -v[84:85]
	v_add_f64 v[8:9], v[82:83], v[6:7]
	v_add_f64 v[4:5], v[4:5], v[10:11]
	v_add_f64 v[10:11], v[8:9], -v[82:83]
	v_add_f64 v[6:7], v[6:7], -v[10:11]
	v_add_f64 v[4:5], v[4:5], v[6:7]
	s_mov_b32 s65, s19
	s_mov_b32 s12, s18
	v_add_f64 v[82:83], v[8:9], v[4:5]
	s_mov_b64 s[6:7], 0
	s_mov_b64 s[18:19], 0
	v_mov_b32_e32 v115, v17
                                        ; implicit-def: $vgpr75
.LBB85_16:                              ;   Parent Loop BB85_5 Depth=1
                                        ; =>  This Inner Loop Header: Depth=2
	v_add_u32_e32 v116, 1, v15
	v_pk_mov_b32 v[10:11], v[2:3], v[2:3] op_sel:[0,1]
	v_cmp_eq_u32_e32 vcc, 4, v116
	v_pk_mov_b32 v[8:9], v[0:1], v[0:1] op_sel:[0,1]
	v_mov_b32_e32 v87, v0
	v_mov_b32_e32 v86, v1
	;; [unrolled: 1-line block ×4, first 2 shown]
	s_and_saveexec_b64 s[0:1], vcc
	s_cbranch_execz .LBB85_18
; %bb.17:                               ;   in Loop: Header=BB85_16 Depth=2
	v_add_co_u32_e32 v96, vcc, 1, v96
	v_cndmask_b32_e64 v4, 0, 1, vcc
	v_addc_co_u32_e32 v97, vcc, 0, v97, vcc
	v_cmp_eq_u32_e32 vcc, 0, v97
	v_cndmask_b32_e32 v4, 0, v4, vcc
	v_add_u32_e32 v115, v4, v115
	v_cmp_eq_u32_e32 vcc, 0, v115
	v_cndmask_b32_e32 v4, 0, v4, vcc
	v_add_u32_e32 v74, v4, v74
	v_mad_u64_u32 v[4:5], s[2:3], v96, s11, 0
	v_mad_u64_u32 v[6:7], s[2:3], v115, s8, 0
	v_xor_b32_e32 v5, v5, v73
	v_xor_b32_e32 v7, v7, v72
	v_xor_b32_e32 v5, v74, v5
	v_xor_b32_e32 v7, v97, v7
	v_mad_u64_u32 v[10:11], s[2:3], v5, s8, 0
	v_mad_u64_u32 v[8:9], s[2:3], v7, s11, 0
	v_xor_b32_e32 v5, v98, v11
	v_xor_b32_e32 v5, v5, v6
	v_xor_b32_e32 v6, v99, v9
	v_xor_b32_e32 v6, v6, v4
	;; [unrolled: 6-line block ×10, first 2 shown]
	v_mov_b32_e32 v116, 0
	v_mov_b32_e32 v9, v86
	;; [unrolled: 1-line block ×5, first 2 shown]
.LBB85_18:                              ;   in Loop: Header=BB85_16 Depth=2
	s_or_b64 exec, exec, s[0:1]
	v_add_u32_e32 v117, 1, v116
	v_pk_mov_b32 v[4:5], v[8:9], v[8:9] op_sel:[0,1]
	v_cmp_eq_u32_e32 vcc, 4, v117
	v_pk_mov_b32 v[6:7], v[10:11], v[10:11] op_sel:[0,1]
	s_and_saveexec_b64 s[0:1], vcc
	s_cbranch_execz .LBB85_20
; %bb.19:                               ;   in Loop: Header=BB85_16 Depth=2
	v_add_co_u32_e32 v96, vcc, 1, v96
	v_cndmask_b32_e64 v4, 0, 1, vcc
	v_addc_co_u32_e32 v97, vcc, 0, v97, vcc
	v_cmp_eq_u32_e32 vcc, 0, v97
	v_cndmask_b32_e32 v4, 0, v4, vcc
	v_add_u32_e32 v115, v4, v115
	v_cmp_eq_u32_e32 vcc, 0, v115
	v_cndmask_b32_e32 v4, 0, v4, vcc
	v_add_u32_e32 v74, v4, v74
	v_mad_u64_u32 v[4:5], s[2:3], v96, s11, 0
	v_mad_u64_u32 v[6:7], s[2:3], v115, s8, 0
	v_xor_b32_e32 v5, v5, v73
	v_xor_b32_e32 v7, v7, v72
	v_xor_b32_e32 v5, v74, v5
	v_xor_b32_e32 v7, v97, v7
	v_mad_u64_u32 v[86:87], s[2:3], v5, s8, 0
	v_mad_u64_u32 v[84:85], s[2:3], v7, s11, 0
	v_xor_b32_e32 v5, v98, v87
	v_xor_b32_e32 v5, v5, v6
	v_xor_b32_e32 v6, v99, v85
	v_xor_b32_e32 v6, v6, v4
	;; [unrolled: 6-line block ×10, first 2 shown]
	v_mov_b32_e32 v117, 0
	v_mov_b32_e32 v5, v86
	;; [unrolled: 1-line block ×5, first 2 shown]
.LBB85_20:                              ;   in Loop: Header=BB85_16 Depth=2
	s_or_b64 exec, exec, s[0:1]
	v_cmp_eq_u32_e32 vcc, 1, v15
	v_cndmask_b32_e32 v0, v0, v1, vcc
	v_cmp_eq_u32_e32 vcc, 2, v15
	v_cndmask_b32_e32 v0, v0, v2, vcc
	v_cmp_eq_u32_e32 vcc, 3, v15
	v_cndmask_b32_e32 v2, v0, v3, vcc
	v_cmp_eq_u32_e32 vcc, 1, v116
	v_cndmask_b32_e32 v0, v8, v9, vcc
	v_cmp_eq_u32_e32 vcc, 2, v116
	v_cndmask_b32_e32 v0, v0, v10, vcc
	v_cmp_eq_u32_e32 vcc, 3, v116
	v_cndmask_b32_e32 v0, v0, v11, vcc
	v_lshrrev_b32_e32 v0, 11, v0
	v_cvt_f64_u32_e32 v[0:1], v0
	v_ldexp_f64 v[0:1], v[0:1], 32
	v_cvt_f64_u32_e32 v[2:3], v2
	v_add_f64 v[0:1], v[0:1], v[2:3]
	v_mov_b32_e32 v2, 0
	v_mov_b32_e32 v3, 0x3ca00000
	v_fmac_f64_e32 v[2:3], 0x3ca00000, v[0:1]
	v_add_f64 v[0:1], -v[2:3], 1.0
	v_div_scale_f64 v[8:9], s[0:1], v[2:3], v[2:3], v[0:1]
	v_rcp_f64_e32 v[10:11], v[8:9]
	v_fma_f64 v[118:119], -v[8:9], v[10:11], 1.0
	v_fmac_f64_e32 v[10:11], v[10:11], v[118:119]
	v_fma_f64 v[118:119], -v[8:9], v[10:11], 1.0
	v_fmac_f64_e32 v[10:11], v[10:11], v[118:119]
	v_div_scale_f64 v[118:119], vcc, v[0:1], v[2:3], v[0:1]
	v_mul_f64 v[120:121], v[118:119], v[10:11]
	v_fma_f64 v[8:9], -v[8:9], v[120:121], v[118:119]
	s_nop 1
	v_div_fmas_f64 v[8:9], v[8:9], v[10:11], v[120:121]
	v_div_fixup_f64 v[0:1], v[8:9], v[2:3], v[0:1]
	v_frexp_mant_f64_e32 v[2:3], v[0:1]
	v_cmp_gt_f64_e32 vcc, s[30:31], v[2:3]
	v_cndmask_b32_e64 v15, v90, 2.0, vcc
	v_frexp_exp_i32_f64_e32 v8, v[0:1]
	v_mul_f64 v[2:3], v[2:3], v[14:15]
	v_subbrev_co_u32_e32 v15, vcc, 0, v8, vcc
	v_add_f64 v[8:9], v[2:3], 1.0
	v_rcp_f64_e32 v[10:11], v[8:9]
	v_add_f64 v[120:121], v[8:9], -1.0
	v_add_f64 v[118:119], v[2:3], -1.0
	v_add_f64 v[2:3], v[2:3], -v[120:121]
	v_fma_f64 v[120:121], -v[8:9], v[10:11], 1.0
	v_fmac_f64_e32 v[10:11], v[120:121], v[10:11]
	v_fma_f64 v[120:121], -v[8:9], v[10:11], 1.0
	v_fmac_f64_e32 v[10:11], v[120:121], v[10:11]
	v_mul_f64 v[120:121], v[118:119], v[10:11]
	v_mul_f64 v[122:123], v[8:9], v[120:121]
	v_fma_f64 v[8:9], v[120:121], v[8:9], -v[122:123]
	v_fmac_f64_e32 v[8:9], v[120:121], v[2:3]
	v_add_f64 v[2:3], v[122:123], v[8:9]
	v_add_f64 v[124:125], v[118:119], -v[2:3]
	v_add_f64 v[122:123], v[2:3], -v[122:123]
	;; [unrolled: 1-line block ×5, first 2 shown]
	v_add_f64 v[2:3], v[8:9], v[2:3]
	v_add_f64 v[2:3], v[124:125], v[2:3]
	v_mul_f64 v[2:3], v[10:11], v[2:3]
	v_add_f64 v[8:9], v[120:121], v[2:3]
	v_add_f64 v[10:11], v[8:9], -v[120:121]
	v_add_f64 v[2:3], v[2:3], -v[10:11]
	v_mul_f64 v[10:11], v[8:9], v[8:9]
	v_pk_mov_b32 v[118:119], v[18:19], v[18:19] op_sel:[0,1]
	v_fmac_f64_e32 v[118:119], s[36:37], v[10:11]
	v_pk_mov_b32 v[120:121], v[20:21], v[20:21] op_sel:[0,1]
	v_fmac_f64_e32 v[120:121], v[10:11], v[118:119]
	;; [unrolled: 2-line block ×6, first 2 shown]
	v_ldexp_f64 v[118:119], v[8:9], 1
	v_mul_f64 v[8:9], v[8:9], v[10:11]
	v_mul_f64 v[8:9], v[8:9], v[120:121]
	v_add_f64 v[10:11], v[118:119], v[8:9]
	v_add_f64 v[118:119], v[10:11], -v[118:119]
	v_ldexp_f64 v[2:3], v[2:3], 1
	v_add_f64 v[8:9], v[8:9], -v[118:119]
	v_add_f64 v[2:3], v[2:3], v[8:9]
	v_add_f64 v[8:9], v[10:11], v[2:3]
	v_add_f64 v[10:11], v[8:9], -v[10:11]
	v_add_f64 v[2:3], v[2:3], -v[10:11]
	v_cvt_f64_i32_e32 v[10:11], v15
	v_mul_f64 v[118:119], v[10:11], s[48:49]
	v_fma_f64 v[120:121], v[10:11], s[48:49], -v[118:119]
	v_fmac_f64_e32 v[120:121], s[50:51], v[10:11]
	v_add_f64 v[10:11], v[118:119], v[120:121]
	v_add_f64 v[118:119], v[10:11], -v[118:119]
	v_add_f64 v[118:119], v[120:121], -v[118:119]
	v_add_f64 v[120:121], v[10:11], v[8:9]
	v_add_f64 v[122:123], v[120:121], -v[10:11]
	v_add_f64 v[124:125], v[120:121], -v[122:123]
	;; [unrolled: 1-line block ×4, first 2 shown]
	v_add_f64 v[8:9], v[8:9], v[10:11]
	v_add_f64 v[10:11], v[118:119], v[2:3]
	v_add_f64 v[122:123], v[10:11], -v[118:119]
	v_add_f64 v[124:125], v[10:11], -v[122:123]
	v_add_f64 v[8:9], v[10:11], v[8:9]
	v_add_f64 v[118:119], v[118:119], -v[124:125]
	v_add_f64 v[2:3], v[2:3], -v[122:123]
	v_add_f64 v[10:11], v[120:121], v[8:9]
	v_add_f64 v[2:3], v[2:3], v[118:119]
	v_add_f64 v[118:119], v[10:11], -v[120:121]
	v_add_f64 v[8:9], v[8:9], -v[118:119]
	v_add_f64 v[2:3], v[2:3], v[8:9]
	v_add_f64 v[2:3], v[10:11], v[2:3]
	v_cmp_class_f64_e64 vcc, v[0:1], s9
	v_cndmask_b32_e32 v2, v2, v0, vcc
	v_cndmask_b32_e32 v3, v3, v1, vcc
	v_cmp_ngt_f64_e32 vcc, 0, v[0:1]
	v_cndmask_b32_e32 v3, v91, v3, vcc
	v_cmp_nge_f64_e32 vcc, 0, v[0:1]
	v_cndmask_b32_e32 v2, 0, v2, vcc
	v_cmp_neq_f64_e32 vcc, 0, v[0:1]
	v_cndmask_b32_e32 v3, v92, v3, vcc
	v_add_f64 v[0:1], v[78:79], -v[2:3]
	v_div_scale_f64 v[2:3], s[0:1], v[76:77], v[76:77], v[0:1]
	v_rcp_f64_e32 v[8:9], v[2:3]
	v_fma_f64 v[10:11], -v[2:3], v[8:9], 1.0
	v_fmac_f64_e32 v[8:9], v[8:9], v[10:11]
	v_fma_f64 v[10:11], -v[2:3], v[8:9], 1.0
	v_fmac_f64_e32 v[8:9], v[8:9], v[10:11]
	v_div_scale_f64 v[10:11], vcc, v[0:1], v[76:77], v[0:1]
	v_mul_f64 v[118:119], v[10:11], v[8:9]
	v_fma_f64 v[2:3], -v[2:3], v[118:119], v[10:11]
	s_nop 1
	v_div_fmas_f64 v[2:3], v[2:3], v[8:9], v[118:119]
	v_div_fixup_f64 v[10:11], v[2:3], v[76:77], v[0:1]
	v_add_f64 v[0:1], v[10:11], 0.5
	v_floor_f64_e32 v[8:9], v[0:1]
	v_cmp_ngt_f64_e32 vcc, 0, v[8:9]
	v_mov_b32_e32 v118, 2
	s_and_saveexec_b64 s[0:1], vcc
	s_cbranch_execz .LBB85_26
; %bb.21:                               ;   in Loop: Header=BB85_16 Depth=2
	v_add_u32_e32 v15, 1, v117
	v_pk_mov_b32 v[0:1], v[4:5], v[4:5] op_sel:[0,1]
	v_cmp_eq_u32_e32 vcc, 4, v15
	v_pk_mov_b32 v[2:3], v[6:7], v[6:7] op_sel:[0,1]
	s_and_saveexec_b64 s[2:3], vcc
	s_cbranch_execz .LBB85_23
; %bb.22:                               ;   in Loop: Header=BB85_16 Depth=2
	v_add_co_u32_e32 v96, vcc, 1, v96
	v_cndmask_b32_e64 v0, 0, 1, vcc
	v_addc_co_u32_e32 v97, vcc, 0, v97, vcc
	v_cmp_eq_u32_e32 vcc, 0, v97
	v_cndmask_b32_e32 v0, 0, v0, vcc
	v_add_u32_e32 v115, v0, v115
	v_cmp_eq_u32_e32 vcc, 0, v115
	v_cndmask_b32_e32 v0, 0, v0, vcc
	v_add_u32_e32 v74, v0, v74
	v_mad_u64_u32 v[0:1], vcc, v96, s11, 0
	v_mad_u64_u32 v[2:3], vcc, v115, s8, 0
	v_xor_b32_e32 v1, v1, v73
	v_xor_b32_e32 v3, v3, v72
	v_xor_b32_e32 v1, v74, v1
	v_xor_b32_e32 v3, v97, v3
	v_mad_u64_u32 v[86:87], vcc, v1, s8, 0
	v_mad_u64_u32 v[84:85], vcc, v3, s11, 0
	v_xor_b32_e32 v1, v98, v87
	v_xor_b32_e32 v1, v1, v2
	v_xor_b32_e32 v2, v99, v85
	v_xor_b32_e32 v2, v2, v0
	;; [unrolled: 6-line block ×10, first 2 shown]
	v_mov_b32_e32 v15, 0
	v_mov_b32_e32 v1, v86
	;; [unrolled: 1-line block ×5, first 2 shown]
.LBB85_23:                              ;   in Loop: Header=BB85_16 Depth=2
	s_or_b64 exec, exec, s[2:3]
	v_add_u32_e32 v116, 1, v15
	v_cmp_eq_u32_e32 vcc, 4, v116
	s_and_saveexec_b64 s[2:3], vcc
	s_cbranch_execz .LBB85_25
; %bb.24:                               ;   in Loop: Header=BB85_16 Depth=2
	v_add_co_u32_e32 v96, vcc, 1, v96
	v_cndmask_b32_e64 v84, 0, 1, vcc
	v_addc_co_u32_e32 v97, vcc, 0, v97, vcc
	v_cmp_eq_u32_e32 vcc, 0, v97
	v_cndmask_b32_e32 v84, 0, v84, vcc
	v_add_u32_e32 v115, v84, v115
	v_cmp_eq_u32_e32 vcc, 0, v115
	v_cndmask_b32_e32 v84, 0, v84, vcc
	v_add_u32_e32 v74, v84, v74
	v_mad_u64_u32 v[84:85], vcc, v96, s11, 0
	v_mad_u64_u32 v[86:87], vcc, v115, s8, 0
	v_xor_b32_e32 v85, v85, v73
	v_xor_b32_e32 v87, v87, v72
	v_xor_b32_e32 v85, v74, v85
	v_xor_b32_e32 v87, v97, v87
	v_mad_u64_u32 v[120:121], vcc, v85, s8, 0
	v_mad_u64_u32 v[118:119], vcc, v87, s11, 0
	v_xor_b32_e32 v85, v98, v121
	v_xor_b32_e32 v85, v85, v86
	v_xor_b32_e32 v86, v99, v119
	v_xor_b32_e32 v86, v86, v84
	;; [unrolled: 6-line block ×9, first 2 shown]
	v_mad_u64_u32 v[84:85], vcc, v84, s11, 0
	v_mad_u64_u32 v[86:87], vcc, v86, s8, 0
	v_xor_b32_e32 v87, v87, v124
	v_xor_b32_e32 v85, v85, v122
	v_mov_b32_e32 v116, 0
	v_xor_b32_e32 v87, v105, v87
	v_xor_b32_e32 v85, v95, v85
.LBB85_25:                              ;   in Loop: Header=BB85_16 Depth=2
	s_or_b64 exec, exec, s[2:3]
	v_cmp_eq_u32_e32 vcc, 1, v117
	v_cndmask_b32_e32 v4, v4, v5, vcc
	v_cmp_eq_u32_e32 vcc, 2, v117
	v_cndmask_b32_e32 v4, v4, v6, vcc
	;; [unrolled: 2-line block ×6, first 2 shown]
	v_lshrrev_b32_e32 v0, 11, v0
	v_cvt_f64_u32_e32 v[0:1], v0
	v_ldexp_f64 v[0:1], v[0:1], 32
	v_cvt_f64_u32_e32 v[2:3], v4
	v_add_f64 v[0:1], v[0:1], v[2:3]
	v_mov_b32_e32 v2, 0
	v_mov_b32_e32 v3, 0x3ca00000
	v_fma_f64 v[4:5], -v[76:77], v[10:11], v[78:79]
	v_fmac_f64_e32 v[2:3], 0x3ca00000, v[0:1]
	v_mul_f64 v[0:1], v[4:5], s[54:55]
	v_rndne_f64_e32 v[0:1], v[0:1]
	s_mov_b32 s56, s48
	v_fma_f64 v[6:7], s[56:57], v[0:1], v[4:5]
	s_mov_b32 s58, s50
	v_fmac_f64_e32 v[6:7], s[58:59], v[0:1]
	v_pk_mov_b32 v[10:11], v[30:31], v[30:31] op_sel:[0,1]
	v_fmac_f64_e32 v[10:11], s[60:61], v[6:7]
	v_pk_mov_b32 v[118:119], v[32:33], v[32:33] op_sel:[0,1]
	v_fmac_f64_e32 v[118:119], v[6:7], v[10:11]
	v_pk_mov_b32 v[10:11], v[34:35], v[34:35] op_sel:[0,1]
	v_fmac_f64_e32 v[10:11], v[6:7], v[118:119]
	v_pk_mov_b32 v[118:119], v[36:37], v[36:37] op_sel:[0,1]
	v_fmac_f64_e32 v[118:119], v[6:7], v[10:11]
	v_pk_mov_b32 v[10:11], v[38:39], v[38:39] op_sel:[0,1]
	v_fmac_f64_e32 v[10:11], v[6:7], v[118:119]
	v_pk_mov_b32 v[118:119], v[40:41], v[40:41] op_sel:[0,1]
	v_fmac_f64_e32 v[118:119], v[6:7], v[10:11]
	v_pk_mov_b32 v[10:11], v[42:43], v[42:43] op_sel:[0,1]
	v_fmac_f64_e32 v[10:11], v[6:7], v[118:119]
	v_pk_mov_b32 v[118:119], v[44:45], v[44:45] op_sel:[0,1]
	v_fmac_f64_e32 v[118:119], v[6:7], v[10:11]
	v_pk_mov_b32 v[10:11], v[46:47], v[46:47] op_sel:[0,1]
	v_fmac_f64_e32 v[10:11], v[6:7], v[118:119]
	v_fma_f64 v[10:11], v[6:7], v[10:11], 1.0
	v_fma_f64 v[6:7], v[6:7], v[10:11], 1.0
	v_cvt_i32_f64_e32 v0, v[0:1]
	v_ldexp_f64 v[0:1], v[6:7], v0
	v_add_f64 v[0:1], v[0:1], 1.0
	v_cmp_nlt_f64_e32 vcc, s[62:63], v[4:5]
	v_cmp_ngt_f64_e64 s[2:3], s[66:67], v[4:5]
	v_cndmask_b32_e32 v1, v93, v1, vcc
	s_and_b64 vcc, s[2:3], vcc
	v_cndmask_b32_e64 v1, v90, v1, s[2:3]
	v_cndmask_b32_e32 v0, 0, v0, vcc
	v_mul_f64 v[0:1], v[0:1], v[0:1]
	v_div_scale_f64 v[6:7], s[2:3], v[0:1], v[0:1], v[2:3]
	v_rcp_f64_e32 v[10:11], v[6:7]
	s_mov_b32 s47, s31
	v_fma_f64 v[118:119], -v[6:7], v[10:11], 1.0
	v_fmac_f64_e32 v[10:11], v[10:11], v[118:119]
	v_fma_f64 v[118:119], -v[6:7], v[10:11], 1.0
	v_fmac_f64_e32 v[10:11], v[10:11], v[118:119]
	v_div_scale_f64 v[118:119], vcc, v[2:3], v[0:1], v[2:3]
	v_mul_f64 v[120:121], v[118:119], v[10:11]
	v_fma_f64 v[6:7], -v[6:7], v[120:121], v[118:119]
	s_nop 1
	v_div_fmas_f64 v[6:7], v[6:7], v[10:11], v[120:121]
	v_div_fixup_f64 v[2:3], v[6:7], v[0:1], v[2:3]
	v_frexp_mant_f64_e32 v[0:1], v[2:3]
	v_cmp_gt_f64_e32 vcc, s[30:31], v[0:1]
	v_cndmask_b32_e64 v15, v90, 2.0, vcc
	v_frexp_exp_i32_f64_e32 v6, v[2:3]
	v_mul_f64 v[0:1], v[0:1], v[14:15]
	v_subbrev_co_u32_e32 v15, vcc, 0, v6, vcc
	v_add_f64 v[6:7], v[0:1], 1.0
	v_rcp_f64_e32 v[10:11], v[6:7]
	v_add_f64 v[120:121], v[6:7], -1.0
	v_add_f64 v[118:119], v[0:1], -1.0
	v_add_f64 v[0:1], v[0:1], -v[120:121]
	v_fma_f64 v[120:121], -v[6:7], v[10:11], 1.0
	v_fmac_f64_e32 v[10:11], v[120:121], v[10:11]
	v_fma_f64 v[120:121], -v[6:7], v[10:11], 1.0
	v_fmac_f64_e32 v[10:11], v[120:121], v[10:11]
	v_mul_f64 v[120:121], v[118:119], v[10:11]
	v_mul_f64 v[122:123], v[6:7], v[120:121]
	v_fma_f64 v[6:7], v[120:121], v[6:7], -v[122:123]
	v_fmac_f64_e32 v[6:7], v[120:121], v[0:1]
	v_add_f64 v[0:1], v[122:123], v[6:7]
	v_add_f64 v[124:125], v[118:119], -v[0:1]
	v_add_f64 v[122:123], v[0:1], -v[122:123]
	;; [unrolled: 1-line block ×5, first 2 shown]
	v_add_f64 v[0:1], v[6:7], v[0:1]
	v_add_f64 v[0:1], v[124:125], v[0:1]
	v_mul_f64 v[0:1], v[10:11], v[0:1]
	v_add_f64 v[6:7], v[120:121], v[0:1]
	v_add_f64 v[10:11], v[6:7], -v[120:121]
	v_add_f64 v[10:11], v[0:1], -v[10:11]
	v_mul_f64 v[118:119], v[6:7], v[6:7]
	v_pk_mov_b32 v[0:1], s[34:35], s[34:35] op_sel:[0,1]
	v_fma_f64 v[120:121], s[36:37], v[118:119], v[0:1]
	v_fma_f64 v[120:121], v[118:119], v[120:121], s[38:39]
	;; [unrolled: 1-line block ×6, first 2 shown]
	v_ldexp_f64 v[122:123], v[6:7], 1
	v_mul_f64 v[6:7], v[6:7], v[118:119]
	v_mul_f64 v[6:7], v[6:7], v[120:121]
	v_add_f64 v[118:119], v[122:123], v[6:7]
	v_add_f64 v[120:121], v[118:119], -v[122:123]
	v_ldexp_f64 v[10:11], v[10:11], 1
	v_add_f64 v[6:7], v[6:7], -v[120:121]
	v_add_f64 v[6:7], v[10:11], v[6:7]
	v_add_f64 v[10:11], v[118:119], v[6:7]
	v_add_f64 v[118:119], v[10:11], -v[118:119]
	v_add_f64 v[6:7], v[6:7], -v[118:119]
	v_cvt_f64_i32_e32 v[118:119], v15
	v_mul_f64 v[120:121], v[118:119], s[48:49]
	v_fma_f64 v[122:123], v[118:119], s[48:49], -v[120:121]
	v_fmac_f64_e32 v[122:123], s[50:51], v[118:119]
	v_add_f64 v[118:119], v[120:121], v[122:123]
	v_add_f64 v[120:121], v[118:119], -v[120:121]
	v_add_f64 v[120:121], v[122:123], -v[120:121]
	v_add_f64 v[122:123], v[118:119], v[10:11]
	v_add_f64 v[124:125], v[122:123], -v[118:119]
	v_add_f64 v[126:127], v[122:123], -v[124:125]
	;; [unrolled: 1-line block ×4, first 2 shown]
	v_add_f64 v[10:11], v[10:11], v[118:119]
	v_add_f64 v[118:119], v[120:121], v[6:7]
	v_add_f64 v[124:125], v[118:119], -v[120:121]
	v_add_f64 v[126:127], v[118:119], -v[124:125]
	v_add_f64 v[10:11], v[118:119], v[10:11]
	v_add_f64 v[120:121], v[120:121], -v[126:127]
	v_add_f64 v[6:7], v[6:7], -v[124:125]
	v_add_f64 v[118:119], v[122:123], v[10:11]
	v_add_f64 v[6:7], v[6:7], v[120:121]
	v_add_f64 v[120:121], v[118:119], -v[122:123]
	v_add_f64 v[10:11], v[10:11], -v[120:121]
	v_add_f64 v[6:7], v[6:7], v[10:11]
	v_add_f64 v[6:7], v[118:119], v[6:7]
	v_cmp_class_f64_e64 vcc, v[2:3], s9
	v_cndmask_b32_e32 v15, v6, v2, vcc
	v_cndmask_b32_e32 v6, v7, v3, vcc
	v_cmp_neq_f64_e32 vcc, 0, v[2:3]
	v_cndmask_b32_e32 v3, v92, v6, vcc
	v_add_f64 v[6:7], v[8:9], 1.0
	v_add_f64 v[6:7], v[6:7], -1.0
	v_add_f64 v[118:119], v[6:7], s[68:69]
	v_div_scale_f64 v[10:11], s[2:3], v[118:119], v[118:119], s[70:71]
	v_rcp_f64_e32 v[120:121], v[10:11]
	v_cndmask_b32_e32 v2, 0, v15, vcc
	v_add_f64 v[2:3], v[4:5], v[2:3]
	v_fma_f64 v[4:5], v[82:83], v[8:9], v[80:81]
	v_fma_f64 v[122:123], -v[10:11], v[120:121], 1.0
	v_fmac_f64_e32 v[120:121], v[120:121], v[122:123]
	v_fma_f64 v[122:123], -v[10:11], v[120:121], 1.0
	v_fmac_f64_e32 v[120:121], v[120:121], v[122:123]
	v_div_scale_f64 v[122:123], vcc, s[70:71], v[118:119], s[70:71]
	v_mul_f64 v[124:125], v[122:123], v[120:121]
	v_fma_f64 v[122:123], -v[10:11], v[124:125], v[122:123]
	v_add_f64 v[10:11], v[6:7], s[72:73]
	v_div_scale_f64 v[126:127], s[2:3], v[10:11], v[10:11], s[74:75]
	v_rcp_f64_e32 v[128:129], v[126:127]
	v_div_fmas_f64 v[120:121], v[122:123], v[120:121], v[124:125]
	v_div_fixup_f64 v[118:119], v[120:121], v[118:119], s[70:71]
	v_add_f64 v[124:125], v[6:7], s[76:77]
	v_fma_f64 v[120:121], -v[126:127], v[128:129], 1.0
	v_fmac_f64_e32 v[128:129], v[128:129], v[120:121]
	v_fma_f64 v[120:121], -v[126:127], v[128:129], 1.0
	v_fmac_f64_e32 v[128:129], v[128:129], v[120:121]
	v_div_scale_f64 v[120:121], vcc, s[74:75], v[10:11], s[74:75]
	v_mul_f64 v[122:123], v[120:121], v[128:129]
	v_fma_f64 v[120:121], -v[126:127], v[122:123], v[120:121]
	v_div_scale_f64 v[126:127], s[2:3], v[124:125], v[124:125], s[78:79]
	v_rcp_f64_e32 v[130:131], v[126:127]
	v_div_fmas_f64 v[120:121], v[120:121], v[128:129], v[122:123]
	v_add_f64 v[118:119], v[118:119], 0
	v_div_fixup_f64 v[120:121], v[120:121], v[10:11], s[74:75]
	v_add_f64 v[118:119], v[120:121], v[118:119]
	v_fma_f64 v[120:121], -v[126:127], v[130:131], 1.0
	v_fmac_f64_e32 v[130:131], v[130:131], v[120:121]
	v_fma_f64 v[120:121], -v[126:127], v[130:131], 1.0
	v_fmac_f64_e32 v[130:131], v[130:131], v[120:121]
	v_div_scale_f64 v[120:121], vcc, s[78:79], v[124:125], s[78:79]
	v_mul_f64 v[122:123], v[120:121], v[130:131]
	v_fma_f64 v[120:121], -v[126:127], v[122:123], v[120:121]
	v_add_f64 v[126:127], v[6:7], s[80:81]
	v_div_scale_f64 v[128:129], s[2:3], v[126:127], v[126:127], s[82:83]
	v_rcp_f64_e32 v[132:133], v[128:129]
	v_div_fmas_f64 v[120:121], v[120:121], v[130:131], v[122:123]
	v_div_fixup_f64 v[120:121], v[120:121], v[124:125], s[78:79]
	v_add_f64 v[118:119], v[118:119], v[120:121]
	v_fma_f64 v[120:121], -v[128:129], v[132:133], 1.0
	v_fmac_f64_e32 v[132:133], v[132:133], v[120:121]
	v_fma_f64 v[120:121], -v[128:129], v[132:133], 1.0
	v_fmac_f64_e32 v[132:133], v[132:133], v[120:121]
	v_div_scale_f64 v[120:121], vcc, s[82:83], v[126:127], s[82:83]
	v_mul_f64 v[122:123], v[120:121], v[132:133]
	v_add_f64 v[124:125], v[6:7], 4.0
	v_fma_f64 v[120:121], -v[128:129], v[122:123], v[120:121]
	v_div_scale_f64 v[128:129], s[2:3], v[124:125], v[124:125], s[84:85]
	v_rcp_f64_e32 v[130:131], v[128:129]
	v_div_fmas_f64 v[120:121], v[120:121], v[132:133], v[122:123]
	v_div_fixup_f64 v[120:121], v[120:121], v[126:127], s[82:83]
	v_add_f64 v[118:119], v[120:121], v[118:119]
	v_fma_f64 v[120:121], -v[128:129], v[130:131], 1.0
	v_fmac_f64_e32 v[130:131], v[130:131], v[120:121]
	v_fma_f64 v[120:121], -v[128:129], v[130:131], 1.0
	v_fmac_f64_e32 v[130:131], v[130:131], v[120:121]
	v_div_scale_f64 v[120:121], vcc, s[84:85], v[124:125], s[84:85]
	v_mul_f64 v[122:123], v[120:121], v[130:131]
	v_add_f64 v[126:127], v[6:7], s[24:25]
	v_fma_f64 v[120:121], -v[128:129], v[122:123], v[120:121]
	v_div_scale_f64 v[128:129], s[2:3], v[126:127], v[126:127], s[86:87]
	v_rcp_f64_e32 v[132:133], v[128:129]
	v_div_fmas_f64 v[120:121], v[120:121], v[130:131], v[122:123]
	v_div_fixup_f64 v[120:121], v[120:121], v[124:125], s[84:85]
	v_add_f64 v[118:119], v[118:119], v[120:121]
	v_fma_f64 v[120:121], -v[128:129], v[132:133], 1.0
	v_fmac_f64_e32 v[132:133], v[132:133], v[120:121]
	v_fma_f64 v[120:121], -v[128:129], v[132:133], 1.0
	v_fmac_f64_e32 v[132:133], v[132:133], v[120:121]
	v_div_scale_f64 v[120:121], vcc, s[86:87], v[126:127], s[86:87]
	v_mul_f64 v[122:123], v[120:121], v[132:133]
	v_add_f64 v[124:125], v[6:7], 2.0
	v_fma_f64 v[120:121], -v[128:129], v[122:123], v[120:121]
	v_div_scale_f64 v[128:129], s[2:3], v[124:125], v[124:125], s[88:89]
	v_rcp_f64_e32 v[130:131], v[128:129]
	v_div_fmas_f64 v[120:121], v[120:121], v[132:133], v[122:123]
	v_div_fixup_f64 v[120:121], v[120:121], v[126:127], s[86:87]
	v_add_f64 v[118:119], v[120:121], v[118:119]
	v_fma_f64 v[120:121], -v[128:129], v[130:131], 1.0
	v_fmac_f64_e32 v[130:131], v[130:131], v[120:121]
	v_fma_f64 v[120:121], -v[128:129], v[130:131], 1.0
	v_fmac_f64_e32 v[130:131], v[130:131], v[120:121]
	v_div_scale_f64 v[120:121], vcc, s[88:89], v[124:125], s[88:89]
	v_mul_f64 v[122:123], v[120:121], v[130:131]
	v_add_f64 v[126:127], v[6:7], 1.0
	v_fma_f64 v[120:121], -v[128:129], v[122:123], v[120:121]
	v_div_scale_f64 v[128:129], s[2:3], v[126:127], v[126:127], s[90:91]
	v_rcp_f64_e32 v[132:133], v[128:129]
	v_div_fmas_f64 v[120:121], v[120:121], v[130:131], v[122:123]
	v_div_fixup_f64 v[120:121], v[120:121], v[124:125], s[88:89]
	v_add_f64 v[118:119], v[118:119], v[120:121]
	v_fma_f64 v[120:121], -v[128:129], v[132:133], 1.0
	v_fmac_f64_e32 v[132:133], v[132:133], v[120:121]
	v_fma_f64 v[120:121], -v[128:129], v[132:133], 1.0
	v_fmac_f64_e32 v[132:133], v[132:133], v[120:121]
	v_div_scale_f64 v[120:121], vcc, s[90:91], v[126:127], s[90:91]
	v_mul_f64 v[122:123], v[120:121], v[132:133]
	v_fma_f64 v[120:121], -v[128:129], v[122:123], v[120:121]
	v_add_f64 v[10:11], v[10:11], 0.5
	s_nop 0
	v_div_fmas_f64 v[120:121], v[120:121], v[132:133], v[122:123]
	v_div_fixup_f64 v[120:121], v[120:121], v[126:127], s[90:91]
	v_add_f64 v[118:119], v[120:121], v[118:119]
	v_add_f64 v[118:119], v[118:119], s[92:93]
	v_frexp_mant_f64_e32 v[120:121], v[118:119]
	v_cmp_gt_f64_e32 vcc, s[30:31], v[120:121]
	v_cndmask_b32_e64 v15, v90, 2.0, vcc
	v_mul_f64 v[120:121], v[120:121], v[14:15]
	v_add_f64 v[122:123], v[120:121], 1.0
	v_rcp_f64_e32 v[124:125], v[122:123]
	v_add_f64 v[128:129], v[122:123], -1.0
	v_add_f64 v[126:127], v[120:121], -1.0
	v_add_f64 v[120:121], v[120:121], -v[128:129]
	v_fma_f64 v[128:129], -v[122:123], v[124:125], 1.0
	v_fmac_f64_e32 v[124:125], v[128:129], v[124:125]
	v_fma_f64 v[128:129], -v[122:123], v[124:125], 1.0
	v_fmac_f64_e32 v[124:125], v[128:129], v[124:125]
	v_mul_f64 v[128:129], v[126:127], v[124:125]
	v_mul_f64 v[130:131], v[122:123], v[128:129]
	v_fma_f64 v[122:123], v[128:129], v[122:123], -v[130:131]
	v_fmac_f64_e32 v[122:123], v[128:129], v[120:121]
	v_add_f64 v[120:121], v[130:131], v[122:123]
	v_add_f64 v[132:133], v[126:127], -v[120:121]
	v_add_f64 v[130:131], v[120:121], -v[130:131]
	;; [unrolled: 1-line block ×5, first 2 shown]
	v_add_f64 v[120:121], v[122:123], v[120:121]
	v_add_f64 v[120:121], v[132:133], v[120:121]
	v_mul_f64 v[120:121], v[124:125], v[120:121]
	v_add_f64 v[122:123], v[128:129], v[120:121]
	v_add_f64 v[124:125], v[122:123], -v[128:129]
	v_add_f64 v[120:121], v[120:121], -v[124:125]
	v_mul_f64 v[124:125], v[122:123], v[122:123]
	v_fma_f64 v[126:127], s[36:37], v[124:125], v[0:1]
	v_fma_f64 v[126:127], v[124:125], v[126:127], s[38:39]
	;; [unrolled: 1-line block ×6, first 2 shown]
	v_ldexp_f64 v[128:129], v[122:123], 1
	v_mul_f64 v[122:123], v[122:123], v[124:125]
	v_mul_f64 v[122:123], v[122:123], v[126:127]
	v_add_f64 v[124:125], v[128:129], v[122:123]
	v_add_f64 v[126:127], v[124:125], -v[128:129]
	v_ldexp_f64 v[120:121], v[120:121], 1
	v_add_f64 v[122:123], v[122:123], -v[126:127]
	v_add_f64 v[120:121], v[120:121], v[122:123]
	v_frexp_exp_i32_f64_e32 v117, v[118:119]
	v_add_f64 v[122:123], v[124:125], v[120:121]
	v_subbrev_co_u32_e32 v15, vcc, 0, v117, vcc
	v_add_f64 v[124:125], v[122:123], -v[124:125]
	v_add_f64 v[120:121], v[120:121], -v[124:125]
	v_cvt_f64_i32_e32 v[124:125], v15
	v_mul_f64 v[126:127], v[124:125], s[48:49]
	v_fma_f64 v[128:129], v[124:125], s[48:49], -v[126:127]
	v_fmac_f64_e32 v[128:129], s[50:51], v[124:125]
	v_add_f64 v[124:125], v[126:127], v[128:129]
	v_add_f64 v[126:127], v[124:125], -v[126:127]
	v_add_f64 v[126:127], v[128:129], -v[126:127]
	v_add_f64 v[128:129], v[124:125], v[122:123]
	v_add_f64 v[130:131], v[128:129], -v[124:125]
	v_add_f64 v[132:133], v[128:129], -v[130:131]
	;; [unrolled: 1-line block ×4, first 2 shown]
	v_add_f64 v[122:123], v[122:123], v[124:125]
	v_add_f64 v[124:125], v[126:127], v[120:121]
	v_add_f64 v[130:131], v[124:125], -v[126:127]
	v_add_f64 v[132:133], v[124:125], -v[130:131]
	v_add_f64 v[122:123], v[124:125], v[122:123]
	v_add_f64 v[126:127], v[126:127], -v[132:133]
	v_add_f64 v[120:121], v[120:121], -v[130:131]
	v_add_f64 v[124:125], v[128:129], v[122:123]
	v_add_f64 v[120:121], v[120:121], v[126:127]
	v_add_f64 v[126:127], v[124:125], -v[128:129]
	v_add_f64 v[122:123], v[122:123], -v[126:127]
	v_add_f64 v[120:121], v[120:121], v[122:123]
	v_add_f64 v[120:121], v[124:125], v[120:121]
	v_cmp_class_f64_e64 vcc, v[118:119], s9
	v_div_scale_f64 v[122:123], s[2:3], s[20:21], s[20:21], v[10:11]
	v_cndmask_b32_e32 v121, v121, v119, vcc
	v_cndmask_b32_e32 v120, v120, v118, vcc
	v_rcp_f64_e32 v[124:125], v[122:123]
	v_add_f64 v[120:121], v[120:121], s[94:95]
	v_add_f64 v[120:121], v[120:121], s[22:23]
	v_cmp_ngt_f64_e32 vcc, 0, v[118:119]
	v_cndmask_b32_e32 v15, v91, v121, vcc
	v_cmp_nge_f64_e32 vcc, 0, v[118:119]
	v_cndmask_b32_e32 v120, 0, v120, vcc
	v_cmp_neq_f64_e32 vcc, 0, v[118:119]
	v_fma_f64 v[118:119], -v[122:123], v[124:125], 1.0
	v_fmac_f64_e32 v[124:125], v[124:125], v[118:119]
	v_fma_f64 v[118:119], -v[122:123], v[124:125], 1.0
	v_cndmask_b32_e32 v121, v92, v15, vcc
	v_fmac_f64_e32 v[124:125], v[124:125], v[118:119]
	v_div_scale_f64 v[118:119], vcc, v[10:11], s[20:21], v[10:11]
	v_mul_f64 v[126:127], v[118:119], v[124:125]
	v_fma_f64 v[118:119], -v[122:123], v[126:127], v[118:119]
	v_add_f64 v[6:7], v[6:7], 0.5
	s_nop 0
	v_div_fmas_f64 v[118:119], v[118:119], v[124:125], v[126:127]
	v_div_fixup_f64 v[10:11], v[118:119], s[20:21], v[10:11]
	v_frexp_mant_f64_e32 v[118:119], v[10:11]
	v_cmp_gt_f64_e32 vcc, s[30:31], v[118:119]
	v_cndmask_b32_e64 v15, v90, 2.0, vcc
	v_mul_f64 v[118:119], v[118:119], v[14:15]
	v_add_f64 v[122:123], v[118:119], 1.0
	v_rcp_f64_e32 v[124:125], v[122:123]
	v_add_f64 v[128:129], v[122:123], -1.0
	v_add_f64 v[126:127], v[118:119], -1.0
	v_add_f64 v[118:119], v[118:119], -v[128:129]
	v_fma_f64 v[128:129], -v[122:123], v[124:125], 1.0
	v_fmac_f64_e32 v[124:125], v[128:129], v[124:125]
	v_fma_f64 v[128:129], -v[122:123], v[124:125], 1.0
	v_fmac_f64_e32 v[124:125], v[128:129], v[124:125]
	v_mul_f64 v[128:129], v[126:127], v[124:125]
	v_mul_f64 v[130:131], v[122:123], v[128:129]
	v_fma_f64 v[122:123], v[128:129], v[122:123], -v[130:131]
	v_fmac_f64_e32 v[122:123], v[128:129], v[118:119]
	v_add_f64 v[118:119], v[130:131], v[122:123]
	v_add_f64 v[132:133], v[126:127], -v[118:119]
	v_add_f64 v[130:131], v[118:119], -v[130:131]
	;; [unrolled: 1-line block ×5, first 2 shown]
	v_add_f64 v[118:119], v[122:123], v[118:119]
	v_add_f64 v[118:119], v[132:133], v[118:119]
	v_mul_f64 v[118:119], v[124:125], v[118:119]
	v_add_f64 v[122:123], v[128:129], v[118:119]
	v_add_f64 v[124:125], v[122:123], -v[128:129]
	v_add_f64 v[118:119], v[118:119], -v[124:125]
	v_mul_f64 v[124:125], v[122:123], v[122:123]
	v_fmac_f64_e32 v[0:1], s[36:37], v[124:125]
	v_fma_f64 v[0:1], v[124:125], v[0:1], s[38:39]
	v_fma_f64 v[0:1], v[124:125], v[0:1], s[40:41]
	;; [unrolled: 1-line block ×5, first 2 shown]
	v_ldexp_f64 v[126:127], v[122:123], 1
	v_mul_f64 v[122:123], v[122:123], v[124:125]
	v_mul_f64 v[0:1], v[122:123], v[0:1]
	v_add_f64 v[122:123], v[126:127], v[0:1]
	v_add_f64 v[124:125], v[122:123], -v[126:127]
	v_ldexp_f64 v[118:119], v[118:119], 1
	v_add_f64 v[0:1], v[0:1], -v[124:125]
	v_add_f64 v[0:1], v[118:119], v[0:1]
	v_frexp_exp_i32_f64_e32 v117, v[10:11]
	v_add_f64 v[118:119], v[122:123], v[0:1]
	v_subbrev_co_u32_e32 v15, vcc, 0, v117, vcc
	v_add_f64 v[122:123], v[118:119], -v[122:123]
	v_add_f64 v[0:1], v[0:1], -v[122:123]
	v_cvt_f64_i32_e32 v[122:123], v15
	v_mul_f64 v[124:125], v[122:123], s[48:49]
	v_fma_f64 v[126:127], v[122:123], s[48:49], -v[124:125]
	v_fmac_f64_e32 v[126:127], s[50:51], v[122:123]
	v_add_f64 v[122:123], v[124:125], v[126:127]
	v_add_f64 v[124:125], v[122:123], -v[124:125]
	v_add_f64 v[124:125], v[126:127], -v[124:125]
	v_add_f64 v[126:127], v[122:123], v[118:119]
	v_add_f64 v[128:129], v[126:127], -v[122:123]
	v_add_f64 v[130:131], v[126:127], -v[128:129]
	;; [unrolled: 1-line block ×4, first 2 shown]
	v_add_f64 v[118:119], v[118:119], v[122:123]
	v_add_f64 v[122:123], v[124:125], v[0:1]
	v_add_f64 v[128:129], v[122:123], -v[124:125]
	v_add_f64 v[130:131], v[122:123], -v[128:129]
	v_add_f64 v[118:119], v[122:123], v[118:119]
	v_add_f64 v[124:125], v[124:125], -v[130:131]
	v_add_f64 v[0:1], v[0:1], -v[128:129]
	v_add_f64 v[122:123], v[126:127], v[118:119]
	v_add_f64 v[0:1], v[0:1], v[124:125]
	v_add_f64 v[124:125], v[122:123], -v[126:127]
	v_add_f64 v[118:119], v[118:119], -v[124:125]
	v_add_f64 v[0:1], v[0:1], v[118:119]
	v_add_f64 v[0:1], v[122:123], v[0:1]
	v_cmp_class_f64_e64 vcc, v[10:11], s9
	v_cndmask_b32_e32 v0, v0, v10, vcc
	v_cndmask_b32_e32 v1, v1, v11, vcc
	v_cmp_ngt_f64_e32 vcc, 0, v[10:11]
	v_cndmask_b32_e32 v1, v91, v1, vcc
	v_cmp_nge_f64_e32 vcc, 0, v[10:11]
	v_cndmask_b32_e32 v0, 0, v0, vcc
	v_cmp_neq_f64_e32 vcc, 0, v[10:11]
	v_cndmask_b32_e32 v1, v92, v1, vcc
	v_fmac_f64_e32 v[120:121], v[6:7], v[0:1]
	v_add_f64 v[0:1], v[4:5], -v[120:121]
	v_cvt_u32_f64_e32 v4, v[8:9]
	v_cmp_le_f64_e32 vcc, v[2:3], v[0:1]
	v_cndmask_b32_e64 v118, 0, 1, vcc
	v_cndmask_b32_e32 v75, v75, v4, vcc
	v_mov_b32_e32 v117, v116
.LBB85_26:                              ;   in Loop: Header=BB85_16 Depth=2
	s_or_b64 exec, exec, s[0:1]
	v_cmp_gt_i32_e32 vcc, 2, v118
	s_or_b64 s[18:19], vcc, s[18:19]
	v_mov_b32_e32 v15, v117
	v_mov_b32_e32 v0, v87
	;; [unrolled: 1-line block ×5, first 2 shown]
	s_andn2_b64 exec, exec, s[18:19]
	s_cbranch_execnz .LBB85_16
; %bb.27:                               ;   in Loop: Header=BB85_16 Depth=2
	s_or_b64 exec, exec, s[18:19]
	v_cmp_ne_u32_e32 vcc, 0, v118
	s_or_b64 s[6:7], vcc, s[6:7]
	s_mov_b64 s[18:19], 0
	v_mov_b32_e32 v15, v117
	v_mov_b32_e32 v0, v87
	v_mov_b32_e32 v1, v86
	v_mov_b32_e32 v2, v85
	v_mov_b32_e32 v3, v84
	s_andn2_b64 exec, exec, s[6:7]
	s_cbranch_execnz .LBB85_16
; %bb.28:                               ;   in Loop: Header=BB85_5 Depth=1
	s_or_b64 exec, exec, s[6:7]
	s_mov_b32 s18, s12
	s_mov_b32 s19, s65
                                        ; implicit-def: $vgpr72_vgpr73
                                        ; implicit-def: $vgpr15
                                        ; implicit-def: $vgpr96
                                        ; implicit-def: $vgpr97
                                        ; implicit-def: $vgpr105
                                        ; implicit-def: $vgpr95
                                        ; implicit-def: $vgpr3
                                        ; implicit-def: $vgpr4_vgpr5
                                        ; implicit-def: $vgpr98
                                        ; implicit-def: $vgpr99
                                        ; implicit-def: $vgpr100
                                        ; implicit-def: $vgpr101
                                        ; implicit-def: $vgpr103
                                        ; implicit-def: $vgpr104
                                        ; implicit-def: $vgpr106
                                        ; implicit-def: $vgpr107
                                        ; implicit-def: $vgpr108
                                        ; implicit-def: $vgpr109
                                        ; implicit-def: $vgpr110
                                        ; implicit-def: $vgpr111
                                        ; implicit-def: $vgpr112
                                        ; implicit-def: $vgpr113
                                        ; implicit-def: $vgpr102
                                        ; implicit-def: $vgpr114
.LBB85_29:                              ;   in Loop: Header=BB85_5 Depth=1
	s_andn2_saveexec_b64 s[0:1], s[14:15]
	s_cbranch_execz .LBB85_41
; %bb.30:                               ;   in Loop: Header=BB85_5 Depth=1
	v_add_co_u32_e32 v6, vcc, 1, v96
	v_cndmask_b32_e64 v7, 0, 1, vcc
	v_addc_co_u32_e32 v10, vcc, 0, v97, vcc
	v_cmp_eq_u32_e32 vcc, 0, v10
	v_cndmask_b32_e32 v7, 0, v7, vcc
	v_add_u32_e32 v8, v7, v17
	v_cmp_eq_u32_e32 vcc, 0, v8
	v_cndmask_b32_e32 v11, 0, v7, vcc
	v_mad_u64_u32 v[6:7], s[2:3], v6, s11, 0
	v_mad_u64_u32 v[8:9], s[2:3], v8, s8, 0
	v_xor_b32_e32 v7, v7, v73
	v_xor_b32_e32 v9, v9, v72
	v_xor_b32_e32 v7, v11, v7
	v_xor_b32_e32 v9, v10, v9
	v_mad_u64_u32 v[72:73], s[2:3], v7, s8, 0
	v_mad_u64_u32 v[10:11], s[2:3], v9, s11, 0
	v_xor_b32_e32 v7, v98, v73
	v_xor_b32_e32 v7, v7, v8
	v_xor_b32_e32 v8, v99, v11
	v_xor_b32_e32 v8, v8, v6
	;; [unrolled: 6-line block ×8, first 2 shown]
	v_mad_u64_u32 v[74:75], s[2:3], v7, s11, 0
	v_mad_u64_u32 v[8:9], s[2:3], v6, s8, 0
	v_xor_b32_e32 v6, v114, v75
	v_xor_b32_e32 v6, v6, v10
	v_mad_u64_u32 v[6:7], s[2:3], v6, s8, 0
	v_xor_b32_e32 v7, v7, v8
	v_xor_b32_e32 v10, v105, v7
	v_cmp_lt_i32_e32 vcc, 1, v15
                                        ; implicit-def: $vgpr8
	s_and_saveexec_b64 s[2:3], vcc
	s_xor_b64 s[2:3], exec, s[2:3]
	s_cbranch_execz .LBB85_36
; %bb.31:                               ;   in Loop: Header=BB85_5 Depth=1
	v_cmp_lt_i32_e32 vcc, 2, v15
                                        ; implicit-def: $vgpr8
	s_and_saveexec_b64 s[6:7], vcc
	s_xor_b64 s[6:7], exec, s[6:7]
; %bb.32:                               ;   in Loop: Header=BB85_5 Depth=1
	v_xor_b32_e32 v0, v102, v9
	v_xor_b32_e32 v0, v0, v72
	v_mul_hi_u32 v0, v0, s11
	v_xor_b32_e32 v0, v0, v74
	v_xor_b32_e32 v8, v95, v0
; %bb.33:                               ;   in Loop: Header=BB85_5 Depth=1
	s_andn2_saveexec_b64 s[6:7], s[6:7]
; %bb.34:                               ;   in Loop: Header=BB85_5 Depth=1
	v_mov_b32_e32 v8, v6
	v_mov_b32_e32 v6, v10
	;; [unrolled: 1-line block ×4, first 2 shown]
; %bb.35:                               ;   in Loop: Header=BB85_5 Depth=1
	s_or_b64 exec, exec, s[6:7]
                                        ; implicit-def: $vgpr15
.LBB85_36:                              ;   in Loop: Header=BB85_5 Depth=1
	s_andn2_saveexec_b64 s[2:3], s[2:3]
	s_cbranch_execz .LBB85_40
; %bb.37:                               ;   in Loop: Header=BB85_5 Depth=1
	v_cmp_eq_u32_e32 vcc, 1, v15
	v_mov_b32_e32 v8, v3
	v_mov_b32_e32 v6, v2
	;; [unrolled: 1-line block ×3, first 2 shown]
	s_and_saveexec_b64 s[6:7], vcc
; %bb.38:                               ;   in Loop: Header=BB85_5 Depth=1
	v_mov_b32_e32 v8, v10
	v_mov_b32_e32 v6, v3
	;; [unrolled: 1-line block ×4, first 2 shown]
; %bb.39:                               ;   in Loop: Header=BB85_5 Depth=1
	s_or_b64 exec, exec, s[6:7]
	v_mov_b32_e32 v3, v0
	v_mov_b32_e32 v10, v7
.LBB85_40:                              ;   in Loop: Header=BB85_5 Depth=1
	s_or_b64 exec, exec, s[2:3]
	v_mov_b32_e32 v11, v14
	v_lshlrev_b64 v[0:1], 21, v[10:11]
	v_xor_b32_e32 v2, v0, v3
	v_cvt_f64_u32_e32 v[0:1], v1
	v_ldexp_f64 v[0:1], v[0:1], 32
	v_cvt_f64_u32_e32 v[2:3], v2
	v_add_f64 v[0:1], v[0:1], v[2:3]
	v_mov_b32_e32 v2, 0
	v_mov_b32_e32 v3, 0x3ca00000
	v_fmac_f64_e32 v[2:3], 0x3ca00000, v[0:1]
	v_mov_b32_e32 v9, v14
	v_lshlrev_b64 v[0:1], 21, v[8:9]
	v_frexp_mant_f64_e32 v[8:9], v[2:3]
	v_cmp_gt_f64_e32 vcc, s[30:31], v[8:9]
	v_cndmask_b32_e64 v15, v90, 2.0, vcc
	v_frexp_exp_i32_f64_e32 v10, v[2:3]
	v_mul_f64 v[8:9], v[8:9], v[14:15]
	v_subbrev_co_u32_e32 v15, vcc, 0, v10, vcc
	v_add_f64 v[10:11], v[8:9], 1.0
	v_rcp_f64_e32 v[72:73], v[10:11]
	v_add_f64 v[76:77], v[10:11], -1.0
	v_add_f64 v[74:75], v[8:9], -1.0
	v_add_f64 v[8:9], v[8:9], -v[76:77]
	v_fma_f64 v[76:77], -v[10:11], v[72:73], 1.0
	v_fmac_f64_e32 v[72:73], v[76:77], v[72:73]
	v_fma_f64 v[76:77], -v[10:11], v[72:73], 1.0
	v_fmac_f64_e32 v[72:73], v[76:77], v[72:73]
	v_mul_f64 v[76:77], v[74:75], v[72:73]
	v_mul_f64 v[78:79], v[10:11], v[76:77]
	v_fma_f64 v[10:11], v[76:77], v[10:11], -v[78:79]
	v_fmac_f64_e32 v[10:11], v[76:77], v[8:9]
	v_add_f64 v[8:9], v[78:79], v[10:11]
	v_add_f64 v[80:81], v[74:75], -v[8:9]
	v_add_f64 v[78:79], v[8:9], -v[78:79]
	;; [unrolled: 1-line block ×5, first 2 shown]
	v_add_f64 v[8:9], v[10:11], v[8:9]
	v_add_f64 v[8:9], v[80:81], v[8:9]
	v_mul_f64 v[8:9], v[72:73], v[8:9]
	v_add_f64 v[10:11], v[76:77], v[8:9]
	v_add_f64 v[72:73], v[10:11], -v[76:77]
	v_add_f64 v[8:9], v[8:9], -v[72:73]
	v_mul_f64 v[72:73], v[10:11], v[10:11]
	v_pk_mov_b32 v[74:75], v[18:19], v[18:19] op_sel:[0,1]
	v_fmac_f64_e32 v[74:75], s[36:37], v[72:73]
	v_pk_mov_b32 v[76:77], v[20:21], v[20:21] op_sel:[0,1]
	v_fmac_f64_e32 v[76:77], v[72:73], v[74:75]
	;; [unrolled: 2-line block ×6, first 2 shown]
	v_ldexp_f64 v[74:75], v[10:11], 1
	v_mul_f64 v[10:11], v[10:11], v[72:73]
	v_mul_f64 v[10:11], v[10:11], v[76:77]
	v_add_f64 v[72:73], v[74:75], v[10:11]
	v_add_f64 v[74:75], v[72:73], -v[74:75]
	v_ldexp_f64 v[8:9], v[8:9], 1
	v_add_f64 v[10:11], v[10:11], -v[74:75]
	v_add_f64 v[8:9], v[8:9], v[10:11]
	v_add_f64 v[10:11], v[72:73], v[8:9]
	v_add_f64 v[72:73], v[10:11], -v[72:73]
	v_add_f64 v[8:9], v[8:9], -v[72:73]
	v_cvt_f64_i32_e32 v[72:73], v15
	v_mul_f64 v[74:75], v[72:73], s[48:49]
	v_fma_f64 v[76:77], v[72:73], s[48:49], -v[74:75]
	v_fmac_f64_e32 v[76:77], s[50:51], v[72:73]
	v_add_f64 v[72:73], v[74:75], v[76:77]
	v_add_f64 v[74:75], v[72:73], -v[74:75]
	v_add_f64 v[74:75], v[76:77], -v[74:75]
	v_add_f64 v[76:77], v[72:73], v[10:11]
	v_add_f64 v[78:79], v[76:77], -v[72:73]
	v_add_f64 v[80:81], v[76:77], -v[78:79]
	;; [unrolled: 1-line block ×4, first 2 shown]
	v_add_f64 v[10:11], v[10:11], v[72:73]
	v_add_f64 v[72:73], v[74:75], v[8:9]
	v_add_f64 v[78:79], v[72:73], -v[74:75]
	v_add_f64 v[80:81], v[72:73], -v[78:79]
	v_add_f64 v[10:11], v[72:73], v[10:11]
	v_add_f64 v[74:75], v[74:75], -v[80:81]
	v_add_f64 v[8:9], v[8:9], -v[78:79]
	v_add_f64 v[72:73], v[76:77], v[10:11]
	v_add_f64 v[8:9], v[8:9], v[74:75]
	v_add_f64 v[74:75], v[72:73], -v[76:77]
	v_add_f64 v[10:11], v[10:11], -v[74:75]
	s_mov_b32 s14, 0
	v_add_f64 v[8:9], v[8:9], v[10:11]
	s_mov_b32 s15, 0x7ff00000
	v_add_f64 v[8:9], v[72:73], v[8:9]
	v_cmp_eq_f64_e32 vcc, s[14:15], v[2:3]
	v_cndmask_b32_e32 v9, v9, v3, vcc
	v_cndmask_b32_e32 v8, v8, v2, vcc
	v_mul_f64 v[8:9], v[8:9], -2.0
	v_cmp_neq_f64_e32 vcc, 0, v[2:3]
	s_mov_b32 s2, 0
	v_cndmask_b32_e32 v3, v93, v9, vcc
	v_cndmask_b32_e32 v2, 0, v8, vcc
	s_brev_b32 s3, 8
	v_cmp_gt_f64_e32 vcc, s[2:3], v[2:3]
	v_cndmask_b32_e64 v8, 0, 1, vcc
	v_lshlrev_b32_e32 v8, 8, v8
	v_ldexp_f64 v[2:3], v[2:3], v8
	v_xor_b32_e32 v6, v0, v6
	v_cvt_f64_u32_e32 v[0:1], v1
	v_rsq_f64_e32 v[8:9], v[2:3]
	v_ldexp_f64 v[0:1], v[0:1], 32
	v_cvt_f64_u32_e32 v[6:7], v6
	v_add_f64 v[0:1], v[0:1], v[6:7]
	v_mov_b32_e32 v6, 0
	v_mov_b32_e32 v7, 0x3cb00000
	v_fmac_f64_e32 v[6:7], 0x3cb00000, v[0:1]
	v_mul_f64 v[0:1], v[2:3], v[8:9]
	v_mul_f64 v[8:9], v[8:9], 0.5
	v_fma_f64 v[10:11], -v[8:9], v[0:1], 0.5
	v_fmac_f64_e32 v[0:1], v[0:1], v[10:11]
	v_fma_f64 v[72:73], -v[0:1], v[0:1], v[2:3]
	v_fmac_f64_e32 v[8:9], v[8:9], v[10:11]
	v_fmac_f64_e32 v[0:1], v[72:73], v[8:9]
	v_fma_f64 v[10:11], -v[0:1], v[0:1], v[2:3]
	v_fmac_f64_e32 v[0:1], v[10:11], v[8:9]
	v_cndmask_b32_e32 v8, 0, v89, vcc
	v_ldexp_f64 v[0:1], v[0:1], v8
	v_cmp_class_f64_e32 vcc, v[2:3], v88
	v_cndmask_b32_e32 v1, v1, v3, vcc
	v_cndmask_b32_e32 v0, v0, v2, vcc
	v_mul_f64 v[2:3], v[6:7], 0.5
	v_fract_f64_e32 v[8:9], v[2:3]
	v_add_f64 v[8:9], v[8:9], v[8:9]
	v_cmp_neq_f64_e32 vcc, s[14:15], v[2:3]
	v_cndmask_b32_e32 v2, 0, v8, vcc
	v_cndmask_b32_e32 v3, 0, v9, vcc
	v_cmp_lt_f64_e32 vcc, 1.0, v[6:7]
	v_cndmask_b32_e32 v3, v7, v3, vcc
	v_cndmask_b32_e32 v2, v6, v2, vcc
	v_add_f64 v[8:9], v[2:3], v[2:3]
	v_rndne_f64_e32 v[8:9], v[8:9]
	v_fmac_f64_e32 v[2:3], -0.5, v[8:9]
	s_mov_b32 s6, 0xf99eb0bb
	v_cvt_i32_f64_e32 v15, v[8:9]
	v_mul_f64 v[8:9], v[2:3], v[2:3]
	v_pk_mov_b32 v[10:11], v[48:49], v[48:49] op_sel:[0,1]
	s_mov_b32 s7, 0x3f3e357e
	v_fmac_f64_e32 v[10:11], s[6:7], v[8:9]
	v_pk_mov_b32 v[72:73], v[50:51], v[50:51] op_sel:[0,1]
	v_fmac_f64_e32 v[72:73], v[8:9], v[10:11]
	v_pk_mov_b32 v[10:11], v[52:53], v[52:53] op_sel:[0,1]
	;; [unrolled: 2-line block ×4, first 2 shown]
	v_fmac_f64_e32 v[10:11], v[8:9], v[72:73]
	v_mul_f64 v[72:73], v[2:3], v[8:9]
	s_mov_b32 s6, 0x54442d18
	v_mul_f64 v[10:11], v[72:73], v[10:11]
	s_mov_b32 s7, 0x400921fb
	v_fmac_f64_e32 v[10:11], s[6:7], v[2:3]
	s_mov_b32 s6, 0x2e21c33
	v_pk_mov_b32 v[2:3], v[58:59], v[58:59] op_sel:[0,1]
	s_mov_b32 s7, 0xbf1b1673
	v_fmac_f64_e32 v[2:3], s[6:7], v[8:9]
	v_pk_mov_b32 v[72:73], v[60:61], v[60:61] op_sel:[0,1]
	v_fmac_f64_e32 v[72:73], v[8:9], v[2:3]
	v_pk_mov_b32 v[2:3], v[62:63], v[62:63] op_sel:[0,1]
	;; [unrolled: 2-line block ×5, first 2 shown]
	v_fmac_f64_e32 v[72:73], v[8:9], v[2:3]
	v_fma_f64 v[2:3], v[8:9], v[72:73], 1.0
	v_and_b32_e32 v9, 1, v15
	v_lshlrev_b32_e32 v8, 30, v15
	v_cmp_eq_u32_e32 vcc, 0, v9
	v_cndmask_b32_e32 v10, v2, v10, vcc
	v_cndmask_b32_e32 v2, v3, v11, vcc
	v_xor_b32_e32 v3, v8, v7
	v_and_b32_e32 v3, 0x80000000, v3
	v_cmp_gt_f64_e32 vcc, s[2:3], v[4:5]
	v_xor_b32_e32 v11, v2, v3
	v_cndmask_b32_e64 v2, 0, 1, vcc
	v_lshlrev_b32_e32 v2, 8, v2
	v_ldexp_f64 v[2:3], v[4:5], v2
	v_rsq_f64_e32 v[8:9], v[2:3]
	v_cmp_lg_f64_e64 s[2:3], s[14:15], v[6:7]
	v_cndmask_b32_e64 v6, 0, v10, s[2:3]
	v_cndmask_b32_e64 v7, v91, v11, s[2:3]
	v_mul_f64 v[0:1], v[0:1], v[6:7]
	v_mul_f64 v[6:7], v[2:3], v[8:9]
	v_mul_f64 v[8:9], v[8:9], 0.5
	v_fma_f64 v[10:11], -v[8:9], v[6:7], 0.5
	v_fmac_f64_e32 v[6:7], v[6:7], v[10:11]
	v_fma_f64 v[72:73], -v[6:7], v[6:7], v[2:3]
	v_fmac_f64_e32 v[8:9], v[8:9], v[10:11]
	v_fmac_f64_e32 v[6:7], v[72:73], v[8:9]
	v_fma_f64 v[10:11], -v[6:7], v[6:7], v[2:3]
	v_fmac_f64_e32 v[6:7], v[10:11], v[8:9]
	v_cndmask_b32_e32 v8, 0, v89, vcc
	v_ldexp_f64 v[6:7], v[6:7], v8
	v_cmp_class_f64_e32 vcc, v[2:3], v88
	v_cndmask_b32_e32 v3, v7, v3, vcc
	v_cndmask_b32_e32 v2, v6, v2, vcc
	v_fmac_f64_e32 v[4:5], v[2:3], v[0:1]
	v_trunc_f64_e32 v[0:1], v[4:5]
	v_add_f64 v[2:3], v[4:5], -v[0:1]
	v_cmp_ge_f64_e64 vcc, |v[2:3]|, 0.5
	v_cndmask_b32_e32 v2, 0, v90, vcc
	s_brev_b32 s2, -2
	v_bfi_b32 v15, s2, v2, v5
	v_add_f64 v[0:1], v[0:1], v[14:15]
	v_cvt_u32_f64_e32 v75, v[0:1]
.LBB85_41:                              ;   in Loop: Header=BB85_5 Depth=1
	s_or_b64 exec, exec, s[0:1]
                                        ; implicit-def: $vgpr6
                                        ; implicit-def: $vgpr72_vgpr73
                                        ; implicit-def: $vgpr15
                                        ; implicit-def: $vgpr96
                                        ; implicit-def: $vgpr97
                                        ; implicit-def: $vgpr105
                                        ; implicit-def: $vgpr95
                                        ; implicit-def: $vgpr3
                                        ; implicit-def: $vgpr4_vgpr5
                                        ; implicit-def: $vgpr98
                                        ; implicit-def: $vgpr99
                                        ; implicit-def: $vgpr100
                                        ; implicit-def: $vgpr101
                                        ; implicit-def: $vgpr103
                                        ; implicit-def: $vgpr104
                                        ; implicit-def: $vgpr106
                                        ; implicit-def: $vgpr107
                                        ; implicit-def: $vgpr108
                                        ; implicit-def: $vgpr109
                                        ; implicit-def: $vgpr110
                                        ; implicit-def: $vgpr111
                                        ; implicit-def: $vgpr112
                                        ; implicit-def: $vgpr113
                                        ; implicit-def: $vgpr102
                                        ; implicit-def: $vgpr114
.LBB85_42:                              ;   in Loop: Header=BB85_5 Depth=1
	s_andn2_saveexec_b64 s[0:1], s[4:5]
	s_cbranch_execz .LBB85_3
; %bb.43:                               ;   in Loop: Header=BB85_5 Depth=1
	s_mov_b32 s12, s54
	v_mul_f64 v[8:9], v[4:5], s[12:13]
	v_rndne_f64_e32 v[10:11], v[8:9]
	s_mov_b32 s56, s48
	v_fma_f64 v[4:5], v[10:11], s[56:57], -v[4:5]
	s_mov_b32 s58, s50
	v_fmac_f64_e32 v[4:5], s[58:59], v[10:11]
	v_pk_mov_b32 v[8:9], v[30:31], v[30:31] op_sel:[0,1]
	v_fmac_f64_e32 v[8:9], s[60:61], v[4:5]
	v_pk_mov_b32 v[74:75], v[32:33], v[32:33] op_sel:[0,1]
	;; [unrolled: 2-line block ×9, first 2 shown]
	v_fmac_f64_e32 v[76:77], v[4:5], v[74:75]
	v_fma_f64 v[74:75], v[4:5], v[76:77], 1.0
	s_mov_b32 s2, 0xe400
	v_fma_f64 v[4:5], v[4:5], v[74:75], 1.0
	v_cvt_i32_f64_e32 v7, v[10:11]
	v_cmp_ngt_f16_e32 vcc, s2, v6
	s_movk_i32 s2, 0x6433
	v_ldexp_f64 v[4:5], v[4:5], v7
	v_cmp_nlt_f16_e64 s[2:3], s2, v6
	v_mov_b32_e32 v8, 0
	v_cndmask_b32_e32 v5, v93, v5, vcc
	s_and_b64 vcc, s[2:3], vcc
	v_mov_b32_e32 v9, 0x3ff00000
	v_mov_b32_e32 v78, 0
	v_cndmask_b32_e64 v11, 0, v5, s[2:3]
	v_cndmask_b32_e32 v10, 0, v4, vcc
	s_mov_b32 s6, -1
	s_mov_b64 s[2:3], 0
	v_mov_b32_e32 v79, v17
	s_branch .LBB85_45
.LBB85_44:                              ;   in Loop: Header=BB85_45 Depth=2
	s_or_b64 exec, exec, s[4:5]
	v_cmp_eq_u32_e32 vcc, 1, v15
	v_cndmask_b32_e32 v0, v0, v1, vcc
	v_cmp_eq_u32_e32 vcc, 2, v15
	v_cndmask_b32_e32 v0, v0, v2, vcc
	;; [unrolled: 2-line block ×6, first 2 shown]
	v_lshrrev_b32_e32 v0, 11, v0
	v_cvt_f64_u32_e32 v[0:1], v0
	v_ldexp_f64 v[0:1], v[0:1], 32
	v_cvt_f64_u32_e32 v[2:3], v2
	v_add_f64 v[0:1], v[0:1], v[2:3]
	v_mov_b32_e32 v2, 0
	v_mov_b32_e32 v3, 0x3ca00000
	v_fmac_f64_e32 v[2:3], 0x3ca00000, v[0:1]
	v_mul_f64 v[8:9], v[8:9], v[2:3]
	v_cmp_ngt_f64_e32 vcc, v[8:9], v[10:11]
	s_add_i32 s6, s6, 1
	s_or_b64 s[2:3], vcc, s[2:3]
	v_mov_b32_e32 v75, s6
	v_mov_b32_e32 v15, v81
	;; [unrolled: 1-line block ×6, first 2 shown]
	s_andn2_b64 exec, exec, s[2:3]
	s_cbranch_execz .LBB85_2
.LBB85_45:                              ;   Parent Loop BB85_5 Depth=1
                                        ; =>  This Inner Loop Header: Depth=2
	v_add_u32_e32 v80, 1, v15
	v_pk_mov_b32 v[6:7], v[2:3], v[2:3] op_sel:[0,1]
	v_cmp_eq_u32_e32 vcc, 4, v80
	v_pk_mov_b32 v[4:5], v[0:1], v[0:1] op_sel:[0,1]
	v_mov_b32_e32 v77, v0
	v_mov_b32_e32 v76, v1
	;; [unrolled: 1-line block ×4, first 2 shown]
	s_and_saveexec_b64 s[4:5], vcc
	s_cbranch_execz .LBB85_47
; %bb.46:                               ;   in Loop: Header=BB85_45 Depth=2
	v_add_co_u32_e32 v96, vcc, 1, v96
	v_cndmask_b32_e64 v4, 0, 1, vcc
	v_addc_co_u32_e32 v97, vcc, 0, v97, vcc
	v_cmp_eq_u32_e32 vcc, 0, v97
	v_cndmask_b32_e32 v4, 0, v4, vcc
	v_add_u32_e32 v79, v4, v79
	v_cmp_eq_u32_e32 vcc, 0, v79
	v_cndmask_b32_e32 v4, 0, v4, vcc
	v_add_u32_e32 v78, v4, v78
	v_mad_u64_u32 v[4:5], s[14:15], v96, s11, 0
	v_mad_u64_u32 v[6:7], s[14:15], v79, s8, 0
	v_xor_b32_e32 v5, v5, v73
	v_xor_b32_e32 v7, v7, v72
	v_xor_b32_e32 v5, v78, v5
	v_xor_b32_e32 v7, v97, v7
	v_mad_u64_u32 v[76:77], s[14:15], v5, s8, 0
	v_mad_u64_u32 v[74:75], s[14:15], v7, s11, 0
	v_xor_b32_e32 v5, v98, v77
	v_xor_b32_e32 v5, v5, v6
	v_xor_b32_e32 v6, v99, v75
	v_xor_b32_e32 v6, v6, v4
	v_mad_u64_u32 v[4:5], s[14:15], v5, s11, 0
	v_mad_u64_u32 v[6:7], s[14:15], v6, s8, 0
	v_xor_b32_e32 v5, v101, v5
	v_xor_b32_e32 v7, v100, v7
	v_xor_b32_e32 v5, v5, v74
	v_xor_b32_e32 v7, v7, v76
	v_mad_u64_u32 v[76:77], s[14:15], v5, s8, 0
	v_mad_u64_u32 v[74:75], s[14:15], v7, s11, 0
	v_xor_b32_e32 v5, v103, v77
	v_xor_b32_e32 v5, v5, v6
	v_xor_b32_e32 v6, v104, v75
	v_xor_b32_e32 v6, v6, v4
	v_mad_u64_u32 v[4:5], s[14:15], v5, s11, 0
	v_mad_u64_u32 v[6:7], s[14:15], v6, s8, 0
	v_xor_b32_e32 v5, v107, v5
	v_xor_b32_e32 v7, v106, v7
	v_xor_b32_e32 v5, v5, v74
	v_xor_b32_e32 v7, v7, v76
	v_mad_u64_u32 v[76:77], s[14:15], v5, s8, 0
	v_mad_u64_u32 v[74:75], s[14:15], v7, s11, 0
	v_xor_b32_e32 v5, v108, v77
	v_xor_b32_e32 v5, v5, v6
	v_xor_b32_e32 v6, v109, v75
	v_xor_b32_e32 v6, v6, v4
	v_mad_u64_u32 v[4:5], s[14:15], v5, s11, 0
	v_mad_u64_u32 v[6:7], s[14:15], v6, s8, 0
	v_xor_b32_e32 v5, v111, v5
	v_xor_b32_e32 v7, v110, v7
	v_xor_b32_e32 v5, v5, v74
	v_xor_b32_e32 v7, v7, v76
	v_mad_u64_u32 v[76:77], s[14:15], v5, s8, 0
	v_mad_u64_u32 v[74:75], s[14:15], v7, s11, 0
	v_xor_b32_e32 v5, v112, v77
	v_xor_b32_e32 v5, v5, v6
	v_xor_b32_e32 v6, v113, v75
	v_xor_b32_e32 v4, v6, v4
	v_mad_u64_u32 v[6:7], s[14:15], v5, s11, 0
	v_mad_u64_u32 v[4:5], s[14:15], v4, s8, 0
	v_xor_b32_e32 v5, v102, v5
	v_xor_b32_e32 v7, v114, v7
	v_xor_b32_e32 v5, v5, v76
	v_xor_b32_e32 v7, v7, v74
	v_mad_u64_u32 v[74:75], s[14:15], v5, s11, 0
	v_mad_u64_u32 v[76:77], s[14:15], v7, s8, 0
	v_xor_b32_e32 v4, v77, v4
	v_xor_b32_e32 v5, v75, v6
	v_xor_b32_e32 v4, v105, v4
	v_xor_b32_e32 v6, v95, v5
	v_mov_b32_e32 v80, 0
	v_mov_b32_e32 v5, v76
	;; [unrolled: 1-line block ×5, first 2 shown]
.LBB85_47:                              ;   in Loop: Header=BB85_45 Depth=2
	s_or_b64 exec, exec, s[4:5]
	v_add_u32_e32 v81, 1, v80
	v_cmp_eq_u32_e32 vcc, 4, v81
	s_and_saveexec_b64 s[4:5], vcc
	s_cbranch_execz .LBB85_44
; %bb.48:                               ;   in Loop: Header=BB85_45 Depth=2
	v_add_co_u32_e32 v96, vcc, 1, v96
	v_cndmask_b32_e64 v74, 0, 1, vcc
	v_addc_co_u32_e32 v97, vcc, 0, v97, vcc
	v_cmp_eq_u32_e32 vcc, 0, v97
	v_cndmask_b32_e32 v74, 0, v74, vcc
	v_add_u32_e32 v79, v74, v79
	v_cmp_eq_u32_e32 vcc, 0, v79
	v_cndmask_b32_e32 v74, 0, v74, vcc
	v_add_u32_e32 v78, v74, v78
	v_mad_u64_u32 v[74:75], s[14:15], v96, s11, 0
	v_mad_u64_u32 v[76:77], s[14:15], v79, s8, 0
	v_xor_b32_e32 v75, v75, v73
	v_xor_b32_e32 v77, v77, v72
	v_xor_b32_e32 v75, v78, v75
	v_xor_b32_e32 v77, v97, v77
	v_mad_u64_u32 v[84:85], s[14:15], v75, s8, 0
	v_mad_u64_u32 v[82:83], s[14:15], v77, s11, 0
	v_xor_b32_e32 v75, v98, v85
	v_xor_b32_e32 v75, v75, v76
	v_xor_b32_e32 v76, v99, v83
	v_xor_b32_e32 v76, v76, v74
	;; [unrolled: 6-line block ×9, first 2 shown]
	v_mad_u64_u32 v[74:75], s[14:15], v74, s11, 0
	v_mad_u64_u32 v[76:77], s[14:15], v76, s8, 0
	v_xor_b32_e32 v77, v77, v116
	v_xor_b32_e32 v75, v75, v86
	v_mov_b32_e32 v81, 0
	v_xor_b32_e32 v77, v105, v77
	v_xor_b32_e32 v82, v95, v75
	s_branch .LBB85_44
.LBB85_49:
	s_or_b64 exec, exec, s[16:17]
	s_and_saveexec_b64 s[0:1], s[26:27]
	s_xor_b64 s[0:1], exec, s[0:1]
	s_cbranch_execnz .LBB85_51
.LBB85_50:
	s_endpgm
.LBB85_51:
	s_trap 2
	; divergent unreachable
	s_endpgm
	.section	.rodata,"a",@progbits
	.p2align	6, 0x0
	.amdhsa_kernel _ZN2at4cuda12_GLOBAL__N_121kernelPointwiseApply2IZN12_GLOBAL__N_119poisson_cuda_kernelIN3c104HalfEEEvRKNS_10TensorBaseES9_NS_15PhiloxCudaStateEEUlRS6_RKS6_E_S6_S6_jLin1ELi1ELi1ELi512ELi2EEEvNS0_6detail10TensorInfoIT0_T2_EENSG_IT1_SI_EESI_T_
		.amdhsa_group_segment_fixed_size 0
		.amdhsa_private_segment_fixed_size 0
		.amdhsa_kernarg_size 728
		.amdhsa_user_sgpr_count 6
		.amdhsa_user_sgpr_private_segment_buffer 1
		.amdhsa_user_sgpr_dispatch_ptr 0
		.amdhsa_user_sgpr_queue_ptr 0
		.amdhsa_user_sgpr_kernarg_segment_ptr 1
		.amdhsa_user_sgpr_dispatch_id 0
		.amdhsa_user_sgpr_flat_scratch_init 0
		.amdhsa_user_sgpr_kernarg_preload_length 0
		.amdhsa_user_sgpr_kernarg_preload_offset 0
		.amdhsa_user_sgpr_private_segment_size 0
		.amdhsa_uses_dynamic_stack 0
		.amdhsa_system_sgpr_private_segment_wavefront_offset 0
		.amdhsa_system_sgpr_workgroup_id_x 1
		.amdhsa_system_sgpr_workgroup_id_y 0
		.amdhsa_system_sgpr_workgroup_id_z 0
		.amdhsa_system_sgpr_workgroup_info 0
		.amdhsa_system_vgpr_workitem_id 0
		.amdhsa_next_free_vgpr 135
		.amdhsa_next_free_sgpr 96
		.amdhsa_accum_offset 136
		.amdhsa_reserve_vcc 1
		.amdhsa_reserve_flat_scratch 0
		.amdhsa_float_round_mode_32 0
		.amdhsa_float_round_mode_16_64 0
		.amdhsa_float_denorm_mode_32 3
		.amdhsa_float_denorm_mode_16_64 3
		.amdhsa_dx10_clamp 1
		.amdhsa_ieee_mode 1
		.amdhsa_fp16_overflow 0
		.amdhsa_tg_split 0
		.amdhsa_exception_fp_ieee_invalid_op 0
		.amdhsa_exception_fp_denorm_src 0
		.amdhsa_exception_fp_ieee_div_zero 0
		.amdhsa_exception_fp_ieee_overflow 0
		.amdhsa_exception_fp_ieee_underflow 0
		.amdhsa_exception_fp_ieee_inexact 0
		.amdhsa_exception_int_div_zero 0
	.end_amdhsa_kernel
	.section	.text._ZN2at4cuda12_GLOBAL__N_121kernelPointwiseApply2IZN12_GLOBAL__N_119poisson_cuda_kernelIN3c104HalfEEEvRKNS_10TensorBaseES9_NS_15PhiloxCudaStateEEUlRS6_RKS6_E_S6_S6_jLin1ELi1ELi1ELi512ELi2EEEvNS0_6detail10TensorInfoIT0_T2_EENSG_IT1_SI_EESI_T_,"axG",@progbits,_ZN2at4cuda12_GLOBAL__N_121kernelPointwiseApply2IZN12_GLOBAL__N_119poisson_cuda_kernelIN3c104HalfEEEvRKNS_10TensorBaseES9_NS_15PhiloxCudaStateEEUlRS6_RKS6_E_S6_S6_jLin1ELi1ELi1ELi512ELi2EEEvNS0_6detail10TensorInfoIT0_T2_EENSG_IT1_SI_EESI_T_,comdat
.Lfunc_end85:
	.size	_ZN2at4cuda12_GLOBAL__N_121kernelPointwiseApply2IZN12_GLOBAL__N_119poisson_cuda_kernelIN3c104HalfEEEvRKNS_10TensorBaseES9_NS_15PhiloxCudaStateEEUlRS6_RKS6_E_S6_S6_jLin1ELi1ELi1ELi512ELi2EEEvNS0_6detail10TensorInfoIT0_T2_EENSG_IT1_SI_EESI_T_, .Lfunc_end85-_ZN2at4cuda12_GLOBAL__N_121kernelPointwiseApply2IZN12_GLOBAL__N_119poisson_cuda_kernelIN3c104HalfEEEvRKNS_10TensorBaseES9_NS_15PhiloxCudaStateEEUlRS6_RKS6_E_S6_S6_jLin1ELi1ELi1ELi512ELi2EEEvNS0_6detail10TensorInfoIT0_T2_EENSG_IT1_SI_EESI_T_
                                        ; -- End function
	.section	.AMDGPU.csdata,"",@progbits
; Kernel info:
; codeLenInByte = 13584
; NumSgprs: 100
; NumVgprs: 135
; NumAgprs: 0
; TotalNumVgprs: 135
; ScratchSize: 0
; MemoryBound: 0
; FloatMode: 240
; IeeeMode: 1
; LDSByteSize: 0 bytes/workgroup (compile time only)
; SGPRBlocks: 12
; VGPRBlocks: 16
; NumSGPRsForWavesPerEU: 100
; NumVGPRsForWavesPerEU: 135
; AccumOffset: 136
; Occupancy: 3
; WaveLimiterHint : 1
; COMPUTE_PGM_RSRC2:SCRATCH_EN: 0
; COMPUTE_PGM_RSRC2:USER_SGPR: 6
; COMPUTE_PGM_RSRC2:TRAP_HANDLER: 0
; COMPUTE_PGM_RSRC2:TGID_X_EN: 1
; COMPUTE_PGM_RSRC2:TGID_Y_EN: 0
; COMPUTE_PGM_RSRC2:TGID_Z_EN: 0
; COMPUTE_PGM_RSRC2:TIDIG_COMP_CNT: 0
; COMPUTE_PGM_RSRC3_GFX90A:ACCUM_OFFSET: 33
; COMPUTE_PGM_RSRC3_GFX90A:TG_SPLIT: 0
	.section	.text._ZN2at4cuda12_GLOBAL__N_121kernelPointwiseApply2IZN12_GLOBAL__N_119poisson_cuda_kernelIN3c104HalfEEEvRKNS_10TensorBaseES9_NS_15PhiloxCudaStateEEUlRS6_RKS6_E_S6_S6_jLin1ELi2ELi1ELi512ELi2EEEvNS0_6detail10TensorInfoIT0_T2_EENSG_IT1_SI_EESI_T_,"axG",@progbits,_ZN2at4cuda12_GLOBAL__N_121kernelPointwiseApply2IZN12_GLOBAL__N_119poisson_cuda_kernelIN3c104HalfEEEvRKNS_10TensorBaseES9_NS_15PhiloxCudaStateEEUlRS6_RKS6_E_S6_S6_jLin1ELi2ELi1ELi512ELi2EEEvNS0_6detail10TensorInfoIT0_T2_EENSG_IT1_SI_EESI_T_,comdat
	.globl	_ZN2at4cuda12_GLOBAL__N_121kernelPointwiseApply2IZN12_GLOBAL__N_119poisson_cuda_kernelIN3c104HalfEEEvRKNS_10TensorBaseES9_NS_15PhiloxCudaStateEEUlRS6_RKS6_E_S6_S6_jLin1ELi2ELi1ELi512ELi2EEEvNS0_6detail10TensorInfoIT0_T2_EENSG_IT1_SI_EESI_T_ ; -- Begin function _ZN2at4cuda12_GLOBAL__N_121kernelPointwiseApply2IZN12_GLOBAL__N_119poisson_cuda_kernelIN3c104HalfEEEvRKNS_10TensorBaseES9_NS_15PhiloxCudaStateEEUlRS6_RKS6_E_S6_S6_jLin1ELi2ELi1ELi512ELi2EEEvNS0_6detail10TensorInfoIT0_T2_EENSG_IT1_SI_EESI_T_
	.p2align	8
	.type	_ZN2at4cuda12_GLOBAL__N_121kernelPointwiseApply2IZN12_GLOBAL__N_119poisson_cuda_kernelIN3c104HalfEEEvRKNS_10TensorBaseES9_NS_15PhiloxCudaStateEEUlRS6_RKS6_E_S6_S6_jLin1ELi2ELi1ELi512ELi2EEEvNS0_6detail10TensorInfoIT0_T2_EENSG_IT1_SI_EESI_T_,@function
_ZN2at4cuda12_GLOBAL__N_121kernelPointwiseApply2IZN12_GLOBAL__N_119poisson_cuda_kernelIN3c104HalfEEEvRKNS_10TensorBaseES9_NS_15PhiloxCudaStateEEUlRS6_RKS6_E_S6_S6_jLin1ELi2ELi1ELi512ELi2EEEvNS0_6detail10TensorInfoIT0_T2_EENSG_IT1_SI_EESI_T_: ; @_ZN2at4cuda12_GLOBAL__N_121kernelPointwiseApply2IZN12_GLOBAL__N_119poisson_cuda_kernelIN3c104HalfEEEvRKNS_10TensorBaseES9_NS_15PhiloxCudaStateEEUlRS6_RKS6_E_S6_S6_jLin1ELi2ELi1ELi512ELi2EEEvNS0_6detail10TensorInfoIT0_T2_EENSG_IT1_SI_EESI_T_
; %bb.0:
	s_load_dword s2, s[4:5], 0x1e4
	s_load_dword s33, s[4:5], 0x1b0
	s_add_u32 s0, s4, 0x1d8
	s_addc_u32 s1, s5, 0
	s_waitcnt lgkmcnt(0)
	s_and_b32 s2, s2, 0xffff
	s_mul_i32 s6, s6, s2
	v_add_u32_e32 v17, s6, v0
	v_cmp_gt_u32_e32 vcc, s33, v17
	s_and_saveexec_b64 s[6:7], vcc
	s_cbranch_execz .LBB86_52
; %bb.1:
	s_load_dword s8, s[4:5], 0xe4
	s_load_dwordx2 s[20:21], s[4:5], 0x144
	s_load_dwordx2 s[30:31], s[4:5], 0xd8
	s_load_dword s9, s[4:5], 0xd0
	s_load_dwordx2 s[6:7], s[4:5], 0x1c8
	s_load_dwordx4 s[12:15], s[4:5], 0x1b8
                                        ; implicit-def: $vgpr134 : SGPR spill to VGPR lane
	s_waitcnt lgkmcnt(0)
	v_cvt_f32_u32_e32 v0, s8
	s_mov_b32 s10, 0xcd9e8d57
	s_cmp_gt_i32 s9, 1
	v_writelane_b32 v134, s6, 0
	v_writelane_b32 v134, s7, 1
	;; [unrolled: 1-line block ×6, first 2 shown]
	s_load_dword s11, s[0:1], 0x0
	s_load_dword s3, s[4:5], 0x1d0
	;; [unrolled: 1-line block ×3, first 2 shown]
	v_rcp_iflag_f32_e32 v0, v0
	s_load_dwordx2 s[0:1], s[4:5], 0x0
	s_cselect_b64 s[6:7], -1, 0
	s_waitcnt lgkmcnt(0)
	s_mul_i32 s2, s11, s2
	v_mul_f32_e32 v0, 0x4f7ffffe, v0
	v_cvt_u32_f32_e32 v0, v0
	v_writelane_b32 v134, s0, 6
	v_writelane_b32 v134, s1, 7
	s_getpc_b64 s[0:1]
	s_add_u32 s0, s0, .str@rel32@lo+4
	s_addc_u32 s1, s1, .str@rel32@hi+12
	s_cmp_eq_u64 s[0:1], 0
	s_cselect_b64 s[0:1], -1, 0
	s_bitcmp1_b32 s3, 0
	s_cselect_b64 s[12:13], -1, 0
	v_writelane_b32 v134, s12, 8
	v_writelane_b32 v134, s13, 9
	;; [unrolled: 1-line block ×3, first 2 shown]
	s_sub_i32 s2, 0, s8
	v_mul_lo_u32 v1, s2, v0
	s_add_i32 s2, s9, 1
	s_mov_b32 s3, 0
	v_writelane_b32 v134, s2, 11
	s_add_i32 s2, s9, -1
	s_lshl_b64 s[2:3], s[2:3], 2
	s_add_u32 s2, s2, s4
	s_addc_u32 s3, s3, s5
	s_add_u32 s2, s2, 8
	v_mad_u64_u32 v[12:13], s[12:13], v17, s10, 0
	v_mul_hi_u32 v1, v0, v1
	s_addc_u32 s3, s3, 0
	v_mov_b32_e32 v16, v13
	v_add_u32_e32 v13, v0, v1
	v_writelane_b32 v134, s2, 12
	v_cndmask_b32_e64 v0, 0, 1, s[6:7]
	v_writelane_b32 v134, s3, 13
	v_cmp_ne_u32_e64 s[2:3], 1, v0
	v_writelane_b32 v134, s2, 14
	v_writelane_b32 v134, s3, 15
	s_xor_b64 s[62:63], s[0:1], -1
	s_mov_b32 s1, 0xbff71547
	v_writelane_b32 v134, s0, 16
	s_mov_b32 s26, 0
	s_mov_b32 s34, 0x55555555
	;; [unrolled: 1-line block ×26, first 2 shown]
	s_movk_i32 s94, 0xf950
	s_mov_b32 s24, 0xc864beb5
	s_mov_b32 s22, 0
	;; [unrolled: 1-line block ×3, first 2 shown]
	v_writelane_b32 v134, s1, 17
	s_mov_b64 s[18:19], 0
	v_mov_b32_e32 v14, 0
	s_mov_b32 s11, 0xd2511f53
	s_mov_b32 s27, 0x40080000
	;; [unrolled: 1-line block ×12, first 2 shown]
	s_movk_i32 s9, 0x204
	s_mov_b32 s57, 0x3ff71547
	s_mov_b32 s59, 0xbfe62e42
	;; [unrolled: 1-line block ×3, first 2 shown]
	v_mov_b32_e32 v18, 0x6b47b09a
	v_mov_b32_e32 v20, 0xd7f4df2e
	;; [unrolled: 1-line block ×27, first 2 shown]
	s_mov_b32 s31, s14
	v_mov_b32_e32 v89, 0x260
	v_mov_b32_e32 v90, 0xffffff80
	;; [unrolled: 1-line block ×33, first 2 shown]
	s_mov_b32 s65, 0x3e5ade15
	s_mov_b32 s67, 0x40900000
	;; [unrolled: 1-line block ×19, first 2 shown]
	v_writelane_b32 v134, s20, 18
                                        ; implicit-def: $sgpr14_sgpr15
                                        ; implicit-def: $sgpr54_sgpr55
	v_writelane_b32 v134, s21, 19
	s_branch .LBB86_5
.LBB86_2:                               ;   in Loop: Header=BB86_5 Depth=1
	s_or_b64 exec, exec, s[2:3]
.LBB86_3:                               ;   in Loop: Header=BB86_5 Depth=1
	s_or_b64 exec, exec, s[0:1]
	v_cvt_f32_u32_e32 v2, v75
	v_readlane_b32 s0, v134, 6
	v_lshlrev_b64 v[0:1], 1, v[70:71]
	v_readlane_b32 s1, v134, 7
	v_mov_b32_e32 v3, s1
	v_cvt_f16_f32_e32 v2, v2
	v_add_co_u32_e32 v0, vcc, s0, v0
	v_readlane_b32 s0, v134, 10
	v_addc_co_u32_e32 v1, vcc, v3, v1, vcc
	v_add_u32_e32 v95, s0, v95
	v_cmp_le_u32_e32 vcc, s33, v95
	s_andn2_b64 s[54:55], s[54:55], exec
	s_orn2_b64 s[0:1], vcc, exec
	global_store_short v[0:1], v2, off
.LBB86_4:                               ;   in Loop: Header=BB86_5 Depth=1
	s_or_b64 exec, exec, s[4:5]
	s_and_b64 s[0:1], exec, s[0:1]
	s_or_b64 s[18:19], s[0:1], s[18:19]
	s_andn2_b64 s[0:1], s[14:15], exec
	s_and_b64 s[2:3], s[54:55], exec
	s_or_b64 s[14:15], s[0:1], s[2:3]
	s_andn2_b64 exec, exec, s[18:19]
	s_cbranch_execz .LBB86_51
.LBB86_5:                               ; =>This Loop Header: Depth=1
                                        ;     Child Loop BB86_8 Depth 2
                                        ;     Child Loop BB86_18 Depth 2
	;; [unrolled: 1-line block ×3, first 2 shown]
	v_sub_u32_e32 v0, s33, v95
	v_cmp_lt_i32_e64 s[2:3], 0, v0
	v_pk_mov_b32 v[70:71], 0, 0
	s_and_saveexec_b64 s[0:1], s[2:3]
	s_cbranch_execz .LBB86_10
; %bb.6:                                ;   in Loop: Header=BB86_5 Depth=1
	v_readlane_b32 s4, v134, 14
	v_readlane_b32 s5, v134, 15
	s_and_b64 vcc, exec, s[4:5]
	v_mov_b32_e32 v0, 0
	v_mov_b32_e32 v2, v95
	s_cbranch_vccnz .LBB86_9
; %bb.7:                                ;   in Loop: Header=BB86_5 Depth=1
	v_readlane_b32 s4, v134, 12
	v_mov_b32_e32 v0, 0
	v_readlane_b32 s5, v134, 13
	v_readlane_b32 s6, v134, 11
	v_mov_b32_e32 v2, v95
.LBB86_8:                               ;   Parent Loop BB86_5 Depth=1
                                        ; =>  This Inner Loop Header: Depth=2
	s_load_dword s7, s[4:5], 0x0
	s_load_dword s12, s[4:5], 0x64
	v_mov_b32_e32 v1, v2
	s_add_i32 s6, s6, -1
	s_waitcnt lgkmcnt(0)
	v_cvt_f32_u32_e32 v2, s7
	s_sub_i32 s13, 0, s7
	s_add_u32 s4, s4, -4
	s_addc_u32 s5, s5, -1
	v_rcp_iflag_f32_e32 v2, v2
	s_cmp_gt_u32 s6, 2
	v_mul_f32_e32 v2, 0x4f7ffffe, v2
	v_cvt_u32_f32_e32 v2, v2
	v_mul_lo_u32 v3, s13, v2
	v_mul_hi_u32 v3, v2, v3
	v_add_u32_e32 v2, v2, v3
	v_mul_hi_u32 v2, v1, v2
	v_mul_lo_u32 v3, v2, s7
	v_sub_u32_e32 v3, v1, v3
	v_add_u32_e32 v4, 1, v2
	v_subrev_u32_e32 v5, s7, v3
	v_cmp_le_u32_e32 vcc, s7, v3
	v_cndmask_b32_e32 v2, v2, v4, vcc
	v_cndmask_b32_e32 v3, v3, v5, vcc
	v_add_u32_e32 v4, 1, v2
	v_cmp_le_u32_e32 vcc, s7, v3
	v_cndmask_b32_e32 v2, v2, v4, vcc
	v_mul_lo_u32 v3, v2, s7
	v_sub_u32_e32 v1, v1, v3
	v_mad_u64_u32 v[0:1], s[12:13], s12, v1, v[0:1]
	s_cbranch_scc1 .LBB86_8
.LBB86_9:                               ;   in Loop: Header=BB86_5 Depth=1
	v_mad_u64_u32 v[70:71], s[4:5], s31, v2, v[0:1]
	v_mov_b32_e32 v71, v14
.LBB86_10:                              ;   in Loop: Header=BB86_5 Depth=1
	s_or_b64 exec, exec, s[0:1]
	v_pk_mov_b32 v[0:1], 0, 0
	s_and_saveexec_b64 s[0:1], s[2:3]
	s_cbranch_execz .LBB86_12
; %bb.11:                               ;   in Loop: Header=BB86_5 Depth=1
	v_mul_hi_u32 v0, v95, v13
	v_mul_lo_u32 v1, v0, s8
	v_sub_u32_e32 v1, v95, v1
	v_add_u32_e32 v2, 1, v0
	v_cmp_le_u32_e32 vcc, s8, v1
	v_cndmask_b32_e32 v0, v0, v2, vcc
	v_subrev_u32_e32 v2, s8, v1
	v_cndmask_b32_e32 v1, v1, v2, vcc
	v_add_u32_e32 v2, 1, v0
	v_cmp_le_u32_e32 vcc, s8, v1
	v_cndmask_b32_e32 v1, v0, v2, vcc
	v_mul_lo_u32 v0, v1, s8
	v_sub_u32_e32 v0, v95, v0
	v_mul_lo_u32 v0, v0, s21
	v_mad_u64_u32 v[0:1], s[2:3], v1, s20, v[0:1]
	v_mov_b32_e32 v1, v14
.LBB86_12:                              ;   in Loop: Header=BB86_5 Depth=1
	s_or_b64 exec, exec, s[0:1]
	v_lshlrev_b64 v[0:1], 1, v[0:1]
	v_add_co_u32_e32 v0, vcc, s30, v0
	v_addc_co_u32_e32 v1, vcc, v88, v1, vcc
	global_load_ushort v6, v[0:1], off
	s_mov_b64 s[0:1], -1
	s_or_b64 s[54:55], s[54:55], exec
	s_waitcnt vmcnt(0)
	v_cmp_le_f16_e32 vcc, 0, v6
	s_and_b64 s[2:3], s[62:63], vcc
	s_and_saveexec_b64 s[4:5], s[2:3]
	s_cbranch_execz .LBB86_4
; %bb.13:                               ;   in Loop: Header=BB86_5 Depth=1
	v_readlane_b32 s0, v134, 8
	v_readlane_b32 s1, v134, 9
	s_andn2_b64 vcc, exec, s[0:1]
	v_readlane_b32 s0, v134, 2
	v_readlane_b32 s1, v134, 3
	;; [unrolled: 1-line block ×4, first 2 shown]
	v_pk_mov_b32 v[0:1], s[2:3], s[2:3] op_sel:[0,1]
	v_pk_mov_b32 v[72:73], s[0:1], s[0:1] op_sel:[0,1]
	s_cbranch_vccnz .LBB86_15
; %bb.14:                               ;   in Loop: Header=BB86_5 Depth=1
	v_readlane_b32 s0, v134, 2
	v_readlane_b32 s2, v134, 4
	;; [unrolled: 1-line block ×3, first 2 shown]
	v_pk_mov_b32 v[0:1], s[2:3], s[2:3] op_sel:[0,1]
	v_readlane_b32 s1, v134, 3
	flat_load_dwordx2 v[0:1], v[0:1]
	v_pk_mov_b32 v[2:3], s[0:1], s[0:1] op_sel:[0,1]
	flat_load_dwordx2 v[72:73], v[2:3]
	v_readlane_b32 s0, v134, 0
	v_readlane_b32 s1, v134, 1
	v_mov_b32_e32 v2, s1
	s_waitcnt vmcnt(0) lgkmcnt(0)
	v_add_co_u32_e32 v0, vcc, s0, v0
	v_addc_co_u32_e32 v1, vcc, v1, v2, vcc
.LBB86_15:                              ;   in Loop: Header=BB86_5 Depth=1
	v_alignbit_b32 v97, v1, v0, 2
	v_and_b32_e32 v15, 3, v0
	v_lshrrev_b32_e32 v98, 2, v1
	v_mad_u64_u32 v[0:1], s[0:1], v97, s11, 0
	v_xor_b32_e32 v3, v16, v72
	v_mov_b32_e32 v2, v73
	v_xor_b32_e32 v1, v1, v73
	s_mov_b32 s0, 0xbb67ae85
	v_xor_b32_e32 v3, v3, v98
	v_add_co_u32_e32 v100, vcc, s0, v2
	v_mad_u64_u32 v[4:5], s[0:1], v3, s11, 0
	v_mad_u64_u32 v[8:9], s[0:1], v1, s10, 0
	v_add_co_u32_e32 v99, vcc, 0x9e3779b9, v72
	v_xor_b32_e32 v1, v12, v9
	v_xor_b32_e32 v3, v100, v5
	s_mov_b32 s0, 0x3c6ef372
	v_xor_b32_e32 v1, v1, v99
	v_xor_b32_e32 v3, v3, v0
	v_add_co_u32_e32 v101, vcc, s0, v72
	s_mov_b32 s0, 0x76cf5d0a
	v_add_co_u32_e32 v102, vcc, s0, v2
	v_mad_u64_u32 v[0:1], s[0:1], v1, s11, 0
	v_mad_u64_u32 v[10:11], s[0:1], v3, s10, 0
	v_xor_b32_e32 v3, v101, v11
	v_xor_b32_e32 v1, v102, v1
	s_mov_b32 s0, 0xdaa66d2b
	v_xor_b32_e32 v3, v3, v8
	v_xor_b32_e32 v1, v1, v4
	v_add_co_u32_e32 v104, vcc, s0, v72
	s_mov_b32 s0, 0x32370b8f
	v_add_co_u32_e32 v105, vcc, s0, v2
	v_mad_u64_u32 v[4:5], s[0:1], v3, s11, 0
	v_mad_u64_u32 v[8:9], s[0:1], v1, s10, 0
	;; [unrolled: 10-line block ×7, first 2 shown]
	v_xor_b32_e32 v1, v103, v1
	v_xor_b32_e32 v1, v1, v8
	v_xor_b32_e32 v3, v115, v3
	v_xor_b32_e32 v7, v3, v4
	v_mad_u64_u32 v[4:5], s[0:1], v1, s11, 0
	v_mov_b32_e32 v3, v4
	v_cvt_f32_f16_e32 v4, v6
	v_mad_u64_u32 v[8:9], s[0:1], v7, s10, 0
	v_add_u32_e32 v106, 0x8ff34781, v72
	v_add_u32_e32 v96, 0x96a522ad, v73
	v_xor_b32_e32 v0, v9, v0
	v_xor_b32_e32 v2, v5, v2
	s_movk_i32 s0, 0x5400
	v_mov_b32_e32 v1, v8
	v_xor_b32_e32 v0, v106, v0
	v_xor_b32_e32 v2, v96, v2
	v_cvt_f64_f32_e32 v[4:5], v4
	v_cmp_ngt_f16_e32 vcc, s0, v6
                                        ; implicit-def: $vgpr75
	s_and_saveexec_b64 s[0:1], vcc
	s_xor_b64 s[6:7], exec, s[0:1]
	s_cbranch_execz .LBB86_44
; %bb.16:                               ;   in Loop: Header=BB86_5 Depth=1
	s_movk_i32 s0, 0x6bd0
	v_cmp_ge_f16_e32 vcc, s0, v6
                                        ; implicit-def: $vgpr75
	s_and_saveexec_b64 s[0:1], vcc
	s_xor_b64 s[16:17], exec, s[0:1]
	s_cbranch_execz .LBB86_31
; %bb.17:                               ;   in Loop: Header=BB86_5 Depth=1
	s_mov_b32 s12, 0xae147ae1
	s_mov_b32 s13, 0xc00ae147
	v_div_scale_f64 v[6:7], s[0:1], v[4:5], v[4:5], s[12:13]
	v_rcp_f64_e32 v[8:9], v[6:7]
	s_mov_b32 s0, 0
	v_mul_f64 v[76:77], v[4:5], s[26:27]
	s_brev_b32 s1, 8
	v_cmp_gt_f64_e64 s[2:3], s[0:1], v[76:77]
	v_cndmask_b32_e64 v78, 0, 1, s[2:3]
	v_fma_f64 v[74:75], -v[6:7], v[8:9], 1.0
	v_lshlrev_b32_e32 v78, 8, v78
	v_fmac_f64_e32 v[8:9], v[8:9], v[74:75]
	v_ldexp_f64 v[76:77], v[76:77], v78
	v_fma_f64 v[74:75], -v[6:7], v[8:9], 1.0
	v_rsq_f64_e32 v[78:79], v[76:77]
	v_div_scale_f64 v[10:11], vcc, s[12:13], v[4:5], s[12:13]
	v_fmac_f64_e32 v[8:9], v[8:9], v[74:75]
	v_mul_f64 v[74:75], v[10:11], v[8:9]
	v_fma_f64 v[6:7], -v[6:7], v[74:75], v[10:11]
	s_nop 0
	v_div_fmas_f64 v[6:7], v[6:7], v[8:9], v[74:75]
	v_mul_f64 v[8:9], v[76:77], v[78:79]
	v_mul_f64 v[10:11], v[78:79], 0.5
	v_fma_f64 v[74:75], -v[10:11], v[8:9], 0.5
	v_fmac_f64_e32 v[8:9], v[8:9], v[74:75]
	v_fma_f64 v[78:79], -v[8:9], v[8:9], v[76:77]
	v_fmac_f64_e32 v[10:11], v[10:11], v[74:75]
	v_fmac_f64_e32 v[8:9], v[78:79], v[10:11]
	v_fma_f64 v[74:75], -v[8:9], v[8:9], v[76:77]
	v_fmac_f64_e32 v[8:9], v[74:75], v[10:11]
	v_cndmask_b32_e64 v10, 0, v90, s[2:3]
	v_ldexp_f64 v[8:9], v[8:9], v10
	v_cmp_class_f64_e32 vcc, v[76:77], v89
	s_mov_b32 s2, 0x54442d18
	v_cndmask_b32_e32 v9, v9, v77, vcc
	v_cndmask_b32_e32 v8, v8, v76, vcc
	s_mov_b32 s3, 0x400921fb
	v_div_scale_f64 v[10:11], s[0:1], v[8:9], v[8:9], s[2:3]
	v_rcp_f64_e32 v[76:77], v[10:11]
	s_mov_b32 s0, 0x95810625
	v_div_fixup_f64 v[6:7], v[6:7], v[4:5], s[12:13]
	s_mov_b32 s1, 0x3fe88b43
	v_fma_f64 v[78:79], -v[10:11], v[76:77], 1.0
	v_fmac_f64_e32 v[76:77], v[76:77], v[78:79]
	v_fma_f64 v[78:79], -v[10:11], v[76:77], 1.0
	v_fmac_f64_e32 v[76:77], v[76:77], v[78:79]
	v_div_scale_f64 v[78:79], vcc, s[2:3], v[8:9], s[2:3]
	v_mul_f64 v[80:81], v[78:79], v[76:77]
	v_fma_f64 v[10:11], -v[10:11], v[80:81], v[78:79]
	v_add_f64 v[6:7], v[6:7], s[0:1]
	s_nop 0
	v_div_fmas_f64 v[10:11], v[10:11], v[76:77], v[80:81]
	v_div_fixup_f64 v[76:77], v[10:11], v[8:9], s[2:3]
	v_frexp_mant_f64_e32 v[8:9], v[6:7]
	v_cmp_gt_f64_e32 vcc, s[34:35], v[8:9]
	v_mov_b32_e32 v74, 0
	v_cndmask_b32_e64 v75, v91, 2.0, vcc
	v_frexp_exp_i32_f64_e32 v10, v[6:7]
	v_mul_f64 v[8:9], v[8:9], v[74:75]
	v_subbrev_co_u32_e32 v75, vcc, 0, v10, vcc
	v_add_f64 v[10:11], v[8:9], 1.0
	v_rcp_f64_e32 v[80:81], v[10:11]
	v_add_f64 v[84:85], v[10:11], -1.0
	v_add_f64 v[82:83], v[8:9], -1.0
	v_add_f64 v[8:9], v[8:9], -v[84:85]
	v_fma_f64 v[84:85], -v[10:11], v[80:81], 1.0
	v_fmac_f64_e32 v[80:81], v[84:85], v[80:81]
	v_fma_f64 v[84:85], -v[10:11], v[80:81], 1.0
	v_fmac_f64_e32 v[80:81], v[84:85], v[80:81]
	v_mul_f64 v[84:85], v[82:83], v[80:81]
	v_mul_f64 v[86:87], v[10:11], v[84:85]
	v_fma_f64 v[10:11], v[84:85], v[10:11], -v[86:87]
	v_fmac_f64_e32 v[10:11], v[84:85], v[8:9]
	v_add_f64 v[8:9], v[86:87], v[10:11]
	v_add_f64 v[116:117], v[82:83], -v[8:9]
	v_add_f64 v[86:87], v[8:9], -v[86:87]
	;; [unrolled: 1-line block ×5, first 2 shown]
	v_add_f64 v[8:9], v[10:11], v[8:9]
	v_add_f64 v[8:9], v[116:117], v[8:9]
	v_mul_f64 v[8:9], v[80:81], v[8:9]
	v_add_f64 v[10:11], v[84:85], v[8:9]
	v_add_f64 v[80:81], v[10:11], -v[84:85]
	v_add_f64 v[8:9], v[8:9], -v[80:81]
	v_mul_f64 v[80:81], v[10:11], v[10:11]
	v_pk_mov_b32 v[82:83], s[36:37], s[36:37] op_sel:[0,1]
	v_fma_f64 v[84:85], s[38:39], v[80:81], v[82:83]
	v_fma_f64 v[84:85], v[80:81], v[84:85], s[40:41]
	;; [unrolled: 1-line block ×5, first 2 shown]
	s_mov_b32 s49, s35
	v_fma_f64 v[84:85], v[80:81], v[84:85], s[48:49]
	v_ldexp_f64 v[86:87], v[10:11], 1
	v_mul_f64 v[10:11], v[10:11], v[80:81]
	v_mul_f64 v[10:11], v[10:11], v[84:85]
	v_add_f64 v[80:81], v[86:87], v[10:11]
	v_add_f64 v[84:85], v[80:81], -v[86:87]
	v_ldexp_f64 v[8:9], v[8:9], 1
	v_add_f64 v[10:11], v[10:11], -v[84:85]
	v_add_f64 v[8:9], v[8:9], v[10:11]
	v_add_f64 v[10:11], v[80:81], v[8:9]
	v_add_f64 v[80:81], v[10:11], -v[80:81]
	v_add_f64 v[8:9], v[8:9], -v[80:81]
	v_cvt_f64_i32_e32 v[80:81], v75
	v_mul_f64 v[84:85], v[80:81], s[50:51]
	v_fma_f64 v[86:87], v[80:81], s[50:51], -v[84:85]
	v_fmac_f64_e32 v[86:87], s[52:53], v[80:81]
	v_add_f64 v[80:81], v[84:85], v[86:87]
	v_add_f64 v[84:85], v[80:81], -v[84:85]
	v_add_f64 v[84:85], v[86:87], -v[84:85]
	v_add_f64 v[86:87], v[80:81], v[10:11]
	v_add_f64 v[116:117], v[86:87], -v[80:81]
	v_add_f64 v[118:119], v[86:87], -v[116:117]
	;; [unrolled: 1-line block ×4, first 2 shown]
	v_add_f64 v[10:11], v[10:11], v[80:81]
	v_add_f64 v[80:81], v[84:85], v[8:9]
	v_add_f64 v[116:117], v[80:81], -v[84:85]
	v_add_f64 v[118:119], v[80:81], -v[116:117]
	v_add_f64 v[10:11], v[80:81], v[10:11]
	v_add_f64 v[84:85], v[84:85], -v[118:119]
	v_add_f64 v[8:9], v[8:9], -v[116:117]
	v_add_f64 v[80:81], v[86:87], v[10:11]
	v_add_f64 v[8:9], v[8:9], v[84:85]
	v_add_f64 v[84:85], v[80:81], -v[86:87]
	v_add_f64 v[10:11], v[10:11], -v[84:85]
	v_add_f64 v[8:9], v[8:9], v[10:11]
	v_add_f64 v[8:9], v[80:81], v[8:9]
	v_cmp_class_f64_e64 vcc, v[6:7], s9
	v_cndmask_b32_e32 v8, v8, v6, vcc
	v_cndmask_b32_e32 v9, v9, v7, vcc
	v_cmp_ngt_f64_e32 vcc, 0, v[6:7]
	v_cndmask_b32_e32 v9, v92, v9, vcc
	v_cmp_nge_f64_e32 vcc, 0, v[6:7]
	v_cndmask_b32_e32 v8, 0, v8, vcc
	v_cmp_neq_f64_e32 vcc, 0, v[6:7]
	v_cndmask_b32_e32 v9, v93, v9, vcc
	v_add_f64 v[6:7], v[8:9], -v[4:5]
	v_frexp_mant_f64_e32 v[8:9], v[76:77]
	v_cmp_gt_f64_e32 vcc, s[34:35], v[8:9]
	v_cndmask_b32_e64 v75, v91, 2.0, vcc
	v_frexp_exp_i32_f64_e32 v10, v[76:77]
	v_mul_f64 v[8:9], v[8:9], v[74:75]
	v_subbrev_co_u32_e32 v75, vcc, 0, v10, vcc
	v_add_f64 v[10:11], v[8:9], 1.0
	v_rcp_f64_e32 v[80:81], v[10:11]
	v_add_f64 v[86:87], v[10:11], -1.0
	v_add_f64 v[84:85], v[8:9], -1.0
	v_add_f64 v[8:9], v[8:9], -v[86:87]
	v_fma_f64 v[86:87], -v[10:11], v[80:81], 1.0
	v_fmac_f64_e32 v[80:81], v[86:87], v[80:81]
	v_fma_f64 v[86:87], -v[10:11], v[80:81], 1.0
	v_fmac_f64_e32 v[80:81], v[86:87], v[80:81]
	v_mul_f64 v[86:87], v[84:85], v[80:81]
	v_mul_f64 v[116:117], v[10:11], v[86:87]
	v_fma_f64 v[10:11], v[86:87], v[10:11], -v[116:117]
	v_fmac_f64_e32 v[10:11], v[86:87], v[8:9]
	v_add_f64 v[8:9], v[116:117], v[10:11]
	v_add_f64 v[118:119], v[84:85], -v[8:9]
	v_add_f64 v[116:117], v[8:9], -v[116:117]
	;; [unrolled: 1-line block ×5, first 2 shown]
	v_add_f64 v[8:9], v[10:11], v[8:9]
	v_add_f64 v[8:9], v[118:119], v[8:9]
	v_mul_f64 v[8:9], v[80:81], v[8:9]
	v_add_f64 v[10:11], v[86:87], v[8:9]
	v_add_f64 v[80:81], v[10:11], -v[86:87]
	v_add_f64 v[8:9], v[8:9], -v[80:81]
	v_mul_f64 v[80:81], v[10:11], v[10:11]
	v_fma_f64 v[84:85], s[38:39], v[80:81], v[82:83]
	v_fma_f64 v[84:85], v[80:81], v[84:85], s[40:41]
	;; [unrolled: 1-line block ×6, first 2 shown]
	v_ldexp_f64 v[86:87], v[10:11], 1
	v_mul_f64 v[10:11], v[10:11], v[80:81]
	v_mul_f64 v[10:11], v[10:11], v[84:85]
	v_add_f64 v[80:81], v[86:87], v[10:11]
	v_add_f64 v[84:85], v[80:81], -v[86:87]
	v_ldexp_f64 v[8:9], v[8:9], 1
	v_add_f64 v[10:11], v[10:11], -v[84:85]
	v_add_f64 v[8:9], v[8:9], v[10:11]
	v_add_f64 v[10:11], v[80:81], v[8:9]
	v_add_f64 v[80:81], v[10:11], -v[80:81]
	v_add_f64 v[8:9], v[8:9], -v[80:81]
	v_cvt_f64_i32_e32 v[80:81], v75
	v_mul_f64 v[84:85], v[80:81], s[50:51]
	v_fma_f64 v[86:87], v[80:81], s[50:51], -v[84:85]
	v_fmac_f64_e32 v[86:87], s[52:53], v[80:81]
	v_add_f64 v[80:81], v[84:85], v[86:87]
	v_add_f64 v[84:85], v[80:81], -v[84:85]
	v_add_f64 v[84:85], v[86:87], -v[84:85]
	v_add_f64 v[86:87], v[80:81], v[10:11]
	v_add_f64 v[116:117], v[86:87], -v[80:81]
	v_add_f64 v[118:119], v[86:87], -v[116:117]
	;; [unrolled: 1-line block ×4, first 2 shown]
	v_add_f64 v[10:11], v[10:11], v[80:81]
	v_add_f64 v[80:81], v[84:85], v[8:9]
	v_add_f64 v[116:117], v[80:81], -v[84:85]
	v_add_f64 v[118:119], v[80:81], -v[116:117]
	v_add_f64 v[10:11], v[80:81], v[10:11]
	v_add_f64 v[84:85], v[84:85], -v[118:119]
	v_add_f64 v[8:9], v[8:9], -v[116:117]
	v_add_f64 v[80:81], v[86:87], v[10:11]
	v_add_f64 v[8:9], v[8:9], v[84:85]
	v_add_f64 v[84:85], v[80:81], -v[86:87]
	v_add_f64 v[10:11], v[10:11], -v[84:85]
	s_mov_b32 s0, 0
	v_add_f64 v[8:9], v[8:9], v[10:11]
	s_mov_b32 s1, 0x7ff00000
	v_add_f64 v[8:9], v[80:81], v[8:9]
	v_cmp_eq_f64_e32 vcc, s[0:1], v[76:77]
	v_cndmask_b32_e32 v8, v8, v76, vcc
	v_cndmask_b32_e32 v9, v9, v77, vcc
	v_cmp_neq_f64_e32 vcc, 0, v[76:77]
	v_cndmask_b32_e32 v9, v93, v9, vcc
	v_cndmask_b32_e32 v8, 0, v8, vcc
	v_mul_f64 v[78:79], v[76:77], v[4:5]
	v_add_f64 v[80:81], v[6:7], -v[8:9]
	v_frexp_exp_i32_f64_e32 v6, v[4:5]
	v_frexp_mant_f64_e32 v[4:5], v[4:5]
	v_cmp_gt_f64_e32 vcc, s[34:35], v[4:5]
	v_cndmask_b32_e64 v75, v91, 2.0, vcc
	v_mul_f64 v[4:5], v[4:5], v[74:75]
	v_subbrev_co_u32_e32 v75, vcc, 0, v6, vcc
	v_add_f64 v[6:7], v[4:5], 1.0
	v_rcp_f64_e32 v[8:9], v[6:7]
	v_add_f64 v[84:85], v[6:7], -1.0
	v_add_f64 v[10:11], v[4:5], -1.0
	v_add_f64 v[4:5], v[4:5], -v[84:85]
	v_fma_f64 v[84:85], -v[6:7], v[8:9], 1.0
	v_fmac_f64_e32 v[8:9], v[84:85], v[8:9]
	v_fma_f64 v[84:85], -v[6:7], v[8:9], 1.0
	v_fmac_f64_e32 v[8:9], v[84:85], v[8:9]
	v_mul_f64 v[84:85], v[10:11], v[8:9]
	v_mul_f64 v[86:87], v[6:7], v[84:85]
	v_fma_f64 v[6:7], v[84:85], v[6:7], -v[86:87]
	v_fmac_f64_e32 v[6:7], v[84:85], v[4:5]
	v_add_f64 v[4:5], v[86:87], v[6:7]
	v_add_f64 v[116:117], v[10:11], -v[4:5]
	v_add_f64 v[86:87], v[4:5], -v[86:87]
	v_add_f64 v[10:11], v[10:11], -v[116:117]
	v_add_f64 v[4:5], v[10:11], -v[4:5]
	v_add_f64 v[6:7], v[86:87], -v[6:7]
	v_add_f64 v[4:5], v[6:7], v[4:5]
	v_add_f64 v[4:5], v[116:117], v[4:5]
	v_mul_f64 v[4:5], v[8:9], v[4:5]
	v_add_f64 v[6:7], v[84:85], v[4:5]
	v_add_f64 v[8:9], v[6:7], -v[84:85]
	v_add_f64 v[4:5], v[4:5], -v[8:9]
	v_mul_f64 v[8:9], v[6:7], v[6:7]
	v_fmac_f64_e32 v[82:83], s[38:39], v[8:9]
	v_fma_f64 v[10:11], v[8:9], v[82:83], s[40:41]
	v_fma_f64 v[10:11], v[8:9], v[10:11], s[42:43]
	;; [unrolled: 1-line block ×5, first 2 shown]
	v_ldexp_f64 v[82:83], v[6:7], 1
	v_mul_f64 v[6:7], v[6:7], v[8:9]
	v_mul_f64 v[6:7], v[6:7], v[10:11]
	v_add_f64 v[8:9], v[82:83], v[6:7]
	v_add_f64 v[10:11], v[8:9], -v[82:83]
	v_ldexp_f64 v[4:5], v[4:5], 1
	v_add_f64 v[6:7], v[6:7], -v[10:11]
	v_add_f64 v[4:5], v[4:5], v[6:7]
	v_add_f64 v[6:7], v[8:9], v[4:5]
	v_add_f64 v[8:9], v[6:7], -v[8:9]
	v_add_f64 v[4:5], v[4:5], -v[8:9]
	v_cvt_f64_i32_e32 v[8:9], v75
	v_mul_f64 v[10:11], v[8:9], s[50:51]
	v_fma_f64 v[82:83], v[8:9], s[50:51], -v[10:11]
	v_fmac_f64_e32 v[82:83], s[52:53], v[8:9]
	v_add_f64 v[8:9], v[10:11], v[82:83]
	v_add_f64 v[10:11], v[8:9], -v[10:11]
	v_add_f64 v[10:11], v[82:83], -v[10:11]
	v_add_f64 v[82:83], v[8:9], v[6:7]
	v_add_f64 v[84:85], v[82:83], -v[8:9]
	v_add_f64 v[86:87], v[82:83], -v[84:85]
	;; [unrolled: 1-line block ×4, first 2 shown]
	v_add_f64 v[6:7], v[6:7], v[8:9]
	v_add_f64 v[8:9], v[10:11], v[4:5]
	v_add_f64 v[84:85], v[8:9], -v[10:11]
	v_add_f64 v[86:87], v[8:9], -v[84:85]
	v_add_f64 v[6:7], v[8:9], v[6:7]
	v_add_f64 v[10:11], v[10:11], -v[86:87]
	v_add_f64 v[4:5], v[4:5], -v[84:85]
	v_add_f64 v[8:9], v[82:83], v[6:7]
	v_add_f64 v[4:5], v[4:5], v[10:11]
	v_add_f64 v[10:11], v[8:9], -v[82:83]
	v_add_f64 v[6:7], v[6:7], -v[10:11]
	v_add_f64 v[4:5], v[4:5], v[6:7]
	v_add_f64 v[82:83], v[8:9], v[4:5]
	s_mov_b64 s[12:13], 0
	s_mov_b64 s[20:21], 0
	v_mov_b32_e32 v116, v17
                                        ; implicit-def: $vgpr75
.LBB86_18:                              ;   Parent Loop BB86_5 Depth=1
                                        ; =>  This Inner Loop Header: Depth=2
	v_add_u32_e32 v117, 1, v15
	v_pk_mov_b32 v[10:11], v[2:3], v[2:3] op_sel:[0,1]
	v_cmp_eq_u32_e32 vcc, 4, v117
	v_pk_mov_b32 v[8:9], v[0:1], v[0:1] op_sel:[0,1]
	v_mov_b32_e32 v87, v0
	v_mov_b32_e32 v86, v1
	;; [unrolled: 1-line block ×4, first 2 shown]
	s_and_saveexec_b64 s[0:1], vcc
	s_cbranch_execz .LBB86_20
; %bb.19:                               ;   in Loop: Header=BB86_18 Depth=2
	v_add_co_u32_e32 v97, vcc, 1, v97
	v_cndmask_b32_e64 v4, 0, 1, vcc
	v_addc_co_u32_e32 v98, vcc, 0, v98, vcc
	v_cmp_eq_u32_e32 vcc, 0, v98
	v_cndmask_b32_e32 v4, 0, v4, vcc
	v_add_u32_e32 v116, v4, v116
	v_cmp_eq_u32_e32 vcc, 0, v116
	v_cndmask_b32_e32 v4, 0, v4, vcc
	v_add_u32_e32 v74, v4, v74
	v_mad_u64_u32 v[4:5], s[2:3], v97, s11, 0
	v_mad_u64_u32 v[6:7], s[2:3], v116, s10, 0
	v_xor_b32_e32 v5, v5, v73
	v_xor_b32_e32 v7, v7, v72
	v_xor_b32_e32 v5, v74, v5
	v_xor_b32_e32 v7, v98, v7
	v_mad_u64_u32 v[10:11], s[2:3], v5, s10, 0
	v_mad_u64_u32 v[8:9], s[2:3], v7, s11, 0
	v_xor_b32_e32 v5, v99, v11
	v_xor_b32_e32 v5, v5, v6
	v_xor_b32_e32 v6, v100, v9
	v_xor_b32_e32 v6, v6, v4
	;; [unrolled: 6-line block ×10, first 2 shown]
	v_mov_b32_e32 v117, 0
	v_mov_b32_e32 v9, v86
	;; [unrolled: 1-line block ×5, first 2 shown]
.LBB86_20:                              ;   in Loop: Header=BB86_18 Depth=2
	s_or_b64 exec, exec, s[0:1]
	v_add_u32_e32 v118, 1, v117
	v_pk_mov_b32 v[4:5], v[8:9], v[8:9] op_sel:[0,1]
	v_cmp_eq_u32_e32 vcc, 4, v118
	v_pk_mov_b32 v[6:7], v[10:11], v[10:11] op_sel:[0,1]
	s_and_saveexec_b64 s[0:1], vcc
	s_cbranch_execz .LBB86_22
; %bb.21:                               ;   in Loop: Header=BB86_18 Depth=2
	v_add_co_u32_e32 v97, vcc, 1, v97
	v_cndmask_b32_e64 v4, 0, 1, vcc
	v_addc_co_u32_e32 v98, vcc, 0, v98, vcc
	v_cmp_eq_u32_e32 vcc, 0, v98
	v_cndmask_b32_e32 v4, 0, v4, vcc
	v_add_u32_e32 v116, v4, v116
	v_cmp_eq_u32_e32 vcc, 0, v116
	v_cndmask_b32_e32 v4, 0, v4, vcc
	v_add_u32_e32 v74, v4, v74
	v_mad_u64_u32 v[4:5], s[2:3], v97, s11, 0
	v_mad_u64_u32 v[6:7], s[2:3], v116, s10, 0
	v_xor_b32_e32 v5, v5, v73
	v_xor_b32_e32 v7, v7, v72
	v_xor_b32_e32 v5, v74, v5
	v_xor_b32_e32 v7, v98, v7
	v_mad_u64_u32 v[86:87], s[2:3], v5, s10, 0
	v_mad_u64_u32 v[84:85], s[2:3], v7, s11, 0
	v_xor_b32_e32 v5, v99, v87
	v_xor_b32_e32 v5, v5, v6
	v_xor_b32_e32 v6, v100, v85
	v_xor_b32_e32 v6, v6, v4
	;; [unrolled: 6-line block ×10, first 2 shown]
	v_mov_b32_e32 v118, 0
	v_mov_b32_e32 v5, v86
	;; [unrolled: 1-line block ×5, first 2 shown]
.LBB86_22:                              ;   in Loop: Header=BB86_18 Depth=2
	s_or_b64 exec, exec, s[0:1]
	v_cmp_eq_u32_e32 vcc, 1, v15
	v_cndmask_b32_e32 v0, v0, v1, vcc
	v_cmp_eq_u32_e32 vcc, 2, v15
	v_cndmask_b32_e32 v0, v0, v2, vcc
	;; [unrolled: 2-line block ×6, first 2 shown]
	v_lshrrev_b32_e32 v0, 11, v0
	v_cvt_f64_u32_e32 v[0:1], v0
	v_ldexp_f64 v[0:1], v[0:1], 32
	v_cvt_f64_u32_e32 v[2:3], v2
	v_add_f64 v[0:1], v[0:1], v[2:3]
	v_mov_b32_e32 v2, 0
	v_mov_b32_e32 v3, 0x3ca00000
	v_fmac_f64_e32 v[2:3], 0x3ca00000, v[0:1]
	v_add_f64 v[0:1], -v[2:3], 1.0
	v_div_scale_f64 v[8:9], s[0:1], v[2:3], v[2:3], v[0:1]
	v_rcp_f64_e32 v[10:11], v[8:9]
	v_mov_b32_e32 v119, 2
	v_fma_f64 v[120:121], -v[8:9], v[10:11], 1.0
	v_fmac_f64_e32 v[10:11], v[10:11], v[120:121]
	v_fma_f64 v[120:121], -v[8:9], v[10:11], 1.0
	v_fmac_f64_e32 v[10:11], v[10:11], v[120:121]
	v_div_scale_f64 v[120:121], vcc, v[0:1], v[2:3], v[0:1]
	v_mul_f64 v[122:123], v[120:121], v[10:11]
	v_fma_f64 v[8:9], -v[8:9], v[122:123], v[120:121]
	s_nop 1
	v_div_fmas_f64 v[8:9], v[8:9], v[10:11], v[122:123]
	v_div_fixup_f64 v[0:1], v[8:9], v[2:3], v[0:1]
	v_frexp_mant_f64_e32 v[2:3], v[0:1]
	v_cmp_gt_f64_e32 vcc, s[34:35], v[2:3]
	v_cndmask_b32_e64 v15, v91, 2.0, vcc
	v_frexp_exp_i32_f64_e32 v8, v[0:1]
	v_mul_f64 v[2:3], v[2:3], v[14:15]
	v_subbrev_co_u32_e32 v15, vcc, 0, v8, vcc
	v_add_f64 v[8:9], v[2:3], 1.0
	v_rcp_f64_e32 v[10:11], v[8:9]
	v_add_f64 v[122:123], v[8:9], -1.0
	v_add_f64 v[120:121], v[2:3], -1.0
	v_add_f64 v[2:3], v[2:3], -v[122:123]
	v_fma_f64 v[122:123], -v[8:9], v[10:11], 1.0
	v_fmac_f64_e32 v[10:11], v[122:123], v[10:11]
	v_fma_f64 v[122:123], -v[8:9], v[10:11], 1.0
	v_fmac_f64_e32 v[10:11], v[122:123], v[10:11]
	v_mul_f64 v[122:123], v[120:121], v[10:11]
	v_mul_f64 v[124:125], v[8:9], v[122:123]
	v_fma_f64 v[8:9], v[122:123], v[8:9], -v[124:125]
	v_fmac_f64_e32 v[8:9], v[122:123], v[2:3]
	v_add_f64 v[2:3], v[124:125], v[8:9]
	v_add_f64 v[126:127], v[120:121], -v[2:3]
	v_add_f64 v[124:125], v[2:3], -v[124:125]
	;; [unrolled: 1-line block ×5, first 2 shown]
	v_add_f64 v[2:3], v[8:9], v[2:3]
	v_add_f64 v[2:3], v[126:127], v[2:3]
	v_mul_f64 v[2:3], v[10:11], v[2:3]
	v_add_f64 v[8:9], v[122:123], v[2:3]
	v_add_f64 v[10:11], v[8:9], -v[122:123]
	v_add_f64 v[2:3], v[2:3], -v[10:11]
	v_mul_f64 v[10:11], v[8:9], v[8:9]
	v_pk_mov_b32 v[120:121], v[18:19], v[18:19] op_sel:[0,1]
	v_fmac_f64_e32 v[120:121], s[38:39], v[10:11]
	v_pk_mov_b32 v[122:123], v[20:21], v[20:21] op_sel:[0,1]
	v_fmac_f64_e32 v[122:123], v[10:11], v[120:121]
	;; [unrolled: 2-line block ×6, first 2 shown]
	v_ldexp_f64 v[120:121], v[8:9], 1
	v_mul_f64 v[8:9], v[8:9], v[10:11]
	v_mul_f64 v[8:9], v[8:9], v[122:123]
	v_add_f64 v[10:11], v[120:121], v[8:9]
	v_add_f64 v[120:121], v[10:11], -v[120:121]
	v_ldexp_f64 v[2:3], v[2:3], 1
	v_add_f64 v[8:9], v[8:9], -v[120:121]
	v_add_f64 v[2:3], v[2:3], v[8:9]
	v_add_f64 v[8:9], v[10:11], v[2:3]
	v_add_f64 v[10:11], v[8:9], -v[10:11]
	v_add_f64 v[2:3], v[2:3], -v[10:11]
	v_cvt_f64_i32_e32 v[10:11], v15
	v_mul_f64 v[120:121], v[10:11], s[50:51]
	v_fma_f64 v[122:123], v[10:11], s[50:51], -v[120:121]
	v_fmac_f64_e32 v[122:123], s[52:53], v[10:11]
	v_add_f64 v[10:11], v[120:121], v[122:123]
	v_add_f64 v[120:121], v[10:11], -v[120:121]
	v_add_f64 v[120:121], v[122:123], -v[120:121]
	v_add_f64 v[122:123], v[10:11], v[8:9]
	v_add_f64 v[124:125], v[122:123], -v[10:11]
	v_add_f64 v[126:127], v[122:123], -v[124:125]
	;; [unrolled: 1-line block ×4, first 2 shown]
	v_add_f64 v[8:9], v[8:9], v[10:11]
	v_add_f64 v[10:11], v[120:121], v[2:3]
	v_add_f64 v[124:125], v[10:11], -v[120:121]
	v_add_f64 v[126:127], v[10:11], -v[124:125]
	v_add_f64 v[8:9], v[10:11], v[8:9]
	v_add_f64 v[120:121], v[120:121], -v[126:127]
	v_add_f64 v[2:3], v[2:3], -v[124:125]
	v_add_f64 v[10:11], v[122:123], v[8:9]
	v_add_f64 v[2:3], v[2:3], v[120:121]
	v_add_f64 v[120:121], v[10:11], -v[122:123]
	v_add_f64 v[8:9], v[8:9], -v[120:121]
	v_add_f64 v[2:3], v[2:3], v[8:9]
	v_add_f64 v[2:3], v[10:11], v[2:3]
	v_cmp_class_f64_e64 vcc, v[0:1], s9
	v_cndmask_b32_e32 v2, v2, v0, vcc
	v_cndmask_b32_e32 v3, v3, v1, vcc
	v_cmp_ngt_f64_e32 vcc, 0, v[0:1]
	v_cndmask_b32_e32 v3, v92, v3, vcc
	v_cmp_nge_f64_e32 vcc, 0, v[0:1]
	v_cndmask_b32_e32 v2, 0, v2, vcc
	v_cmp_neq_f64_e32 vcc, 0, v[0:1]
	v_cndmask_b32_e32 v3, v93, v3, vcc
	v_add_f64 v[0:1], v[78:79], -v[2:3]
	v_div_scale_f64 v[2:3], s[0:1], v[76:77], v[76:77], v[0:1]
	v_rcp_f64_e32 v[8:9], v[2:3]
	v_fma_f64 v[10:11], -v[2:3], v[8:9], 1.0
	v_fmac_f64_e32 v[8:9], v[8:9], v[10:11]
	v_fma_f64 v[10:11], -v[2:3], v[8:9], 1.0
	v_fmac_f64_e32 v[8:9], v[8:9], v[10:11]
	v_div_scale_f64 v[10:11], vcc, v[0:1], v[76:77], v[0:1]
	v_mul_f64 v[120:121], v[10:11], v[8:9]
	v_fma_f64 v[2:3], -v[2:3], v[120:121], v[10:11]
	s_nop 1
	v_div_fmas_f64 v[2:3], v[2:3], v[8:9], v[120:121]
	v_div_fixup_f64 v[10:11], v[2:3], v[76:77], v[0:1]
	v_add_f64 v[0:1], v[10:11], 0.5
	v_floor_f64_e32 v[8:9], v[0:1]
	v_cmp_ngt_f64_e32 vcc, 0, v[8:9]
	s_and_saveexec_b64 s[0:1], vcc
	s_cbranch_execz .LBB86_28
; %bb.23:                               ;   in Loop: Header=BB86_18 Depth=2
	v_add_u32_e32 v15, 1, v118
	v_pk_mov_b32 v[0:1], v[4:5], v[4:5] op_sel:[0,1]
	v_cmp_eq_u32_e32 vcc, 4, v15
	v_pk_mov_b32 v[2:3], v[6:7], v[6:7] op_sel:[0,1]
	s_and_saveexec_b64 s[2:3], vcc
	s_cbranch_execz .LBB86_25
; %bb.24:                               ;   in Loop: Header=BB86_18 Depth=2
	v_add_co_u32_e32 v97, vcc, 1, v97
	v_cndmask_b32_e64 v0, 0, 1, vcc
	v_addc_co_u32_e32 v98, vcc, 0, v98, vcc
	v_cmp_eq_u32_e32 vcc, 0, v98
	v_cndmask_b32_e32 v0, 0, v0, vcc
	v_add_u32_e32 v116, v0, v116
	v_cmp_eq_u32_e32 vcc, 0, v116
	v_cndmask_b32_e32 v0, 0, v0, vcc
	v_add_u32_e32 v74, v0, v74
	v_mad_u64_u32 v[0:1], vcc, v97, s11, 0
	v_mad_u64_u32 v[2:3], vcc, v116, s10, 0
	v_xor_b32_e32 v1, v1, v73
	v_xor_b32_e32 v3, v3, v72
	v_xor_b32_e32 v1, v74, v1
	v_xor_b32_e32 v3, v98, v3
	v_mad_u64_u32 v[86:87], vcc, v1, s10, 0
	v_mad_u64_u32 v[84:85], vcc, v3, s11, 0
	v_xor_b32_e32 v1, v99, v87
	v_xor_b32_e32 v1, v1, v2
	v_xor_b32_e32 v2, v100, v85
	v_xor_b32_e32 v2, v2, v0
	;; [unrolled: 6-line block ×10, first 2 shown]
	v_mov_b32_e32 v15, 0
	v_mov_b32_e32 v1, v86
	;; [unrolled: 1-line block ×5, first 2 shown]
.LBB86_25:                              ;   in Loop: Header=BB86_18 Depth=2
	s_or_b64 exec, exec, s[2:3]
	v_add_u32_e32 v117, 1, v15
	v_cmp_eq_u32_e32 vcc, 4, v117
	s_and_saveexec_b64 s[2:3], vcc
	s_cbranch_execz .LBB86_27
; %bb.26:                               ;   in Loop: Header=BB86_18 Depth=2
	v_add_co_u32_e32 v97, vcc, 1, v97
	v_cndmask_b32_e64 v84, 0, 1, vcc
	v_addc_co_u32_e32 v98, vcc, 0, v98, vcc
	v_cmp_eq_u32_e32 vcc, 0, v98
	v_cndmask_b32_e32 v84, 0, v84, vcc
	v_add_u32_e32 v116, v84, v116
	v_cmp_eq_u32_e32 vcc, 0, v116
	v_cndmask_b32_e32 v84, 0, v84, vcc
	v_add_u32_e32 v74, v84, v74
	v_mad_u64_u32 v[84:85], vcc, v97, s11, 0
	v_mad_u64_u32 v[86:87], vcc, v116, s10, 0
	v_xor_b32_e32 v85, v85, v73
	v_xor_b32_e32 v87, v87, v72
	v_xor_b32_e32 v85, v74, v85
	v_xor_b32_e32 v87, v98, v87
	v_mad_u64_u32 v[122:123], vcc, v85, s10, 0
	v_mad_u64_u32 v[120:121], vcc, v87, s11, 0
	v_xor_b32_e32 v85, v99, v123
	v_xor_b32_e32 v85, v85, v86
	v_xor_b32_e32 v86, v100, v121
	v_xor_b32_e32 v86, v86, v84
	;; [unrolled: 6-line block ×9, first 2 shown]
	v_mad_u64_u32 v[84:85], vcc, v84, s11, 0
	v_mad_u64_u32 v[86:87], vcc, v86, s10, 0
	v_xor_b32_e32 v87, v87, v126
	v_xor_b32_e32 v85, v85, v124
	v_mov_b32_e32 v117, 0
	v_xor_b32_e32 v87, v106, v87
	v_xor_b32_e32 v85, v96, v85
.LBB86_27:                              ;   in Loop: Header=BB86_18 Depth=2
	s_or_b64 exec, exec, s[2:3]
	v_cmp_eq_u32_e32 vcc, 1, v118
	v_cndmask_b32_e32 v4, v4, v5, vcc
	v_cmp_eq_u32_e32 vcc, 2, v118
	v_cndmask_b32_e32 v4, v4, v6, vcc
	;; [unrolled: 2-line block ×6, first 2 shown]
	v_lshrrev_b32_e32 v0, 11, v0
	v_cvt_f64_u32_e32 v[0:1], v0
	v_ldexp_f64 v[0:1], v[0:1], 32
	v_cvt_f64_u32_e32 v[2:3], v4
	v_add_f64 v[0:1], v[0:1], v[2:3]
	v_mov_b32_e32 v2, 0
	v_mov_b32_e32 v3, 0x3ca00000
	v_fma_f64 v[4:5], -v[76:77], v[10:11], v[78:79]
	v_fmac_f64_e32 v[2:3], 0x3ca00000, v[0:1]
	v_mul_f64 v[0:1], v[4:5], s[56:57]
	v_rndne_f64_e32 v[0:1], v[0:1]
	s_mov_b32 s58, s50
	v_fma_f64 v[6:7], s[58:59], v[0:1], v[4:5]
	s_mov_b32 s60, s52
	v_fmac_f64_e32 v[6:7], s[60:61], v[0:1]
	v_pk_mov_b32 v[10:11], v[30:31], v[30:31] op_sel:[0,1]
	v_fmac_f64_e32 v[10:11], s[64:65], v[6:7]
	v_pk_mov_b32 v[118:119], v[32:33], v[32:33] op_sel:[0,1]
	;; [unrolled: 2-line block ×9, first 2 shown]
	v_fmac_f64_e32 v[10:11], v[6:7], v[118:119]
	v_fma_f64 v[10:11], v[6:7], v[10:11], 1.0
	v_fma_f64 v[6:7], v[6:7], v[10:11], 1.0
	v_cvt_i32_f64_e32 v0, v[0:1]
	v_ldexp_f64 v[0:1], v[6:7], v0
	v_add_f64 v[0:1], v[0:1], 1.0
	v_cmp_nlt_f64_e32 vcc, s[66:67], v[4:5]
	v_cmp_ngt_f64_e64 s[2:3], s[68:69], v[4:5]
	v_cndmask_b32_e32 v1, v94, v1, vcc
	s_and_b64 vcc, s[2:3], vcc
	v_cndmask_b32_e64 v1, v91, v1, s[2:3]
	v_cndmask_b32_e32 v0, 0, v0, vcc
	v_mul_f64 v[0:1], v[0:1], v[0:1]
	v_div_scale_f64 v[6:7], s[2:3], v[0:1], v[0:1], v[2:3]
	v_rcp_f64_e32 v[10:11], v[6:7]
	s_mov_b32 s49, s35
	v_fma_f64 v[118:119], -v[6:7], v[10:11], 1.0
	v_fmac_f64_e32 v[10:11], v[10:11], v[118:119]
	v_fma_f64 v[118:119], -v[6:7], v[10:11], 1.0
	v_fmac_f64_e32 v[10:11], v[10:11], v[118:119]
	v_div_scale_f64 v[118:119], vcc, v[2:3], v[0:1], v[2:3]
	v_mul_f64 v[120:121], v[118:119], v[10:11]
	v_fma_f64 v[6:7], -v[6:7], v[120:121], v[118:119]
	s_nop 1
	v_div_fmas_f64 v[6:7], v[6:7], v[10:11], v[120:121]
	v_div_fixup_f64 v[2:3], v[6:7], v[0:1], v[2:3]
	v_frexp_mant_f64_e32 v[0:1], v[2:3]
	v_cmp_gt_f64_e32 vcc, s[34:35], v[0:1]
	v_cndmask_b32_e64 v15, v91, 2.0, vcc
	v_frexp_exp_i32_f64_e32 v6, v[2:3]
	v_mul_f64 v[0:1], v[0:1], v[14:15]
	v_subbrev_co_u32_e32 v15, vcc, 0, v6, vcc
	v_add_f64 v[6:7], v[0:1], 1.0
	v_rcp_f64_e32 v[10:11], v[6:7]
	v_add_f64 v[120:121], v[6:7], -1.0
	v_add_f64 v[118:119], v[0:1], -1.0
	v_add_f64 v[0:1], v[0:1], -v[120:121]
	v_fma_f64 v[120:121], -v[6:7], v[10:11], 1.0
	v_fmac_f64_e32 v[10:11], v[120:121], v[10:11]
	v_fma_f64 v[120:121], -v[6:7], v[10:11], 1.0
	v_fmac_f64_e32 v[10:11], v[120:121], v[10:11]
	v_mul_f64 v[120:121], v[118:119], v[10:11]
	v_mul_f64 v[122:123], v[6:7], v[120:121]
	v_fma_f64 v[6:7], v[120:121], v[6:7], -v[122:123]
	v_fmac_f64_e32 v[6:7], v[120:121], v[0:1]
	v_add_f64 v[0:1], v[122:123], v[6:7]
	v_add_f64 v[124:125], v[118:119], -v[0:1]
	v_add_f64 v[122:123], v[0:1], -v[122:123]
	;; [unrolled: 1-line block ×5, first 2 shown]
	v_add_f64 v[0:1], v[6:7], v[0:1]
	v_add_f64 v[0:1], v[124:125], v[0:1]
	v_mul_f64 v[0:1], v[10:11], v[0:1]
	v_add_f64 v[6:7], v[120:121], v[0:1]
	v_add_f64 v[10:11], v[6:7], -v[120:121]
	v_add_f64 v[10:11], v[0:1], -v[10:11]
	v_mul_f64 v[118:119], v[6:7], v[6:7]
	v_pk_mov_b32 v[0:1], s[36:37], s[36:37] op_sel:[0,1]
	v_fma_f64 v[120:121], s[38:39], v[118:119], v[0:1]
	v_fma_f64 v[120:121], v[118:119], v[120:121], s[40:41]
	;; [unrolled: 1-line block ×6, first 2 shown]
	v_ldexp_f64 v[122:123], v[6:7], 1
	v_mul_f64 v[6:7], v[6:7], v[118:119]
	v_mul_f64 v[6:7], v[6:7], v[120:121]
	v_add_f64 v[118:119], v[122:123], v[6:7]
	v_add_f64 v[120:121], v[118:119], -v[122:123]
	v_ldexp_f64 v[10:11], v[10:11], 1
	v_add_f64 v[6:7], v[6:7], -v[120:121]
	v_add_f64 v[6:7], v[10:11], v[6:7]
	v_add_f64 v[10:11], v[118:119], v[6:7]
	v_add_f64 v[118:119], v[10:11], -v[118:119]
	v_add_f64 v[6:7], v[6:7], -v[118:119]
	v_cvt_f64_i32_e32 v[118:119], v15
	v_mul_f64 v[120:121], v[118:119], s[50:51]
	v_fma_f64 v[122:123], v[118:119], s[50:51], -v[120:121]
	v_fmac_f64_e32 v[122:123], s[52:53], v[118:119]
	v_add_f64 v[118:119], v[120:121], v[122:123]
	v_add_f64 v[120:121], v[118:119], -v[120:121]
	v_add_f64 v[120:121], v[122:123], -v[120:121]
	v_add_f64 v[122:123], v[118:119], v[10:11]
	v_add_f64 v[124:125], v[122:123], -v[118:119]
	v_add_f64 v[126:127], v[122:123], -v[124:125]
	;; [unrolled: 1-line block ×4, first 2 shown]
	v_add_f64 v[10:11], v[10:11], v[118:119]
	v_add_f64 v[118:119], v[120:121], v[6:7]
	v_add_f64 v[124:125], v[118:119], -v[120:121]
	v_add_f64 v[126:127], v[118:119], -v[124:125]
	v_add_f64 v[10:11], v[118:119], v[10:11]
	v_add_f64 v[120:121], v[120:121], -v[126:127]
	v_add_f64 v[6:7], v[6:7], -v[124:125]
	v_add_f64 v[118:119], v[122:123], v[10:11]
	v_add_f64 v[6:7], v[6:7], v[120:121]
	v_add_f64 v[120:121], v[118:119], -v[122:123]
	v_add_f64 v[10:11], v[10:11], -v[120:121]
	v_add_f64 v[6:7], v[6:7], v[10:11]
	v_add_f64 v[6:7], v[118:119], v[6:7]
	v_cmp_class_f64_e64 vcc, v[2:3], s9
	v_cndmask_b32_e32 v15, v6, v2, vcc
	v_cndmask_b32_e32 v6, v7, v3, vcc
	v_cmp_neq_f64_e32 vcc, 0, v[2:3]
	v_cndmask_b32_e32 v3, v93, v6, vcc
	v_add_f64 v[6:7], v[8:9], 1.0
	v_add_f64 v[6:7], v[6:7], -1.0
	v_add_f64 v[118:119], v[6:7], s[70:71]
	v_div_scale_f64 v[10:11], s[2:3], v[118:119], v[118:119], s[72:73]
	v_rcp_f64_e32 v[120:121], v[10:11]
	v_cndmask_b32_e32 v2, 0, v15, vcc
	v_add_f64 v[2:3], v[4:5], v[2:3]
	v_fma_f64 v[4:5], v[82:83], v[8:9], v[80:81]
	v_fma_f64 v[122:123], -v[10:11], v[120:121], 1.0
	v_fmac_f64_e32 v[120:121], v[120:121], v[122:123]
	v_fma_f64 v[122:123], -v[10:11], v[120:121], 1.0
	v_fmac_f64_e32 v[120:121], v[120:121], v[122:123]
	v_div_scale_f64 v[122:123], vcc, s[72:73], v[118:119], s[72:73]
	v_mul_f64 v[124:125], v[122:123], v[120:121]
	v_fma_f64 v[122:123], -v[10:11], v[124:125], v[122:123]
	v_add_f64 v[10:11], v[6:7], s[74:75]
	v_div_scale_f64 v[126:127], s[2:3], v[10:11], v[10:11], s[76:77]
	v_rcp_f64_e32 v[128:129], v[126:127]
	v_div_fmas_f64 v[120:121], v[122:123], v[120:121], v[124:125]
	v_div_fixup_f64 v[118:119], v[120:121], v[118:119], s[72:73]
	v_add_f64 v[124:125], v[6:7], s[78:79]
	v_fma_f64 v[120:121], -v[126:127], v[128:129], 1.0
	v_fmac_f64_e32 v[128:129], v[128:129], v[120:121]
	v_fma_f64 v[120:121], -v[126:127], v[128:129], 1.0
	v_fmac_f64_e32 v[128:129], v[128:129], v[120:121]
	v_div_scale_f64 v[120:121], vcc, s[76:77], v[10:11], s[76:77]
	v_mul_f64 v[122:123], v[120:121], v[128:129]
	v_fma_f64 v[120:121], -v[126:127], v[122:123], v[120:121]
	v_div_scale_f64 v[126:127], s[2:3], v[124:125], v[124:125], s[80:81]
	v_rcp_f64_e32 v[130:131], v[126:127]
	v_div_fmas_f64 v[120:121], v[120:121], v[128:129], v[122:123]
	v_add_f64 v[118:119], v[118:119], 0
	v_div_fixup_f64 v[120:121], v[120:121], v[10:11], s[76:77]
	v_add_f64 v[118:119], v[120:121], v[118:119]
	v_fma_f64 v[120:121], -v[126:127], v[130:131], 1.0
	v_fmac_f64_e32 v[130:131], v[130:131], v[120:121]
	v_fma_f64 v[120:121], -v[126:127], v[130:131], 1.0
	v_fmac_f64_e32 v[130:131], v[130:131], v[120:121]
	v_div_scale_f64 v[120:121], vcc, s[80:81], v[124:125], s[80:81]
	v_mul_f64 v[122:123], v[120:121], v[130:131]
	v_fma_f64 v[120:121], -v[126:127], v[122:123], v[120:121]
	v_add_f64 v[126:127], v[6:7], s[82:83]
	v_div_scale_f64 v[128:129], s[2:3], v[126:127], v[126:127], s[84:85]
	v_rcp_f64_e32 v[132:133], v[128:129]
	v_div_fmas_f64 v[120:121], v[120:121], v[130:131], v[122:123]
	v_div_fixup_f64 v[120:121], v[120:121], v[124:125], s[80:81]
	v_add_f64 v[118:119], v[118:119], v[120:121]
	v_fma_f64 v[120:121], -v[128:129], v[132:133], 1.0
	v_fmac_f64_e32 v[132:133], v[132:133], v[120:121]
	v_fma_f64 v[120:121], -v[128:129], v[132:133], 1.0
	v_fmac_f64_e32 v[132:133], v[132:133], v[120:121]
	v_div_scale_f64 v[120:121], vcc, s[84:85], v[126:127], s[84:85]
	v_mul_f64 v[122:123], v[120:121], v[132:133]
	v_add_f64 v[124:125], v[6:7], 4.0
	v_fma_f64 v[120:121], -v[128:129], v[122:123], v[120:121]
	v_div_scale_f64 v[128:129], s[2:3], v[124:125], v[124:125], s[86:87]
	v_rcp_f64_e32 v[130:131], v[128:129]
	v_div_fmas_f64 v[120:121], v[120:121], v[132:133], v[122:123]
	v_div_fixup_f64 v[120:121], v[120:121], v[126:127], s[84:85]
	v_add_f64 v[118:119], v[120:121], v[118:119]
	v_fma_f64 v[120:121], -v[128:129], v[130:131], 1.0
	v_fmac_f64_e32 v[130:131], v[130:131], v[120:121]
	v_fma_f64 v[120:121], -v[128:129], v[130:131], 1.0
	v_fmac_f64_e32 v[130:131], v[130:131], v[120:121]
	v_div_scale_f64 v[120:121], vcc, s[86:87], v[124:125], s[86:87]
	v_mul_f64 v[122:123], v[120:121], v[130:131]
	v_add_f64 v[126:127], v[6:7], s[26:27]
	v_fma_f64 v[120:121], -v[128:129], v[122:123], v[120:121]
	v_div_scale_f64 v[128:129], s[2:3], v[126:127], v[126:127], s[88:89]
	v_rcp_f64_e32 v[132:133], v[128:129]
	v_div_fmas_f64 v[120:121], v[120:121], v[130:131], v[122:123]
	v_div_fixup_f64 v[120:121], v[120:121], v[124:125], s[86:87]
	v_add_f64 v[118:119], v[118:119], v[120:121]
	v_fma_f64 v[120:121], -v[128:129], v[132:133], 1.0
	v_fmac_f64_e32 v[132:133], v[132:133], v[120:121]
	v_fma_f64 v[120:121], -v[128:129], v[132:133], 1.0
	v_fmac_f64_e32 v[132:133], v[132:133], v[120:121]
	v_div_scale_f64 v[120:121], vcc, s[88:89], v[126:127], s[88:89]
	v_mul_f64 v[122:123], v[120:121], v[132:133]
	v_add_f64 v[124:125], v[6:7], 2.0
	v_fma_f64 v[120:121], -v[128:129], v[122:123], v[120:121]
	v_div_scale_f64 v[128:129], s[2:3], v[124:125], v[124:125], s[90:91]
	v_rcp_f64_e32 v[130:131], v[128:129]
	v_div_fmas_f64 v[120:121], v[120:121], v[132:133], v[122:123]
	v_div_fixup_f64 v[120:121], v[120:121], v[126:127], s[88:89]
	v_add_f64 v[118:119], v[120:121], v[118:119]
	v_fma_f64 v[120:121], -v[128:129], v[130:131], 1.0
	v_fmac_f64_e32 v[130:131], v[130:131], v[120:121]
	v_fma_f64 v[120:121], -v[128:129], v[130:131], 1.0
	v_fmac_f64_e32 v[130:131], v[130:131], v[120:121]
	v_div_scale_f64 v[120:121], vcc, s[90:91], v[124:125], s[90:91]
	v_mul_f64 v[122:123], v[120:121], v[130:131]
	v_add_f64 v[126:127], v[6:7], 1.0
	v_fma_f64 v[120:121], -v[128:129], v[122:123], v[120:121]
	v_div_scale_f64 v[128:129], s[2:3], v[126:127], v[126:127], s[92:93]
	v_rcp_f64_e32 v[132:133], v[128:129]
	v_div_fmas_f64 v[120:121], v[120:121], v[130:131], v[122:123]
	v_div_fixup_f64 v[120:121], v[120:121], v[124:125], s[90:91]
	v_add_f64 v[118:119], v[118:119], v[120:121]
	v_fma_f64 v[120:121], -v[128:129], v[132:133], 1.0
	v_fmac_f64_e32 v[132:133], v[132:133], v[120:121]
	v_fma_f64 v[120:121], -v[128:129], v[132:133], 1.0
	v_fmac_f64_e32 v[132:133], v[132:133], v[120:121]
	v_div_scale_f64 v[120:121], vcc, s[92:93], v[126:127], s[92:93]
	v_mul_f64 v[122:123], v[120:121], v[132:133]
	v_fma_f64 v[120:121], -v[128:129], v[122:123], v[120:121]
	v_add_f64 v[10:11], v[10:11], 0.5
	s_nop 0
	v_div_fmas_f64 v[120:121], v[120:121], v[132:133], v[122:123]
	v_div_fixup_f64 v[120:121], v[120:121], v[126:127], s[92:93]
	v_add_f64 v[118:119], v[120:121], v[118:119]
	v_add_f64 v[118:119], v[118:119], s[94:95]
	v_frexp_mant_f64_e32 v[120:121], v[118:119]
	v_cmp_gt_f64_e32 vcc, s[34:35], v[120:121]
	v_cndmask_b32_e64 v15, v91, 2.0, vcc
	v_frexp_exp_i32_f64_e32 v122, v[118:119]
	v_mul_f64 v[120:121], v[120:121], v[14:15]
	v_subbrev_co_u32_e32 v15, vcc, 0, v122, vcc
	v_add_f64 v[122:123], v[120:121], 1.0
	v_rcp_f64_e32 v[124:125], v[122:123]
	v_add_f64 v[128:129], v[122:123], -1.0
	v_add_f64 v[126:127], v[120:121], -1.0
	v_add_f64 v[120:121], v[120:121], -v[128:129]
	v_fma_f64 v[128:129], -v[122:123], v[124:125], 1.0
	v_fmac_f64_e32 v[124:125], v[128:129], v[124:125]
	v_fma_f64 v[128:129], -v[122:123], v[124:125], 1.0
	v_fmac_f64_e32 v[124:125], v[128:129], v[124:125]
	v_mul_f64 v[128:129], v[126:127], v[124:125]
	v_mul_f64 v[130:131], v[122:123], v[128:129]
	v_fma_f64 v[122:123], v[128:129], v[122:123], -v[130:131]
	v_fmac_f64_e32 v[122:123], v[128:129], v[120:121]
	v_add_f64 v[120:121], v[130:131], v[122:123]
	v_add_f64 v[132:133], v[126:127], -v[120:121]
	v_add_f64 v[130:131], v[120:121], -v[130:131]
	;; [unrolled: 1-line block ×5, first 2 shown]
	v_add_f64 v[120:121], v[122:123], v[120:121]
	v_add_f64 v[120:121], v[132:133], v[120:121]
	v_mul_f64 v[120:121], v[124:125], v[120:121]
	v_add_f64 v[122:123], v[128:129], v[120:121]
	v_add_f64 v[124:125], v[122:123], -v[128:129]
	v_add_f64 v[120:121], v[120:121], -v[124:125]
	v_mul_f64 v[124:125], v[122:123], v[122:123]
	v_fma_f64 v[126:127], s[38:39], v[124:125], v[0:1]
	v_fma_f64 v[126:127], v[124:125], v[126:127], s[40:41]
	;; [unrolled: 1-line block ×6, first 2 shown]
	v_ldexp_f64 v[128:129], v[122:123], 1
	v_mul_f64 v[122:123], v[122:123], v[124:125]
	v_mul_f64 v[122:123], v[122:123], v[126:127]
	v_add_f64 v[124:125], v[128:129], v[122:123]
	v_add_f64 v[126:127], v[124:125], -v[128:129]
	v_ldexp_f64 v[120:121], v[120:121], 1
	v_add_f64 v[122:123], v[122:123], -v[126:127]
	v_add_f64 v[120:121], v[120:121], v[122:123]
	v_add_f64 v[122:123], v[124:125], v[120:121]
	v_add_f64 v[124:125], v[122:123], -v[124:125]
	v_add_f64 v[120:121], v[120:121], -v[124:125]
	v_cvt_f64_i32_e32 v[124:125], v15
	v_mul_f64 v[126:127], v[124:125], s[50:51]
	v_fma_f64 v[128:129], v[124:125], s[50:51], -v[126:127]
	v_fmac_f64_e32 v[128:129], s[52:53], v[124:125]
	v_add_f64 v[124:125], v[126:127], v[128:129]
	v_add_f64 v[126:127], v[124:125], -v[126:127]
	v_add_f64 v[126:127], v[128:129], -v[126:127]
	v_add_f64 v[128:129], v[124:125], v[122:123]
	v_add_f64 v[130:131], v[128:129], -v[124:125]
	v_add_f64 v[132:133], v[128:129], -v[130:131]
	;; [unrolled: 1-line block ×4, first 2 shown]
	v_add_f64 v[122:123], v[122:123], v[124:125]
	v_add_f64 v[124:125], v[126:127], v[120:121]
	v_add_f64 v[130:131], v[124:125], -v[126:127]
	v_add_f64 v[132:133], v[124:125], -v[130:131]
	v_add_f64 v[122:123], v[124:125], v[122:123]
	v_add_f64 v[126:127], v[126:127], -v[132:133]
	v_add_f64 v[120:121], v[120:121], -v[130:131]
	v_add_f64 v[124:125], v[128:129], v[122:123]
	v_add_f64 v[120:121], v[120:121], v[126:127]
	v_add_f64 v[126:127], v[124:125], -v[128:129]
	v_add_f64 v[122:123], v[122:123], -v[126:127]
	v_add_f64 v[120:121], v[120:121], v[122:123]
	v_add_f64 v[120:121], v[124:125], v[120:121]
	v_cmp_class_f64_e64 vcc, v[118:119], s9
	v_div_scale_f64 v[122:123], s[2:3], s[28:29], s[28:29], v[10:11]
	v_cndmask_b32_e32 v121, v121, v119, vcc
	v_cndmask_b32_e32 v120, v120, v118, vcc
	v_rcp_f64_e32 v[124:125], v[122:123]
	v_add_f64 v[120:121], v[120:121], s[24:25]
	v_add_f64 v[120:121], v[120:121], s[22:23]
	v_cmp_ngt_f64_e32 vcc, 0, v[118:119]
	v_cndmask_b32_e32 v15, v92, v121, vcc
	v_cmp_nge_f64_e32 vcc, 0, v[118:119]
	v_cndmask_b32_e32 v120, 0, v120, vcc
	v_cmp_neq_f64_e32 vcc, 0, v[118:119]
	v_fma_f64 v[118:119], -v[122:123], v[124:125], 1.0
	v_fmac_f64_e32 v[124:125], v[124:125], v[118:119]
	v_fma_f64 v[118:119], -v[122:123], v[124:125], 1.0
	v_cndmask_b32_e32 v121, v93, v15, vcc
	v_fmac_f64_e32 v[124:125], v[124:125], v[118:119]
	v_div_scale_f64 v[118:119], vcc, v[10:11], s[28:29], v[10:11]
	v_mul_f64 v[126:127], v[118:119], v[124:125]
	v_fma_f64 v[118:119], -v[122:123], v[126:127], v[118:119]
	v_add_f64 v[6:7], v[6:7], 0.5
	s_nop 0
	v_div_fmas_f64 v[118:119], v[118:119], v[124:125], v[126:127]
	v_div_fixup_f64 v[10:11], v[118:119], s[28:29], v[10:11]
	v_frexp_mant_f64_e32 v[118:119], v[10:11]
	v_cmp_gt_f64_e32 vcc, s[34:35], v[118:119]
	v_cndmask_b32_e64 v15, v91, 2.0, vcc
	v_frexp_exp_i32_f64_e32 v122, v[10:11]
	v_mul_f64 v[118:119], v[118:119], v[14:15]
	v_subbrev_co_u32_e32 v15, vcc, 0, v122, vcc
	v_add_f64 v[122:123], v[118:119], 1.0
	v_rcp_f64_e32 v[124:125], v[122:123]
	v_add_f64 v[128:129], v[122:123], -1.0
	v_add_f64 v[126:127], v[118:119], -1.0
	v_add_f64 v[118:119], v[118:119], -v[128:129]
	v_fma_f64 v[128:129], -v[122:123], v[124:125], 1.0
	v_fmac_f64_e32 v[124:125], v[128:129], v[124:125]
	v_fma_f64 v[128:129], -v[122:123], v[124:125], 1.0
	v_fmac_f64_e32 v[124:125], v[128:129], v[124:125]
	v_mul_f64 v[128:129], v[126:127], v[124:125]
	v_mul_f64 v[130:131], v[122:123], v[128:129]
	v_fma_f64 v[122:123], v[128:129], v[122:123], -v[130:131]
	v_fmac_f64_e32 v[122:123], v[128:129], v[118:119]
	v_add_f64 v[118:119], v[130:131], v[122:123]
	v_add_f64 v[132:133], v[126:127], -v[118:119]
	v_add_f64 v[130:131], v[118:119], -v[130:131]
	;; [unrolled: 1-line block ×5, first 2 shown]
	v_add_f64 v[118:119], v[122:123], v[118:119]
	v_add_f64 v[118:119], v[132:133], v[118:119]
	v_mul_f64 v[118:119], v[124:125], v[118:119]
	v_add_f64 v[122:123], v[128:129], v[118:119]
	v_add_f64 v[124:125], v[122:123], -v[128:129]
	v_add_f64 v[118:119], v[118:119], -v[124:125]
	v_mul_f64 v[124:125], v[122:123], v[122:123]
	v_fmac_f64_e32 v[0:1], s[38:39], v[124:125]
	v_fma_f64 v[0:1], v[124:125], v[0:1], s[40:41]
	v_fma_f64 v[0:1], v[124:125], v[0:1], s[42:43]
	v_fma_f64 v[0:1], v[124:125], v[0:1], s[44:45]
	v_fma_f64 v[0:1], v[124:125], v[0:1], s[46:47]
	v_fma_f64 v[0:1], v[124:125], v[0:1], s[48:49]
	v_ldexp_f64 v[126:127], v[122:123], 1
	v_mul_f64 v[122:123], v[122:123], v[124:125]
	v_mul_f64 v[0:1], v[122:123], v[0:1]
	v_add_f64 v[122:123], v[126:127], v[0:1]
	v_add_f64 v[124:125], v[122:123], -v[126:127]
	v_ldexp_f64 v[118:119], v[118:119], 1
	v_add_f64 v[0:1], v[0:1], -v[124:125]
	v_add_f64 v[0:1], v[118:119], v[0:1]
	v_add_f64 v[118:119], v[122:123], v[0:1]
	v_add_f64 v[122:123], v[118:119], -v[122:123]
	v_add_f64 v[0:1], v[0:1], -v[122:123]
	v_cvt_f64_i32_e32 v[122:123], v15
	v_mul_f64 v[124:125], v[122:123], s[50:51]
	v_fma_f64 v[126:127], v[122:123], s[50:51], -v[124:125]
	v_fmac_f64_e32 v[126:127], s[52:53], v[122:123]
	v_add_f64 v[122:123], v[124:125], v[126:127]
	v_add_f64 v[124:125], v[122:123], -v[124:125]
	v_add_f64 v[124:125], v[126:127], -v[124:125]
	v_add_f64 v[126:127], v[122:123], v[118:119]
	v_add_f64 v[128:129], v[126:127], -v[122:123]
	v_add_f64 v[130:131], v[126:127], -v[128:129]
	;; [unrolled: 1-line block ×4, first 2 shown]
	v_add_f64 v[118:119], v[118:119], v[122:123]
	v_add_f64 v[122:123], v[124:125], v[0:1]
	v_add_f64 v[128:129], v[122:123], -v[124:125]
	v_add_f64 v[130:131], v[122:123], -v[128:129]
	v_add_f64 v[118:119], v[122:123], v[118:119]
	v_add_f64 v[124:125], v[124:125], -v[130:131]
	v_add_f64 v[0:1], v[0:1], -v[128:129]
	v_add_f64 v[122:123], v[126:127], v[118:119]
	v_add_f64 v[0:1], v[0:1], v[124:125]
	v_add_f64 v[124:125], v[122:123], -v[126:127]
	v_add_f64 v[118:119], v[118:119], -v[124:125]
	v_add_f64 v[0:1], v[0:1], v[118:119]
	v_add_f64 v[0:1], v[122:123], v[0:1]
	v_cmp_class_f64_e64 vcc, v[10:11], s9
	v_cndmask_b32_e32 v0, v0, v10, vcc
	v_cndmask_b32_e32 v1, v1, v11, vcc
	v_cmp_ngt_f64_e32 vcc, 0, v[10:11]
	v_cndmask_b32_e32 v1, v92, v1, vcc
	v_cmp_nge_f64_e32 vcc, 0, v[10:11]
	v_cndmask_b32_e32 v0, 0, v0, vcc
	v_cmp_neq_f64_e32 vcc, 0, v[10:11]
	v_cndmask_b32_e32 v1, v93, v1, vcc
	v_fmac_f64_e32 v[120:121], v[6:7], v[0:1]
	v_add_f64 v[0:1], v[4:5], -v[120:121]
	v_cvt_u32_f64_e32 v4, v[8:9]
	v_cmp_le_f64_e32 vcc, v[2:3], v[0:1]
	v_cndmask_b32_e64 v119, 0, 1, vcc
	v_cndmask_b32_e32 v75, v75, v4, vcc
	v_mov_b32_e32 v118, v117
.LBB86_28:                              ;   in Loop: Header=BB86_18 Depth=2
	s_or_b64 exec, exec, s[0:1]
	v_cmp_gt_i32_e32 vcc, 2, v119
	s_or_b64 s[20:21], vcc, s[20:21]
	v_mov_b32_e32 v15, v118
	v_mov_b32_e32 v0, v87
	;; [unrolled: 1-line block ×5, first 2 shown]
	s_andn2_b64 exec, exec, s[20:21]
	s_cbranch_execnz .LBB86_18
; %bb.29:                               ;   in Loop: Header=BB86_18 Depth=2
	s_or_b64 exec, exec, s[20:21]
	v_cmp_ne_u32_e32 vcc, 0, v119
	s_or_b64 s[12:13], vcc, s[12:13]
	s_mov_b64 s[20:21], 0
	v_mov_b32_e32 v15, v118
	v_mov_b32_e32 v0, v87
	;; [unrolled: 1-line block ×5, first 2 shown]
	s_andn2_b64 exec, exec, s[12:13]
	s_cbranch_execnz .LBB86_18
; %bb.30:                               ;   in Loop: Header=BB86_5 Depth=1
	s_or_b64 exec, exec, s[12:13]
	v_readlane_b32 s20, v134, 18
	v_readlane_b32 s21, v134, 19
                                        ; implicit-def: $vgpr72_vgpr73
                                        ; implicit-def: $vgpr15
                                        ; implicit-def: $vgpr97
                                        ; implicit-def: $vgpr98
                                        ; implicit-def: $vgpr106
                                        ; implicit-def: $vgpr96
                                        ; implicit-def: $vgpr3
                                        ; implicit-def: $vgpr4_vgpr5
                                        ; implicit-def: $vgpr99
                                        ; implicit-def: $vgpr100
                                        ; implicit-def: $vgpr101
                                        ; implicit-def: $vgpr102
                                        ; implicit-def: $vgpr104
                                        ; implicit-def: $vgpr105
                                        ; implicit-def: $vgpr107
                                        ; implicit-def: $vgpr108
                                        ; implicit-def: $vgpr109
                                        ; implicit-def: $vgpr110
                                        ; implicit-def: $vgpr111
                                        ; implicit-def: $vgpr112
                                        ; implicit-def: $vgpr113
                                        ; implicit-def: $vgpr114
                                        ; implicit-def: $vgpr103
                                        ; implicit-def: $vgpr115
.LBB86_31:                              ;   in Loop: Header=BB86_5 Depth=1
	s_andn2_saveexec_b64 s[0:1], s[16:17]
	s_cbranch_execz .LBB86_43
; %bb.32:                               ;   in Loop: Header=BB86_5 Depth=1
	v_add_co_u32_e32 v6, vcc, 1, v97
	v_cndmask_b32_e64 v7, 0, 1, vcc
	v_addc_co_u32_e32 v10, vcc, 0, v98, vcc
	v_cmp_eq_u32_e32 vcc, 0, v10
	v_cndmask_b32_e32 v7, 0, v7, vcc
	v_add_u32_e32 v8, v7, v17
	v_cmp_eq_u32_e32 vcc, 0, v8
	v_cndmask_b32_e32 v11, 0, v7, vcc
	v_mad_u64_u32 v[6:7], s[2:3], v6, s11, 0
	v_mad_u64_u32 v[8:9], s[2:3], v8, s10, 0
	v_xor_b32_e32 v7, v7, v73
	v_xor_b32_e32 v9, v9, v72
	v_xor_b32_e32 v7, v11, v7
	v_xor_b32_e32 v9, v10, v9
	v_mad_u64_u32 v[72:73], s[2:3], v7, s10, 0
	v_mad_u64_u32 v[10:11], s[2:3], v9, s11, 0
	v_xor_b32_e32 v7, v99, v73
	v_xor_b32_e32 v7, v7, v8
	v_xor_b32_e32 v8, v100, v11
	v_xor_b32_e32 v8, v8, v6
	;; [unrolled: 6-line block ×8, first 2 shown]
	v_mad_u64_u32 v[74:75], s[2:3], v7, s11, 0
	v_mad_u64_u32 v[8:9], s[2:3], v6, s10, 0
	v_xor_b32_e32 v6, v115, v75
	v_xor_b32_e32 v6, v6, v10
	v_mad_u64_u32 v[6:7], s[2:3], v6, s10, 0
	v_xor_b32_e32 v7, v7, v8
	v_xor_b32_e32 v10, v106, v7
	v_cmp_lt_i32_e32 vcc, 1, v15
                                        ; implicit-def: $vgpr8
	s_and_saveexec_b64 s[2:3], vcc
	s_xor_b64 s[2:3], exec, s[2:3]
	s_cbranch_execz .LBB86_38
; %bb.33:                               ;   in Loop: Header=BB86_5 Depth=1
	v_cmp_lt_i32_e32 vcc, 2, v15
                                        ; implicit-def: $vgpr8
	s_and_saveexec_b64 s[12:13], vcc
	s_xor_b64 s[12:13], exec, s[12:13]
; %bb.34:                               ;   in Loop: Header=BB86_5 Depth=1
	v_xor_b32_e32 v0, v103, v9
	v_xor_b32_e32 v0, v0, v72
	v_mul_hi_u32 v0, v0, s11
	v_xor_b32_e32 v0, v0, v74
	v_xor_b32_e32 v8, v96, v0
; %bb.35:                               ;   in Loop: Header=BB86_5 Depth=1
	s_andn2_saveexec_b64 s[12:13], s[12:13]
; %bb.36:                               ;   in Loop: Header=BB86_5 Depth=1
	v_mov_b32_e32 v8, v6
	v_mov_b32_e32 v6, v10
	;; [unrolled: 1-line block ×4, first 2 shown]
; %bb.37:                               ;   in Loop: Header=BB86_5 Depth=1
	s_or_b64 exec, exec, s[12:13]
                                        ; implicit-def: $vgpr15
.LBB86_38:                              ;   in Loop: Header=BB86_5 Depth=1
	s_andn2_saveexec_b64 s[2:3], s[2:3]
	s_cbranch_execz .LBB86_42
; %bb.39:                               ;   in Loop: Header=BB86_5 Depth=1
	v_cmp_eq_u32_e32 vcc, 1, v15
	v_mov_b32_e32 v8, v3
	v_mov_b32_e32 v6, v2
	;; [unrolled: 1-line block ×3, first 2 shown]
	s_and_saveexec_b64 s[12:13], vcc
; %bb.40:                               ;   in Loop: Header=BB86_5 Depth=1
	v_mov_b32_e32 v8, v10
	v_mov_b32_e32 v6, v3
	;; [unrolled: 1-line block ×4, first 2 shown]
; %bb.41:                               ;   in Loop: Header=BB86_5 Depth=1
	s_or_b64 exec, exec, s[12:13]
	v_mov_b32_e32 v3, v0
	v_mov_b32_e32 v10, v7
.LBB86_42:                              ;   in Loop: Header=BB86_5 Depth=1
	s_or_b64 exec, exec, s[2:3]
	v_mov_b32_e32 v11, v14
	v_lshlrev_b64 v[0:1], 21, v[10:11]
	v_xor_b32_e32 v2, v0, v3
	v_cvt_f64_u32_e32 v[0:1], v1
	v_ldexp_f64 v[0:1], v[0:1], 32
	v_cvt_f64_u32_e32 v[2:3], v2
	v_add_f64 v[0:1], v[0:1], v[2:3]
	v_mov_b32_e32 v2, 0
	v_mov_b32_e32 v3, 0x3ca00000
	v_fmac_f64_e32 v[2:3], 0x3ca00000, v[0:1]
	v_mov_b32_e32 v9, v14
	v_lshlrev_b64 v[0:1], 21, v[8:9]
	v_frexp_mant_f64_e32 v[8:9], v[2:3]
	v_cmp_gt_f64_e32 vcc, s[34:35], v[8:9]
	v_cndmask_b32_e64 v15, v91, 2.0, vcc
	v_frexp_exp_i32_f64_e32 v10, v[2:3]
	v_mul_f64 v[8:9], v[8:9], v[14:15]
	v_subbrev_co_u32_e32 v15, vcc, 0, v10, vcc
	v_add_f64 v[10:11], v[8:9], 1.0
	v_rcp_f64_e32 v[72:73], v[10:11]
	v_add_f64 v[76:77], v[10:11], -1.0
	v_add_f64 v[74:75], v[8:9], -1.0
	v_add_f64 v[8:9], v[8:9], -v[76:77]
	v_fma_f64 v[76:77], -v[10:11], v[72:73], 1.0
	v_fmac_f64_e32 v[72:73], v[76:77], v[72:73]
	v_fma_f64 v[76:77], -v[10:11], v[72:73], 1.0
	v_fmac_f64_e32 v[72:73], v[76:77], v[72:73]
	v_mul_f64 v[76:77], v[74:75], v[72:73]
	v_mul_f64 v[78:79], v[10:11], v[76:77]
	v_fma_f64 v[10:11], v[76:77], v[10:11], -v[78:79]
	v_fmac_f64_e32 v[10:11], v[76:77], v[8:9]
	v_add_f64 v[8:9], v[78:79], v[10:11]
	v_add_f64 v[80:81], v[74:75], -v[8:9]
	v_add_f64 v[78:79], v[8:9], -v[78:79]
	;; [unrolled: 1-line block ×5, first 2 shown]
	v_add_f64 v[8:9], v[10:11], v[8:9]
	v_add_f64 v[8:9], v[80:81], v[8:9]
	v_mul_f64 v[8:9], v[72:73], v[8:9]
	v_add_f64 v[10:11], v[76:77], v[8:9]
	v_add_f64 v[72:73], v[10:11], -v[76:77]
	v_add_f64 v[8:9], v[8:9], -v[72:73]
	v_mul_f64 v[72:73], v[10:11], v[10:11]
	v_pk_mov_b32 v[74:75], v[18:19], v[18:19] op_sel:[0,1]
	v_fmac_f64_e32 v[74:75], s[38:39], v[72:73]
	v_pk_mov_b32 v[76:77], v[20:21], v[20:21] op_sel:[0,1]
	v_fmac_f64_e32 v[76:77], v[72:73], v[74:75]
	;; [unrolled: 2-line block ×6, first 2 shown]
	v_ldexp_f64 v[74:75], v[10:11], 1
	v_mul_f64 v[10:11], v[10:11], v[72:73]
	v_mul_f64 v[10:11], v[10:11], v[76:77]
	v_add_f64 v[72:73], v[74:75], v[10:11]
	v_add_f64 v[74:75], v[72:73], -v[74:75]
	v_ldexp_f64 v[8:9], v[8:9], 1
	v_add_f64 v[10:11], v[10:11], -v[74:75]
	v_add_f64 v[8:9], v[8:9], v[10:11]
	v_add_f64 v[10:11], v[72:73], v[8:9]
	v_add_f64 v[72:73], v[10:11], -v[72:73]
	v_add_f64 v[8:9], v[8:9], -v[72:73]
	v_cvt_f64_i32_e32 v[72:73], v15
	v_mul_f64 v[74:75], v[72:73], s[50:51]
	v_fma_f64 v[76:77], v[72:73], s[50:51], -v[74:75]
	v_fmac_f64_e32 v[76:77], s[52:53], v[72:73]
	v_add_f64 v[72:73], v[74:75], v[76:77]
	v_add_f64 v[74:75], v[72:73], -v[74:75]
	v_add_f64 v[74:75], v[76:77], -v[74:75]
	v_add_f64 v[76:77], v[72:73], v[10:11]
	v_add_f64 v[78:79], v[76:77], -v[72:73]
	v_add_f64 v[80:81], v[76:77], -v[78:79]
	;; [unrolled: 1-line block ×4, first 2 shown]
	v_add_f64 v[10:11], v[10:11], v[72:73]
	v_add_f64 v[72:73], v[74:75], v[8:9]
	v_add_f64 v[78:79], v[72:73], -v[74:75]
	v_add_f64 v[80:81], v[72:73], -v[78:79]
	v_add_f64 v[10:11], v[72:73], v[10:11]
	v_add_f64 v[74:75], v[74:75], -v[80:81]
	v_add_f64 v[8:9], v[8:9], -v[78:79]
	v_add_f64 v[72:73], v[76:77], v[10:11]
	v_add_f64 v[8:9], v[8:9], v[74:75]
	v_add_f64 v[74:75], v[72:73], -v[76:77]
	v_add_f64 v[10:11], v[10:11], -v[74:75]
	s_mov_b32 s16, 0
	v_add_f64 v[8:9], v[8:9], v[10:11]
	s_mov_b32 s17, 0x7ff00000
	v_add_f64 v[8:9], v[72:73], v[8:9]
	v_cmp_eq_f64_e32 vcc, s[16:17], v[2:3]
	v_cndmask_b32_e32 v9, v9, v3, vcc
	v_cndmask_b32_e32 v8, v8, v2, vcc
	v_mul_f64 v[8:9], v[8:9], -2.0
	v_cmp_neq_f64_e32 vcc, 0, v[2:3]
	s_mov_b32 s2, 0
	v_cndmask_b32_e32 v3, v94, v9, vcc
	v_cndmask_b32_e32 v2, 0, v8, vcc
	s_brev_b32 s3, 8
	v_cmp_gt_f64_e32 vcc, s[2:3], v[2:3]
	v_cndmask_b32_e64 v8, 0, 1, vcc
	v_lshlrev_b32_e32 v8, 8, v8
	v_ldexp_f64 v[2:3], v[2:3], v8
	v_xor_b32_e32 v6, v0, v6
	v_cvt_f64_u32_e32 v[0:1], v1
	v_rsq_f64_e32 v[8:9], v[2:3]
	v_ldexp_f64 v[0:1], v[0:1], 32
	v_cvt_f64_u32_e32 v[6:7], v6
	v_add_f64 v[0:1], v[0:1], v[6:7]
	v_mov_b32_e32 v6, 0
	v_mov_b32_e32 v7, 0x3cb00000
	v_fmac_f64_e32 v[6:7], 0x3cb00000, v[0:1]
	v_mul_f64 v[0:1], v[2:3], v[8:9]
	v_mul_f64 v[8:9], v[8:9], 0.5
	v_fma_f64 v[10:11], -v[8:9], v[0:1], 0.5
	v_fmac_f64_e32 v[0:1], v[0:1], v[10:11]
	v_fma_f64 v[72:73], -v[0:1], v[0:1], v[2:3]
	v_fmac_f64_e32 v[8:9], v[8:9], v[10:11]
	v_fmac_f64_e32 v[0:1], v[72:73], v[8:9]
	v_fma_f64 v[10:11], -v[0:1], v[0:1], v[2:3]
	v_fmac_f64_e32 v[0:1], v[10:11], v[8:9]
	v_cndmask_b32_e32 v8, 0, v90, vcc
	v_ldexp_f64 v[0:1], v[0:1], v8
	v_cmp_class_f64_e32 vcc, v[2:3], v89
	v_cndmask_b32_e32 v1, v1, v3, vcc
	v_cndmask_b32_e32 v0, v0, v2, vcc
	v_mul_f64 v[2:3], v[6:7], 0.5
	v_fract_f64_e32 v[8:9], v[2:3]
	v_add_f64 v[8:9], v[8:9], v[8:9]
	v_cmp_neq_f64_e32 vcc, s[16:17], v[2:3]
	v_cndmask_b32_e32 v2, 0, v8, vcc
	v_cndmask_b32_e32 v3, 0, v9, vcc
	v_cmp_lt_f64_e32 vcc, 1.0, v[6:7]
	v_cndmask_b32_e32 v3, v7, v3, vcc
	v_cndmask_b32_e32 v2, v6, v2, vcc
	v_add_f64 v[8:9], v[2:3], v[2:3]
	v_rndne_f64_e32 v[8:9], v[8:9]
	v_fmac_f64_e32 v[2:3], -0.5, v[8:9]
	s_mov_b32 s12, 0xf99eb0bb
	v_cvt_i32_f64_e32 v15, v[8:9]
	v_mul_f64 v[8:9], v[2:3], v[2:3]
	v_pk_mov_b32 v[10:11], v[48:49], v[48:49] op_sel:[0,1]
	s_mov_b32 s13, 0x3f3e357e
	v_fmac_f64_e32 v[10:11], s[12:13], v[8:9]
	v_pk_mov_b32 v[72:73], v[50:51], v[50:51] op_sel:[0,1]
	v_fmac_f64_e32 v[72:73], v[8:9], v[10:11]
	v_pk_mov_b32 v[10:11], v[52:53], v[52:53] op_sel:[0,1]
	;; [unrolled: 2-line block ×4, first 2 shown]
	v_fmac_f64_e32 v[10:11], v[8:9], v[72:73]
	v_mul_f64 v[72:73], v[2:3], v[8:9]
	s_mov_b32 s12, 0x54442d18
	v_mul_f64 v[10:11], v[72:73], v[10:11]
	s_mov_b32 s13, 0x400921fb
	v_fmac_f64_e32 v[10:11], s[12:13], v[2:3]
	s_mov_b32 s12, 0x2e21c33
	v_pk_mov_b32 v[2:3], v[58:59], v[58:59] op_sel:[0,1]
	s_mov_b32 s13, 0xbf1b1673
	v_fmac_f64_e32 v[2:3], s[12:13], v[8:9]
	v_pk_mov_b32 v[72:73], v[60:61], v[60:61] op_sel:[0,1]
	v_fmac_f64_e32 v[72:73], v[8:9], v[2:3]
	v_pk_mov_b32 v[2:3], v[62:63], v[62:63] op_sel:[0,1]
	;; [unrolled: 2-line block ×5, first 2 shown]
	v_fmac_f64_e32 v[72:73], v[8:9], v[2:3]
	v_fma_f64 v[2:3], v[8:9], v[72:73], 1.0
	v_and_b32_e32 v9, 1, v15
	v_lshlrev_b32_e32 v8, 30, v15
	v_cmp_eq_u32_e32 vcc, 0, v9
	v_cndmask_b32_e32 v10, v2, v10, vcc
	v_cndmask_b32_e32 v2, v3, v11, vcc
	v_xor_b32_e32 v3, v8, v7
	v_and_b32_e32 v3, 0x80000000, v3
	v_cmp_gt_f64_e32 vcc, s[2:3], v[4:5]
	v_xor_b32_e32 v11, v2, v3
	v_cndmask_b32_e64 v2, 0, 1, vcc
	v_lshlrev_b32_e32 v2, 8, v2
	v_ldexp_f64 v[2:3], v[4:5], v2
	v_rsq_f64_e32 v[8:9], v[2:3]
	v_cmp_lg_f64_e64 s[2:3], s[16:17], v[6:7]
	v_cndmask_b32_e64 v6, 0, v10, s[2:3]
	v_cndmask_b32_e64 v7, v92, v11, s[2:3]
	v_mul_f64 v[0:1], v[0:1], v[6:7]
	v_mul_f64 v[6:7], v[2:3], v[8:9]
	v_mul_f64 v[8:9], v[8:9], 0.5
	v_fma_f64 v[10:11], -v[8:9], v[6:7], 0.5
	v_fmac_f64_e32 v[6:7], v[6:7], v[10:11]
	v_fma_f64 v[72:73], -v[6:7], v[6:7], v[2:3]
	v_fmac_f64_e32 v[8:9], v[8:9], v[10:11]
	v_fmac_f64_e32 v[6:7], v[72:73], v[8:9]
	v_fma_f64 v[10:11], -v[6:7], v[6:7], v[2:3]
	v_fmac_f64_e32 v[6:7], v[10:11], v[8:9]
	v_cndmask_b32_e32 v8, 0, v90, vcc
	v_ldexp_f64 v[6:7], v[6:7], v8
	v_cmp_class_f64_e32 vcc, v[2:3], v89
	v_cndmask_b32_e32 v3, v7, v3, vcc
	v_cndmask_b32_e32 v2, v6, v2, vcc
	v_fmac_f64_e32 v[4:5], v[2:3], v[0:1]
	v_trunc_f64_e32 v[0:1], v[4:5]
	v_add_f64 v[2:3], v[4:5], -v[0:1]
	v_cmp_ge_f64_e64 vcc, |v[2:3]|, 0.5
	v_cndmask_b32_e32 v2, 0, v91, vcc
	s_brev_b32 s2, -2
	v_bfi_b32 v15, s2, v2, v5
	v_add_f64 v[0:1], v[0:1], v[14:15]
	v_cvt_u32_f64_e32 v75, v[0:1]
.LBB86_43:                              ;   in Loop: Header=BB86_5 Depth=1
	s_or_b64 exec, exec, s[0:1]
                                        ; implicit-def: $vgpr6
                                        ; implicit-def: $vgpr72_vgpr73
                                        ; implicit-def: $vgpr15
                                        ; implicit-def: $vgpr97
                                        ; implicit-def: $vgpr98
                                        ; implicit-def: $vgpr106
                                        ; implicit-def: $vgpr96
                                        ; implicit-def: $vgpr3
                                        ; implicit-def: $vgpr4_vgpr5
                                        ; implicit-def: $vgpr99
                                        ; implicit-def: $vgpr100
                                        ; implicit-def: $vgpr101
                                        ; implicit-def: $vgpr102
                                        ; implicit-def: $vgpr104
                                        ; implicit-def: $vgpr105
                                        ; implicit-def: $vgpr107
                                        ; implicit-def: $vgpr108
                                        ; implicit-def: $vgpr109
                                        ; implicit-def: $vgpr110
                                        ; implicit-def: $vgpr111
                                        ; implicit-def: $vgpr112
                                        ; implicit-def: $vgpr113
                                        ; implicit-def: $vgpr114
                                        ; implicit-def: $vgpr103
                                        ; implicit-def: $vgpr115
.LBB86_44:                              ;   in Loop: Header=BB86_5 Depth=1
	s_andn2_saveexec_b64 s[0:1], s[6:7]
	s_cbranch_execz .LBB86_3
; %bb.45:                               ;   in Loop: Header=BB86_5 Depth=1
	v_readlane_b32 s2, v134, 16
	v_readlane_b32 s3, v134, 17
	s_mov_b32 s2, s56
	v_mul_f64 v[8:9], v[4:5], s[2:3]
	v_rndne_f64_e32 v[10:11], v[8:9]
	s_mov_b32 s58, s50
	v_fma_f64 v[4:5], v[10:11], s[58:59], -v[4:5]
	s_mov_b32 s60, s52
	v_fmac_f64_e32 v[4:5], s[60:61], v[10:11]
	v_pk_mov_b32 v[8:9], v[30:31], v[30:31] op_sel:[0,1]
	v_fmac_f64_e32 v[8:9], s[64:65], v[4:5]
	v_pk_mov_b32 v[74:75], v[32:33], v[32:33] op_sel:[0,1]
	;; [unrolled: 2-line block ×9, first 2 shown]
	v_fmac_f64_e32 v[76:77], v[4:5], v[74:75]
	v_fma_f64 v[74:75], v[4:5], v[76:77], 1.0
	s_mov_b32 s2, 0xe400
	v_fma_f64 v[4:5], v[4:5], v[74:75], 1.0
	v_cvt_i32_f64_e32 v7, v[10:11]
	v_cmp_ngt_f16_e32 vcc, s2, v6
	s_movk_i32 s2, 0x6433
	s_mov_b32 s7, s3
	v_ldexp_f64 v[4:5], v[4:5], v7
	v_cmp_nlt_f16_e64 s[2:3], s2, v6
	v_mov_b32_e32 v8, 0
	v_cndmask_b32_e32 v5, v94, v5, vcc
	s_and_b64 vcc, s[2:3], vcc
	v_writelane_b32 v134, s6, 16
	v_mov_b32_e32 v9, 0x3ff00000
	v_mov_b32_e32 v78, 0
	v_cndmask_b32_e64 v11, 0, v5, s[2:3]
	v_cndmask_b32_e32 v10, 0, v4, vcc
	s_mov_b32 s12, -1
	s_mov_b64 s[2:3], 0
	v_mov_b32_e32 v79, v17
	v_writelane_b32 v134, s7, 17
	s_branch .LBB86_47
.LBB86_46:                              ;   in Loop: Header=BB86_47 Depth=2
	s_or_b64 exec, exec, s[6:7]
	v_cmp_eq_u32_e32 vcc, 1, v15
	v_cndmask_b32_e32 v0, v0, v1, vcc
	v_cmp_eq_u32_e32 vcc, 2, v15
	v_cndmask_b32_e32 v0, v0, v2, vcc
	;; [unrolled: 2-line block ×6, first 2 shown]
	v_lshrrev_b32_e32 v0, 11, v0
	v_cvt_f64_u32_e32 v[0:1], v0
	v_ldexp_f64 v[0:1], v[0:1], 32
	v_cvt_f64_u32_e32 v[2:3], v2
	v_add_f64 v[0:1], v[0:1], v[2:3]
	v_mov_b32_e32 v2, 0
	v_mov_b32_e32 v3, 0x3ca00000
	v_fmac_f64_e32 v[2:3], 0x3ca00000, v[0:1]
	v_mul_f64 v[8:9], v[8:9], v[2:3]
	v_cmp_ngt_f64_e32 vcc, v[8:9], v[10:11]
	s_add_i32 s12, s12, 1
	s_or_b64 s[2:3], vcc, s[2:3]
	v_mov_b32_e32 v75, s12
	v_mov_b32_e32 v15, v81
	;; [unrolled: 1-line block ×6, first 2 shown]
	s_andn2_b64 exec, exec, s[2:3]
	s_cbranch_execz .LBB86_2
.LBB86_47:                              ;   Parent Loop BB86_5 Depth=1
                                        ; =>  This Inner Loop Header: Depth=2
	v_add_u32_e32 v80, 1, v15
	v_pk_mov_b32 v[6:7], v[2:3], v[2:3] op_sel:[0,1]
	v_cmp_eq_u32_e32 vcc, 4, v80
	v_pk_mov_b32 v[4:5], v[0:1], v[0:1] op_sel:[0,1]
	v_mov_b32_e32 v77, v0
	v_mov_b32_e32 v76, v1
	;; [unrolled: 1-line block ×4, first 2 shown]
	s_and_saveexec_b64 s[6:7], vcc
	s_cbranch_execz .LBB86_49
; %bb.48:                               ;   in Loop: Header=BB86_47 Depth=2
	v_add_co_u32_e32 v97, vcc, 1, v97
	v_cndmask_b32_e64 v4, 0, 1, vcc
	v_addc_co_u32_e32 v98, vcc, 0, v98, vcc
	v_cmp_eq_u32_e32 vcc, 0, v98
	v_cndmask_b32_e32 v4, 0, v4, vcc
	v_add_u32_e32 v79, v4, v79
	v_cmp_eq_u32_e32 vcc, 0, v79
	v_cndmask_b32_e32 v4, 0, v4, vcc
	v_add_u32_e32 v78, v4, v78
	v_mad_u64_u32 v[4:5], s[16:17], v97, s11, 0
	v_mad_u64_u32 v[6:7], s[16:17], v79, s10, 0
	v_xor_b32_e32 v5, v5, v73
	v_xor_b32_e32 v7, v7, v72
	v_xor_b32_e32 v5, v78, v5
	v_xor_b32_e32 v7, v98, v7
	v_mad_u64_u32 v[76:77], s[16:17], v5, s10, 0
	v_mad_u64_u32 v[74:75], s[16:17], v7, s11, 0
	v_xor_b32_e32 v5, v99, v77
	v_xor_b32_e32 v5, v5, v6
	v_xor_b32_e32 v6, v100, v75
	v_xor_b32_e32 v6, v6, v4
	;; [unrolled: 6-line block ×10, first 2 shown]
	v_mov_b32_e32 v80, 0
	v_mov_b32_e32 v5, v76
	;; [unrolled: 1-line block ×5, first 2 shown]
.LBB86_49:                              ;   in Loop: Header=BB86_47 Depth=2
	s_or_b64 exec, exec, s[6:7]
	v_add_u32_e32 v81, 1, v80
	v_cmp_eq_u32_e32 vcc, 4, v81
	s_and_saveexec_b64 s[6:7], vcc
	s_cbranch_execz .LBB86_46
; %bb.50:                               ;   in Loop: Header=BB86_47 Depth=2
	v_add_co_u32_e32 v97, vcc, 1, v97
	v_cndmask_b32_e64 v74, 0, 1, vcc
	v_addc_co_u32_e32 v98, vcc, 0, v98, vcc
	v_cmp_eq_u32_e32 vcc, 0, v98
	v_cndmask_b32_e32 v74, 0, v74, vcc
	v_add_u32_e32 v79, v74, v79
	v_cmp_eq_u32_e32 vcc, 0, v79
	v_cndmask_b32_e32 v74, 0, v74, vcc
	v_add_u32_e32 v78, v74, v78
	v_mad_u64_u32 v[74:75], s[16:17], v97, s11, 0
	v_mad_u64_u32 v[76:77], s[16:17], v79, s10, 0
	v_xor_b32_e32 v75, v75, v73
	v_xor_b32_e32 v77, v77, v72
	v_xor_b32_e32 v75, v78, v75
	v_xor_b32_e32 v77, v98, v77
	v_mad_u64_u32 v[84:85], s[16:17], v75, s10, 0
	v_mad_u64_u32 v[82:83], s[16:17], v77, s11, 0
	v_xor_b32_e32 v75, v99, v85
	v_xor_b32_e32 v75, v75, v76
	v_xor_b32_e32 v76, v100, v83
	v_xor_b32_e32 v76, v76, v74
	;; [unrolled: 6-line block ×9, first 2 shown]
	v_mad_u64_u32 v[74:75], s[16:17], v74, s11, 0
	v_mad_u64_u32 v[76:77], s[16:17], v76, s10, 0
	v_xor_b32_e32 v77, v77, v116
	v_xor_b32_e32 v75, v75, v86
	v_mov_b32_e32 v81, 0
	v_xor_b32_e32 v77, v106, v77
	v_xor_b32_e32 v82, v96, v75
	s_branch .LBB86_46
.LBB86_51:
	s_or_b64 exec, exec, s[18:19]
	s_and_saveexec_b64 s[0:1], s[14:15]
	s_xor_b64 s[0:1], exec, s[0:1]
	s_cbranch_execnz .LBB86_53
.LBB86_52:
	s_endpgm
.LBB86_53:
	s_trap 2
	; divergent unreachable
	s_endpgm
	.section	.rodata,"a",@progbits
	.p2align	6, 0x0
	.amdhsa_kernel _ZN2at4cuda12_GLOBAL__N_121kernelPointwiseApply2IZN12_GLOBAL__N_119poisson_cuda_kernelIN3c104HalfEEEvRKNS_10TensorBaseES9_NS_15PhiloxCudaStateEEUlRS6_RKS6_E_S6_S6_jLin1ELi2ELi1ELi512ELi2EEEvNS0_6detail10TensorInfoIT0_T2_EENSG_IT1_SI_EESI_T_
		.amdhsa_group_segment_fixed_size 0
		.amdhsa_private_segment_fixed_size 0
		.amdhsa_kernarg_size 728
		.amdhsa_user_sgpr_count 6
		.amdhsa_user_sgpr_private_segment_buffer 1
		.amdhsa_user_sgpr_dispatch_ptr 0
		.amdhsa_user_sgpr_queue_ptr 0
		.amdhsa_user_sgpr_kernarg_segment_ptr 1
		.amdhsa_user_sgpr_dispatch_id 0
		.amdhsa_user_sgpr_flat_scratch_init 0
		.amdhsa_user_sgpr_kernarg_preload_length 0
		.amdhsa_user_sgpr_kernarg_preload_offset 0
		.amdhsa_user_sgpr_private_segment_size 0
		.amdhsa_uses_dynamic_stack 0
		.amdhsa_system_sgpr_private_segment_wavefront_offset 0
		.amdhsa_system_sgpr_workgroup_id_x 1
		.amdhsa_system_sgpr_workgroup_id_y 0
		.amdhsa_system_sgpr_workgroup_id_z 0
		.amdhsa_system_sgpr_workgroup_info 0
		.amdhsa_system_vgpr_workitem_id 0
		.amdhsa_next_free_vgpr 135
		.amdhsa_next_free_sgpr 96
		.amdhsa_accum_offset 136
		.amdhsa_reserve_vcc 1
		.amdhsa_reserve_flat_scratch 0
		.amdhsa_float_round_mode_32 0
		.amdhsa_float_round_mode_16_64 0
		.amdhsa_float_denorm_mode_32 3
		.amdhsa_float_denorm_mode_16_64 3
		.amdhsa_dx10_clamp 1
		.amdhsa_ieee_mode 1
		.amdhsa_fp16_overflow 0
		.amdhsa_tg_split 0
		.amdhsa_exception_fp_ieee_invalid_op 0
		.amdhsa_exception_fp_denorm_src 0
		.amdhsa_exception_fp_ieee_div_zero 0
		.amdhsa_exception_fp_ieee_overflow 0
		.amdhsa_exception_fp_ieee_underflow 0
		.amdhsa_exception_fp_ieee_inexact 0
		.amdhsa_exception_int_div_zero 0
	.end_amdhsa_kernel
	.section	.text._ZN2at4cuda12_GLOBAL__N_121kernelPointwiseApply2IZN12_GLOBAL__N_119poisson_cuda_kernelIN3c104HalfEEEvRKNS_10TensorBaseES9_NS_15PhiloxCudaStateEEUlRS6_RKS6_E_S6_S6_jLin1ELi2ELi1ELi512ELi2EEEvNS0_6detail10TensorInfoIT0_T2_EENSG_IT1_SI_EESI_T_,"axG",@progbits,_ZN2at4cuda12_GLOBAL__N_121kernelPointwiseApply2IZN12_GLOBAL__N_119poisson_cuda_kernelIN3c104HalfEEEvRKNS_10TensorBaseES9_NS_15PhiloxCudaStateEEUlRS6_RKS6_E_S6_S6_jLin1ELi2ELi1ELi512ELi2EEEvNS0_6detail10TensorInfoIT0_T2_EENSG_IT1_SI_EESI_T_,comdat
.Lfunc_end86:
	.size	_ZN2at4cuda12_GLOBAL__N_121kernelPointwiseApply2IZN12_GLOBAL__N_119poisson_cuda_kernelIN3c104HalfEEEvRKNS_10TensorBaseES9_NS_15PhiloxCudaStateEEUlRS6_RKS6_E_S6_S6_jLin1ELi2ELi1ELi512ELi2EEEvNS0_6detail10TensorInfoIT0_T2_EENSG_IT1_SI_EESI_T_, .Lfunc_end86-_ZN2at4cuda12_GLOBAL__N_121kernelPointwiseApply2IZN12_GLOBAL__N_119poisson_cuda_kernelIN3c104HalfEEEvRKNS_10TensorBaseES9_NS_15PhiloxCudaStateEEUlRS6_RKS6_E_S6_S6_jLin1ELi2ELi1ELi512ELi2EEEvNS0_6detail10TensorInfoIT0_T2_EENSG_IT1_SI_EESI_T_
                                        ; -- End function
	.section	.AMDGPU.csdata,"",@progbits
; Kernel info:
; codeLenInByte = 13768
; NumSgprs: 100
; NumVgprs: 135
; NumAgprs: 0
; TotalNumVgprs: 135
; ScratchSize: 0
; MemoryBound: 0
; FloatMode: 240
; IeeeMode: 1
; LDSByteSize: 0 bytes/workgroup (compile time only)
; SGPRBlocks: 12
; VGPRBlocks: 16
; NumSGPRsForWavesPerEU: 100
; NumVGPRsForWavesPerEU: 135
; AccumOffset: 136
; Occupancy: 3
; WaveLimiterHint : 1
; COMPUTE_PGM_RSRC2:SCRATCH_EN: 0
; COMPUTE_PGM_RSRC2:USER_SGPR: 6
; COMPUTE_PGM_RSRC2:TRAP_HANDLER: 0
; COMPUTE_PGM_RSRC2:TGID_X_EN: 1
; COMPUTE_PGM_RSRC2:TGID_Y_EN: 0
; COMPUTE_PGM_RSRC2:TGID_Z_EN: 0
; COMPUTE_PGM_RSRC2:TIDIG_COMP_CNT: 0
; COMPUTE_PGM_RSRC3_GFX90A:ACCUM_OFFSET: 33
; COMPUTE_PGM_RSRC3_GFX90A:TG_SPLIT: 0
	.section	.text._ZN2at4cuda12_GLOBAL__N_121kernelPointwiseApply2IZN12_GLOBAL__N_119poisson_cuda_kernelIN3c104HalfEEEvRKNS_10TensorBaseES9_NS_15PhiloxCudaStateEEUlRS6_RKS6_E_S6_S6_jLin1ELin1ELi1ELi512ELi2EEEvNS0_6detail10TensorInfoIT0_T2_EENSG_IT1_SI_EESI_T_,"axG",@progbits,_ZN2at4cuda12_GLOBAL__N_121kernelPointwiseApply2IZN12_GLOBAL__N_119poisson_cuda_kernelIN3c104HalfEEEvRKNS_10TensorBaseES9_NS_15PhiloxCudaStateEEUlRS6_RKS6_E_S6_S6_jLin1ELin1ELi1ELi512ELi2EEEvNS0_6detail10TensorInfoIT0_T2_EENSG_IT1_SI_EESI_T_,comdat
	.globl	_ZN2at4cuda12_GLOBAL__N_121kernelPointwiseApply2IZN12_GLOBAL__N_119poisson_cuda_kernelIN3c104HalfEEEvRKNS_10TensorBaseES9_NS_15PhiloxCudaStateEEUlRS6_RKS6_E_S6_S6_jLin1ELin1ELi1ELi512ELi2EEEvNS0_6detail10TensorInfoIT0_T2_EENSG_IT1_SI_EESI_T_ ; -- Begin function _ZN2at4cuda12_GLOBAL__N_121kernelPointwiseApply2IZN12_GLOBAL__N_119poisson_cuda_kernelIN3c104HalfEEEvRKNS_10TensorBaseES9_NS_15PhiloxCudaStateEEUlRS6_RKS6_E_S6_S6_jLin1ELin1ELi1ELi512ELi2EEEvNS0_6detail10TensorInfoIT0_T2_EENSG_IT1_SI_EESI_T_
	.p2align	8
	.type	_ZN2at4cuda12_GLOBAL__N_121kernelPointwiseApply2IZN12_GLOBAL__N_119poisson_cuda_kernelIN3c104HalfEEEvRKNS_10TensorBaseES9_NS_15PhiloxCudaStateEEUlRS6_RKS6_E_S6_S6_jLin1ELin1ELi1ELi512ELi2EEEvNS0_6detail10TensorInfoIT0_T2_EENSG_IT1_SI_EESI_T_,@function
_ZN2at4cuda12_GLOBAL__N_121kernelPointwiseApply2IZN12_GLOBAL__N_119poisson_cuda_kernelIN3c104HalfEEEvRKNS_10TensorBaseES9_NS_15PhiloxCudaStateEEUlRS6_RKS6_E_S6_S6_jLin1ELin1ELi1ELi512ELi2EEEvNS0_6detail10TensorInfoIT0_T2_EENSG_IT1_SI_EESI_T_: ; @_ZN2at4cuda12_GLOBAL__N_121kernelPointwiseApply2IZN12_GLOBAL__N_119poisson_cuda_kernelIN3c104HalfEEEvRKNS_10TensorBaseES9_NS_15PhiloxCudaStateEEUlRS6_RKS6_E_S6_S6_jLin1ELin1ELi1ELi512ELi2EEEvNS0_6detail10TensorInfoIT0_T2_EENSG_IT1_SI_EESI_T_
; %bb.0:
	s_load_dword s2, s[4:5], 0x1e4
	s_load_dword s33, s[4:5], 0x1b0
	s_add_u32 s0, s4, 0x1d8
	s_addc_u32 s1, s5, 0
	s_waitcnt lgkmcnt(0)
	s_and_b32 s2, s2, 0xffff
	s_mul_i32 s6, s6, s2
	v_add_u32_e32 v17, s6, v0
	v_cmp_gt_u32_e32 vcc, s33, v17
	s_and_saveexec_b64 s[6:7], vcc
	s_cbranch_execz .LBB87_55
; %bb.1:
	s_load_dword s3, s[0:1], 0x0
	s_load_dword s6, s[4:5], 0x1d0
	;; [unrolled: 1-line block ×3, first 2 shown]
	s_load_dwordx2 s[20:21], s[4:5], 0x1c8
	s_load_dwordx4 s[12:15], s[4:5], 0x1b8
                                        ; implicit-def: $vgpr134 : SGPR spill to VGPR lane
	s_add_u32 s9, s4, 0xd8
	s_addc_u32 s10, s5, 0
	s_waitcnt lgkmcnt(0)
	s_cmp_gt_i32 s11, 1
                                        ; kill: killed $sgpr0 killed $sgpr1
	s_cselect_b64 s[0:1], -1, 0
	v_writelane_b32 v134, s12, 0
	v_writelane_b32 v134, s13, 1
	;; [unrolled: 1-line block ×6, first 2 shown]
	s_load_dword s0, s[4:5], 0x144
	s_load_dword s12, s[4:5], 0x1a8
	s_load_dwordx2 s[56:57], s[4:5], 0xd8
	s_load_dword s13, s[4:5], 0x6c
	s_mul_i32 s2, s3, s2
	s_mov_b32 s8, 0xcd9e8d57
	s_waitcnt lgkmcnt(0)
	s_cmp_gt_i32 s12, 1
	v_writelane_b32 v134, s0, 6
	s_cselect_b64 s[0:1], -1, 0
	v_writelane_b32 v134, s0, 7
	v_writelane_b32 v134, s1, 8
	s_load_dwordx2 s[0:1], s[4:5], 0x0
	s_mov_b32 s3, 0
	s_mov_b32 s28, 0
	s_mov_b32 s36, 0x55555555
	s_mov_b32 s38, 0x6b47b09a
	s_waitcnt lgkmcnt(0)
	v_writelane_b32 v134, s0, 9
	v_writelane_b32 v134, s1, 10
	s_getpc_b64 s[0:1]
	s_add_u32 s0, s0, .str@rel32@lo+4
	s_addc_u32 s1, s1, .str@rel32@hi+12
	s_cmp_eq_u64 s[0:1], 0
	s_cselect_b64 s[0:1], -1, 0
	s_bitcmp1_b32 s6, 0
	s_cselect_b64 s[6:7], -1, 0
	v_writelane_b32 v134, s6, 11
	v_writelane_b32 v134, s7, 12
	;; [unrolled: 1-line block ×3, first 2 shown]
	s_add_i32 s2, s11, 1
	v_mad_u64_u32 v[12:13], s[6:7], v17, s8, 0
	v_writelane_b32 v134, s2, 14
	s_add_i32 s2, s11, -1
	s_lshl_b64 s[6:7], s[2:3], 2
	s_add_u32 s2, s6, s4
	s_addc_u32 s4, s7, s5
	s_add_u32 s6, s2, 8
	s_addc_u32 s7, s4, 0
	s_add_i32 s2, s12, -1
	s_add_i32 s11, s12, 1
	s_lshl_b64 s[2:3], s[2:3], 2
	s_add_u32 s2, s2, s9
	s_addc_u32 s3, s3, s10
	v_writelane_b32 v134, s6, 15
	s_add_u32 s2, s2, 8
	v_writelane_b32 v134, s7, 16
	s_addc_u32 s3, s3, 0
	v_writelane_b32 v134, s2, 17
	v_writelane_b32 v134, s3, 18
	s_xor_b64 s[64:65], s[0:1], -1
	s_mov_b32 s1, 0xbff71547
	v_writelane_b32 v134, s0, 19
	s_mov_b32 s40, 0xbf559e2b
	s_mov_b32 s42, 0xd7f4df2e
	;; [unrolled: 1-line block ×23, first 2 shown]
	s_movk_i32 s26, 0xf950
	s_mov_b32 s24, 0xc864beb5
	s_mov_b32 s30, 0
	;; [unrolled: 1-line block ×3, first 2 shown]
	v_writelane_b32 v134, s1, 20
	s_mov_b64 s[18:19], 0
	v_mov_b32_e32 v14, 0
	v_mov_b32_e32 v16, v13
	s_mov_b32 s9, 0xd2511f53
	s_mov_b32 s29, 0x40080000
	;; [unrolled: 1-line block ×12, first 2 shown]
	s_movk_i32 s10, 0x204
	s_mov_b32 s59, 0x3ff71547
	s_mov_b32 s61, 0xbfe62e42
	;; [unrolled: 1-line block ×3, first 2 shown]
	v_mov_b32_e32 v18, 0x6b47b09a
	v_mov_b32_e32 v20, 0xd7f4df2e
	;; [unrolled: 1-line block ×27, first 2 shown]
	s_mov_b32 s57, s13
	v_mov_b32_e32 v88, 0x260
	v_mov_b32_e32 v89, 0xffffff80
	;; [unrolled: 1-line block ×33, first 2 shown]
	s_mov_b32 s67, 0x3e5ade15
	s_mov_b32 s69, 0x40900000
	;; [unrolled: 1-line block ×19, first 2 shown]
	v_writelane_b32 v134, s20, 21
                                        ; implicit-def: $sgpr34_sgpr35
                                        ; implicit-def: $sgpr4_sgpr5
	v_writelane_b32 v134, s21, 22
	s_branch .LBB87_5
.LBB87_2:                               ;   in Loop: Header=BB87_5 Depth=1
	s_or_b64 exec, exec, s[0:1]
.LBB87_3:                               ;   in Loop: Header=BB87_5 Depth=1
	s_or_b64 exec, exec, s[6:7]
	v_cvt_f32_u32_e32 v2, v75
	v_readlane_b32 s0, v134, 9
	v_lshlrev_b64 v[0:1], 1, v[70:71]
	v_readlane_b32 s1, v134, 10
	v_mov_b32_e32 v3, s1
	v_cvt_f16_f32_e32 v2, v2
	v_add_co_u32_e32 v0, vcc, s0, v0
	v_readlane_b32 s0, v134, 13
	v_addc_co_u32_e32 v1, vcc, v3, v1, vcc
	v_add_u32_e32 v94, s0, v94
	v_cmp_le_u32_e32 vcc, s33, v94
	s_andn2_b64 s[4:5], s[4:5], exec
	s_orn2_b64 s[0:1], vcc, exec
	global_store_short v[0:1], v2, off
.LBB87_4:                               ;   in Loop: Header=BB87_5 Depth=1
	s_or_b64 exec, exec, s[22:23]
	s_and_b64 s[0:1], exec, s[0:1]
	s_or_b64 s[18:19], s[0:1], s[18:19]
	s_andn2_b64 s[0:1], s[34:35], exec
	s_and_b64 s[6:7], s[4:5], exec
	s_or_b64 s[34:35], s[0:1], s[6:7]
	s_andn2_b64 exec, exec, s[18:19]
	s_cbranch_execz .LBB87_54
.LBB87_5:                               ; =>This Loop Header: Depth=1
                                        ;     Child Loop BB87_8 Depth 2
                                        ;     Child Loop BB87_13 Depth 2
	;; [unrolled: 1-line block ×4, first 2 shown]
	v_sub_u32_e32 v0, s33, v94
	v_cmp_lt_i32_e64 s[0:1], 0, v0
	v_pk_mov_b32 v[70:71], 0, 0
	s_and_saveexec_b64 s[6:7], s[0:1]
	s_cbranch_execz .LBB87_10
; %bb.6:                                ;   in Loop: Header=BB87_5 Depth=1
	v_readlane_b32 s12, v134, 4
	v_readlane_b32 s13, v134, 5
	s_andn2_b64 vcc, exec, s[12:13]
	v_mov_b32_e32 v0, 0
	v_mov_b32_e32 v2, v94
	s_cbranch_vccnz .LBB87_9
; %bb.7:                                ;   in Loop: Header=BB87_5 Depth=1
	v_readlane_b32 s12, v134, 15
	v_mov_b32_e32 v0, 0
	v_readlane_b32 s13, v134, 16
	v_readlane_b32 s14, v134, 14
	v_mov_b32_e32 v2, v94
.LBB87_8:                               ;   Parent Loop BB87_5 Depth=1
                                        ; =>  This Inner Loop Header: Depth=2
	s_load_dword s15, s[12:13], 0x0
	s_load_dword s16, s[12:13], 0x64
	v_mov_b32_e32 v1, v2
	s_add_i32 s14, s14, -1
	s_waitcnt lgkmcnt(0)
	v_cvt_f32_u32_e32 v2, s15
	s_sub_i32 s17, 0, s15
	s_add_u32 s12, s12, -4
	s_addc_u32 s13, s13, -1
	v_rcp_iflag_f32_e32 v2, v2
	s_cmp_gt_u32 s14, 2
	v_mul_f32_e32 v2, 0x4f7ffffe, v2
	v_cvt_u32_f32_e32 v2, v2
	v_mul_lo_u32 v3, s17, v2
	v_mul_hi_u32 v3, v2, v3
	v_add_u32_e32 v2, v2, v3
	v_mul_hi_u32 v2, v1, v2
	v_mul_lo_u32 v3, v2, s15
	v_sub_u32_e32 v3, v1, v3
	v_add_u32_e32 v4, 1, v2
	v_subrev_u32_e32 v5, s15, v3
	v_cmp_le_u32_e32 vcc, s15, v3
	v_cndmask_b32_e32 v2, v2, v4, vcc
	v_cndmask_b32_e32 v3, v3, v5, vcc
	v_add_u32_e32 v4, 1, v2
	v_cmp_le_u32_e32 vcc, s15, v3
	v_cndmask_b32_e32 v2, v2, v4, vcc
	v_mul_lo_u32 v3, v2, s15
	v_sub_u32_e32 v1, v1, v3
	v_mad_u64_u32 v[0:1], s[16:17], s16, v1, v[0:1]
	s_cbranch_scc1 .LBB87_8
.LBB87_9:                               ;   in Loop: Header=BB87_5 Depth=1
	v_mad_u64_u32 v[70:71], s[12:13], s57, v2, v[0:1]
	v_mov_b32_e32 v71, v14
.LBB87_10:                              ;   in Loop: Header=BB87_5 Depth=1
	s_or_b64 exec, exec, s[6:7]
	v_pk_mov_b32 v[0:1], 0, 0
	s_and_saveexec_b64 s[6:7], s[0:1]
	s_cbranch_execz .LBB87_15
; %bb.11:                               ;   in Loop: Header=BB87_5 Depth=1
	v_readlane_b32 s0, v134, 7
	v_readlane_b32 s1, v134, 8
	s_andn2_b64 vcc, exec, s[0:1]
	v_mov_b32_e32 v0, 0
	v_mov_b32_e32 v2, v94
	s_cbranch_vccnz .LBB87_14
; %bb.12:                               ;   in Loop: Header=BB87_5 Depth=1
	v_readlane_b32 s0, v134, 17
	v_mov_b32_e32 v0, 0
	v_readlane_b32 s1, v134, 18
	s_mov_b32 s12, s11
	v_mov_b32_e32 v2, v94
.LBB87_13:                              ;   Parent Loop BB87_5 Depth=1
                                        ; =>  This Inner Loop Header: Depth=2
	s_load_dword s13, s[0:1], 0x0
	s_load_dword s14, s[0:1], 0x64
	v_mov_b32_e32 v1, v2
	s_add_i32 s12, s12, -1
	s_waitcnt lgkmcnt(0)
	v_cvt_f32_u32_e32 v2, s13
	s_sub_i32 s15, 0, s13
	s_add_u32 s0, s0, -4
	s_addc_u32 s1, s1, -1
	v_rcp_iflag_f32_e32 v2, v2
	s_cmp_gt_u32 s12, 2
	v_mul_f32_e32 v2, 0x4f7ffffe, v2
	v_cvt_u32_f32_e32 v2, v2
	v_mul_lo_u32 v3, s15, v2
	v_mul_hi_u32 v3, v2, v3
	v_add_u32_e32 v2, v2, v3
	v_mul_hi_u32 v2, v1, v2
	v_mul_lo_u32 v3, v2, s13
	v_sub_u32_e32 v3, v1, v3
	v_add_u32_e32 v4, 1, v2
	v_subrev_u32_e32 v5, s13, v3
	v_cmp_le_u32_e32 vcc, s13, v3
	v_cndmask_b32_e32 v2, v2, v4, vcc
	v_cndmask_b32_e32 v3, v3, v5, vcc
	v_add_u32_e32 v4, 1, v2
	v_cmp_le_u32_e32 vcc, s13, v3
	v_cndmask_b32_e32 v2, v2, v4, vcc
	v_mul_lo_u32 v3, v2, s13
	v_sub_u32_e32 v1, v1, v3
	v_mad_u64_u32 v[0:1], s[14:15], s14, v1, v[0:1]
	s_cbranch_scc1 .LBB87_13
.LBB87_14:                              ;   in Loop: Header=BB87_5 Depth=1
	v_readlane_b32 s0, v134, 6
	v_mad_u64_u32 v[0:1], s[0:1], s0, v2, v[0:1]
	v_mov_b32_e32 v1, v14
.LBB87_15:                              ;   in Loop: Header=BB87_5 Depth=1
	s_or_b64 exec, exec, s[6:7]
	v_lshlrev_b64 v[0:1], 1, v[0:1]
	v_add_co_u32_e32 v0, vcc, s56, v0
	v_addc_co_u32_e32 v1, vcc, v13, v1, vcc
	global_load_ushort v6, v[0:1], off
	s_mov_b64 s[0:1], -1
	s_or_b64 s[4:5], s[4:5], exec
	s_waitcnt vmcnt(0)
	v_cmp_le_f16_e32 vcc, 0, v6
	s_and_b64 s[6:7], s[64:65], vcc
	s_and_saveexec_b64 s[22:23], s[6:7]
	s_cbranch_execz .LBB87_4
; %bb.16:                               ;   in Loop: Header=BB87_5 Depth=1
	v_readlane_b32 s0, v134, 11
	v_readlane_b32 s12, v134, 0
	;; [unrolled: 1-line block ×6, first 2 shown]
	s_andn2_b64 vcc, exec, s[0:1]
	v_pk_mov_b32 v[0:1], s[14:15], s[14:15] op_sel:[0,1]
	v_pk_mov_b32 v[72:73], s[12:13], s[12:13] op_sel:[0,1]
	s_cbranch_vccnz .LBB87_18
; %bb.17:                               ;   in Loop: Header=BB87_5 Depth=1
	v_readlane_b32 s12, v134, 0
	v_readlane_b32 s14, v134, 2
	v_readlane_b32 s15, v134, 3
	v_pk_mov_b32 v[0:1], s[14:15], s[14:15] op_sel:[0,1]
	v_readlane_b32 s13, v134, 1
	flat_load_dwordx2 v[0:1], v[0:1]
	v_pk_mov_b32 v[2:3], s[12:13], s[12:13] op_sel:[0,1]
	flat_load_dwordx2 v[72:73], v[2:3]
	v_mov_b32_e32 v2, s21
	s_waitcnt vmcnt(0) lgkmcnt(0)
	v_add_co_u32_e32 v0, vcc, s20, v0
	v_addc_co_u32_e32 v1, vcc, v1, v2, vcc
.LBB87_18:                              ;   in Loop: Header=BB87_5 Depth=1
	v_alignbit_b32 v96, v1, v0, 2
	v_and_b32_e32 v15, 3, v0
	v_lshrrev_b32_e32 v97, 2, v1
	v_mad_u64_u32 v[0:1], s[0:1], v96, s9, 0
	v_xor_b32_e32 v3, v16, v72
	v_mov_b32_e32 v2, v73
	v_xor_b32_e32 v1, v1, v73
	s_mov_b32 s0, 0xbb67ae85
	v_xor_b32_e32 v3, v3, v97
	v_add_co_u32_e32 v99, vcc, s0, v2
	v_mad_u64_u32 v[4:5], s[0:1], v3, s9, 0
	v_mad_u64_u32 v[8:9], s[0:1], v1, s8, 0
	v_add_co_u32_e32 v98, vcc, 0x9e3779b9, v72
	v_xor_b32_e32 v1, v12, v9
	v_xor_b32_e32 v3, v99, v5
	s_mov_b32 s0, 0x3c6ef372
	v_xor_b32_e32 v1, v1, v98
	v_xor_b32_e32 v3, v3, v0
	v_add_co_u32_e32 v100, vcc, s0, v72
	s_mov_b32 s0, 0x76cf5d0a
	v_add_co_u32_e32 v101, vcc, s0, v2
	v_mad_u64_u32 v[0:1], s[0:1], v1, s9, 0
	v_mad_u64_u32 v[10:11], s[0:1], v3, s8, 0
	v_xor_b32_e32 v3, v100, v11
	v_xor_b32_e32 v1, v101, v1
	s_mov_b32 s0, 0xdaa66d2b
	v_xor_b32_e32 v3, v3, v8
	v_xor_b32_e32 v1, v1, v4
	v_add_co_u32_e32 v103, vcc, s0, v72
	s_mov_b32 s0, 0x32370b8f
	v_add_co_u32_e32 v104, vcc, s0, v2
	v_mad_u64_u32 v[4:5], s[0:1], v3, s9, 0
	v_mad_u64_u32 v[8:9], s[0:1], v1, s8, 0
	;; [unrolled: 10-line block ×7, first 2 shown]
	v_xor_b32_e32 v1, v102, v1
	v_xor_b32_e32 v1, v1, v8
	;; [unrolled: 1-line block ×4, first 2 shown]
	v_mad_u64_u32 v[4:5], s[0:1], v1, s9, 0
	v_mov_b32_e32 v3, v4
	v_cvt_f32_f16_e32 v4, v6
	v_mad_u64_u32 v[8:9], s[0:1], v7, s8, 0
	v_add_u32_e32 v105, 0x8ff34781, v72
	v_add_u32_e32 v95, 0x96a522ad, v73
	v_xor_b32_e32 v0, v9, v0
	v_xor_b32_e32 v2, v5, v2
	s_movk_i32 s0, 0x5400
	v_mov_b32_e32 v1, v8
	v_xor_b32_e32 v0, v105, v0
	v_xor_b32_e32 v2, v95, v2
	v_cvt_f64_f32_e32 v[4:5], v4
	v_cmp_ngt_f16_e32 vcc, s0, v6
                                        ; implicit-def: $vgpr75
	s_and_saveexec_b64 s[0:1], vcc
	s_xor_b64 s[16:17], exec, s[0:1]
	s_cbranch_execz .LBB87_47
; %bb.19:                               ;   in Loop: Header=BB87_5 Depth=1
	s_movk_i32 s0, 0x6bd0
	v_cmp_ge_f16_e32 vcc, s0, v6
                                        ; implicit-def: $vgpr75
	s_and_saveexec_b64 s[0:1], vcc
	s_xor_b64 s[6:7], exec, s[0:1]
	s_cbranch_execz .LBB87_34
; %bb.20:                               ;   in Loop: Header=BB87_5 Depth=1
	s_mov_b32 s12, 0xae147ae1
	s_mov_b32 s13, 0xc00ae147
	v_div_scale_f64 v[6:7], s[0:1], v[4:5], v[4:5], s[12:13]
	v_rcp_f64_e32 v[8:9], v[6:7]
	s_mov_b32 s0, 0
	v_mul_f64 v[76:77], v[4:5], s[28:29]
	s_brev_b32 s1, 8
	v_cmp_gt_f64_e64 s[0:1], s[0:1], v[76:77]
	v_cndmask_b32_e64 v78, 0, 1, s[0:1]
	v_fma_f64 v[74:75], -v[6:7], v[8:9], 1.0
	v_lshlrev_b32_e32 v78, 8, v78
	v_fmac_f64_e32 v[8:9], v[8:9], v[74:75]
	v_ldexp_f64 v[76:77], v[76:77], v78
	v_fma_f64 v[74:75], -v[6:7], v[8:9], 1.0
	v_rsq_f64_e32 v[78:79], v[76:77]
	v_div_scale_f64 v[10:11], vcc, s[12:13], v[4:5], s[12:13]
	v_fmac_f64_e32 v[8:9], v[8:9], v[74:75]
	v_mul_f64 v[74:75], v[10:11], v[8:9]
	v_fma_f64 v[6:7], -v[6:7], v[74:75], v[10:11]
	s_nop 0
	v_div_fmas_f64 v[6:7], v[6:7], v[8:9], v[74:75]
	v_mul_f64 v[8:9], v[76:77], v[78:79]
	v_mul_f64 v[10:11], v[78:79], 0.5
	v_fma_f64 v[74:75], -v[10:11], v[8:9], 0.5
	v_fmac_f64_e32 v[8:9], v[8:9], v[74:75]
	v_fma_f64 v[78:79], -v[8:9], v[8:9], v[76:77]
	v_fmac_f64_e32 v[10:11], v[10:11], v[74:75]
	v_fmac_f64_e32 v[8:9], v[78:79], v[10:11]
	v_fma_f64 v[74:75], -v[8:9], v[8:9], v[76:77]
	v_fmac_f64_e32 v[8:9], v[74:75], v[10:11]
	v_cndmask_b32_e64 v10, 0, v89, s[0:1]
	v_ldexp_f64 v[8:9], v[8:9], v10
	v_cmp_class_f64_e32 vcc, v[76:77], v88
	s_mov_b32 s14, 0x54442d18
	v_cndmask_b32_e32 v9, v9, v77, vcc
	v_cndmask_b32_e32 v8, v8, v76, vcc
	s_mov_b32 s15, 0x400921fb
	v_div_scale_f64 v[10:11], s[0:1], v[8:9], v[8:9], s[14:15]
	v_rcp_f64_e32 v[76:77], v[10:11]
	s_mov_b32 s0, 0x95810625
	v_div_fixup_f64 v[6:7], v[6:7], v[4:5], s[12:13]
	s_mov_b32 s1, 0x3fe88b43
	v_fma_f64 v[78:79], -v[10:11], v[76:77], 1.0
	v_fmac_f64_e32 v[76:77], v[76:77], v[78:79]
	v_fma_f64 v[78:79], -v[10:11], v[76:77], 1.0
	v_fmac_f64_e32 v[76:77], v[76:77], v[78:79]
	v_div_scale_f64 v[78:79], vcc, s[14:15], v[8:9], s[14:15]
	v_mul_f64 v[80:81], v[78:79], v[76:77]
	v_fma_f64 v[10:11], -v[10:11], v[80:81], v[78:79]
	v_add_f64 v[6:7], v[6:7], s[0:1]
	s_nop 0
	v_div_fmas_f64 v[10:11], v[10:11], v[76:77], v[80:81]
	v_div_fixup_f64 v[76:77], v[10:11], v[8:9], s[14:15]
	v_frexp_mant_f64_e32 v[8:9], v[6:7]
	v_cmp_gt_f64_e32 vcc, s[36:37], v[8:9]
	v_mov_b32_e32 v74, 0
	v_cndmask_b32_e64 v75, v90, 2.0, vcc
	v_frexp_exp_i32_f64_e32 v10, v[6:7]
	v_mul_f64 v[8:9], v[8:9], v[74:75]
	v_subbrev_co_u32_e32 v75, vcc, 0, v10, vcc
	v_add_f64 v[10:11], v[8:9], 1.0
	v_rcp_f64_e32 v[80:81], v[10:11]
	v_add_f64 v[84:85], v[10:11], -1.0
	v_add_f64 v[82:83], v[8:9], -1.0
	v_add_f64 v[8:9], v[8:9], -v[84:85]
	v_fma_f64 v[84:85], -v[10:11], v[80:81], 1.0
	v_fmac_f64_e32 v[80:81], v[84:85], v[80:81]
	v_fma_f64 v[84:85], -v[10:11], v[80:81], 1.0
	v_fmac_f64_e32 v[80:81], v[84:85], v[80:81]
	v_mul_f64 v[84:85], v[82:83], v[80:81]
	v_mul_f64 v[86:87], v[10:11], v[84:85]
	v_fma_f64 v[10:11], v[84:85], v[10:11], -v[86:87]
	v_fmac_f64_e32 v[10:11], v[84:85], v[8:9]
	v_add_f64 v[8:9], v[86:87], v[10:11]
	v_add_f64 v[116:117], v[82:83], -v[8:9]
	v_add_f64 v[86:87], v[8:9], -v[86:87]
	;; [unrolled: 1-line block ×5, first 2 shown]
	v_add_f64 v[8:9], v[10:11], v[8:9]
	v_add_f64 v[8:9], v[116:117], v[8:9]
	v_mul_f64 v[8:9], v[80:81], v[8:9]
	v_add_f64 v[10:11], v[84:85], v[8:9]
	v_add_f64 v[80:81], v[10:11], -v[84:85]
	v_add_f64 v[8:9], v[8:9], -v[80:81]
	v_mul_f64 v[80:81], v[10:11], v[10:11]
	v_pk_mov_b32 v[82:83], s[38:39], s[38:39] op_sel:[0,1]
	v_fma_f64 v[84:85], s[40:41], v[80:81], v[82:83]
	v_fma_f64 v[84:85], v[80:81], v[84:85], s[42:43]
	;; [unrolled: 1-line block ×5, first 2 shown]
	s_mov_b32 s51, s37
	v_fma_f64 v[84:85], v[80:81], v[84:85], s[50:51]
	v_ldexp_f64 v[86:87], v[10:11], 1
	v_mul_f64 v[10:11], v[10:11], v[80:81]
	v_mul_f64 v[10:11], v[10:11], v[84:85]
	v_add_f64 v[80:81], v[86:87], v[10:11]
	v_add_f64 v[84:85], v[80:81], -v[86:87]
	v_ldexp_f64 v[8:9], v[8:9], 1
	v_add_f64 v[10:11], v[10:11], -v[84:85]
	v_add_f64 v[8:9], v[8:9], v[10:11]
	v_add_f64 v[10:11], v[80:81], v[8:9]
	v_add_f64 v[80:81], v[10:11], -v[80:81]
	v_add_f64 v[8:9], v[8:9], -v[80:81]
	v_cvt_f64_i32_e32 v[80:81], v75
	v_mul_f64 v[84:85], v[80:81], s[52:53]
	v_fma_f64 v[86:87], v[80:81], s[52:53], -v[84:85]
	v_fmac_f64_e32 v[86:87], s[54:55], v[80:81]
	v_add_f64 v[80:81], v[84:85], v[86:87]
	v_add_f64 v[84:85], v[80:81], -v[84:85]
	v_add_f64 v[84:85], v[86:87], -v[84:85]
	v_add_f64 v[86:87], v[80:81], v[10:11]
	v_add_f64 v[116:117], v[86:87], -v[80:81]
	v_add_f64 v[118:119], v[86:87], -v[116:117]
	;; [unrolled: 1-line block ×4, first 2 shown]
	v_add_f64 v[10:11], v[10:11], v[80:81]
	v_add_f64 v[80:81], v[84:85], v[8:9]
	v_add_f64 v[116:117], v[80:81], -v[84:85]
	v_add_f64 v[118:119], v[80:81], -v[116:117]
	v_add_f64 v[10:11], v[80:81], v[10:11]
	v_add_f64 v[84:85], v[84:85], -v[118:119]
	v_add_f64 v[8:9], v[8:9], -v[116:117]
	v_add_f64 v[80:81], v[86:87], v[10:11]
	v_add_f64 v[8:9], v[8:9], v[84:85]
	v_add_f64 v[84:85], v[80:81], -v[86:87]
	v_add_f64 v[10:11], v[10:11], -v[84:85]
	v_add_f64 v[8:9], v[8:9], v[10:11]
	v_add_f64 v[8:9], v[80:81], v[8:9]
	v_cmp_class_f64_e64 vcc, v[6:7], s10
	v_cndmask_b32_e32 v8, v8, v6, vcc
	v_cndmask_b32_e32 v9, v9, v7, vcc
	v_cmp_ngt_f64_e32 vcc, 0, v[6:7]
	v_cndmask_b32_e32 v9, v91, v9, vcc
	v_cmp_nge_f64_e32 vcc, 0, v[6:7]
	v_cndmask_b32_e32 v8, 0, v8, vcc
	v_cmp_neq_f64_e32 vcc, 0, v[6:7]
	v_cndmask_b32_e32 v9, v92, v9, vcc
	v_add_f64 v[6:7], v[8:9], -v[4:5]
	v_frexp_mant_f64_e32 v[8:9], v[76:77]
	v_cmp_gt_f64_e32 vcc, s[36:37], v[8:9]
	v_cndmask_b32_e64 v75, v90, 2.0, vcc
	v_frexp_exp_i32_f64_e32 v10, v[76:77]
	v_mul_f64 v[8:9], v[8:9], v[74:75]
	v_subbrev_co_u32_e32 v75, vcc, 0, v10, vcc
	v_add_f64 v[10:11], v[8:9], 1.0
	v_rcp_f64_e32 v[80:81], v[10:11]
	v_add_f64 v[86:87], v[10:11], -1.0
	v_add_f64 v[84:85], v[8:9], -1.0
	v_add_f64 v[8:9], v[8:9], -v[86:87]
	v_fma_f64 v[86:87], -v[10:11], v[80:81], 1.0
	v_fmac_f64_e32 v[80:81], v[86:87], v[80:81]
	v_fma_f64 v[86:87], -v[10:11], v[80:81], 1.0
	v_fmac_f64_e32 v[80:81], v[86:87], v[80:81]
	v_mul_f64 v[86:87], v[84:85], v[80:81]
	v_mul_f64 v[116:117], v[10:11], v[86:87]
	v_fma_f64 v[10:11], v[86:87], v[10:11], -v[116:117]
	v_fmac_f64_e32 v[10:11], v[86:87], v[8:9]
	v_add_f64 v[8:9], v[116:117], v[10:11]
	v_add_f64 v[118:119], v[84:85], -v[8:9]
	v_add_f64 v[116:117], v[8:9], -v[116:117]
	;; [unrolled: 1-line block ×5, first 2 shown]
	v_add_f64 v[8:9], v[10:11], v[8:9]
	v_add_f64 v[8:9], v[118:119], v[8:9]
	v_mul_f64 v[8:9], v[80:81], v[8:9]
	v_add_f64 v[10:11], v[86:87], v[8:9]
	v_add_f64 v[80:81], v[10:11], -v[86:87]
	v_add_f64 v[8:9], v[8:9], -v[80:81]
	v_mul_f64 v[80:81], v[10:11], v[10:11]
	v_fma_f64 v[84:85], s[40:41], v[80:81], v[82:83]
	v_fma_f64 v[84:85], v[80:81], v[84:85], s[42:43]
	;; [unrolled: 1-line block ×6, first 2 shown]
	v_ldexp_f64 v[86:87], v[10:11], 1
	v_mul_f64 v[10:11], v[10:11], v[80:81]
	v_mul_f64 v[10:11], v[10:11], v[84:85]
	v_add_f64 v[80:81], v[86:87], v[10:11]
	v_add_f64 v[84:85], v[80:81], -v[86:87]
	v_ldexp_f64 v[8:9], v[8:9], 1
	v_add_f64 v[10:11], v[10:11], -v[84:85]
	v_add_f64 v[8:9], v[8:9], v[10:11]
	v_add_f64 v[10:11], v[80:81], v[8:9]
	v_add_f64 v[80:81], v[10:11], -v[80:81]
	v_add_f64 v[8:9], v[8:9], -v[80:81]
	v_cvt_f64_i32_e32 v[80:81], v75
	v_mul_f64 v[84:85], v[80:81], s[52:53]
	v_fma_f64 v[86:87], v[80:81], s[52:53], -v[84:85]
	v_fmac_f64_e32 v[86:87], s[54:55], v[80:81]
	v_add_f64 v[80:81], v[84:85], v[86:87]
	v_add_f64 v[84:85], v[80:81], -v[84:85]
	v_add_f64 v[84:85], v[86:87], -v[84:85]
	v_add_f64 v[86:87], v[80:81], v[10:11]
	v_add_f64 v[116:117], v[86:87], -v[80:81]
	v_add_f64 v[118:119], v[86:87], -v[116:117]
	;; [unrolled: 1-line block ×4, first 2 shown]
	v_add_f64 v[10:11], v[10:11], v[80:81]
	v_add_f64 v[80:81], v[84:85], v[8:9]
	v_add_f64 v[116:117], v[80:81], -v[84:85]
	v_add_f64 v[118:119], v[80:81], -v[116:117]
	v_add_f64 v[10:11], v[80:81], v[10:11]
	v_add_f64 v[84:85], v[84:85], -v[118:119]
	v_add_f64 v[8:9], v[8:9], -v[116:117]
	v_add_f64 v[80:81], v[86:87], v[10:11]
	v_add_f64 v[8:9], v[8:9], v[84:85]
	v_add_f64 v[84:85], v[80:81], -v[86:87]
	v_add_f64 v[10:11], v[10:11], -v[84:85]
	s_mov_b32 s0, 0
	v_add_f64 v[8:9], v[8:9], v[10:11]
	s_mov_b32 s1, 0x7ff00000
	v_add_f64 v[8:9], v[80:81], v[8:9]
	v_cmp_eq_f64_e32 vcc, s[0:1], v[76:77]
	v_cndmask_b32_e32 v8, v8, v76, vcc
	v_cndmask_b32_e32 v9, v9, v77, vcc
	v_cmp_neq_f64_e32 vcc, 0, v[76:77]
	v_cndmask_b32_e32 v9, v92, v9, vcc
	v_cndmask_b32_e32 v8, 0, v8, vcc
	v_mul_f64 v[78:79], v[76:77], v[4:5]
	v_add_f64 v[80:81], v[6:7], -v[8:9]
	v_frexp_exp_i32_f64_e32 v6, v[4:5]
	v_frexp_mant_f64_e32 v[4:5], v[4:5]
	v_cmp_gt_f64_e32 vcc, s[36:37], v[4:5]
	v_cndmask_b32_e64 v75, v90, 2.0, vcc
	v_mul_f64 v[4:5], v[4:5], v[74:75]
	v_subbrev_co_u32_e32 v75, vcc, 0, v6, vcc
	v_add_f64 v[6:7], v[4:5], 1.0
	v_rcp_f64_e32 v[8:9], v[6:7]
	v_add_f64 v[84:85], v[6:7], -1.0
	v_add_f64 v[10:11], v[4:5], -1.0
	v_add_f64 v[4:5], v[4:5], -v[84:85]
	v_fma_f64 v[84:85], -v[6:7], v[8:9], 1.0
	v_fmac_f64_e32 v[8:9], v[84:85], v[8:9]
	v_fma_f64 v[84:85], -v[6:7], v[8:9], 1.0
	v_fmac_f64_e32 v[8:9], v[84:85], v[8:9]
	v_mul_f64 v[84:85], v[10:11], v[8:9]
	v_mul_f64 v[86:87], v[6:7], v[84:85]
	v_fma_f64 v[6:7], v[84:85], v[6:7], -v[86:87]
	v_fmac_f64_e32 v[6:7], v[84:85], v[4:5]
	v_add_f64 v[4:5], v[86:87], v[6:7]
	v_add_f64 v[116:117], v[10:11], -v[4:5]
	v_add_f64 v[86:87], v[4:5], -v[86:87]
	;; [unrolled: 1-line block ×5, first 2 shown]
	v_add_f64 v[4:5], v[6:7], v[4:5]
	v_add_f64 v[4:5], v[116:117], v[4:5]
	v_mul_f64 v[4:5], v[8:9], v[4:5]
	v_add_f64 v[6:7], v[84:85], v[4:5]
	v_add_f64 v[8:9], v[6:7], -v[84:85]
	v_add_f64 v[4:5], v[4:5], -v[8:9]
	v_mul_f64 v[8:9], v[6:7], v[6:7]
	v_fmac_f64_e32 v[82:83], s[40:41], v[8:9]
	v_fma_f64 v[10:11], v[8:9], v[82:83], s[42:43]
	v_fma_f64 v[10:11], v[8:9], v[10:11], s[44:45]
	;; [unrolled: 1-line block ×5, first 2 shown]
	v_ldexp_f64 v[82:83], v[6:7], 1
	v_mul_f64 v[6:7], v[6:7], v[8:9]
	v_mul_f64 v[6:7], v[6:7], v[10:11]
	v_add_f64 v[8:9], v[82:83], v[6:7]
	v_add_f64 v[10:11], v[8:9], -v[82:83]
	v_ldexp_f64 v[4:5], v[4:5], 1
	v_add_f64 v[6:7], v[6:7], -v[10:11]
	v_add_f64 v[4:5], v[4:5], v[6:7]
	v_add_f64 v[6:7], v[8:9], v[4:5]
	v_add_f64 v[8:9], v[6:7], -v[8:9]
	v_add_f64 v[4:5], v[4:5], -v[8:9]
	v_cvt_f64_i32_e32 v[8:9], v75
	v_mul_f64 v[10:11], v[8:9], s[52:53]
	v_fma_f64 v[82:83], v[8:9], s[52:53], -v[10:11]
	v_fmac_f64_e32 v[82:83], s[54:55], v[8:9]
	v_add_f64 v[8:9], v[10:11], v[82:83]
	v_add_f64 v[10:11], v[8:9], -v[10:11]
	v_add_f64 v[10:11], v[82:83], -v[10:11]
	v_add_f64 v[82:83], v[8:9], v[6:7]
	v_add_f64 v[84:85], v[82:83], -v[8:9]
	v_add_f64 v[86:87], v[82:83], -v[84:85]
	;; [unrolled: 1-line block ×4, first 2 shown]
	v_add_f64 v[6:7], v[6:7], v[8:9]
	v_add_f64 v[8:9], v[10:11], v[4:5]
	v_add_f64 v[84:85], v[8:9], -v[10:11]
	v_add_f64 v[86:87], v[8:9], -v[84:85]
	v_add_f64 v[6:7], v[8:9], v[6:7]
	v_add_f64 v[10:11], v[10:11], -v[86:87]
	v_add_f64 v[4:5], v[4:5], -v[84:85]
	v_add_f64 v[8:9], v[82:83], v[6:7]
	v_add_f64 v[4:5], v[4:5], v[10:11]
	v_add_f64 v[10:11], v[8:9], -v[82:83]
	v_add_f64 v[6:7], v[6:7], -v[10:11]
	v_add_f64 v[4:5], v[4:5], v[6:7]
	v_add_f64 v[82:83], v[8:9], v[4:5]
	s_mov_b64 s[12:13], 0
	s_mov_b64 s[14:15], 0
	v_mov_b32_e32 v115, v17
                                        ; implicit-def: $vgpr75
.LBB87_21:                              ;   Parent Loop BB87_5 Depth=1
                                        ; =>  This Inner Loop Header: Depth=2
	v_add_u32_e32 v116, 1, v15
	v_pk_mov_b32 v[10:11], v[2:3], v[2:3] op_sel:[0,1]
	v_cmp_eq_u32_e32 vcc, 4, v116
	v_pk_mov_b32 v[8:9], v[0:1], v[0:1] op_sel:[0,1]
	v_mov_b32_e32 v87, v0
	v_mov_b32_e32 v86, v1
	;; [unrolled: 1-line block ×4, first 2 shown]
	s_and_saveexec_b64 s[0:1], vcc
	s_cbranch_execz .LBB87_23
; %bb.22:                               ;   in Loop: Header=BB87_21 Depth=2
	v_add_co_u32_e32 v96, vcc, 1, v96
	v_cndmask_b32_e64 v4, 0, 1, vcc
	v_addc_co_u32_e32 v97, vcc, 0, v97, vcc
	v_cmp_eq_u32_e32 vcc, 0, v97
	v_cndmask_b32_e32 v4, 0, v4, vcc
	v_add_u32_e32 v115, v4, v115
	v_cmp_eq_u32_e32 vcc, 0, v115
	v_cndmask_b32_e32 v4, 0, v4, vcc
	v_add_u32_e32 v74, v4, v74
	v_mad_u64_u32 v[4:5], s[20:21], v96, s9, 0
	v_mad_u64_u32 v[6:7], s[20:21], v115, s8, 0
	v_xor_b32_e32 v5, v5, v73
	v_xor_b32_e32 v7, v7, v72
	v_xor_b32_e32 v5, v74, v5
	v_xor_b32_e32 v7, v97, v7
	v_mad_u64_u32 v[10:11], s[20:21], v5, s8, 0
	v_mad_u64_u32 v[8:9], s[20:21], v7, s9, 0
	v_xor_b32_e32 v5, v98, v11
	v_xor_b32_e32 v5, v5, v6
	v_xor_b32_e32 v6, v99, v9
	v_xor_b32_e32 v6, v6, v4
	;; [unrolled: 6-line block ×10, first 2 shown]
	v_mov_b32_e32 v116, 0
	v_mov_b32_e32 v9, v86
	v_mov_b32_e32 v11, v84
	v_mov_b32_e32 v87, v8
	v_mov_b32_e32 v85, v10
.LBB87_23:                              ;   in Loop: Header=BB87_21 Depth=2
	s_or_b64 exec, exec, s[0:1]
	v_add_u32_e32 v117, 1, v116
	v_pk_mov_b32 v[4:5], v[8:9], v[8:9] op_sel:[0,1]
	v_cmp_eq_u32_e32 vcc, 4, v117
	v_pk_mov_b32 v[6:7], v[10:11], v[10:11] op_sel:[0,1]
	s_and_saveexec_b64 s[0:1], vcc
	s_cbranch_execz .LBB87_25
; %bb.24:                               ;   in Loop: Header=BB87_21 Depth=2
	v_add_co_u32_e32 v96, vcc, 1, v96
	v_cndmask_b32_e64 v4, 0, 1, vcc
	v_addc_co_u32_e32 v97, vcc, 0, v97, vcc
	v_cmp_eq_u32_e32 vcc, 0, v97
	v_cndmask_b32_e32 v4, 0, v4, vcc
	v_add_u32_e32 v115, v4, v115
	v_cmp_eq_u32_e32 vcc, 0, v115
	v_cndmask_b32_e32 v4, 0, v4, vcc
	v_add_u32_e32 v74, v4, v74
	v_mad_u64_u32 v[4:5], s[20:21], v96, s9, 0
	v_mad_u64_u32 v[6:7], s[20:21], v115, s8, 0
	v_xor_b32_e32 v5, v5, v73
	v_xor_b32_e32 v7, v7, v72
	v_xor_b32_e32 v5, v74, v5
	v_xor_b32_e32 v7, v97, v7
	v_mad_u64_u32 v[86:87], s[20:21], v5, s8, 0
	v_mad_u64_u32 v[84:85], s[20:21], v7, s9, 0
	v_xor_b32_e32 v5, v98, v87
	v_xor_b32_e32 v5, v5, v6
	v_xor_b32_e32 v6, v99, v85
	v_xor_b32_e32 v6, v6, v4
	;; [unrolled: 6-line block ×10, first 2 shown]
	v_mov_b32_e32 v117, 0
	v_mov_b32_e32 v5, v86
	;; [unrolled: 1-line block ×5, first 2 shown]
.LBB87_25:                              ;   in Loop: Header=BB87_21 Depth=2
	s_or_b64 exec, exec, s[0:1]
	v_cmp_eq_u32_e32 vcc, 1, v15
	v_cndmask_b32_e32 v0, v0, v1, vcc
	v_cmp_eq_u32_e32 vcc, 2, v15
	v_cndmask_b32_e32 v0, v0, v2, vcc
	;; [unrolled: 2-line block ×6, first 2 shown]
	v_lshrrev_b32_e32 v0, 11, v0
	v_cvt_f64_u32_e32 v[0:1], v0
	v_ldexp_f64 v[0:1], v[0:1], 32
	v_cvt_f64_u32_e32 v[2:3], v2
	v_add_f64 v[0:1], v[0:1], v[2:3]
	v_mov_b32_e32 v2, 0
	v_mov_b32_e32 v3, 0x3ca00000
	v_fmac_f64_e32 v[2:3], 0x3ca00000, v[0:1]
	v_add_f64 v[0:1], -v[2:3], 1.0
	v_div_scale_f64 v[8:9], s[0:1], v[2:3], v[2:3], v[0:1]
	v_rcp_f64_e32 v[10:11], v[8:9]
	v_fma_f64 v[118:119], -v[8:9], v[10:11], 1.0
	v_fmac_f64_e32 v[10:11], v[10:11], v[118:119]
	v_fma_f64 v[118:119], -v[8:9], v[10:11], 1.0
	v_fmac_f64_e32 v[10:11], v[10:11], v[118:119]
	v_div_scale_f64 v[118:119], vcc, v[0:1], v[2:3], v[0:1]
	v_mul_f64 v[120:121], v[118:119], v[10:11]
	v_fma_f64 v[8:9], -v[8:9], v[120:121], v[118:119]
	s_nop 1
	v_div_fmas_f64 v[8:9], v[8:9], v[10:11], v[120:121]
	v_div_fixup_f64 v[0:1], v[8:9], v[2:3], v[0:1]
	v_frexp_mant_f64_e32 v[2:3], v[0:1]
	v_cmp_gt_f64_e32 vcc, s[36:37], v[2:3]
	v_cndmask_b32_e64 v15, v90, 2.0, vcc
	v_frexp_exp_i32_f64_e32 v8, v[0:1]
	v_mul_f64 v[2:3], v[2:3], v[14:15]
	v_subbrev_co_u32_e32 v15, vcc, 0, v8, vcc
	v_add_f64 v[8:9], v[2:3], 1.0
	v_rcp_f64_e32 v[10:11], v[8:9]
	v_add_f64 v[120:121], v[8:9], -1.0
	v_add_f64 v[118:119], v[2:3], -1.0
	v_add_f64 v[2:3], v[2:3], -v[120:121]
	v_fma_f64 v[120:121], -v[8:9], v[10:11], 1.0
	v_fmac_f64_e32 v[10:11], v[120:121], v[10:11]
	v_fma_f64 v[120:121], -v[8:9], v[10:11], 1.0
	v_fmac_f64_e32 v[10:11], v[120:121], v[10:11]
	v_mul_f64 v[120:121], v[118:119], v[10:11]
	v_mul_f64 v[122:123], v[8:9], v[120:121]
	v_fma_f64 v[8:9], v[120:121], v[8:9], -v[122:123]
	v_fmac_f64_e32 v[8:9], v[120:121], v[2:3]
	v_add_f64 v[2:3], v[122:123], v[8:9]
	v_add_f64 v[124:125], v[118:119], -v[2:3]
	v_add_f64 v[122:123], v[2:3], -v[122:123]
	;; [unrolled: 1-line block ×5, first 2 shown]
	v_add_f64 v[2:3], v[8:9], v[2:3]
	v_add_f64 v[2:3], v[124:125], v[2:3]
	v_mul_f64 v[2:3], v[10:11], v[2:3]
	v_add_f64 v[8:9], v[120:121], v[2:3]
	v_add_f64 v[10:11], v[8:9], -v[120:121]
	v_add_f64 v[2:3], v[2:3], -v[10:11]
	v_mul_f64 v[10:11], v[8:9], v[8:9]
	v_pk_mov_b32 v[118:119], v[18:19], v[18:19] op_sel:[0,1]
	v_fmac_f64_e32 v[118:119], s[40:41], v[10:11]
	v_pk_mov_b32 v[120:121], v[20:21], v[20:21] op_sel:[0,1]
	v_fmac_f64_e32 v[120:121], v[10:11], v[118:119]
	;; [unrolled: 2-line block ×6, first 2 shown]
	v_ldexp_f64 v[118:119], v[8:9], 1
	v_mul_f64 v[8:9], v[8:9], v[10:11]
	v_mul_f64 v[8:9], v[8:9], v[120:121]
	v_add_f64 v[10:11], v[118:119], v[8:9]
	v_add_f64 v[118:119], v[10:11], -v[118:119]
	v_ldexp_f64 v[2:3], v[2:3], 1
	v_add_f64 v[8:9], v[8:9], -v[118:119]
	v_add_f64 v[2:3], v[2:3], v[8:9]
	v_add_f64 v[8:9], v[10:11], v[2:3]
	v_add_f64 v[10:11], v[8:9], -v[10:11]
	v_add_f64 v[2:3], v[2:3], -v[10:11]
	v_cvt_f64_i32_e32 v[10:11], v15
	v_mul_f64 v[118:119], v[10:11], s[52:53]
	v_fma_f64 v[120:121], v[10:11], s[52:53], -v[118:119]
	v_fmac_f64_e32 v[120:121], s[54:55], v[10:11]
	v_add_f64 v[10:11], v[118:119], v[120:121]
	v_add_f64 v[118:119], v[10:11], -v[118:119]
	v_add_f64 v[118:119], v[120:121], -v[118:119]
	v_add_f64 v[120:121], v[10:11], v[8:9]
	v_add_f64 v[122:123], v[120:121], -v[10:11]
	v_add_f64 v[124:125], v[120:121], -v[122:123]
	;; [unrolled: 1-line block ×4, first 2 shown]
	v_add_f64 v[8:9], v[8:9], v[10:11]
	v_add_f64 v[10:11], v[118:119], v[2:3]
	v_add_f64 v[122:123], v[10:11], -v[118:119]
	v_add_f64 v[124:125], v[10:11], -v[122:123]
	v_add_f64 v[8:9], v[10:11], v[8:9]
	v_add_f64 v[118:119], v[118:119], -v[124:125]
	v_add_f64 v[2:3], v[2:3], -v[122:123]
	v_add_f64 v[10:11], v[120:121], v[8:9]
	v_add_f64 v[2:3], v[2:3], v[118:119]
	v_add_f64 v[118:119], v[10:11], -v[120:121]
	v_add_f64 v[8:9], v[8:9], -v[118:119]
	v_add_f64 v[2:3], v[2:3], v[8:9]
	v_add_f64 v[2:3], v[10:11], v[2:3]
	v_cmp_class_f64_e64 vcc, v[0:1], s10
	v_cndmask_b32_e32 v2, v2, v0, vcc
	v_cndmask_b32_e32 v3, v3, v1, vcc
	v_cmp_ngt_f64_e32 vcc, 0, v[0:1]
	v_cndmask_b32_e32 v3, v91, v3, vcc
	v_cmp_nge_f64_e32 vcc, 0, v[0:1]
	v_cndmask_b32_e32 v2, 0, v2, vcc
	v_cmp_neq_f64_e32 vcc, 0, v[0:1]
	v_cndmask_b32_e32 v3, v92, v3, vcc
	v_add_f64 v[0:1], v[78:79], -v[2:3]
	v_div_scale_f64 v[2:3], s[0:1], v[76:77], v[76:77], v[0:1]
	v_rcp_f64_e32 v[8:9], v[2:3]
	v_fma_f64 v[10:11], -v[2:3], v[8:9], 1.0
	v_fmac_f64_e32 v[8:9], v[8:9], v[10:11]
	v_fma_f64 v[10:11], -v[2:3], v[8:9], 1.0
	v_fmac_f64_e32 v[8:9], v[8:9], v[10:11]
	v_div_scale_f64 v[10:11], vcc, v[0:1], v[76:77], v[0:1]
	v_mul_f64 v[118:119], v[10:11], v[8:9]
	v_fma_f64 v[2:3], -v[2:3], v[118:119], v[10:11]
	s_nop 1
	v_div_fmas_f64 v[2:3], v[2:3], v[8:9], v[118:119]
	v_div_fixup_f64 v[10:11], v[2:3], v[76:77], v[0:1]
	v_add_f64 v[0:1], v[10:11], 0.5
	v_floor_f64_e32 v[8:9], v[0:1]
	v_cmp_ngt_f64_e32 vcc, 0, v[8:9]
	v_mov_b32_e32 v118, 2
	s_and_saveexec_b64 s[20:21], vcc
	s_cbranch_execz .LBB87_31
; %bb.26:                               ;   in Loop: Header=BB87_21 Depth=2
	v_add_u32_e32 v15, 1, v117
	v_pk_mov_b32 v[0:1], v[4:5], v[4:5] op_sel:[0,1]
	v_cmp_eq_u32_e32 vcc, 4, v15
	v_pk_mov_b32 v[2:3], v[6:7], v[6:7] op_sel:[0,1]
	s_and_saveexec_b64 s[0:1], vcc
	s_cbranch_execz .LBB87_28
; %bb.27:                               ;   in Loop: Header=BB87_21 Depth=2
	v_add_co_u32_e32 v96, vcc, 1, v96
	v_cndmask_b32_e64 v0, 0, 1, vcc
	v_addc_co_u32_e32 v97, vcc, 0, v97, vcc
	v_cmp_eq_u32_e32 vcc, 0, v97
	v_cndmask_b32_e32 v0, 0, v0, vcc
	v_add_u32_e32 v115, v0, v115
	v_cmp_eq_u32_e32 vcc, 0, v115
	v_cndmask_b32_e32 v0, 0, v0, vcc
	v_add_u32_e32 v74, v0, v74
	v_mad_u64_u32 v[0:1], vcc, v96, s9, 0
	v_mad_u64_u32 v[2:3], vcc, v115, s8, 0
	v_xor_b32_e32 v1, v1, v73
	v_xor_b32_e32 v3, v3, v72
	v_xor_b32_e32 v1, v74, v1
	v_xor_b32_e32 v3, v97, v3
	v_mad_u64_u32 v[86:87], vcc, v1, s8, 0
	v_mad_u64_u32 v[84:85], vcc, v3, s9, 0
	v_xor_b32_e32 v1, v98, v87
	v_xor_b32_e32 v1, v1, v2
	v_xor_b32_e32 v2, v99, v85
	v_xor_b32_e32 v2, v2, v0
	;; [unrolled: 6-line block ×10, first 2 shown]
	v_mov_b32_e32 v15, 0
	v_mov_b32_e32 v1, v86
	;; [unrolled: 1-line block ×5, first 2 shown]
.LBB87_28:                              ;   in Loop: Header=BB87_21 Depth=2
	s_or_b64 exec, exec, s[0:1]
	v_add_u32_e32 v116, 1, v15
	v_cmp_eq_u32_e32 vcc, 4, v116
	s_and_saveexec_b64 s[0:1], vcc
	s_cbranch_execz .LBB87_30
; %bb.29:                               ;   in Loop: Header=BB87_21 Depth=2
	v_add_co_u32_e32 v96, vcc, 1, v96
	v_cndmask_b32_e64 v84, 0, 1, vcc
	v_addc_co_u32_e32 v97, vcc, 0, v97, vcc
	v_cmp_eq_u32_e32 vcc, 0, v97
	v_cndmask_b32_e32 v84, 0, v84, vcc
	v_add_u32_e32 v115, v84, v115
	v_cmp_eq_u32_e32 vcc, 0, v115
	v_cndmask_b32_e32 v84, 0, v84, vcc
	v_add_u32_e32 v74, v84, v74
	v_mad_u64_u32 v[84:85], vcc, v96, s9, 0
	v_mad_u64_u32 v[86:87], vcc, v115, s8, 0
	v_xor_b32_e32 v85, v85, v73
	v_xor_b32_e32 v87, v87, v72
	v_xor_b32_e32 v85, v74, v85
	v_xor_b32_e32 v87, v97, v87
	v_mad_u64_u32 v[120:121], vcc, v85, s8, 0
	v_mad_u64_u32 v[118:119], vcc, v87, s9, 0
	v_xor_b32_e32 v85, v98, v121
	v_xor_b32_e32 v85, v85, v86
	v_xor_b32_e32 v86, v99, v119
	v_xor_b32_e32 v86, v86, v84
	;; [unrolled: 6-line block ×9, first 2 shown]
	v_mad_u64_u32 v[84:85], vcc, v84, s9, 0
	v_mad_u64_u32 v[86:87], vcc, v86, s8, 0
	v_xor_b32_e32 v87, v87, v124
	v_xor_b32_e32 v85, v85, v122
	v_mov_b32_e32 v116, 0
	v_xor_b32_e32 v87, v105, v87
	v_xor_b32_e32 v85, v95, v85
.LBB87_30:                              ;   in Loop: Header=BB87_21 Depth=2
	s_or_b64 exec, exec, s[0:1]
	v_cmp_eq_u32_e32 vcc, 1, v117
	v_cndmask_b32_e32 v4, v4, v5, vcc
	v_cmp_eq_u32_e32 vcc, 2, v117
	v_cndmask_b32_e32 v4, v4, v6, vcc
	;; [unrolled: 2-line block ×6, first 2 shown]
	v_lshrrev_b32_e32 v0, 11, v0
	v_cvt_f64_u32_e32 v[0:1], v0
	v_ldexp_f64 v[0:1], v[0:1], 32
	v_cvt_f64_u32_e32 v[2:3], v4
	v_add_f64 v[0:1], v[0:1], v[2:3]
	v_mov_b32_e32 v2, 0
	v_mov_b32_e32 v3, 0x3ca00000
	v_fma_f64 v[4:5], -v[76:77], v[10:11], v[78:79]
	v_fmac_f64_e32 v[2:3], 0x3ca00000, v[0:1]
	v_mul_f64 v[0:1], v[4:5], s[58:59]
	v_rndne_f64_e32 v[0:1], v[0:1]
	s_mov_b32 s60, s52
	v_fma_f64 v[6:7], s[60:61], v[0:1], v[4:5]
	s_mov_b32 s62, s54
	v_fmac_f64_e32 v[6:7], s[62:63], v[0:1]
	v_pk_mov_b32 v[10:11], v[30:31], v[30:31] op_sel:[0,1]
	v_fmac_f64_e32 v[10:11], s[66:67], v[6:7]
	v_pk_mov_b32 v[118:119], v[32:33], v[32:33] op_sel:[0,1]
	;; [unrolled: 2-line block ×9, first 2 shown]
	v_fmac_f64_e32 v[10:11], v[6:7], v[118:119]
	v_fma_f64 v[10:11], v[6:7], v[10:11], 1.0
	v_fma_f64 v[6:7], v[6:7], v[10:11], 1.0
	v_cvt_i32_f64_e32 v0, v[0:1]
	v_ldexp_f64 v[0:1], v[6:7], v0
	v_add_f64 v[0:1], v[0:1], 1.0
	v_cmp_nlt_f64_e32 vcc, s[68:69], v[4:5]
	v_cmp_ngt_f64_e64 s[0:1], s[70:71], v[4:5]
	v_cndmask_b32_e32 v1, v93, v1, vcc
	s_and_b64 vcc, s[0:1], vcc
	v_cndmask_b32_e64 v1, v90, v1, s[0:1]
	v_cndmask_b32_e32 v0, 0, v0, vcc
	v_mul_f64 v[0:1], v[0:1], v[0:1]
	v_div_scale_f64 v[6:7], s[0:1], v[0:1], v[0:1], v[2:3]
	v_rcp_f64_e32 v[10:11], v[6:7]
	s_mov_b32 s51, s37
	v_fma_f64 v[118:119], -v[6:7], v[10:11], 1.0
	v_fmac_f64_e32 v[10:11], v[10:11], v[118:119]
	v_fma_f64 v[118:119], -v[6:7], v[10:11], 1.0
	v_fmac_f64_e32 v[10:11], v[10:11], v[118:119]
	v_div_scale_f64 v[118:119], vcc, v[2:3], v[0:1], v[2:3]
	v_mul_f64 v[120:121], v[118:119], v[10:11]
	v_fma_f64 v[6:7], -v[6:7], v[120:121], v[118:119]
	s_nop 1
	v_div_fmas_f64 v[6:7], v[6:7], v[10:11], v[120:121]
	v_div_fixup_f64 v[2:3], v[6:7], v[0:1], v[2:3]
	v_frexp_mant_f64_e32 v[0:1], v[2:3]
	v_cmp_gt_f64_e32 vcc, s[36:37], v[0:1]
	v_cndmask_b32_e64 v15, v90, 2.0, vcc
	v_frexp_exp_i32_f64_e32 v6, v[2:3]
	v_mul_f64 v[0:1], v[0:1], v[14:15]
	v_subbrev_co_u32_e32 v15, vcc, 0, v6, vcc
	v_add_f64 v[6:7], v[0:1], 1.0
	v_rcp_f64_e32 v[10:11], v[6:7]
	v_add_f64 v[120:121], v[6:7], -1.0
	v_add_f64 v[118:119], v[0:1], -1.0
	v_add_f64 v[0:1], v[0:1], -v[120:121]
	v_fma_f64 v[120:121], -v[6:7], v[10:11], 1.0
	v_fmac_f64_e32 v[10:11], v[120:121], v[10:11]
	v_fma_f64 v[120:121], -v[6:7], v[10:11], 1.0
	v_fmac_f64_e32 v[10:11], v[120:121], v[10:11]
	v_mul_f64 v[120:121], v[118:119], v[10:11]
	v_mul_f64 v[122:123], v[6:7], v[120:121]
	v_fma_f64 v[6:7], v[120:121], v[6:7], -v[122:123]
	v_fmac_f64_e32 v[6:7], v[120:121], v[0:1]
	v_add_f64 v[0:1], v[122:123], v[6:7]
	v_add_f64 v[124:125], v[118:119], -v[0:1]
	v_add_f64 v[122:123], v[0:1], -v[122:123]
	;; [unrolled: 1-line block ×5, first 2 shown]
	v_add_f64 v[0:1], v[6:7], v[0:1]
	v_add_f64 v[0:1], v[124:125], v[0:1]
	v_mul_f64 v[0:1], v[10:11], v[0:1]
	v_add_f64 v[6:7], v[120:121], v[0:1]
	v_add_f64 v[10:11], v[6:7], -v[120:121]
	v_add_f64 v[10:11], v[0:1], -v[10:11]
	v_mul_f64 v[118:119], v[6:7], v[6:7]
	v_pk_mov_b32 v[0:1], s[38:39], s[38:39] op_sel:[0,1]
	v_fma_f64 v[120:121], s[40:41], v[118:119], v[0:1]
	v_fma_f64 v[120:121], v[118:119], v[120:121], s[42:43]
	;; [unrolled: 1-line block ×6, first 2 shown]
	v_ldexp_f64 v[122:123], v[6:7], 1
	v_mul_f64 v[6:7], v[6:7], v[118:119]
	v_mul_f64 v[6:7], v[6:7], v[120:121]
	v_add_f64 v[118:119], v[122:123], v[6:7]
	v_add_f64 v[120:121], v[118:119], -v[122:123]
	v_ldexp_f64 v[10:11], v[10:11], 1
	v_add_f64 v[6:7], v[6:7], -v[120:121]
	v_add_f64 v[6:7], v[10:11], v[6:7]
	v_add_f64 v[10:11], v[118:119], v[6:7]
	v_add_f64 v[118:119], v[10:11], -v[118:119]
	v_add_f64 v[6:7], v[6:7], -v[118:119]
	v_cvt_f64_i32_e32 v[118:119], v15
	v_mul_f64 v[120:121], v[118:119], s[52:53]
	v_fma_f64 v[122:123], v[118:119], s[52:53], -v[120:121]
	v_fmac_f64_e32 v[122:123], s[54:55], v[118:119]
	v_add_f64 v[118:119], v[120:121], v[122:123]
	v_add_f64 v[120:121], v[118:119], -v[120:121]
	v_add_f64 v[120:121], v[122:123], -v[120:121]
	v_add_f64 v[122:123], v[118:119], v[10:11]
	v_add_f64 v[124:125], v[122:123], -v[118:119]
	v_add_f64 v[126:127], v[122:123], -v[124:125]
	;; [unrolled: 1-line block ×4, first 2 shown]
	v_add_f64 v[10:11], v[10:11], v[118:119]
	v_add_f64 v[118:119], v[120:121], v[6:7]
	v_add_f64 v[124:125], v[118:119], -v[120:121]
	v_add_f64 v[126:127], v[118:119], -v[124:125]
	v_add_f64 v[10:11], v[118:119], v[10:11]
	v_add_f64 v[120:121], v[120:121], -v[126:127]
	v_add_f64 v[6:7], v[6:7], -v[124:125]
	v_add_f64 v[118:119], v[122:123], v[10:11]
	v_add_f64 v[6:7], v[6:7], v[120:121]
	v_add_f64 v[120:121], v[118:119], -v[122:123]
	v_add_f64 v[10:11], v[10:11], -v[120:121]
	v_add_f64 v[6:7], v[6:7], v[10:11]
	v_add_f64 v[6:7], v[118:119], v[6:7]
	v_cmp_class_f64_e64 vcc, v[2:3], s10
	v_cndmask_b32_e32 v15, v6, v2, vcc
	v_cndmask_b32_e32 v6, v7, v3, vcc
	v_cmp_neq_f64_e32 vcc, 0, v[2:3]
	v_cndmask_b32_e32 v3, v92, v6, vcc
	v_add_f64 v[6:7], v[8:9], 1.0
	v_add_f64 v[6:7], v[6:7], -1.0
	v_add_f64 v[118:119], v[6:7], s[72:73]
	v_div_scale_f64 v[10:11], s[0:1], v[118:119], v[118:119], s[74:75]
	v_rcp_f64_e32 v[120:121], v[10:11]
	v_cndmask_b32_e32 v2, 0, v15, vcc
	v_add_f64 v[2:3], v[4:5], v[2:3]
	v_fma_f64 v[4:5], v[82:83], v[8:9], v[80:81]
	v_fma_f64 v[122:123], -v[10:11], v[120:121], 1.0
	v_fmac_f64_e32 v[120:121], v[120:121], v[122:123]
	v_fma_f64 v[122:123], -v[10:11], v[120:121], 1.0
	v_fmac_f64_e32 v[120:121], v[120:121], v[122:123]
	v_div_scale_f64 v[122:123], vcc, s[74:75], v[118:119], s[74:75]
	v_mul_f64 v[124:125], v[122:123], v[120:121]
	v_fma_f64 v[122:123], -v[10:11], v[124:125], v[122:123]
	v_add_f64 v[10:11], v[6:7], s[76:77]
	v_div_scale_f64 v[126:127], s[0:1], v[10:11], v[10:11], s[78:79]
	v_rcp_f64_e32 v[128:129], v[126:127]
	v_div_fmas_f64 v[120:121], v[122:123], v[120:121], v[124:125]
	v_div_fixup_f64 v[118:119], v[120:121], v[118:119], s[74:75]
	v_add_f64 v[124:125], v[6:7], s[80:81]
	v_fma_f64 v[120:121], -v[126:127], v[128:129], 1.0
	v_fmac_f64_e32 v[128:129], v[128:129], v[120:121]
	v_fma_f64 v[120:121], -v[126:127], v[128:129], 1.0
	v_fmac_f64_e32 v[128:129], v[128:129], v[120:121]
	v_div_scale_f64 v[120:121], vcc, s[78:79], v[10:11], s[78:79]
	v_mul_f64 v[122:123], v[120:121], v[128:129]
	v_fma_f64 v[120:121], -v[126:127], v[122:123], v[120:121]
	v_div_scale_f64 v[126:127], s[0:1], v[124:125], v[124:125], s[82:83]
	v_rcp_f64_e32 v[130:131], v[126:127]
	v_div_fmas_f64 v[120:121], v[120:121], v[128:129], v[122:123]
	v_add_f64 v[118:119], v[118:119], 0
	v_div_fixup_f64 v[120:121], v[120:121], v[10:11], s[78:79]
	v_add_f64 v[118:119], v[120:121], v[118:119]
	v_fma_f64 v[120:121], -v[126:127], v[130:131], 1.0
	v_fmac_f64_e32 v[130:131], v[130:131], v[120:121]
	v_fma_f64 v[120:121], -v[126:127], v[130:131], 1.0
	v_fmac_f64_e32 v[130:131], v[130:131], v[120:121]
	v_div_scale_f64 v[120:121], vcc, s[82:83], v[124:125], s[82:83]
	v_mul_f64 v[122:123], v[120:121], v[130:131]
	v_fma_f64 v[120:121], -v[126:127], v[122:123], v[120:121]
	v_add_f64 v[126:127], v[6:7], s[84:85]
	v_div_scale_f64 v[128:129], s[0:1], v[126:127], v[126:127], s[86:87]
	v_rcp_f64_e32 v[132:133], v[128:129]
	v_div_fmas_f64 v[120:121], v[120:121], v[130:131], v[122:123]
	v_div_fixup_f64 v[120:121], v[120:121], v[124:125], s[82:83]
	v_add_f64 v[118:119], v[118:119], v[120:121]
	v_fma_f64 v[120:121], -v[128:129], v[132:133], 1.0
	v_fmac_f64_e32 v[132:133], v[132:133], v[120:121]
	v_fma_f64 v[120:121], -v[128:129], v[132:133], 1.0
	v_fmac_f64_e32 v[132:133], v[132:133], v[120:121]
	v_div_scale_f64 v[120:121], vcc, s[86:87], v[126:127], s[86:87]
	v_mul_f64 v[122:123], v[120:121], v[132:133]
	v_add_f64 v[124:125], v[6:7], 4.0
	v_fma_f64 v[120:121], -v[128:129], v[122:123], v[120:121]
	v_div_scale_f64 v[128:129], s[0:1], v[124:125], v[124:125], s[88:89]
	v_rcp_f64_e32 v[130:131], v[128:129]
	v_div_fmas_f64 v[120:121], v[120:121], v[132:133], v[122:123]
	v_div_fixup_f64 v[120:121], v[120:121], v[126:127], s[86:87]
	v_add_f64 v[118:119], v[120:121], v[118:119]
	v_fma_f64 v[120:121], -v[128:129], v[130:131], 1.0
	v_fmac_f64_e32 v[130:131], v[130:131], v[120:121]
	v_fma_f64 v[120:121], -v[128:129], v[130:131], 1.0
	v_fmac_f64_e32 v[130:131], v[130:131], v[120:121]
	v_div_scale_f64 v[120:121], vcc, s[88:89], v[124:125], s[88:89]
	v_mul_f64 v[122:123], v[120:121], v[130:131]
	v_add_f64 v[126:127], v[6:7], s[28:29]
	v_fma_f64 v[120:121], -v[128:129], v[122:123], v[120:121]
	v_div_scale_f64 v[128:129], s[0:1], v[126:127], v[126:127], s[90:91]
	v_rcp_f64_e32 v[132:133], v[128:129]
	v_div_fmas_f64 v[120:121], v[120:121], v[130:131], v[122:123]
	v_div_fixup_f64 v[120:121], v[120:121], v[124:125], s[88:89]
	v_add_f64 v[118:119], v[118:119], v[120:121]
	v_fma_f64 v[120:121], -v[128:129], v[132:133], 1.0
	v_fmac_f64_e32 v[132:133], v[132:133], v[120:121]
	v_fma_f64 v[120:121], -v[128:129], v[132:133], 1.0
	v_fmac_f64_e32 v[132:133], v[132:133], v[120:121]
	v_div_scale_f64 v[120:121], vcc, s[90:91], v[126:127], s[90:91]
	v_mul_f64 v[122:123], v[120:121], v[132:133]
	v_add_f64 v[124:125], v[6:7], 2.0
	v_fma_f64 v[120:121], -v[128:129], v[122:123], v[120:121]
	v_div_scale_f64 v[128:129], s[0:1], v[124:125], v[124:125], s[92:93]
	v_rcp_f64_e32 v[130:131], v[128:129]
	v_div_fmas_f64 v[120:121], v[120:121], v[132:133], v[122:123]
	v_div_fixup_f64 v[120:121], v[120:121], v[126:127], s[90:91]
	v_add_f64 v[118:119], v[120:121], v[118:119]
	v_fma_f64 v[120:121], -v[128:129], v[130:131], 1.0
	v_fmac_f64_e32 v[130:131], v[130:131], v[120:121]
	v_fma_f64 v[120:121], -v[128:129], v[130:131], 1.0
	v_fmac_f64_e32 v[130:131], v[130:131], v[120:121]
	v_div_scale_f64 v[120:121], vcc, s[92:93], v[124:125], s[92:93]
	v_mul_f64 v[122:123], v[120:121], v[130:131]
	v_add_f64 v[126:127], v[6:7], 1.0
	v_fma_f64 v[120:121], -v[128:129], v[122:123], v[120:121]
	v_div_scale_f64 v[128:129], s[0:1], v[126:127], v[126:127], s[94:95]
	v_rcp_f64_e32 v[132:133], v[128:129]
	v_div_fmas_f64 v[120:121], v[120:121], v[130:131], v[122:123]
	v_div_fixup_f64 v[120:121], v[120:121], v[124:125], s[92:93]
	v_add_f64 v[118:119], v[118:119], v[120:121]
	v_fma_f64 v[120:121], -v[128:129], v[132:133], 1.0
	v_fmac_f64_e32 v[132:133], v[132:133], v[120:121]
	v_fma_f64 v[120:121], -v[128:129], v[132:133], 1.0
	v_fmac_f64_e32 v[132:133], v[132:133], v[120:121]
	v_div_scale_f64 v[120:121], vcc, s[94:95], v[126:127], s[94:95]
	v_mul_f64 v[122:123], v[120:121], v[132:133]
	v_fma_f64 v[120:121], -v[128:129], v[122:123], v[120:121]
	v_add_f64 v[10:11], v[10:11], 0.5
	s_nop 0
	v_div_fmas_f64 v[120:121], v[120:121], v[132:133], v[122:123]
	v_div_fixup_f64 v[120:121], v[120:121], v[126:127], s[94:95]
	v_add_f64 v[118:119], v[120:121], v[118:119]
	v_add_f64 v[118:119], v[118:119], s[26:27]
	v_frexp_mant_f64_e32 v[120:121], v[118:119]
	v_cmp_gt_f64_e32 vcc, s[36:37], v[120:121]
	v_cndmask_b32_e64 v15, v90, 2.0, vcc
	v_mul_f64 v[120:121], v[120:121], v[14:15]
	v_add_f64 v[122:123], v[120:121], 1.0
	v_rcp_f64_e32 v[124:125], v[122:123]
	v_add_f64 v[128:129], v[122:123], -1.0
	v_add_f64 v[126:127], v[120:121], -1.0
	v_add_f64 v[120:121], v[120:121], -v[128:129]
	v_fma_f64 v[128:129], -v[122:123], v[124:125], 1.0
	v_fmac_f64_e32 v[124:125], v[128:129], v[124:125]
	v_fma_f64 v[128:129], -v[122:123], v[124:125], 1.0
	v_fmac_f64_e32 v[124:125], v[128:129], v[124:125]
	v_mul_f64 v[128:129], v[126:127], v[124:125]
	v_mul_f64 v[130:131], v[122:123], v[128:129]
	v_fma_f64 v[122:123], v[128:129], v[122:123], -v[130:131]
	v_fmac_f64_e32 v[122:123], v[128:129], v[120:121]
	v_add_f64 v[120:121], v[130:131], v[122:123]
	v_add_f64 v[132:133], v[126:127], -v[120:121]
	v_add_f64 v[130:131], v[120:121], -v[130:131]
	;; [unrolled: 1-line block ×5, first 2 shown]
	v_add_f64 v[120:121], v[122:123], v[120:121]
	v_add_f64 v[120:121], v[132:133], v[120:121]
	v_mul_f64 v[120:121], v[124:125], v[120:121]
	v_add_f64 v[122:123], v[128:129], v[120:121]
	v_add_f64 v[124:125], v[122:123], -v[128:129]
	v_add_f64 v[120:121], v[120:121], -v[124:125]
	v_mul_f64 v[124:125], v[122:123], v[122:123]
	v_fma_f64 v[126:127], s[40:41], v[124:125], v[0:1]
	v_fma_f64 v[126:127], v[124:125], v[126:127], s[42:43]
	v_fma_f64 v[126:127], v[124:125], v[126:127], s[44:45]
	v_fma_f64 v[126:127], v[124:125], v[126:127], s[46:47]
	v_fma_f64 v[126:127], v[124:125], v[126:127], s[48:49]
	v_fma_f64 v[126:127], v[124:125], v[126:127], s[50:51]
	v_ldexp_f64 v[128:129], v[122:123], 1
	v_mul_f64 v[122:123], v[122:123], v[124:125]
	v_mul_f64 v[122:123], v[122:123], v[126:127]
	v_add_f64 v[124:125], v[128:129], v[122:123]
	v_add_f64 v[126:127], v[124:125], -v[128:129]
	v_ldexp_f64 v[120:121], v[120:121], 1
	v_add_f64 v[122:123], v[122:123], -v[126:127]
	v_add_f64 v[120:121], v[120:121], v[122:123]
	v_frexp_exp_i32_f64_e32 v117, v[118:119]
	v_add_f64 v[122:123], v[124:125], v[120:121]
	v_subbrev_co_u32_e32 v15, vcc, 0, v117, vcc
	v_add_f64 v[124:125], v[122:123], -v[124:125]
	v_add_f64 v[120:121], v[120:121], -v[124:125]
	v_cvt_f64_i32_e32 v[124:125], v15
	v_mul_f64 v[126:127], v[124:125], s[52:53]
	v_fma_f64 v[128:129], v[124:125], s[52:53], -v[126:127]
	v_fmac_f64_e32 v[128:129], s[54:55], v[124:125]
	v_add_f64 v[124:125], v[126:127], v[128:129]
	v_add_f64 v[126:127], v[124:125], -v[126:127]
	v_add_f64 v[126:127], v[128:129], -v[126:127]
	v_add_f64 v[128:129], v[124:125], v[122:123]
	v_add_f64 v[130:131], v[128:129], -v[124:125]
	v_add_f64 v[132:133], v[128:129], -v[130:131]
	;; [unrolled: 1-line block ×4, first 2 shown]
	v_add_f64 v[122:123], v[122:123], v[124:125]
	v_add_f64 v[124:125], v[126:127], v[120:121]
	v_add_f64 v[130:131], v[124:125], -v[126:127]
	v_add_f64 v[132:133], v[124:125], -v[130:131]
	v_add_f64 v[122:123], v[124:125], v[122:123]
	v_add_f64 v[126:127], v[126:127], -v[132:133]
	v_add_f64 v[120:121], v[120:121], -v[130:131]
	v_add_f64 v[124:125], v[128:129], v[122:123]
	v_add_f64 v[120:121], v[120:121], v[126:127]
	v_add_f64 v[126:127], v[124:125], -v[128:129]
	v_add_f64 v[122:123], v[122:123], -v[126:127]
	v_add_f64 v[120:121], v[120:121], v[122:123]
	v_add_f64 v[120:121], v[124:125], v[120:121]
	v_cmp_class_f64_e64 vcc, v[118:119], s10
	v_div_scale_f64 v[122:123], s[0:1], s[2:3], s[2:3], v[10:11]
	v_cndmask_b32_e32 v121, v121, v119, vcc
	v_cndmask_b32_e32 v120, v120, v118, vcc
	v_rcp_f64_e32 v[124:125], v[122:123]
	v_add_f64 v[120:121], v[120:121], s[24:25]
	v_add_f64 v[120:121], v[120:121], s[30:31]
	v_cmp_ngt_f64_e32 vcc, 0, v[118:119]
	v_cndmask_b32_e32 v15, v91, v121, vcc
	v_cmp_nge_f64_e32 vcc, 0, v[118:119]
	v_cndmask_b32_e32 v120, 0, v120, vcc
	v_cmp_neq_f64_e32 vcc, 0, v[118:119]
	v_fma_f64 v[118:119], -v[122:123], v[124:125], 1.0
	v_fmac_f64_e32 v[124:125], v[124:125], v[118:119]
	v_fma_f64 v[118:119], -v[122:123], v[124:125], 1.0
	v_cndmask_b32_e32 v121, v92, v15, vcc
	v_fmac_f64_e32 v[124:125], v[124:125], v[118:119]
	v_div_scale_f64 v[118:119], vcc, v[10:11], s[2:3], v[10:11]
	v_mul_f64 v[126:127], v[118:119], v[124:125]
	v_fma_f64 v[118:119], -v[122:123], v[126:127], v[118:119]
	v_add_f64 v[6:7], v[6:7], 0.5
	s_nop 0
	v_div_fmas_f64 v[118:119], v[118:119], v[124:125], v[126:127]
	v_div_fixup_f64 v[10:11], v[118:119], s[2:3], v[10:11]
	v_frexp_mant_f64_e32 v[118:119], v[10:11]
	v_cmp_gt_f64_e32 vcc, s[36:37], v[118:119]
	v_cndmask_b32_e64 v15, v90, 2.0, vcc
	v_mul_f64 v[118:119], v[118:119], v[14:15]
	v_add_f64 v[122:123], v[118:119], 1.0
	v_rcp_f64_e32 v[124:125], v[122:123]
	v_add_f64 v[128:129], v[122:123], -1.0
	v_add_f64 v[126:127], v[118:119], -1.0
	v_add_f64 v[118:119], v[118:119], -v[128:129]
	v_fma_f64 v[128:129], -v[122:123], v[124:125], 1.0
	v_fmac_f64_e32 v[124:125], v[128:129], v[124:125]
	v_fma_f64 v[128:129], -v[122:123], v[124:125], 1.0
	v_fmac_f64_e32 v[124:125], v[128:129], v[124:125]
	v_mul_f64 v[128:129], v[126:127], v[124:125]
	v_mul_f64 v[130:131], v[122:123], v[128:129]
	v_fma_f64 v[122:123], v[128:129], v[122:123], -v[130:131]
	v_fmac_f64_e32 v[122:123], v[128:129], v[118:119]
	v_add_f64 v[118:119], v[130:131], v[122:123]
	v_add_f64 v[132:133], v[126:127], -v[118:119]
	v_add_f64 v[130:131], v[118:119], -v[130:131]
	;; [unrolled: 1-line block ×5, first 2 shown]
	v_add_f64 v[118:119], v[122:123], v[118:119]
	v_add_f64 v[118:119], v[132:133], v[118:119]
	v_mul_f64 v[118:119], v[124:125], v[118:119]
	v_add_f64 v[122:123], v[128:129], v[118:119]
	v_add_f64 v[124:125], v[122:123], -v[128:129]
	v_add_f64 v[118:119], v[118:119], -v[124:125]
	v_mul_f64 v[124:125], v[122:123], v[122:123]
	v_fmac_f64_e32 v[0:1], s[40:41], v[124:125]
	v_fma_f64 v[0:1], v[124:125], v[0:1], s[42:43]
	v_fma_f64 v[0:1], v[124:125], v[0:1], s[44:45]
	v_fma_f64 v[0:1], v[124:125], v[0:1], s[46:47]
	v_fma_f64 v[0:1], v[124:125], v[0:1], s[48:49]
	v_fma_f64 v[0:1], v[124:125], v[0:1], s[50:51]
	v_ldexp_f64 v[126:127], v[122:123], 1
	v_mul_f64 v[122:123], v[122:123], v[124:125]
	v_mul_f64 v[0:1], v[122:123], v[0:1]
	v_add_f64 v[122:123], v[126:127], v[0:1]
	v_add_f64 v[124:125], v[122:123], -v[126:127]
	v_ldexp_f64 v[118:119], v[118:119], 1
	v_add_f64 v[0:1], v[0:1], -v[124:125]
	v_add_f64 v[0:1], v[118:119], v[0:1]
	v_frexp_exp_i32_f64_e32 v117, v[10:11]
	v_add_f64 v[118:119], v[122:123], v[0:1]
	v_subbrev_co_u32_e32 v15, vcc, 0, v117, vcc
	v_add_f64 v[122:123], v[118:119], -v[122:123]
	v_add_f64 v[0:1], v[0:1], -v[122:123]
	v_cvt_f64_i32_e32 v[122:123], v15
	v_mul_f64 v[124:125], v[122:123], s[52:53]
	v_fma_f64 v[126:127], v[122:123], s[52:53], -v[124:125]
	v_fmac_f64_e32 v[126:127], s[54:55], v[122:123]
	v_add_f64 v[122:123], v[124:125], v[126:127]
	v_add_f64 v[124:125], v[122:123], -v[124:125]
	v_add_f64 v[124:125], v[126:127], -v[124:125]
	v_add_f64 v[126:127], v[122:123], v[118:119]
	v_add_f64 v[128:129], v[126:127], -v[122:123]
	v_add_f64 v[130:131], v[126:127], -v[128:129]
	;; [unrolled: 1-line block ×4, first 2 shown]
	v_add_f64 v[118:119], v[118:119], v[122:123]
	v_add_f64 v[122:123], v[124:125], v[0:1]
	v_add_f64 v[128:129], v[122:123], -v[124:125]
	v_add_f64 v[130:131], v[122:123], -v[128:129]
	v_add_f64 v[118:119], v[122:123], v[118:119]
	v_add_f64 v[124:125], v[124:125], -v[130:131]
	v_add_f64 v[0:1], v[0:1], -v[128:129]
	v_add_f64 v[122:123], v[126:127], v[118:119]
	v_add_f64 v[0:1], v[0:1], v[124:125]
	v_add_f64 v[124:125], v[122:123], -v[126:127]
	v_add_f64 v[118:119], v[118:119], -v[124:125]
	v_add_f64 v[0:1], v[0:1], v[118:119]
	v_add_f64 v[0:1], v[122:123], v[0:1]
	v_cmp_class_f64_e64 vcc, v[10:11], s10
	v_cndmask_b32_e32 v0, v0, v10, vcc
	v_cndmask_b32_e32 v1, v1, v11, vcc
	v_cmp_ngt_f64_e32 vcc, 0, v[10:11]
	v_cndmask_b32_e32 v1, v91, v1, vcc
	v_cmp_nge_f64_e32 vcc, 0, v[10:11]
	v_cndmask_b32_e32 v0, 0, v0, vcc
	v_cmp_neq_f64_e32 vcc, 0, v[10:11]
	v_cndmask_b32_e32 v1, v92, v1, vcc
	v_fmac_f64_e32 v[120:121], v[6:7], v[0:1]
	v_add_f64 v[0:1], v[4:5], -v[120:121]
	v_cvt_u32_f64_e32 v4, v[8:9]
	v_cmp_le_f64_e32 vcc, v[2:3], v[0:1]
	v_cndmask_b32_e64 v118, 0, 1, vcc
	v_cndmask_b32_e32 v75, v75, v4, vcc
	v_mov_b32_e32 v117, v116
.LBB87_31:                              ;   in Loop: Header=BB87_21 Depth=2
	s_or_b64 exec, exec, s[20:21]
	v_cmp_gt_i32_e32 vcc, 2, v118
	s_or_b64 s[14:15], vcc, s[14:15]
	v_mov_b32_e32 v15, v117
	v_mov_b32_e32 v0, v87
	;; [unrolled: 1-line block ×5, first 2 shown]
	s_andn2_b64 exec, exec, s[14:15]
	s_cbranch_execnz .LBB87_21
; %bb.32:                               ;   in Loop: Header=BB87_21 Depth=2
	s_or_b64 exec, exec, s[14:15]
	v_cmp_ne_u32_e32 vcc, 0, v118
	s_or_b64 s[12:13], vcc, s[12:13]
	s_mov_b64 s[14:15], 0
	v_mov_b32_e32 v15, v117
	v_mov_b32_e32 v0, v87
	;; [unrolled: 1-line block ×5, first 2 shown]
	s_andn2_b64 exec, exec, s[12:13]
	s_cbranch_execnz .LBB87_21
; %bb.33:                               ;   in Loop: Header=BB87_5 Depth=1
	s_or_b64 exec, exec, s[12:13]
	v_readlane_b32 s20, v134, 21
	v_readlane_b32 s21, v134, 22
                                        ; implicit-def: $vgpr72_vgpr73
                                        ; implicit-def: $vgpr15
                                        ; implicit-def: $vgpr96
                                        ; implicit-def: $vgpr97
                                        ; implicit-def: $vgpr105
                                        ; implicit-def: $vgpr95
                                        ; implicit-def: $vgpr3
                                        ; implicit-def: $vgpr4_vgpr5
                                        ; implicit-def: $vgpr98
                                        ; implicit-def: $vgpr99
                                        ; implicit-def: $vgpr100
                                        ; implicit-def: $vgpr101
                                        ; implicit-def: $vgpr103
                                        ; implicit-def: $vgpr104
                                        ; implicit-def: $vgpr106
                                        ; implicit-def: $vgpr107
                                        ; implicit-def: $vgpr108
                                        ; implicit-def: $vgpr109
                                        ; implicit-def: $vgpr110
                                        ; implicit-def: $vgpr111
                                        ; implicit-def: $vgpr112
                                        ; implicit-def: $vgpr113
                                        ; implicit-def: $vgpr102
                                        ; implicit-def: $vgpr114
.LBB87_34:                              ;   in Loop: Header=BB87_5 Depth=1
	s_andn2_saveexec_b64 s[6:7], s[6:7]
	s_cbranch_execz .LBB87_46
; %bb.35:                               ;   in Loop: Header=BB87_5 Depth=1
	v_add_co_u32_e32 v6, vcc, 1, v96
	v_cndmask_b32_e64 v7, 0, 1, vcc
	v_addc_co_u32_e32 v10, vcc, 0, v97, vcc
	v_cmp_eq_u32_e32 vcc, 0, v10
	v_cndmask_b32_e32 v7, 0, v7, vcc
	v_add_u32_e32 v8, v7, v17
	v_cmp_eq_u32_e32 vcc, 0, v8
	v_cndmask_b32_e32 v11, 0, v7, vcc
	v_mad_u64_u32 v[6:7], s[0:1], v6, s9, 0
	v_mad_u64_u32 v[8:9], s[0:1], v8, s8, 0
	v_xor_b32_e32 v7, v7, v73
	v_xor_b32_e32 v9, v9, v72
	v_xor_b32_e32 v7, v11, v7
	v_xor_b32_e32 v9, v10, v9
	v_mad_u64_u32 v[72:73], s[0:1], v7, s8, 0
	v_mad_u64_u32 v[10:11], s[0:1], v9, s9, 0
	v_xor_b32_e32 v7, v98, v73
	v_xor_b32_e32 v7, v7, v8
	v_xor_b32_e32 v8, v99, v11
	v_xor_b32_e32 v8, v8, v6
	;; [unrolled: 6-line block ×8, first 2 shown]
	v_mad_u64_u32 v[74:75], s[0:1], v7, s9, 0
	v_mad_u64_u32 v[8:9], s[0:1], v6, s8, 0
	v_xor_b32_e32 v6, v114, v75
	v_xor_b32_e32 v6, v6, v10
	v_mad_u64_u32 v[6:7], s[0:1], v6, s8, 0
	v_xor_b32_e32 v7, v7, v8
	v_xor_b32_e32 v10, v105, v7
	v_cmp_lt_i32_e32 vcc, 1, v15
                                        ; implicit-def: $vgpr8
	s_and_saveexec_b64 s[0:1], vcc
	s_xor_b64 s[0:1], exec, s[0:1]
	s_cbranch_execz .LBB87_41
; %bb.36:                               ;   in Loop: Header=BB87_5 Depth=1
	v_cmp_lt_i32_e32 vcc, 2, v15
                                        ; implicit-def: $vgpr8
	s_and_saveexec_b64 s[12:13], vcc
	s_xor_b64 s[12:13], exec, s[12:13]
; %bb.37:                               ;   in Loop: Header=BB87_5 Depth=1
	v_xor_b32_e32 v0, v102, v9
	v_xor_b32_e32 v0, v0, v72
	v_mul_hi_u32 v0, v0, s9
	v_xor_b32_e32 v0, v0, v74
	v_xor_b32_e32 v8, v95, v0
; %bb.38:                               ;   in Loop: Header=BB87_5 Depth=1
	s_andn2_saveexec_b64 s[12:13], s[12:13]
; %bb.39:                               ;   in Loop: Header=BB87_5 Depth=1
	v_mov_b32_e32 v8, v6
	v_mov_b32_e32 v6, v10
	;; [unrolled: 1-line block ×4, first 2 shown]
; %bb.40:                               ;   in Loop: Header=BB87_5 Depth=1
	s_or_b64 exec, exec, s[12:13]
                                        ; implicit-def: $vgpr15
.LBB87_41:                              ;   in Loop: Header=BB87_5 Depth=1
	s_andn2_saveexec_b64 s[0:1], s[0:1]
	s_cbranch_execz .LBB87_45
; %bb.42:                               ;   in Loop: Header=BB87_5 Depth=1
	v_cmp_eq_u32_e32 vcc, 1, v15
	v_mov_b32_e32 v8, v3
	v_mov_b32_e32 v6, v2
	;; [unrolled: 1-line block ×3, first 2 shown]
	s_and_saveexec_b64 s[12:13], vcc
; %bb.43:                               ;   in Loop: Header=BB87_5 Depth=1
	v_mov_b32_e32 v8, v10
	v_mov_b32_e32 v6, v3
	;; [unrolled: 1-line block ×4, first 2 shown]
; %bb.44:                               ;   in Loop: Header=BB87_5 Depth=1
	s_or_b64 exec, exec, s[12:13]
	v_mov_b32_e32 v3, v0
	v_mov_b32_e32 v10, v7
.LBB87_45:                              ;   in Loop: Header=BB87_5 Depth=1
	s_or_b64 exec, exec, s[0:1]
	v_mov_b32_e32 v11, v14
	v_lshlrev_b64 v[0:1], 21, v[10:11]
	v_xor_b32_e32 v2, v0, v3
	v_cvt_f64_u32_e32 v[0:1], v1
	v_ldexp_f64 v[0:1], v[0:1], 32
	v_cvt_f64_u32_e32 v[2:3], v2
	v_add_f64 v[0:1], v[0:1], v[2:3]
	v_mov_b32_e32 v2, 0
	v_mov_b32_e32 v3, 0x3ca00000
	v_fmac_f64_e32 v[2:3], 0x3ca00000, v[0:1]
	v_mov_b32_e32 v9, v14
	v_lshlrev_b64 v[0:1], 21, v[8:9]
	v_frexp_mant_f64_e32 v[8:9], v[2:3]
	v_cmp_gt_f64_e32 vcc, s[36:37], v[8:9]
	v_cndmask_b32_e64 v15, v90, 2.0, vcc
	v_frexp_exp_i32_f64_e32 v10, v[2:3]
	v_mul_f64 v[8:9], v[8:9], v[14:15]
	v_subbrev_co_u32_e32 v15, vcc, 0, v10, vcc
	v_add_f64 v[10:11], v[8:9], 1.0
	v_rcp_f64_e32 v[72:73], v[10:11]
	v_add_f64 v[76:77], v[10:11], -1.0
	v_add_f64 v[74:75], v[8:9], -1.0
	v_add_f64 v[8:9], v[8:9], -v[76:77]
	v_fma_f64 v[76:77], -v[10:11], v[72:73], 1.0
	v_fmac_f64_e32 v[72:73], v[76:77], v[72:73]
	v_fma_f64 v[76:77], -v[10:11], v[72:73], 1.0
	v_fmac_f64_e32 v[72:73], v[76:77], v[72:73]
	v_mul_f64 v[76:77], v[74:75], v[72:73]
	v_mul_f64 v[78:79], v[10:11], v[76:77]
	v_fma_f64 v[10:11], v[76:77], v[10:11], -v[78:79]
	v_fmac_f64_e32 v[10:11], v[76:77], v[8:9]
	v_add_f64 v[8:9], v[78:79], v[10:11]
	v_add_f64 v[80:81], v[74:75], -v[8:9]
	v_add_f64 v[78:79], v[8:9], -v[78:79]
	;; [unrolled: 1-line block ×5, first 2 shown]
	v_add_f64 v[8:9], v[10:11], v[8:9]
	v_add_f64 v[8:9], v[80:81], v[8:9]
	v_mul_f64 v[8:9], v[72:73], v[8:9]
	v_add_f64 v[10:11], v[76:77], v[8:9]
	v_add_f64 v[72:73], v[10:11], -v[76:77]
	v_add_f64 v[8:9], v[8:9], -v[72:73]
	v_mul_f64 v[72:73], v[10:11], v[10:11]
	v_pk_mov_b32 v[74:75], v[18:19], v[18:19] op_sel:[0,1]
	v_fmac_f64_e32 v[74:75], s[40:41], v[72:73]
	v_pk_mov_b32 v[76:77], v[20:21], v[20:21] op_sel:[0,1]
	v_fmac_f64_e32 v[76:77], v[72:73], v[74:75]
	;; [unrolled: 2-line block ×6, first 2 shown]
	v_ldexp_f64 v[74:75], v[10:11], 1
	v_mul_f64 v[10:11], v[10:11], v[72:73]
	v_mul_f64 v[10:11], v[10:11], v[76:77]
	v_add_f64 v[72:73], v[74:75], v[10:11]
	v_add_f64 v[74:75], v[72:73], -v[74:75]
	v_ldexp_f64 v[8:9], v[8:9], 1
	v_add_f64 v[10:11], v[10:11], -v[74:75]
	v_add_f64 v[8:9], v[8:9], v[10:11]
	v_add_f64 v[10:11], v[72:73], v[8:9]
	v_add_f64 v[72:73], v[10:11], -v[72:73]
	v_add_f64 v[8:9], v[8:9], -v[72:73]
	v_cvt_f64_i32_e32 v[72:73], v15
	v_mul_f64 v[74:75], v[72:73], s[52:53]
	v_fma_f64 v[76:77], v[72:73], s[52:53], -v[74:75]
	v_fmac_f64_e32 v[76:77], s[54:55], v[72:73]
	v_add_f64 v[72:73], v[74:75], v[76:77]
	v_add_f64 v[74:75], v[72:73], -v[74:75]
	v_add_f64 v[74:75], v[76:77], -v[74:75]
	v_add_f64 v[76:77], v[72:73], v[10:11]
	v_add_f64 v[78:79], v[76:77], -v[72:73]
	v_add_f64 v[80:81], v[76:77], -v[78:79]
	;; [unrolled: 1-line block ×4, first 2 shown]
	v_add_f64 v[10:11], v[10:11], v[72:73]
	v_add_f64 v[72:73], v[74:75], v[8:9]
	v_add_f64 v[78:79], v[72:73], -v[74:75]
	v_add_f64 v[80:81], v[72:73], -v[78:79]
	v_add_f64 v[10:11], v[72:73], v[10:11]
	v_add_f64 v[74:75], v[74:75], -v[80:81]
	v_add_f64 v[8:9], v[8:9], -v[78:79]
	v_add_f64 v[72:73], v[76:77], v[10:11]
	v_add_f64 v[8:9], v[8:9], v[74:75]
	v_add_f64 v[74:75], v[72:73], -v[76:77]
	v_add_f64 v[10:11], v[10:11], -v[74:75]
	s_mov_b32 s14, 0
	v_add_f64 v[8:9], v[8:9], v[10:11]
	s_mov_b32 s15, 0x7ff00000
	v_add_f64 v[8:9], v[72:73], v[8:9]
	v_cmp_eq_f64_e32 vcc, s[14:15], v[2:3]
	v_cndmask_b32_e32 v9, v9, v3, vcc
	v_cndmask_b32_e32 v8, v8, v2, vcc
	v_mul_f64 v[8:9], v[8:9], -2.0
	v_cmp_neq_f64_e32 vcc, 0, v[2:3]
	s_mov_b32 s0, 0
	v_cndmask_b32_e32 v3, v93, v9, vcc
	v_cndmask_b32_e32 v2, 0, v8, vcc
	s_brev_b32 s1, 8
	v_cmp_gt_f64_e32 vcc, s[0:1], v[2:3]
	v_cndmask_b32_e64 v8, 0, 1, vcc
	v_lshlrev_b32_e32 v8, 8, v8
	v_ldexp_f64 v[2:3], v[2:3], v8
	v_xor_b32_e32 v6, v0, v6
	v_cvt_f64_u32_e32 v[0:1], v1
	v_rsq_f64_e32 v[8:9], v[2:3]
	v_ldexp_f64 v[0:1], v[0:1], 32
	v_cvt_f64_u32_e32 v[6:7], v6
	v_add_f64 v[0:1], v[0:1], v[6:7]
	v_mov_b32_e32 v6, 0
	v_mov_b32_e32 v7, 0x3cb00000
	v_fmac_f64_e32 v[6:7], 0x3cb00000, v[0:1]
	v_mul_f64 v[0:1], v[2:3], v[8:9]
	v_mul_f64 v[8:9], v[8:9], 0.5
	v_fma_f64 v[10:11], -v[8:9], v[0:1], 0.5
	v_fmac_f64_e32 v[0:1], v[0:1], v[10:11]
	v_fma_f64 v[72:73], -v[0:1], v[0:1], v[2:3]
	v_fmac_f64_e32 v[8:9], v[8:9], v[10:11]
	v_fmac_f64_e32 v[0:1], v[72:73], v[8:9]
	v_fma_f64 v[10:11], -v[0:1], v[0:1], v[2:3]
	v_fmac_f64_e32 v[0:1], v[10:11], v[8:9]
	v_cndmask_b32_e32 v8, 0, v89, vcc
	v_ldexp_f64 v[0:1], v[0:1], v8
	v_cmp_class_f64_e32 vcc, v[2:3], v88
	v_cndmask_b32_e32 v1, v1, v3, vcc
	v_cndmask_b32_e32 v0, v0, v2, vcc
	v_mul_f64 v[2:3], v[6:7], 0.5
	v_fract_f64_e32 v[8:9], v[2:3]
	v_add_f64 v[8:9], v[8:9], v[8:9]
	v_cmp_neq_f64_e32 vcc, s[14:15], v[2:3]
	v_cndmask_b32_e32 v2, 0, v8, vcc
	v_cndmask_b32_e32 v3, 0, v9, vcc
	v_cmp_lt_f64_e32 vcc, 1.0, v[6:7]
	v_cndmask_b32_e32 v3, v7, v3, vcc
	v_cndmask_b32_e32 v2, v6, v2, vcc
	v_add_f64 v[8:9], v[2:3], v[2:3]
	v_rndne_f64_e32 v[8:9], v[8:9]
	v_fmac_f64_e32 v[2:3], -0.5, v[8:9]
	s_mov_b32 s12, 0xf99eb0bb
	v_cvt_i32_f64_e32 v15, v[8:9]
	v_mul_f64 v[8:9], v[2:3], v[2:3]
	v_pk_mov_b32 v[10:11], v[48:49], v[48:49] op_sel:[0,1]
	s_mov_b32 s13, 0x3f3e357e
	v_fmac_f64_e32 v[10:11], s[12:13], v[8:9]
	v_pk_mov_b32 v[72:73], v[50:51], v[50:51] op_sel:[0,1]
	v_fmac_f64_e32 v[72:73], v[8:9], v[10:11]
	v_pk_mov_b32 v[10:11], v[52:53], v[52:53] op_sel:[0,1]
	v_fmac_f64_e32 v[10:11], v[8:9], v[72:73]
	v_pk_mov_b32 v[72:73], v[54:55], v[54:55] op_sel:[0,1]
	v_fmac_f64_e32 v[72:73], v[8:9], v[10:11]
	v_pk_mov_b32 v[10:11], v[56:57], v[56:57] op_sel:[0,1]
	v_fmac_f64_e32 v[10:11], v[8:9], v[72:73]
	v_mul_f64 v[72:73], v[2:3], v[8:9]
	s_mov_b32 s12, 0x54442d18
	v_mul_f64 v[10:11], v[72:73], v[10:11]
	s_mov_b32 s13, 0x400921fb
	v_fmac_f64_e32 v[10:11], s[12:13], v[2:3]
	s_mov_b32 s12, 0x2e21c33
	v_pk_mov_b32 v[2:3], v[58:59], v[58:59] op_sel:[0,1]
	s_mov_b32 s13, 0xbf1b1673
	v_fmac_f64_e32 v[2:3], s[12:13], v[8:9]
	v_pk_mov_b32 v[72:73], v[60:61], v[60:61] op_sel:[0,1]
	v_fmac_f64_e32 v[72:73], v[8:9], v[2:3]
	v_pk_mov_b32 v[2:3], v[62:63], v[62:63] op_sel:[0,1]
	;; [unrolled: 2-line block ×5, first 2 shown]
	v_fmac_f64_e32 v[72:73], v[8:9], v[2:3]
	v_fma_f64 v[2:3], v[8:9], v[72:73], 1.0
	v_and_b32_e32 v9, 1, v15
	v_lshlrev_b32_e32 v8, 30, v15
	v_cmp_eq_u32_e32 vcc, 0, v9
	v_cndmask_b32_e32 v10, v2, v10, vcc
	v_cndmask_b32_e32 v2, v3, v11, vcc
	v_xor_b32_e32 v3, v8, v7
	v_and_b32_e32 v3, 0x80000000, v3
	v_cmp_gt_f64_e32 vcc, s[0:1], v[4:5]
	v_xor_b32_e32 v11, v2, v3
	v_cndmask_b32_e64 v2, 0, 1, vcc
	v_lshlrev_b32_e32 v2, 8, v2
	v_ldexp_f64 v[2:3], v[4:5], v2
	v_rsq_f64_e32 v[8:9], v[2:3]
	v_cmp_lg_f64_e64 s[0:1], s[14:15], v[6:7]
	v_cndmask_b32_e64 v6, 0, v10, s[0:1]
	v_cndmask_b32_e64 v7, v91, v11, s[0:1]
	v_mul_f64 v[0:1], v[0:1], v[6:7]
	v_mul_f64 v[6:7], v[2:3], v[8:9]
	v_mul_f64 v[8:9], v[8:9], 0.5
	v_fma_f64 v[10:11], -v[8:9], v[6:7], 0.5
	v_fmac_f64_e32 v[6:7], v[6:7], v[10:11]
	v_fma_f64 v[72:73], -v[6:7], v[6:7], v[2:3]
	v_fmac_f64_e32 v[8:9], v[8:9], v[10:11]
	v_fmac_f64_e32 v[6:7], v[72:73], v[8:9]
	v_fma_f64 v[10:11], -v[6:7], v[6:7], v[2:3]
	v_fmac_f64_e32 v[6:7], v[10:11], v[8:9]
	v_cndmask_b32_e32 v8, 0, v89, vcc
	v_ldexp_f64 v[6:7], v[6:7], v8
	v_cmp_class_f64_e32 vcc, v[2:3], v88
	v_cndmask_b32_e32 v3, v7, v3, vcc
	v_cndmask_b32_e32 v2, v6, v2, vcc
	v_fmac_f64_e32 v[4:5], v[2:3], v[0:1]
	v_trunc_f64_e32 v[0:1], v[4:5]
	v_add_f64 v[2:3], v[4:5], -v[0:1]
	v_cmp_ge_f64_e64 vcc, |v[2:3]|, 0.5
	v_cndmask_b32_e32 v2, 0, v90, vcc
	s_brev_b32 s0, -2
	v_bfi_b32 v15, s0, v2, v5
	v_add_f64 v[0:1], v[0:1], v[14:15]
	v_cvt_u32_f64_e32 v75, v[0:1]
.LBB87_46:                              ;   in Loop: Header=BB87_5 Depth=1
	s_or_b64 exec, exec, s[6:7]
                                        ; implicit-def: $vgpr6
                                        ; implicit-def: $vgpr72_vgpr73
                                        ; implicit-def: $vgpr15
                                        ; implicit-def: $vgpr96
                                        ; implicit-def: $vgpr97
                                        ; implicit-def: $vgpr105
                                        ; implicit-def: $vgpr95
                                        ; implicit-def: $vgpr3
                                        ; implicit-def: $vgpr4_vgpr5
                                        ; implicit-def: $vgpr98
                                        ; implicit-def: $vgpr99
                                        ; implicit-def: $vgpr100
                                        ; implicit-def: $vgpr101
                                        ; implicit-def: $vgpr103
                                        ; implicit-def: $vgpr104
                                        ; implicit-def: $vgpr106
                                        ; implicit-def: $vgpr107
                                        ; implicit-def: $vgpr108
                                        ; implicit-def: $vgpr109
                                        ; implicit-def: $vgpr110
                                        ; implicit-def: $vgpr111
                                        ; implicit-def: $vgpr112
                                        ; implicit-def: $vgpr113
                                        ; implicit-def: $vgpr102
                                        ; implicit-def: $vgpr114
.LBB87_47:                              ;   in Loop: Header=BB87_5 Depth=1
	s_andn2_saveexec_b64 s[6:7], s[16:17]
	s_cbranch_execz .LBB87_3
; %bb.48:                               ;   in Loop: Header=BB87_5 Depth=1
	v_readlane_b32 s0, v134, 19
	v_readlane_b32 s1, v134, 20
	s_mov_b32 s0, s58
	v_mul_f64 v[8:9], v[4:5], s[0:1]
	v_rndne_f64_e32 v[10:11], v[8:9]
	s_mov_b32 s60, s52
	v_fma_f64 v[4:5], v[10:11], s[60:61], -v[4:5]
	s_mov_b32 s62, s54
	v_fmac_f64_e32 v[4:5], s[62:63], v[10:11]
	v_pk_mov_b32 v[8:9], v[30:31], v[30:31] op_sel:[0,1]
	v_fmac_f64_e32 v[8:9], s[66:67], v[4:5]
	v_pk_mov_b32 v[74:75], v[32:33], v[32:33] op_sel:[0,1]
	;; [unrolled: 2-line block ×9, first 2 shown]
	v_fmac_f64_e32 v[76:77], v[4:5], v[74:75]
	v_fma_f64 v[74:75], v[4:5], v[76:77], 1.0
	s_mov_b32 s0, 0xe400
	v_fma_f64 v[4:5], v[4:5], v[74:75], 1.0
	v_cvt_i32_f64_e32 v7, v[10:11]
	v_cmp_ngt_f16_e32 vcc, s0, v6
	s_movk_i32 s0, 0x6433
	s_mov_b32 s13, s1
	v_ldexp_f64 v[4:5], v[4:5], v7
	v_cmp_nlt_f16_e64 s[0:1], s0, v6
	v_mov_b32_e32 v8, 0
	v_cndmask_b32_e32 v5, v93, v5, vcc
	s_and_b64 vcc, s[0:1], vcc
	v_writelane_b32 v134, s12, 19
	v_mov_b32_e32 v9, 0x3ff00000
	v_mov_b32_e32 v78, 0
	v_cndmask_b32_e64 v11, 0, v5, s[0:1]
	v_cndmask_b32_e32 v10, 0, v4, vcc
	s_mov_b32 s14, -1
	s_mov_b64 s[0:1], 0
	v_mov_b32_e32 v79, v17
	v_writelane_b32 v134, s13, 20
	s_branch .LBB87_50
.LBB87_49:                              ;   in Loop: Header=BB87_50 Depth=2
	s_or_b64 exec, exec, s[12:13]
	v_cmp_eq_u32_e32 vcc, 1, v15
	v_cndmask_b32_e32 v0, v0, v1, vcc
	v_cmp_eq_u32_e32 vcc, 2, v15
	v_cndmask_b32_e32 v0, v0, v2, vcc
	;; [unrolled: 2-line block ×6, first 2 shown]
	v_lshrrev_b32_e32 v0, 11, v0
	v_cvt_f64_u32_e32 v[0:1], v0
	v_ldexp_f64 v[0:1], v[0:1], 32
	v_cvt_f64_u32_e32 v[2:3], v2
	v_add_f64 v[0:1], v[0:1], v[2:3]
	v_mov_b32_e32 v2, 0
	v_mov_b32_e32 v3, 0x3ca00000
	v_fmac_f64_e32 v[2:3], 0x3ca00000, v[0:1]
	v_mul_f64 v[8:9], v[8:9], v[2:3]
	v_cmp_ngt_f64_e32 vcc, v[8:9], v[10:11]
	s_add_i32 s14, s14, 1
	s_or_b64 s[0:1], vcc, s[0:1]
	v_mov_b32_e32 v75, s14
	v_mov_b32_e32 v15, v81
	;; [unrolled: 1-line block ×6, first 2 shown]
	s_andn2_b64 exec, exec, s[0:1]
	s_cbranch_execz .LBB87_2
.LBB87_50:                              ;   Parent Loop BB87_5 Depth=1
                                        ; =>  This Inner Loop Header: Depth=2
	v_add_u32_e32 v80, 1, v15
	v_pk_mov_b32 v[6:7], v[2:3], v[2:3] op_sel:[0,1]
	v_cmp_eq_u32_e32 vcc, 4, v80
	v_pk_mov_b32 v[4:5], v[0:1], v[0:1] op_sel:[0,1]
	v_mov_b32_e32 v77, v0
	v_mov_b32_e32 v76, v1
	;; [unrolled: 1-line block ×4, first 2 shown]
	s_and_saveexec_b64 s[12:13], vcc
	s_cbranch_execz .LBB87_52
; %bb.51:                               ;   in Loop: Header=BB87_50 Depth=2
	v_add_co_u32_e32 v96, vcc, 1, v96
	v_cndmask_b32_e64 v4, 0, 1, vcc
	v_addc_co_u32_e32 v97, vcc, 0, v97, vcc
	v_cmp_eq_u32_e32 vcc, 0, v97
	v_cndmask_b32_e32 v4, 0, v4, vcc
	v_add_u32_e32 v79, v4, v79
	v_cmp_eq_u32_e32 vcc, 0, v79
	v_cndmask_b32_e32 v4, 0, v4, vcc
	v_add_u32_e32 v78, v4, v78
	v_mad_u64_u32 v[4:5], s[16:17], v96, s9, 0
	v_mad_u64_u32 v[6:7], s[16:17], v79, s8, 0
	v_xor_b32_e32 v5, v5, v73
	v_xor_b32_e32 v7, v7, v72
	v_xor_b32_e32 v5, v78, v5
	v_xor_b32_e32 v7, v97, v7
	v_mad_u64_u32 v[76:77], s[16:17], v5, s8, 0
	v_mad_u64_u32 v[74:75], s[16:17], v7, s9, 0
	v_xor_b32_e32 v5, v98, v77
	v_xor_b32_e32 v5, v5, v6
	v_xor_b32_e32 v6, v99, v75
	v_xor_b32_e32 v6, v6, v4
	v_mad_u64_u32 v[4:5], s[16:17], v5, s9, 0
	v_mad_u64_u32 v[6:7], s[16:17], v6, s8, 0
	v_xor_b32_e32 v5, v101, v5
	v_xor_b32_e32 v7, v100, v7
	v_xor_b32_e32 v5, v5, v74
	v_xor_b32_e32 v7, v7, v76
	v_mad_u64_u32 v[76:77], s[16:17], v5, s8, 0
	v_mad_u64_u32 v[74:75], s[16:17], v7, s9, 0
	v_xor_b32_e32 v5, v103, v77
	v_xor_b32_e32 v5, v5, v6
	v_xor_b32_e32 v6, v104, v75
	v_xor_b32_e32 v6, v6, v4
	v_mad_u64_u32 v[4:5], s[16:17], v5, s9, 0
	v_mad_u64_u32 v[6:7], s[16:17], v6, s8, 0
	v_xor_b32_e32 v5, v107, v5
	v_xor_b32_e32 v7, v106, v7
	v_xor_b32_e32 v5, v5, v74
	v_xor_b32_e32 v7, v7, v76
	v_mad_u64_u32 v[76:77], s[16:17], v5, s8, 0
	v_mad_u64_u32 v[74:75], s[16:17], v7, s9, 0
	v_xor_b32_e32 v5, v108, v77
	v_xor_b32_e32 v5, v5, v6
	v_xor_b32_e32 v6, v109, v75
	v_xor_b32_e32 v6, v6, v4
	v_mad_u64_u32 v[4:5], s[16:17], v5, s9, 0
	v_mad_u64_u32 v[6:7], s[16:17], v6, s8, 0
	v_xor_b32_e32 v5, v111, v5
	v_xor_b32_e32 v7, v110, v7
	v_xor_b32_e32 v5, v5, v74
	v_xor_b32_e32 v7, v7, v76
	v_mad_u64_u32 v[76:77], s[16:17], v5, s8, 0
	v_mad_u64_u32 v[74:75], s[16:17], v7, s9, 0
	v_xor_b32_e32 v5, v112, v77
	v_xor_b32_e32 v5, v5, v6
	v_xor_b32_e32 v6, v113, v75
	v_xor_b32_e32 v4, v6, v4
	v_mad_u64_u32 v[6:7], s[16:17], v5, s9, 0
	v_mad_u64_u32 v[4:5], s[16:17], v4, s8, 0
	v_xor_b32_e32 v5, v102, v5
	v_xor_b32_e32 v7, v114, v7
	v_xor_b32_e32 v5, v5, v76
	v_xor_b32_e32 v7, v7, v74
	v_mad_u64_u32 v[74:75], s[16:17], v5, s9, 0
	v_mad_u64_u32 v[76:77], s[16:17], v7, s8, 0
	v_xor_b32_e32 v4, v77, v4
	v_xor_b32_e32 v5, v75, v6
	v_xor_b32_e32 v4, v105, v4
	v_xor_b32_e32 v6, v95, v5
	v_mov_b32_e32 v80, 0
	v_mov_b32_e32 v5, v76
	;; [unrolled: 1-line block ×5, first 2 shown]
.LBB87_52:                              ;   in Loop: Header=BB87_50 Depth=2
	s_or_b64 exec, exec, s[12:13]
	v_add_u32_e32 v81, 1, v80
	v_cmp_eq_u32_e32 vcc, 4, v81
	s_and_saveexec_b64 s[12:13], vcc
	s_cbranch_execz .LBB87_49
; %bb.53:                               ;   in Loop: Header=BB87_50 Depth=2
	v_add_co_u32_e32 v96, vcc, 1, v96
	v_cndmask_b32_e64 v74, 0, 1, vcc
	v_addc_co_u32_e32 v97, vcc, 0, v97, vcc
	v_cmp_eq_u32_e32 vcc, 0, v97
	v_cndmask_b32_e32 v74, 0, v74, vcc
	v_add_u32_e32 v79, v74, v79
	v_cmp_eq_u32_e32 vcc, 0, v79
	v_cndmask_b32_e32 v74, 0, v74, vcc
	v_add_u32_e32 v78, v74, v78
	v_mad_u64_u32 v[74:75], s[16:17], v96, s9, 0
	v_mad_u64_u32 v[76:77], s[16:17], v79, s8, 0
	v_xor_b32_e32 v75, v75, v73
	v_xor_b32_e32 v77, v77, v72
	v_xor_b32_e32 v75, v78, v75
	v_xor_b32_e32 v77, v97, v77
	v_mad_u64_u32 v[84:85], s[16:17], v75, s8, 0
	v_mad_u64_u32 v[82:83], s[16:17], v77, s9, 0
	v_xor_b32_e32 v75, v98, v85
	v_xor_b32_e32 v75, v75, v76
	v_xor_b32_e32 v76, v99, v83
	v_xor_b32_e32 v76, v76, v74
	;; [unrolled: 6-line block ×9, first 2 shown]
	v_mad_u64_u32 v[74:75], s[16:17], v74, s9, 0
	v_mad_u64_u32 v[76:77], s[16:17], v76, s8, 0
	v_xor_b32_e32 v77, v77, v116
	v_xor_b32_e32 v75, v75, v86
	v_mov_b32_e32 v81, 0
	v_xor_b32_e32 v77, v105, v77
	v_xor_b32_e32 v82, v95, v75
	s_branch .LBB87_49
.LBB87_54:
	s_or_b64 exec, exec, s[18:19]
	s_and_saveexec_b64 s[0:1], s[34:35]
	s_xor_b64 s[0:1], exec, s[0:1]
	s_cbranch_execnz .LBB87_56
.LBB87_55:
	s_endpgm
.LBB87_56:
	s_trap 2
	; divergent unreachable
	s_endpgm
	.section	.rodata,"a",@progbits
	.p2align	6, 0x0
	.amdhsa_kernel _ZN2at4cuda12_GLOBAL__N_121kernelPointwiseApply2IZN12_GLOBAL__N_119poisson_cuda_kernelIN3c104HalfEEEvRKNS_10TensorBaseES9_NS_15PhiloxCudaStateEEUlRS6_RKS6_E_S6_S6_jLin1ELin1ELi1ELi512ELi2EEEvNS0_6detail10TensorInfoIT0_T2_EENSG_IT1_SI_EESI_T_
		.amdhsa_group_segment_fixed_size 0
		.amdhsa_private_segment_fixed_size 0
		.amdhsa_kernarg_size 728
		.amdhsa_user_sgpr_count 6
		.amdhsa_user_sgpr_private_segment_buffer 1
		.amdhsa_user_sgpr_dispatch_ptr 0
		.amdhsa_user_sgpr_queue_ptr 0
		.amdhsa_user_sgpr_kernarg_segment_ptr 1
		.amdhsa_user_sgpr_dispatch_id 0
		.amdhsa_user_sgpr_flat_scratch_init 0
		.amdhsa_user_sgpr_kernarg_preload_length 0
		.amdhsa_user_sgpr_kernarg_preload_offset 0
		.amdhsa_user_sgpr_private_segment_size 0
		.amdhsa_uses_dynamic_stack 0
		.amdhsa_system_sgpr_private_segment_wavefront_offset 0
		.amdhsa_system_sgpr_workgroup_id_x 1
		.amdhsa_system_sgpr_workgroup_id_y 0
		.amdhsa_system_sgpr_workgroup_id_z 0
		.amdhsa_system_sgpr_workgroup_info 0
		.amdhsa_system_vgpr_workitem_id 0
		.amdhsa_next_free_vgpr 135
		.amdhsa_next_free_sgpr 96
		.amdhsa_accum_offset 136
		.amdhsa_reserve_vcc 1
		.amdhsa_reserve_flat_scratch 0
		.amdhsa_float_round_mode_32 0
		.amdhsa_float_round_mode_16_64 0
		.amdhsa_float_denorm_mode_32 3
		.amdhsa_float_denorm_mode_16_64 3
		.amdhsa_dx10_clamp 1
		.amdhsa_ieee_mode 1
		.amdhsa_fp16_overflow 0
		.amdhsa_tg_split 0
		.amdhsa_exception_fp_ieee_invalid_op 0
		.amdhsa_exception_fp_denorm_src 0
		.amdhsa_exception_fp_ieee_div_zero 0
		.amdhsa_exception_fp_ieee_overflow 0
		.amdhsa_exception_fp_ieee_underflow 0
		.amdhsa_exception_fp_ieee_inexact 0
		.amdhsa_exception_int_div_zero 0
	.end_amdhsa_kernel
	.section	.text._ZN2at4cuda12_GLOBAL__N_121kernelPointwiseApply2IZN12_GLOBAL__N_119poisson_cuda_kernelIN3c104HalfEEEvRKNS_10TensorBaseES9_NS_15PhiloxCudaStateEEUlRS6_RKS6_E_S6_S6_jLin1ELin1ELi1ELi512ELi2EEEvNS0_6detail10TensorInfoIT0_T2_EENSG_IT1_SI_EESI_T_,"axG",@progbits,_ZN2at4cuda12_GLOBAL__N_121kernelPointwiseApply2IZN12_GLOBAL__N_119poisson_cuda_kernelIN3c104HalfEEEvRKNS_10TensorBaseES9_NS_15PhiloxCudaStateEEUlRS6_RKS6_E_S6_S6_jLin1ELin1ELi1ELi512ELi2EEEvNS0_6detail10TensorInfoIT0_T2_EENSG_IT1_SI_EESI_T_,comdat
.Lfunc_end87:
	.size	_ZN2at4cuda12_GLOBAL__N_121kernelPointwiseApply2IZN12_GLOBAL__N_119poisson_cuda_kernelIN3c104HalfEEEvRKNS_10TensorBaseES9_NS_15PhiloxCudaStateEEUlRS6_RKS6_E_S6_S6_jLin1ELin1ELi1ELi512ELi2EEEvNS0_6detail10TensorInfoIT0_T2_EENSG_IT1_SI_EESI_T_, .Lfunc_end87-_ZN2at4cuda12_GLOBAL__N_121kernelPointwiseApply2IZN12_GLOBAL__N_119poisson_cuda_kernelIN3c104HalfEEEvRKNS_10TensorBaseES9_NS_15PhiloxCudaStateEEUlRS6_RKS6_E_S6_S6_jLin1ELin1ELi1ELi512ELi2EEEvNS0_6detail10TensorInfoIT0_T2_EENSG_IT1_SI_EESI_T_
                                        ; -- End function
	.section	.AMDGPU.csdata,"",@progbits
; Kernel info:
; codeLenInByte = 13924
; NumSgprs: 100
; NumVgprs: 135
; NumAgprs: 0
; TotalNumVgprs: 135
; ScratchSize: 0
; MemoryBound: 0
; FloatMode: 240
; IeeeMode: 1
; LDSByteSize: 0 bytes/workgroup (compile time only)
; SGPRBlocks: 12
; VGPRBlocks: 16
; NumSGPRsForWavesPerEU: 100
; NumVGPRsForWavesPerEU: 135
; AccumOffset: 136
; Occupancy: 3
; WaveLimiterHint : 1
; COMPUTE_PGM_RSRC2:SCRATCH_EN: 0
; COMPUTE_PGM_RSRC2:USER_SGPR: 6
; COMPUTE_PGM_RSRC2:TRAP_HANDLER: 0
; COMPUTE_PGM_RSRC2:TGID_X_EN: 1
; COMPUTE_PGM_RSRC2:TGID_Y_EN: 0
; COMPUTE_PGM_RSRC2:TGID_Z_EN: 0
; COMPUTE_PGM_RSRC2:TIDIG_COMP_CNT: 0
; COMPUTE_PGM_RSRC3_GFX90A:ACCUM_OFFSET: 33
; COMPUTE_PGM_RSRC3_GFX90A:TG_SPLIT: 0
	.section	.text._ZN2at4cuda12_GLOBAL__N_121kernelPointwiseApply2IZN12_GLOBAL__N_119poisson_cuda_kernelIN3c104HalfEEEvRKNS_10TensorBaseES9_NS_15PhiloxCudaStateEEUlRS6_RKS6_E_S6_S6_mLi1ELi1ELi1ELi512ELi2EEEvNS0_6detail10TensorInfoIT0_T2_EENSG_IT1_SI_EESI_T_,"axG",@progbits,_ZN2at4cuda12_GLOBAL__N_121kernelPointwiseApply2IZN12_GLOBAL__N_119poisson_cuda_kernelIN3c104HalfEEEvRKNS_10TensorBaseES9_NS_15PhiloxCudaStateEEUlRS6_RKS6_E_S6_S6_mLi1ELi1ELi1ELi512ELi2EEEvNS0_6detail10TensorInfoIT0_T2_EENSG_IT1_SI_EESI_T_,comdat
	.globl	_ZN2at4cuda12_GLOBAL__N_121kernelPointwiseApply2IZN12_GLOBAL__N_119poisson_cuda_kernelIN3c104HalfEEEvRKNS_10TensorBaseES9_NS_15PhiloxCudaStateEEUlRS6_RKS6_E_S6_S6_mLi1ELi1ELi1ELi512ELi2EEEvNS0_6detail10TensorInfoIT0_T2_EENSG_IT1_SI_EESI_T_ ; -- Begin function _ZN2at4cuda12_GLOBAL__N_121kernelPointwiseApply2IZN12_GLOBAL__N_119poisson_cuda_kernelIN3c104HalfEEEvRKNS_10TensorBaseES9_NS_15PhiloxCudaStateEEUlRS6_RKS6_E_S6_S6_mLi1ELi1ELi1ELi512ELi2EEEvNS0_6detail10TensorInfoIT0_T2_EENSG_IT1_SI_EESI_T_
	.p2align	8
	.type	_ZN2at4cuda12_GLOBAL__N_121kernelPointwiseApply2IZN12_GLOBAL__N_119poisson_cuda_kernelIN3c104HalfEEEvRKNS_10TensorBaseES9_NS_15PhiloxCudaStateEEUlRS6_RKS6_E_S6_S6_mLi1ELi1ELi1ELi512ELi2EEEvNS0_6detail10TensorInfoIT0_T2_EENSG_IT1_SI_EESI_T_,@function
_ZN2at4cuda12_GLOBAL__N_121kernelPointwiseApply2IZN12_GLOBAL__N_119poisson_cuda_kernelIN3c104HalfEEEvRKNS_10TensorBaseES9_NS_15PhiloxCudaStateEEUlRS6_RKS6_E_S6_S6_mLi1ELi1ELi1ELi512ELi2EEEvNS0_6detail10TensorInfoIT0_T2_EENSG_IT1_SI_EESI_T_: ; @_ZN2at4cuda12_GLOBAL__N_121kernelPointwiseApply2IZN12_GLOBAL__N_119poisson_cuda_kernelIN3c104HalfEEEvRKNS_10TensorBaseES9_NS_15PhiloxCudaStateEEUlRS6_RKS6_E_S6_S6_mLi1ELi1ELi1ELi512ELi2EEEvNS0_6detail10TensorInfoIT0_T2_EENSG_IT1_SI_EESI_T_
; %bb.0:
	s_load_dword s2, s[4:5], 0x374
	s_load_dwordx8 s[8:15], s[4:5], 0x340
                                        ; implicit-def: $vgpr132 : SGPR spill to VGPR lane
	s_add_u32 s0, s4, 0x368
	s_addc_u32 s1, s5, 0
	v_mov_b32_e32 v13, 0
	s_waitcnt lgkmcnt(0)
	s_and_b32 s2, s2, 0xffff
	v_writelane_b32 v132, s8, 0
	v_writelane_b32 v132, s9, 1
	;; [unrolled: 1-line block ×4, first 2 shown]
	s_mul_i32 s6, s6, s2
	v_writelane_b32 v132, s12, 4
	v_add_u32_e32 v12, s6, v0
	v_writelane_b32 v132, s13, 5
	v_writelane_b32 v132, s14, 6
	v_cmp_gt_u64_e32 vcc, s[8:9], v[12:13]
	v_writelane_b32 v132, s15, 7
	s_and_saveexec_b64 s[6:7], vcc
	s_cbranch_execz .LBB88_46
; %bb.1:
	s_getpc_b64 s[6:7]
	s_add_u32 s6, s6, .str@rel32@lo+4
	s_addc_u32 s7, s7, .str@rel32@hi+12
	s_cmp_eq_u64 s[6:7], 0
	s_mov_b64 s[6:7], 0
	s_cbranch_scc1 .LBB88_47
; %bb.2:
	s_load_dword s3, s[4:5], 0x360
	s_load_dwordx2 s[8:9], s[4:5], 0x0
	s_mov_b32 s33, 0xcd9e8d57
                                        ; kill: killed $sgpr0 killed $sgpr1
	s_mov_b32 s14, 0
	s_mov_b32 s36, 0x55555555
	s_waitcnt lgkmcnt(0)
	s_bitcmp1_b32 s3, 0
	v_writelane_b32 v132, s8, 8
	v_writelane_b32 v132, s9, 9
	s_load_dwordx2 s[8:9], s[4:5], 0xd0
	s_mov_b32 s38, 0x6b47b09a
	s_mov_b32 s40, 0xbf559e2b
	;; [unrolled: 1-line block ×4, first 2 shown]
	s_waitcnt lgkmcnt(0)
	v_writelane_b32 v132, s8, 10
	v_writelane_b32 v132, s9, 11
	s_load_dwordx2 s[12:13], s[4:5], 0x1a0
	s_load_dwordx2 s[8:9], s[4:5], 0x270
	s_mov_b32 s46, 0x9b27acf1
	s_mov_b32 s48, 0x998ef7b6
	;; [unrolled: 1-line block ×4, first 2 shown]
	s_waitcnt lgkmcnt(0)
	v_writelane_b32 v132, s8, 12
	v_writelane_b32 v132, s9, 13
	s_load_dword s8, s[0:1], 0x0
	v_mad_u64_u32 v[14:15], s[0:1], v12, s33, 0
	s_mov_b32 s58, 0x652b82fe
	s_mov_b32 s64, 0x6a5dcb37
	s_waitcnt lgkmcnt(0)
	s_mul_i32 s0, s8, s2
	v_writelane_b32 v132, s0, 14
	s_cselect_b64 s[0:1], -1, 0
	v_cndmask_b32_e64 v0, 0, 1, s[0:1]
	v_writelane_b32 v132, s12, 15
	v_writelane_b32 v132, s13, 16
	v_cmp_ne_u32_e64 s[0:1], 1, v0
	v_writelane_b32 v132, s0, 17
	s_mov_b32 s70, 0
	s_mov_b32 s72, 0x8f3faeef
	;; [unrolled: 1-line block ×4, first 2 shown]
	v_pk_mov_b32 v[72:73], v[12:13], v[12:13] op_sel:[0,1]
	v_mov_b32_e32 v13, s13
	s_mov_b32 s78, 0
	v_writelane_b32 v132, s1, 18
	s_mov_b32 s80, 0x992b2855
	s_mov_b32 s82, 0
	;; [unrolled: 1-line block ×7, first 2 shown]
	s_movk_i32 s12, 0xf950
	s_mov_b32 s66, 0xc864beb5
	s_mov_b32 s68, 0
	;; [unrolled: 1-line block ×4, first 2 shown]
	v_mov_b32_e32 v16, 0
	v_mov_b32_e32 v18, v15
	s_mov_b32 s8, 0xd2511f53
	s_mov_b32 s15, 0x40080000
	;; [unrolled: 1-line block ×12, first 2 shown]
	s_movk_i32 s11, 0x204
	s_mov_b32 s59, 0x3ff71547
	s_mov_b32 s61, 0xbfe62e42
	;; [unrolled: 1-line block ×8, first 2 shown]
	v_mov_b32_e32 v20, 0x6b47b09a
	v_mov_b32_e32 v22, 0xd7f4df2e
	;; [unrolled: 1-line block ×28, first 2 shown]
	s_mov_b32 s10, 0x646e171e
	v_mov_b32_e32 v90, 0x3ff00000
	v_mov_b32_e32 v91, 0x7ff80000
	s_mov_b32 s9, 0x1fd5c5a3
	v_mov_b32_e32 v92, 0xfff00000
	v_mov_b32_e32 v93, 0x7ff00000
	;; [unrolled: 1-line block ×28, first 2 shown]
	s_mov_b32 s79, 0x40180000
	s_mov_b32 s81, 0xbfc1bcb2
	;; [unrolled: 1-line block ×12, first 2 shown]
	v_writelane_b32 v132, s0, 19
                                        ; kill: killed $sgpr4 killed $sgpr5
	v_writelane_b32 v132, s1, 20
                                        ; implicit-def: $sgpr94_sgpr95
                                        ; implicit-def: $sgpr20_sgpr21
                                        ; implicit-def: $sgpr16_sgpr17
	s_branch .LBB88_6
.LBB88_3:                               ;   in Loop: Header=BB88_6 Depth=1
	s_or_b64 exec, exec, s[18:19]
.LBB88_4:                               ;   in Loop: Header=BB88_6 Depth=1
	s_or_b64 exec, exec, s[4:5]
	v_readlane_b32 s4, v132, 10
	v_readlane_b32 s5, v132, 11
	v_mul_lo_u32 v2, v73, s4
	v_mul_lo_u32 v3, v72, s5
	v_mad_u64_u32 v[0:1], s[4:5], v72, s4, 0
	v_add3_u32 v1, v1, v3, v2
	v_cvt_f32_u32_e32 v2, v77
	v_cndmask_b32_e64 v1, 0, v1, s[2:3]
	v_cndmask_b32_e64 v0, 0, v0, s[2:3]
	v_readlane_b32 s2, v132, 8
	v_cvt_f16_f32_e32 v2, v2
	v_lshlrev_b64 v[0:1], 1, v[0:1]
	v_readlane_b32 s3, v132, 9
	v_mov_b32_e32 v3, s3
	v_add_co_u32_e32 v0, vcc, s2, v0
	v_addc_co_u32_e32 v1, vcc, v3, v1, vcc
	s_mov_b32 s2, 0
	global_store_short v[0:1], v2, off
	v_mov_b32_e32 v0, s2
	v_readlane_b32 s2, v132, 14
	v_add_co_u32_e32 v72, vcc, s2, v72
	v_readlane_b32 s24, v132, 0
	v_addc_co_u32_e32 v73, vcc, v73, v0, vcc
	v_readlane_b32 s25, v132, 1
	v_cmp_le_u64_e32 vcc, s[24:25], v[72:73]
	s_andn2_b64 s[2:3], s[20:21], exec
	s_and_b64 s[4:5], vcc, exec
	s_andn2_b64 s[16:17], s[16:17], exec
	s_or_b64 s[20:21], s[2:3], s[4:5]
	v_readlane_b32 s26, v132, 2
	v_readlane_b32 s27, v132, 3
	;; [unrolled: 1-line block ×6, first 2 shown]
.LBB88_5:                               ;   in Loop: Header=BB88_6 Depth=1
	s_or_b64 exec, exec, s[0:1]
	s_and_b64 s[0:1], exec, s[20:21]
	s_or_b64 s[6:7], s[0:1], s[6:7]
	s_andn2_b64 s[0:1], s[94:95], exec
	s_and_b64 s[2:3], s[16:17], exec
	s_or_b64 s[94:95], s[0:1], s[2:3]
	s_andn2_b64 exec, exec, s[6:7]
	s_cbranch_execz .LBB88_45
.LBB88_6:                               ; =>This Loop Header: Depth=1
                                        ;     Child Loop BB88_12 Depth 2
                                        ;     Child Loop BB88_41 Depth 2
	v_readlane_b32 s0, v132, 12
	v_readlane_b32 s24, v132, 0
	;; [unrolled: 1-line block ×3, first 2 shown]
	v_sub_u32_e32 v2, s24, v72
	v_mul_lo_u32 v3, v73, s0
	v_mul_lo_u32 v4, v72, s1
	v_mad_u64_u32 v[0:1], s[0:1], v72, s0, 0
	v_add3_u32 v1, v1, v4, v3
	v_cmp_lt_i32_e64 s[2:3], 0, v2
	v_cndmask_b32_e64 v1, 0, v1, s[2:3]
	v_cndmask_b32_e64 v0, 0, v0, s[2:3]
	v_lshlrev_b64 v[0:1], 1, v[0:1]
	v_readlane_b32 s0, v132, 15
	v_add_co_u32_e32 v0, vcc, s0, v0
	v_addc_co_u32_e32 v1, vcc, v13, v1, vcc
	global_load_ushort v6, v[0:1], off
	v_readlane_b32 s1, v132, 16
	s_or_b64 s[16:17], s[16:17], exec
	s_or_b64 s[20:21], s[20:21], exec
	v_readlane_b32 s25, v132, 1
	v_readlane_b32 s26, v132, 2
	;; [unrolled: 1-line block ×7, first 2 shown]
	s_waitcnt vmcnt(0)
	v_cmp_le_f16_e32 vcc, 0, v6
	s_and_saveexec_b64 s[0:1], vcc
	s_cbranch_execz .LBB88_5
; %bb.7:                                ;   in Loop: Header=BB88_6 Depth=1
	v_readlane_b32 s4, v132, 17
	v_readlane_b32 s24, v132, 0
	;; [unrolled: 1-line block ×7, first 2 shown]
	s_and_b64 vcc, exec, s[4:5]
	v_pk_mov_b32 v[0:1], s[28:29], s[28:29] op_sel:[0,1]
	v_pk_mov_b32 v[74:75], s[26:27], s[26:27] op_sel:[0,1]
	v_readlane_b32 s25, v132, 1
	v_readlane_b32 s30, v132, 6
	;; [unrolled: 1-line block ×3, first 2 shown]
	s_cbranch_vccnz .LBB88_9
; %bb.8:                                ;   in Loop: Header=BB88_6 Depth=1
	v_readlane_b32 s24, v132, 0
	v_readlane_b32 s28, v132, 4
	;; [unrolled: 1-line block ×3, first 2 shown]
	v_pk_mov_b32 v[0:1], s[28:29], s[28:29] op_sel:[0,1]
	v_readlane_b32 s26, v132, 2
	v_readlane_b32 s27, v132, 3
	flat_load_dwordx2 v[0:1], v[0:1]
	v_pk_mov_b32 v[2:3], s[26:27], s[26:27] op_sel:[0,1]
	flat_load_dwordx2 v[74:75], v[2:3]
	v_readlane_b32 s30, v132, 6
	v_readlane_b32 s31, v132, 7
	v_mov_b32_e32 v2, s31
	v_readlane_b32 s25, v132, 1
	s_waitcnt vmcnt(0) lgkmcnt(0)
	v_add_co_u32_e32 v0, vcc, s30, v0
	v_addc_co_u32_e32 v1, vcc, v1, v2, vcc
.LBB88_9:                               ;   in Loop: Header=BB88_6 Depth=1
	v_alignbit_b32 v95, v1, v0, 2
	v_and_b32_e32 v17, 3, v0
	v_lshrrev_b32_e32 v96, 2, v1
	v_mad_u64_u32 v[0:1], s[4:5], v95, s8, 0
	v_xor_b32_e32 v3, v18, v74
	v_mov_b32_e32 v2, v75
	v_xor_b32_e32 v1, v1, v75
	s_mov_b32 s4, 0xbb67ae85
	v_xor_b32_e32 v3, v3, v96
	v_add_co_u32_e32 v98, vcc, s4, v2
	v_mad_u64_u32 v[4:5], s[4:5], v3, s8, 0
	v_mad_u64_u32 v[8:9], s[4:5], v1, s33, 0
	v_add_co_u32_e32 v97, vcc, 0x9e3779b9, v74
	v_xor_b32_e32 v1, v14, v9
	v_xor_b32_e32 v3, v98, v5
	s_mov_b32 s4, 0x3c6ef372
	v_xor_b32_e32 v1, v1, v97
	v_xor_b32_e32 v3, v3, v0
	v_add_co_u32_e32 v99, vcc, s4, v74
	s_mov_b32 s4, 0x76cf5d0a
	v_add_co_u32_e32 v100, vcc, s4, v2
	v_mad_u64_u32 v[0:1], s[4:5], v1, s8, 0
	v_mad_u64_u32 v[10:11], s[4:5], v3, s33, 0
	v_xor_b32_e32 v3, v99, v11
	v_xor_b32_e32 v1, v100, v1
	s_mov_b32 s4, 0xdaa66d2b
	v_xor_b32_e32 v3, v3, v8
	v_xor_b32_e32 v1, v1, v4
	v_add_co_u32_e32 v102, vcc, s4, v74
	s_mov_b32 s4, 0x32370b8f
	v_add_co_u32_e32 v104, vcc, s4, v2
	v_mad_u64_u32 v[4:5], s[4:5], v3, s8, 0
	v_mad_u64_u32 v[8:9], s[4:5], v1, s33, 0
	;; [unrolled: 10-line block ×4, first 2 shown]
	v_xor_b32_e32 v1, v107, v9
	v_xor_b32_e32 v3, v108, v5
	;; [unrolled: 1-line block ×4, first 2 shown]
	s_mov_b32 s4, 0xb54cda56
	v_add_co_u32_e32 v109, vcc, s4, v74
	v_add_co_u32_e32 v110, vcc, s10, v2
	v_mad_u64_u32 v[0:1], s[4:5], v1, s8, 0
	v_mad_u64_u32 v[10:11], s[4:5], v3, s33, 0
	v_xor_b32_e32 v3, v109, v11
	v_xor_b32_e32 v1, v110, v1
	;; [unrolled: 1-line block ×4, first 2 shown]
	s_mov_b32 s4, 0x5384540f
	v_add_co_u32_e32 v111, vcc, s4, v74
	v_add_co_u32_e32 v112, vcc, s9, v2
	v_mad_u64_u32 v[4:5], s[4:5], v3, s8, 0
	v_mad_u64_u32 v[8:9], s[4:5], v1, s33, 0
	v_xor_b32_e32 v1, v111, v9
	v_xor_b32_e32 v3, v112, v5
	s_mov_b32 s4, 0xf1bbcdc8
	v_xor_b32_e32 v1, v1, v10
	v_xor_b32_e32 v0, v3, v0
	v_add_co_u32_e32 v101, vcc, s4, v74
	s_mov_b32 s4, 0xdb3d7428
	v_add_co_u32_e32 v113, vcc, s4, v2
	v_mad_u64_u32 v[2:3], s[4:5], v1, s8, 0
	v_mad_u64_u32 v[0:1], s[4:5], v0, s33, 0
	v_xor_b32_e32 v1, v101, v1
	v_xor_b32_e32 v1, v1, v8
	;; [unrolled: 1-line block ×4, first 2 shown]
	v_mad_u64_u32 v[4:5], s[4:5], v1, s8, 0
	v_mov_b32_e32 v3, v4
	v_cvt_f32_f16_e32 v4, v6
	v_mad_u64_u32 v[8:9], s[4:5], v7, s33, 0
	v_add_u32_e32 v103, 0x8ff34781, v74
	v_add_u32_e32 v94, 0x96a522ad, v75
	v_xor_b32_e32 v0, v9, v0
	v_xor_b32_e32 v2, v5, v2
	s_movk_i32 s4, 0x5400
	v_mov_b32_e32 v1, v8
	v_xor_b32_e32 v0, v103, v0
	v_xor_b32_e32 v2, v94, v2
	v_cvt_f64_f32_e32 v[4:5], v4
	v_cmp_ngt_f16_e32 vcc, s4, v6
                                        ; implicit-def: $vgpr77
	s_and_saveexec_b64 s[4:5], vcc
	s_xor_b64 s[26:27], exec, s[4:5]
	s_cbranch_execz .LBB88_38
; %bb.10:                               ;   in Loop: Header=BB88_6 Depth=1
	s_movk_i32 s4, 0x6bd0
	v_cmp_ge_f16_e32 vcc, s4, v6
                                        ; implicit-def: $vgpr77
	s_and_saveexec_b64 s[4:5], vcc
	s_xor_b64 s[24:25], exec, s[4:5]
	s_cbranch_execz .LBB88_25
; %bb.11:                               ;   in Loop: Header=BB88_6 Depth=1
	s_mov_b32 s18, 0xae147ae1
	s_mov_b32 s19, 0xc00ae147
	v_div_scale_f64 v[6:7], s[4:5], v[4:5], v[4:5], s[18:19]
	v_rcp_f64_e32 v[8:9], v[6:7]
	s_mov_b32 s4, 0
	v_mul_f64 v[78:79], v[4:5], s[14:15]
	s_brev_b32 s5, 8
	v_cmp_gt_f64_e64 s[4:5], s[4:5], v[78:79]
	v_cndmask_b32_e64 v80, 0, 1, s[4:5]
	v_fma_f64 v[76:77], -v[6:7], v[8:9], 1.0
	v_lshlrev_b32_e32 v80, 8, v80
	v_fmac_f64_e32 v[8:9], v[8:9], v[76:77]
	v_ldexp_f64 v[78:79], v[78:79], v80
	v_fma_f64 v[76:77], -v[6:7], v[8:9], 1.0
	v_rsq_f64_e32 v[80:81], v[78:79]
	v_div_scale_f64 v[10:11], vcc, s[18:19], v[4:5], s[18:19]
	v_fmac_f64_e32 v[8:9], v[8:9], v[76:77]
	v_mul_f64 v[76:77], v[10:11], v[8:9]
	v_fma_f64 v[6:7], -v[6:7], v[76:77], v[10:11]
	s_nop 0
	v_div_fmas_f64 v[6:7], v[6:7], v[8:9], v[76:77]
	v_mul_f64 v[8:9], v[78:79], v[80:81]
	v_mul_f64 v[10:11], v[80:81], 0.5
	v_fma_f64 v[76:77], -v[10:11], v[8:9], 0.5
	v_fmac_f64_e32 v[8:9], v[8:9], v[76:77]
	v_fma_f64 v[80:81], -v[8:9], v[8:9], v[78:79]
	v_fmac_f64_e32 v[10:11], v[10:11], v[76:77]
	v_fmac_f64_e32 v[8:9], v[80:81], v[10:11]
	v_fma_f64 v[76:77], -v[8:9], v[8:9], v[78:79]
	v_fmac_f64_e32 v[8:9], v[76:77], v[10:11]
	v_cndmask_b32_e64 v10, 0, v19, s[4:5]
	v_ldexp_f64 v[8:9], v[8:9], v10
	v_cmp_class_f64_e32 vcc, v[78:79], v15
	s_mov_b32 s22, 0x54442d18
	v_cndmask_b32_e32 v9, v9, v79, vcc
	v_cndmask_b32_e32 v8, v8, v78, vcc
	s_mov_b32 s23, 0x400921fb
	v_div_scale_f64 v[10:11], s[4:5], v[8:9], v[8:9], s[22:23]
	v_rcp_f64_e32 v[78:79], v[10:11]
	s_mov_b32 s4, 0x95810625
	v_div_fixup_f64 v[6:7], v[6:7], v[4:5], s[18:19]
	s_mov_b32 s5, 0x3fe88b43
	v_fma_f64 v[80:81], -v[10:11], v[78:79], 1.0
	v_fmac_f64_e32 v[78:79], v[78:79], v[80:81]
	v_fma_f64 v[80:81], -v[10:11], v[78:79], 1.0
	v_fmac_f64_e32 v[78:79], v[78:79], v[80:81]
	v_div_scale_f64 v[80:81], vcc, s[22:23], v[8:9], s[22:23]
	v_mul_f64 v[82:83], v[80:81], v[78:79]
	v_fma_f64 v[10:11], -v[10:11], v[82:83], v[80:81]
	v_add_f64 v[6:7], v[6:7], s[4:5]
	s_nop 0
	v_div_fmas_f64 v[10:11], v[10:11], v[78:79], v[82:83]
	v_div_fixup_f64 v[78:79], v[10:11], v[8:9], s[22:23]
	v_frexp_mant_f64_e32 v[8:9], v[6:7]
	v_cmp_gt_f64_e32 vcc, s[36:37], v[8:9]
	v_mov_b32_e32 v76, 0
	v_cndmask_b32_e64 v77, v90, 2.0, vcc
	v_frexp_exp_i32_f64_e32 v10, v[6:7]
	v_mul_f64 v[8:9], v[8:9], v[76:77]
	v_subbrev_co_u32_e32 v77, vcc, 0, v10, vcc
	v_add_f64 v[10:11], v[8:9], 1.0
	v_rcp_f64_e32 v[82:83], v[10:11]
	v_add_f64 v[86:87], v[10:11], -1.0
	v_add_f64 v[84:85], v[8:9], -1.0
	v_add_f64 v[8:9], v[8:9], -v[86:87]
	v_fma_f64 v[86:87], -v[10:11], v[82:83], 1.0
	v_fmac_f64_e32 v[82:83], v[86:87], v[82:83]
	v_fma_f64 v[86:87], -v[10:11], v[82:83], 1.0
	v_fmac_f64_e32 v[82:83], v[86:87], v[82:83]
	v_mul_f64 v[86:87], v[84:85], v[82:83]
	v_mul_f64 v[88:89], v[10:11], v[86:87]
	v_fma_f64 v[10:11], v[86:87], v[10:11], -v[88:89]
	v_fmac_f64_e32 v[10:11], v[86:87], v[8:9]
	v_add_f64 v[8:9], v[88:89], v[10:11]
	v_add_f64 v[114:115], v[84:85], -v[8:9]
	v_add_f64 v[88:89], v[8:9], -v[88:89]
	;; [unrolled: 1-line block ×5, first 2 shown]
	v_add_f64 v[8:9], v[10:11], v[8:9]
	v_add_f64 v[8:9], v[114:115], v[8:9]
	v_mul_f64 v[8:9], v[82:83], v[8:9]
	v_add_f64 v[10:11], v[86:87], v[8:9]
	v_add_f64 v[82:83], v[10:11], -v[86:87]
	v_add_f64 v[8:9], v[8:9], -v[82:83]
	v_mul_f64 v[82:83], v[10:11], v[10:11]
	v_pk_mov_b32 v[84:85], s[38:39], s[38:39] op_sel:[0,1]
	v_fma_f64 v[86:87], s[40:41], v[82:83], v[84:85]
	v_fma_f64 v[86:87], v[82:83], v[86:87], s[42:43]
	;; [unrolled: 1-line block ×5, first 2 shown]
	s_mov_b32 s51, s37
	v_fma_f64 v[86:87], v[82:83], v[86:87], s[50:51]
	v_ldexp_f64 v[88:89], v[10:11], 1
	v_mul_f64 v[10:11], v[10:11], v[82:83]
	v_mul_f64 v[10:11], v[10:11], v[86:87]
	v_add_f64 v[82:83], v[88:89], v[10:11]
	v_add_f64 v[86:87], v[82:83], -v[88:89]
	v_ldexp_f64 v[8:9], v[8:9], 1
	v_add_f64 v[10:11], v[10:11], -v[86:87]
	v_add_f64 v[8:9], v[8:9], v[10:11]
	v_add_f64 v[10:11], v[82:83], v[8:9]
	v_add_f64 v[82:83], v[10:11], -v[82:83]
	v_add_f64 v[8:9], v[8:9], -v[82:83]
	v_cvt_f64_i32_e32 v[82:83], v77
	v_mul_f64 v[86:87], v[82:83], s[52:53]
	v_fma_f64 v[88:89], v[82:83], s[52:53], -v[86:87]
	v_fmac_f64_e32 v[88:89], s[54:55], v[82:83]
	v_add_f64 v[82:83], v[86:87], v[88:89]
	v_add_f64 v[86:87], v[82:83], -v[86:87]
	v_add_f64 v[86:87], v[88:89], -v[86:87]
	v_add_f64 v[88:89], v[82:83], v[10:11]
	v_add_f64 v[114:115], v[88:89], -v[82:83]
	v_add_f64 v[116:117], v[88:89], -v[114:115]
	;; [unrolled: 1-line block ×4, first 2 shown]
	v_add_f64 v[10:11], v[10:11], v[82:83]
	v_add_f64 v[82:83], v[86:87], v[8:9]
	v_add_f64 v[114:115], v[82:83], -v[86:87]
	v_add_f64 v[116:117], v[82:83], -v[114:115]
	v_add_f64 v[10:11], v[82:83], v[10:11]
	v_add_f64 v[86:87], v[86:87], -v[116:117]
	v_add_f64 v[8:9], v[8:9], -v[114:115]
	v_add_f64 v[82:83], v[88:89], v[10:11]
	v_add_f64 v[8:9], v[8:9], v[86:87]
	v_add_f64 v[86:87], v[82:83], -v[88:89]
	v_add_f64 v[10:11], v[10:11], -v[86:87]
	v_add_f64 v[8:9], v[8:9], v[10:11]
	v_add_f64 v[8:9], v[82:83], v[8:9]
	v_cmp_class_f64_e64 vcc, v[6:7], s11
	v_cndmask_b32_e32 v8, v8, v6, vcc
	v_cndmask_b32_e32 v9, v9, v7, vcc
	v_cmp_ngt_f64_e32 vcc, 0, v[6:7]
	v_cndmask_b32_e32 v9, v91, v9, vcc
	v_cmp_nge_f64_e32 vcc, 0, v[6:7]
	v_cndmask_b32_e32 v8, 0, v8, vcc
	v_cmp_neq_f64_e32 vcc, 0, v[6:7]
	v_cndmask_b32_e32 v9, v92, v9, vcc
	v_add_f64 v[6:7], v[8:9], -v[4:5]
	v_frexp_mant_f64_e32 v[8:9], v[78:79]
	v_cmp_gt_f64_e32 vcc, s[36:37], v[8:9]
	v_cndmask_b32_e64 v77, v90, 2.0, vcc
	v_frexp_exp_i32_f64_e32 v10, v[78:79]
	v_mul_f64 v[8:9], v[8:9], v[76:77]
	v_subbrev_co_u32_e32 v77, vcc, 0, v10, vcc
	v_add_f64 v[10:11], v[8:9], 1.0
	v_rcp_f64_e32 v[82:83], v[10:11]
	v_add_f64 v[88:89], v[10:11], -1.0
	v_add_f64 v[86:87], v[8:9], -1.0
	v_add_f64 v[8:9], v[8:9], -v[88:89]
	v_fma_f64 v[88:89], -v[10:11], v[82:83], 1.0
	v_fmac_f64_e32 v[82:83], v[88:89], v[82:83]
	v_fma_f64 v[88:89], -v[10:11], v[82:83], 1.0
	v_fmac_f64_e32 v[82:83], v[88:89], v[82:83]
	v_mul_f64 v[88:89], v[86:87], v[82:83]
	v_mul_f64 v[114:115], v[10:11], v[88:89]
	v_fma_f64 v[10:11], v[88:89], v[10:11], -v[114:115]
	v_fmac_f64_e32 v[10:11], v[88:89], v[8:9]
	v_add_f64 v[8:9], v[114:115], v[10:11]
	v_add_f64 v[116:117], v[86:87], -v[8:9]
	v_add_f64 v[114:115], v[8:9], -v[114:115]
	;; [unrolled: 1-line block ×5, first 2 shown]
	v_add_f64 v[8:9], v[10:11], v[8:9]
	v_add_f64 v[8:9], v[116:117], v[8:9]
	v_mul_f64 v[8:9], v[82:83], v[8:9]
	v_add_f64 v[10:11], v[88:89], v[8:9]
	v_add_f64 v[82:83], v[10:11], -v[88:89]
	v_add_f64 v[8:9], v[8:9], -v[82:83]
	v_mul_f64 v[82:83], v[10:11], v[10:11]
	v_fma_f64 v[86:87], s[40:41], v[82:83], v[84:85]
	v_fma_f64 v[86:87], v[82:83], v[86:87], s[42:43]
	;; [unrolled: 1-line block ×6, first 2 shown]
	v_ldexp_f64 v[88:89], v[10:11], 1
	v_mul_f64 v[10:11], v[10:11], v[82:83]
	v_mul_f64 v[10:11], v[10:11], v[86:87]
	v_add_f64 v[82:83], v[88:89], v[10:11]
	v_add_f64 v[86:87], v[82:83], -v[88:89]
	v_ldexp_f64 v[8:9], v[8:9], 1
	v_add_f64 v[10:11], v[10:11], -v[86:87]
	v_add_f64 v[8:9], v[8:9], v[10:11]
	v_add_f64 v[10:11], v[82:83], v[8:9]
	v_add_f64 v[82:83], v[10:11], -v[82:83]
	v_add_f64 v[8:9], v[8:9], -v[82:83]
	v_cvt_f64_i32_e32 v[82:83], v77
	v_mul_f64 v[86:87], v[82:83], s[52:53]
	v_fma_f64 v[88:89], v[82:83], s[52:53], -v[86:87]
	v_fmac_f64_e32 v[88:89], s[54:55], v[82:83]
	v_add_f64 v[82:83], v[86:87], v[88:89]
	v_add_f64 v[86:87], v[82:83], -v[86:87]
	v_add_f64 v[86:87], v[88:89], -v[86:87]
	v_add_f64 v[88:89], v[82:83], v[10:11]
	v_add_f64 v[114:115], v[88:89], -v[82:83]
	v_add_f64 v[116:117], v[88:89], -v[114:115]
	;; [unrolled: 1-line block ×4, first 2 shown]
	v_add_f64 v[10:11], v[10:11], v[82:83]
	v_add_f64 v[82:83], v[86:87], v[8:9]
	v_add_f64 v[114:115], v[82:83], -v[86:87]
	v_add_f64 v[116:117], v[82:83], -v[114:115]
	v_add_f64 v[10:11], v[82:83], v[10:11]
	v_add_f64 v[86:87], v[86:87], -v[116:117]
	v_add_f64 v[8:9], v[8:9], -v[114:115]
	v_add_f64 v[82:83], v[88:89], v[10:11]
	v_add_f64 v[8:9], v[8:9], v[86:87]
	v_add_f64 v[86:87], v[82:83], -v[88:89]
	v_add_f64 v[10:11], v[10:11], -v[86:87]
	s_mov_b32 s4, 0
	v_add_f64 v[8:9], v[8:9], v[10:11]
	s_mov_b32 s5, 0x7ff00000
	v_add_f64 v[8:9], v[82:83], v[8:9]
	v_cmp_eq_f64_e32 vcc, s[4:5], v[78:79]
	v_cndmask_b32_e32 v8, v8, v78, vcc
	v_cndmask_b32_e32 v9, v9, v79, vcc
	v_cmp_neq_f64_e32 vcc, 0, v[78:79]
	v_cndmask_b32_e32 v9, v92, v9, vcc
	v_cndmask_b32_e32 v8, 0, v8, vcc
	v_mul_f64 v[80:81], v[78:79], v[4:5]
	v_add_f64 v[82:83], v[6:7], -v[8:9]
	v_frexp_exp_i32_f64_e32 v6, v[4:5]
	v_frexp_mant_f64_e32 v[4:5], v[4:5]
	v_cmp_gt_f64_e32 vcc, s[36:37], v[4:5]
	v_cndmask_b32_e64 v77, v90, 2.0, vcc
	v_mul_f64 v[4:5], v[4:5], v[76:77]
	v_subbrev_co_u32_e32 v77, vcc, 0, v6, vcc
	v_add_f64 v[6:7], v[4:5], 1.0
	v_rcp_f64_e32 v[8:9], v[6:7]
	v_add_f64 v[86:87], v[6:7], -1.0
	v_add_f64 v[10:11], v[4:5], -1.0
	v_add_f64 v[4:5], v[4:5], -v[86:87]
	v_fma_f64 v[86:87], -v[6:7], v[8:9], 1.0
	v_fmac_f64_e32 v[8:9], v[86:87], v[8:9]
	v_fma_f64 v[86:87], -v[6:7], v[8:9], 1.0
	v_fmac_f64_e32 v[8:9], v[86:87], v[8:9]
	v_mul_f64 v[86:87], v[10:11], v[8:9]
	v_mul_f64 v[88:89], v[6:7], v[86:87]
	v_fma_f64 v[6:7], v[86:87], v[6:7], -v[88:89]
	v_fmac_f64_e32 v[6:7], v[86:87], v[4:5]
	v_add_f64 v[4:5], v[88:89], v[6:7]
	v_add_f64 v[114:115], v[10:11], -v[4:5]
	v_add_f64 v[88:89], v[4:5], -v[88:89]
	;; [unrolled: 1-line block ×5, first 2 shown]
	v_add_f64 v[4:5], v[6:7], v[4:5]
	v_add_f64 v[4:5], v[114:115], v[4:5]
	v_mul_f64 v[4:5], v[8:9], v[4:5]
	v_add_f64 v[6:7], v[86:87], v[4:5]
	v_add_f64 v[8:9], v[6:7], -v[86:87]
	v_add_f64 v[4:5], v[4:5], -v[8:9]
	v_mul_f64 v[8:9], v[6:7], v[6:7]
	v_fmac_f64_e32 v[84:85], s[40:41], v[8:9]
	v_fma_f64 v[10:11], v[8:9], v[84:85], s[42:43]
	v_fma_f64 v[10:11], v[8:9], v[10:11], s[44:45]
	;; [unrolled: 1-line block ×5, first 2 shown]
	v_ldexp_f64 v[84:85], v[6:7], 1
	v_mul_f64 v[6:7], v[6:7], v[8:9]
	v_mul_f64 v[6:7], v[6:7], v[10:11]
	v_add_f64 v[8:9], v[84:85], v[6:7]
	v_add_f64 v[10:11], v[8:9], -v[84:85]
	v_ldexp_f64 v[4:5], v[4:5], 1
	v_add_f64 v[6:7], v[6:7], -v[10:11]
	v_add_f64 v[4:5], v[4:5], v[6:7]
	v_add_f64 v[6:7], v[8:9], v[4:5]
	v_add_f64 v[8:9], v[6:7], -v[8:9]
	v_add_f64 v[4:5], v[4:5], -v[8:9]
	v_cvt_f64_i32_e32 v[8:9], v77
	v_mul_f64 v[10:11], v[8:9], s[52:53]
	v_fma_f64 v[84:85], v[8:9], s[52:53], -v[10:11]
	v_fmac_f64_e32 v[84:85], s[54:55], v[8:9]
	v_add_f64 v[8:9], v[10:11], v[84:85]
	v_add_f64 v[10:11], v[8:9], -v[10:11]
	v_add_f64 v[10:11], v[84:85], -v[10:11]
	v_add_f64 v[84:85], v[8:9], v[6:7]
	v_add_f64 v[86:87], v[84:85], -v[8:9]
	v_add_f64 v[88:89], v[84:85], -v[86:87]
	;; [unrolled: 1-line block ×4, first 2 shown]
	v_add_f64 v[6:7], v[6:7], v[8:9]
	v_add_f64 v[8:9], v[10:11], v[4:5]
	v_add_f64 v[86:87], v[8:9], -v[10:11]
	v_add_f64 v[88:89], v[8:9], -v[86:87]
	v_add_f64 v[6:7], v[8:9], v[6:7]
	v_add_f64 v[10:11], v[10:11], -v[88:89]
	v_add_f64 v[4:5], v[4:5], -v[86:87]
	v_add_f64 v[8:9], v[84:85], v[6:7]
	v_add_f64 v[4:5], v[4:5], v[10:11]
	v_add_f64 v[10:11], v[8:9], -v[84:85]
	v_add_f64 v[6:7], v[6:7], -v[10:11]
	v_add_f64 v[4:5], v[4:5], v[6:7]
	v_add_f64 v[84:85], v[8:9], v[4:5]
	s_mov_b64 s[56:57], 0
	s_mov_b64 s[18:19], 0
	v_mov_b32_e32 v114, v12
                                        ; implicit-def: $vgpr77
.LBB88_12:                              ;   Parent Loop BB88_6 Depth=1
                                        ; =>  This Inner Loop Header: Depth=2
	v_add_u32_e32 v115, 1, v17
	v_pk_mov_b32 v[10:11], v[2:3], v[2:3] op_sel:[0,1]
	v_cmp_eq_u32_e32 vcc, 4, v115
	v_pk_mov_b32 v[8:9], v[0:1], v[0:1] op_sel:[0,1]
	v_mov_b32_e32 v89, v0
	v_mov_b32_e32 v88, v1
	;; [unrolled: 1-line block ×4, first 2 shown]
	s_and_saveexec_b64 s[4:5], vcc
	s_cbranch_execz .LBB88_14
; %bb.13:                               ;   in Loop: Header=BB88_12 Depth=2
	v_add_co_u32_e32 v95, vcc, 1, v95
	v_cndmask_b32_e64 v4, 0, 1, vcc
	v_addc_co_u32_e32 v96, vcc, 0, v96, vcc
	v_cmp_eq_u32_e32 vcc, 0, v96
	v_cndmask_b32_e32 v4, 0, v4, vcc
	v_add_u32_e32 v114, v4, v114
	v_cmp_eq_u32_e32 vcc, 0, v114
	v_cndmask_b32_e32 v4, 0, v4, vcc
	v_add_u32_e32 v76, v4, v76
	v_mad_u64_u32 v[4:5], s[22:23], v95, s8, 0
	v_mad_u64_u32 v[6:7], s[22:23], v114, s33, 0
	v_xor_b32_e32 v5, v5, v75
	v_xor_b32_e32 v7, v7, v74
	v_xor_b32_e32 v5, v76, v5
	v_xor_b32_e32 v7, v96, v7
	v_mad_u64_u32 v[10:11], s[22:23], v5, s33, 0
	v_mad_u64_u32 v[8:9], s[22:23], v7, s8, 0
	v_xor_b32_e32 v5, v97, v11
	v_xor_b32_e32 v5, v5, v6
	v_xor_b32_e32 v6, v98, v9
	v_xor_b32_e32 v6, v6, v4
	;; [unrolled: 6-line block ×10, first 2 shown]
	v_mov_b32_e32 v115, 0
	v_mov_b32_e32 v9, v88
	;; [unrolled: 1-line block ×5, first 2 shown]
.LBB88_14:                              ;   in Loop: Header=BB88_12 Depth=2
	s_or_b64 exec, exec, s[4:5]
	v_add_u32_e32 v116, 1, v115
	v_pk_mov_b32 v[4:5], v[8:9], v[8:9] op_sel:[0,1]
	v_cmp_eq_u32_e32 vcc, 4, v116
	v_pk_mov_b32 v[6:7], v[10:11], v[10:11] op_sel:[0,1]
	s_and_saveexec_b64 s[4:5], vcc
	s_cbranch_execz .LBB88_16
; %bb.15:                               ;   in Loop: Header=BB88_12 Depth=2
	v_add_co_u32_e32 v95, vcc, 1, v95
	v_cndmask_b32_e64 v4, 0, 1, vcc
	v_addc_co_u32_e32 v96, vcc, 0, v96, vcc
	v_cmp_eq_u32_e32 vcc, 0, v96
	v_cndmask_b32_e32 v4, 0, v4, vcc
	v_add_u32_e32 v114, v4, v114
	v_cmp_eq_u32_e32 vcc, 0, v114
	v_cndmask_b32_e32 v4, 0, v4, vcc
	v_add_u32_e32 v76, v4, v76
	v_mad_u64_u32 v[4:5], s[22:23], v95, s8, 0
	v_mad_u64_u32 v[6:7], s[22:23], v114, s33, 0
	v_xor_b32_e32 v5, v5, v75
	v_xor_b32_e32 v7, v7, v74
	v_xor_b32_e32 v5, v76, v5
	v_xor_b32_e32 v7, v96, v7
	v_mad_u64_u32 v[88:89], s[22:23], v5, s33, 0
	v_mad_u64_u32 v[86:87], s[22:23], v7, s8, 0
	v_xor_b32_e32 v5, v97, v89
	v_xor_b32_e32 v5, v5, v6
	v_xor_b32_e32 v6, v98, v87
	v_xor_b32_e32 v6, v6, v4
	;; [unrolled: 6-line block ×10, first 2 shown]
	v_mov_b32_e32 v116, 0
	v_mov_b32_e32 v5, v88
	;; [unrolled: 1-line block ×5, first 2 shown]
.LBB88_16:                              ;   in Loop: Header=BB88_12 Depth=2
	s_or_b64 exec, exec, s[4:5]
	v_cmp_eq_u32_e32 vcc, 1, v17
	v_cndmask_b32_e32 v0, v0, v1, vcc
	v_cmp_eq_u32_e32 vcc, 2, v17
	v_cndmask_b32_e32 v0, v0, v2, vcc
	;; [unrolled: 2-line block ×6, first 2 shown]
	v_lshrrev_b32_e32 v0, 11, v0
	v_cvt_f64_u32_e32 v[0:1], v0
	v_ldexp_f64 v[0:1], v[0:1], 32
	v_cvt_f64_u32_e32 v[2:3], v2
	v_add_f64 v[0:1], v[0:1], v[2:3]
	v_mov_b32_e32 v2, 0
	v_mov_b32_e32 v3, 0x3ca00000
	v_fmac_f64_e32 v[2:3], 0x3ca00000, v[0:1]
	v_add_f64 v[0:1], -v[2:3], 1.0
	v_div_scale_f64 v[8:9], s[4:5], v[2:3], v[2:3], v[0:1]
	v_rcp_f64_e32 v[10:11], v[8:9]
	v_mov_b32_e32 v117, 2
	v_fma_f64 v[118:119], -v[8:9], v[10:11], 1.0
	v_fmac_f64_e32 v[10:11], v[10:11], v[118:119]
	v_fma_f64 v[118:119], -v[8:9], v[10:11], 1.0
	v_fmac_f64_e32 v[10:11], v[10:11], v[118:119]
	v_div_scale_f64 v[118:119], vcc, v[0:1], v[2:3], v[0:1]
	v_mul_f64 v[120:121], v[118:119], v[10:11]
	v_fma_f64 v[8:9], -v[8:9], v[120:121], v[118:119]
	s_nop 1
	v_div_fmas_f64 v[8:9], v[8:9], v[10:11], v[120:121]
	v_div_fixup_f64 v[0:1], v[8:9], v[2:3], v[0:1]
	v_frexp_mant_f64_e32 v[2:3], v[0:1]
	v_cmp_gt_f64_e32 vcc, s[36:37], v[2:3]
	v_cndmask_b32_e64 v17, v90, 2.0, vcc
	v_frexp_exp_i32_f64_e32 v8, v[0:1]
	v_mul_f64 v[2:3], v[2:3], v[16:17]
	v_subbrev_co_u32_e32 v17, vcc, 0, v8, vcc
	v_add_f64 v[8:9], v[2:3], 1.0
	v_rcp_f64_e32 v[10:11], v[8:9]
	v_add_f64 v[120:121], v[8:9], -1.0
	v_add_f64 v[118:119], v[2:3], -1.0
	v_add_f64 v[2:3], v[2:3], -v[120:121]
	v_fma_f64 v[120:121], -v[8:9], v[10:11], 1.0
	v_fmac_f64_e32 v[10:11], v[120:121], v[10:11]
	v_fma_f64 v[120:121], -v[8:9], v[10:11], 1.0
	v_fmac_f64_e32 v[10:11], v[120:121], v[10:11]
	v_mul_f64 v[120:121], v[118:119], v[10:11]
	v_mul_f64 v[122:123], v[8:9], v[120:121]
	v_fma_f64 v[8:9], v[120:121], v[8:9], -v[122:123]
	v_fmac_f64_e32 v[8:9], v[120:121], v[2:3]
	v_add_f64 v[2:3], v[122:123], v[8:9]
	v_add_f64 v[124:125], v[118:119], -v[2:3]
	v_add_f64 v[122:123], v[2:3], -v[122:123]
	;; [unrolled: 1-line block ×5, first 2 shown]
	v_add_f64 v[2:3], v[8:9], v[2:3]
	v_add_f64 v[2:3], v[124:125], v[2:3]
	v_mul_f64 v[2:3], v[10:11], v[2:3]
	v_add_f64 v[8:9], v[120:121], v[2:3]
	v_add_f64 v[10:11], v[8:9], -v[120:121]
	v_add_f64 v[2:3], v[2:3], -v[10:11]
	v_mul_f64 v[10:11], v[8:9], v[8:9]
	v_pk_mov_b32 v[118:119], v[20:21], v[20:21] op_sel:[0,1]
	v_fmac_f64_e32 v[118:119], s[40:41], v[10:11]
	v_pk_mov_b32 v[120:121], v[22:23], v[22:23] op_sel:[0,1]
	v_fmac_f64_e32 v[120:121], v[10:11], v[118:119]
	;; [unrolled: 2-line block ×6, first 2 shown]
	v_ldexp_f64 v[118:119], v[8:9], 1
	v_mul_f64 v[8:9], v[8:9], v[10:11]
	v_mul_f64 v[8:9], v[8:9], v[120:121]
	v_add_f64 v[10:11], v[118:119], v[8:9]
	v_add_f64 v[118:119], v[10:11], -v[118:119]
	v_ldexp_f64 v[2:3], v[2:3], 1
	v_add_f64 v[8:9], v[8:9], -v[118:119]
	v_add_f64 v[2:3], v[2:3], v[8:9]
	v_add_f64 v[8:9], v[10:11], v[2:3]
	v_add_f64 v[10:11], v[8:9], -v[10:11]
	v_add_f64 v[2:3], v[2:3], -v[10:11]
	v_cvt_f64_i32_e32 v[10:11], v17
	v_mul_f64 v[118:119], v[10:11], s[52:53]
	v_fma_f64 v[120:121], v[10:11], s[52:53], -v[118:119]
	v_fmac_f64_e32 v[120:121], s[54:55], v[10:11]
	v_add_f64 v[10:11], v[118:119], v[120:121]
	v_add_f64 v[118:119], v[10:11], -v[118:119]
	v_add_f64 v[118:119], v[120:121], -v[118:119]
	v_add_f64 v[120:121], v[10:11], v[8:9]
	v_add_f64 v[122:123], v[120:121], -v[10:11]
	v_add_f64 v[124:125], v[120:121], -v[122:123]
	;; [unrolled: 1-line block ×4, first 2 shown]
	v_add_f64 v[8:9], v[8:9], v[10:11]
	v_add_f64 v[10:11], v[118:119], v[2:3]
	v_add_f64 v[122:123], v[10:11], -v[118:119]
	v_add_f64 v[124:125], v[10:11], -v[122:123]
	v_add_f64 v[8:9], v[10:11], v[8:9]
	v_add_f64 v[118:119], v[118:119], -v[124:125]
	v_add_f64 v[2:3], v[2:3], -v[122:123]
	v_add_f64 v[10:11], v[120:121], v[8:9]
	v_add_f64 v[2:3], v[2:3], v[118:119]
	v_add_f64 v[118:119], v[10:11], -v[120:121]
	v_add_f64 v[8:9], v[8:9], -v[118:119]
	v_add_f64 v[2:3], v[2:3], v[8:9]
	v_add_f64 v[2:3], v[10:11], v[2:3]
	v_cmp_class_f64_e64 vcc, v[0:1], s11
	v_cndmask_b32_e32 v2, v2, v0, vcc
	v_cndmask_b32_e32 v3, v3, v1, vcc
	v_cmp_ngt_f64_e32 vcc, 0, v[0:1]
	v_cndmask_b32_e32 v3, v91, v3, vcc
	v_cmp_nge_f64_e32 vcc, 0, v[0:1]
	v_cndmask_b32_e32 v2, 0, v2, vcc
	v_cmp_neq_f64_e32 vcc, 0, v[0:1]
	v_cndmask_b32_e32 v3, v92, v3, vcc
	v_add_f64 v[0:1], v[80:81], -v[2:3]
	v_div_scale_f64 v[2:3], s[4:5], v[78:79], v[78:79], v[0:1]
	v_rcp_f64_e32 v[8:9], v[2:3]
	v_fma_f64 v[10:11], -v[2:3], v[8:9], 1.0
	v_fmac_f64_e32 v[8:9], v[8:9], v[10:11]
	v_fma_f64 v[10:11], -v[2:3], v[8:9], 1.0
	v_fmac_f64_e32 v[8:9], v[8:9], v[10:11]
	v_div_scale_f64 v[10:11], vcc, v[0:1], v[78:79], v[0:1]
	v_mul_f64 v[118:119], v[10:11], v[8:9]
	v_fma_f64 v[2:3], -v[2:3], v[118:119], v[10:11]
	s_nop 1
	v_div_fmas_f64 v[2:3], v[2:3], v[8:9], v[118:119]
	v_div_fixup_f64 v[10:11], v[2:3], v[78:79], v[0:1]
	v_add_f64 v[0:1], v[10:11], 0.5
	v_floor_f64_e32 v[8:9], v[0:1]
	v_cmp_ngt_f64_e32 vcc, 0, v[8:9]
	s_and_saveexec_b64 s[22:23], vcc
	s_cbranch_execz .LBB88_22
; %bb.17:                               ;   in Loop: Header=BB88_12 Depth=2
	v_add_u32_e32 v17, 1, v116
	v_pk_mov_b32 v[0:1], v[4:5], v[4:5] op_sel:[0,1]
	v_cmp_eq_u32_e32 vcc, 4, v17
	v_pk_mov_b32 v[2:3], v[6:7], v[6:7] op_sel:[0,1]
	s_and_saveexec_b64 s[4:5], vcc
	s_cbranch_execz .LBB88_19
; %bb.18:                               ;   in Loop: Header=BB88_12 Depth=2
	v_add_co_u32_e32 v95, vcc, 1, v95
	v_cndmask_b32_e64 v0, 0, 1, vcc
	v_addc_co_u32_e32 v96, vcc, 0, v96, vcc
	v_cmp_eq_u32_e32 vcc, 0, v96
	v_cndmask_b32_e32 v0, 0, v0, vcc
	v_add_u32_e32 v114, v0, v114
	v_cmp_eq_u32_e32 vcc, 0, v114
	v_cndmask_b32_e32 v0, 0, v0, vcc
	v_add_u32_e32 v76, v0, v76
	v_mad_u64_u32 v[0:1], vcc, v95, s8, 0
	v_mad_u64_u32 v[2:3], vcc, v114, s33, 0
	v_xor_b32_e32 v1, v1, v75
	v_xor_b32_e32 v3, v3, v74
	v_xor_b32_e32 v1, v76, v1
	v_xor_b32_e32 v3, v96, v3
	v_mad_u64_u32 v[88:89], vcc, v1, s33, 0
	v_mad_u64_u32 v[86:87], vcc, v3, s8, 0
	v_xor_b32_e32 v1, v97, v89
	v_xor_b32_e32 v1, v1, v2
	v_xor_b32_e32 v2, v98, v87
	v_xor_b32_e32 v2, v2, v0
	;; [unrolled: 6-line block ×10, first 2 shown]
	v_mov_b32_e32 v17, 0
	v_mov_b32_e32 v1, v88
	;; [unrolled: 1-line block ×5, first 2 shown]
.LBB88_19:                              ;   in Loop: Header=BB88_12 Depth=2
	s_or_b64 exec, exec, s[4:5]
	v_add_u32_e32 v115, 1, v17
	v_cmp_eq_u32_e32 vcc, 4, v115
	s_and_saveexec_b64 s[4:5], vcc
	s_cbranch_execz .LBB88_21
; %bb.20:                               ;   in Loop: Header=BB88_12 Depth=2
	v_add_co_u32_e32 v95, vcc, 1, v95
	v_cndmask_b32_e64 v86, 0, 1, vcc
	v_addc_co_u32_e32 v96, vcc, 0, v96, vcc
	v_cmp_eq_u32_e32 vcc, 0, v96
	v_cndmask_b32_e32 v86, 0, v86, vcc
	v_add_u32_e32 v114, v86, v114
	v_cmp_eq_u32_e32 vcc, 0, v114
	v_cndmask_b32_e32 v86, 0, v86, vcc
	v_add_u32_e32 v76, v86, v76
	v_mad_u64_u32 v[86:87], vcc, v95, s8, 0
	v_mad_u64_u32 v[88:89], vcc, v114, s33, 0
	v_xor_b32_e32 v87, v87, v75
	v_xor_b32_e32 v89, v89, v74
	v_xor_b32_e32 v87, v76, v87
	v_xor_b32_e32 v89, v96, v89
	v_mad_u64_u32 v[120:121], vcc, v87, s33, 0
	v_mad_u64_u32 v[118:119], vcc, v89, s8, 0
	v_xor_b32_e32 v87, v97, v121
	v_xor_b32_e32 v87, v87, v88
	v_xor_b32_e32 v88, v98, v119
	v_xor_b32_e32 v88, v88, v86
	;; [unrolled: 6-line block ×9, first 2 shown]
	v_mad_u64_u32 v[86:87], vcc, v86, s8, 0
	v_mad_u64_u32 v[88:89], vcc, v88, s33, 0
	v_xor_b32_e32 v89, v89, v124
	v_xor_b32_e32 v87, v87, v122
	v_mov_b32_e32 v115, 0
	v_xor_b32_e32 v89, v103, v89
	v_xor_b32_e32 v87, v94, v87
.LBB88_21:                              ;   in Loop: Header=BB88_12 Depth=2
	s_or_b64 exec, exec, s[4:5]
	v_cmp_eq_u32_e32 vcc, 1, v116
	v_cndmask_b32_e32 v4, v4, v5, vcc
	v_cmp_eq_u32_e32 vcc, 2, v116
	v_cndmask_b32_e32 v4, v4, v6, vcc
	;; [unrolled: 2-line block ×6, first 2 shown]
	v_lshrrev_b32_e32 v0, 11, v0
	v_cvt_f64_u32_e32 v[0:1], v0
	v_ldexp_f64 v[0:1], v[0:1], 32
	v_cvt_f64_u32_e32 v[2:3], v4
	v_add_f64 v[0:1], v[0:1], v[2:3]
	v_mov_b32_e32 v2, 0
	v_mov_b32_e32 v3, 0x3ca00000
	v_fma_f64 v[4:5], -v[78:79], v[10:11], v[80:81]
	v_fmac_f64_e32 v[2:3], 0x3ca00000, v[0:1]
	v_mul_f64 v[0:1], v[4:5], s[58:59]
	v_rndne_f64_e32 v[0:1], v[0:1]
	s_mov_b32 s60, s52
	v_fma_f64 v[6:7], s[60:61], v[0:1], v[4:5]
	s_mov_b32 s62, s54
	v_fmac_f64_e32 v[6:7], s[62:63], v[0:1]
	v_pk_mov_b32 v[10:11], v[32:33], v[32:33] op_sel:[0,1]
	v_fmac_f64_e32 v[10:11], s[64:65], v[6:7]
	v_pk_mov_b32 v[116:117], v[34:35], v[34:35] op_sel:[0,1]
	v_fmac_f64_e32 v[116:117], v[6:7], v[10:11]
	v_pk_mov_b32 v[10:11], v[36:37], v[36:37] op_sel:[0,1]
	v_fmac_f64_e32 v[10:11], v[6:7], v[116:117]
	v_pk_mov_b32 v[116:117], v[38:39], v[38:39] op_sel:[0,1]
	v_fmac_f64_e32 v[116:117], v[6:7], v[10:11]
	v_pk_mov_b32 v[10:11], v[40:41], v[40:41] op_sel:[0,1]
	v_fmac_f64_e32 v[10:11], v[6:7], v[116:117]
	v_pk_mov_b32 v[116:117], v[42:43], v[42:43] op_sel:[0,1]
	v_fmac_f64_e32 v[116:117], v[6:7], v[10:11]
	v_pk_mov_b32 v[10:11], v[44:45], v[44:45] op_sel:[0,1]
	v_fmac_f64_e32 v[10:11], v[6:7], v[116:117]
	v_pk_mov_b32 v[116:117], v[46:47], v[46:47] op_sel:[0,1]
	v_fmac_f64_e32 v[116:117], v[6:7], v[10:11]
	v_pk_mov_b32 v[10:11], v[48:49], v[48:49] op_sel:[0,1]
	v_fmac_f64_e32 v[10:11], v[6:7], v[116:117]
	s_mov_b32 s4, 0
	v_fma_f64 v[10:11], v[6:7], v[10:11], 1.0
	s_mov_b32 s5, 0x40900000
	v_fma_f64 v[6:7], v[6:7], v[10:11], 1.0
	v_cvt_i32_f64_e32 v0, v[0:1]
	v_cmp_nlt_f64_e32 vcc, s[4:5], v[4:5]
	s_mov_b32 s4, 0
	v_ldexp_f64 v[0:1], v[6:7], v0
	s_mov_b32 s5, 0xc090cc00
	v_add_f64 v[0:1], v[0:1], 1.0
	v_cmp_ngt_f64_e64 s[4:5], s[4:5], v[4:5]
	v_cndmask_b32_e32 v1, v93, v1, vcc
	s_and_b64 vcc, s[4:5], vcc
	v_cndmask_b32_e64 v1, v90, v1, s[4:5]
	v_cndmask_b32_e32 v0, 0, v0, vcc
	v_mul_f64 v[0:1], v[0:1], v[0:1]
	v_div_scale_f64 v[6:7], s[4:5], v[0:1], v[0:1], v[2:3]
	v_rcp_f64_e32 v[10:11], v[6:7]
	s_mov_b32 s51, s37
	v_fma_f64 v[116:117], -v[6:7], v[10:11], 1.0
	v_fmac_f64_e32 v[10:11], v[10:11], v[116:117]
	v_fma_f64 v[116:117], -v[6:7], v[10:11], 1.0
	v_fmac_f64_e32 v[10:11], v[10:11], v[116:117]
	v_div_scale_f64 v[116:117], vcc, v[2:3], v[0:1], v[2:3]
	v_mul_f64 v[118:119], v[116:117], v[10:11]
	v_fma_f64 v[6:7], -v[6:7], v[118:119], v[116:117]
	s_nop 1
	v_div_fmas_f64 v[6:7], v[6:7], v[10:11], v[118:119]
	v_div_fixup_f64 v[2:3], v[6:7], v[0:1], v[2:3]
	v_frexp_mant_f64_e32 v[0:1], v[2:3]
	v_cmp_gt_f64_e32 vcc, s[36:37], v[0:1]
	v_cndmask_b32_e64 v17, v90, 2.0, vcc
	v_frexp_exp_i32_f64_e32 v6, v[2:3]
	v_mul_f64 v[0:1], v[0:1], v[16:17]
	v_subbrev_co_u32_e32 v17, vcc, 0, v6, vcc
	v_add_f64 v[6:7], v[0:1], 1.0
	v_rcp_f64_e32 v[10:11], v[6:7]
	v_add_f64 v[118:119], v[6:7], -1.0
	v_add_f64 v[116:117], v[0:1], -1.0
	v_add_f64 v[0:1], v[0:1], -v[118:119]
	v_fma_f64 v[118:119], -v[6:7], v[10:11], 1.0
	v_fmac_f64_e32 v[10:11], v[118:119], v[10:11]
	v_fma_f64 v[118:119], -v[6:7], v[10:11], 1.0
	v_fmac_f64_e32 v[10:11], v[118:119], v[10:11]
	v_mul_f64 v[118:119], v[116:117], v[10:11]
	v_mul_f64 v[120:121], v[6:7], v[118:119]
	v_fma_f64 v[6:7], v[118:119], v[6:7], -v[120:121]
	v_fmac_f64_e32 v[6:7], v[118:119], v[0:1]
	v_add_f64 v[0:1], v[120:121], v[6:7]
	v_add_f64 v[122:123], v[116:117], -v[0:1]
	v_add_f64 v[120:121], v[0:1], -v[120:121]
	;; [unrolled: 1-line block ×5, first 2 shown]
	v_add_f64 v[0:1], v[6:7], v[0:1]
	v_add_f64 v[0:1], v[122:123], v[0:1]
	v_mul_f64 v[0:1], v[10:11], v[0:1]
	v_add_f64 v[6:7], v[118:119], v[0:1]
	v_add_f64 v[10:11], v[6:7], -v[118:119]
	v_add_f64 v[10:11], v[0:1], -v[10:11]
	v_mul_f64 v[116:117], v[6:7], v[6:7]
	v_pk_mov_b32 v[0:1], s[38:39], s[38:39] op_sel:[0,1]
	v_fma_f64 v[118:119], s[40:41], v[116:117], v[0:1]
	v_fma_f64 v[118:119], v[116:117], v[118:119], s[42:43]
	;; [unrolled: 1-line block ×6, first 2 shown]
	v_ldexp_f64 v[120:121], v[6:7], 1
	v_mul_f64 v[6:7], v[6:7], v[116:117]
	v_mul_f64 v[6:7], v[6:7], v[118:119]
	v_add_f64 v[116:117], v[120:121], v[6:7]
	v_add_f64 v[118:119], v[116:117], -v[120:121]
	v_ldexp_f64 v[10:11], v[10:11], 1
	v_add_f64 v[6:7], v[6:7], -v[118:119]
	v_add_f64 v[6:7], v[10:11], v[6:7]
	v_add_f64 v[10:11], v[116:117], v[6:7]
	v_add_f64 v[116:117], v[10:11], -v[116:117]
	v_add_f64 v[6:7], v[6:7], -v[116:117]
	v_cvt_f64_i32_e32 v[116:117], v17
	v_mul_f64 v[118:119], v[116:117], s[52:53]
	v_fma_f64 v[120:121], v[116:117], s[52:53], -v[118:119]
	v_fmac_f64_e32 v[120:121], s[54:55], v[116:117]
	v_add_f64 v[116:117], v[118:119], v[120:121]
	v_add_f64 v[118:119], v[116:117], -v[118:119]
	v_add_f64 v[118:119], v[120:121], -v[118:119]
	v_add_f64 v[120:121], v[116:117], v[10:11]
	v_add_f64 v[122:123], v[120:121], -v[116:117]
	v_add_f64 v[124:125], v[120:121], -v[122:123]
	;; [unrolled: 1-line block ×4, first 2 shown]
	v_add_f64 v[10:11], v[10:11], v[116:117]
	v_add_f64 v[116:117], v[118:119], v[6:7]
	v_add_f64 v[122:123], v[116:117], -v[118:119]
	v_add_f64 v[124:125], v[116:117], -v[122:123]
	v_add_f64 v[10:11], v[116:117], v[10:11]
	v_add_f64 v[118:119], v[118:119], -v[124:125]
	v_add_f64 v[6:7], v[6:7], -v[122:123]
	v_add_f64 v[116:117], v[120:121], v[10:11]
	v_add_f64 v[6:7], v[6:7], v[118:119]
	v_add_f64 v[118:119], v[116:117], -v[120:121]
	v_add_f64 v[10:11], v[10:11], -v[118:119]
	v_add_f64 v[6:7], v[6:7], v[10:11]
	v_add_f64 v[6:7], v[116:117], v[6:7]
	v_cmp_class_f64_e64 vcc, v[2:3], s11
	v_cndmask_b32_e32 v17, v6, v2, vcc
	v_cndmask_b32_e32 v6, v7, v3, vcc
	v_cmp_neq_f64_e32 vcc, 0, v[2:3]
	v_cndmask_b32_e32 v3, v92, v6, vcc
	v_add_f64 v[6:7], v[8:9], 1.0
	v_add_f64 v[6:7], v[6:7], -1.0
	v_add_f64 v[116:117], v[6:7], s[70:71]
	v_div_scale_f64 v[10:11], s[4:5], v[116:117], v[116:117], s[72:73]
	v_rcp_f64_e32 v[118:119], v[10:11]
	v_cndmask_b32_e32 v2, 0, v17, vcc
	v_add_f64 v[2:3], v[4:5], v[2:3]
	v_fma_f64 v[4:5], v[84:85], v[8:9], v[82:83]
	v_fma_f64 v[120:121], -v[10:11], v[118:119], 1.0
	v_fmac_f64_e32 v[118:119], v[118:119], v[120:121]
	v_fma_f64 v[120:121], -v[10:11], v[118:119], 1.0
	v_fmac_f64_e32 v[118:119], v[118:119], v[120:121]
	v_div_scale_f64 v[120:121], vcc, s[72:73], v[116:117], s[72:73]
	v_mul_f64 v[122:123], v[120:121], v[118:119]
	v_fma_f64 v[120:121], -v[10:11], v[122:123], v[120:121]
	v_add_f64 v[10:11], v[6:7], s[74:75]
	v_div_scale_f64 v[124:125], s[4:5], v[10:11], v[10:11], s[76:77]
	v_rcp_f64_e32 v[126:127], v[124:125]
	v_div_fmas_f64 v[118:119], v[120:121], v[118:119], v[122:123]
	v_div_fixup_f64 v[116:117], v[118:119], v[116:117], s[72:73]
	v_add_f64 v[122:123], v[6:7], s[78:79]
	v_fma_f64 v[118:119], -v[124:125], v[126:127], 1.0
	v_fmac_f64_e32 v[126:127], v[126:127], v[118:119]
	v_fma_f64 v[118:119], -v[124:125], v[126:127], 1.0
	v_fmac_f64_e32 v[126:127], v[126:127], v[118:119]
	v_div_scale_f64 v[118:119], vcc, s[76:77], v[10:11], s[76:77]
	v_mul_f64 v[120:121], v[118:119], v[126:127]
	v_fma_f64 v[118:119], -v[124:125], v[120:121], v[118:119]
	v_div_scale_f64 v[124:125], s[4:5], v[122:123], v[122:123], s[80:81]
	v_rcp_f64_e32 v[128:129], v[124:125]
	v_div_fmas_f64 v[118:119], v[118:119], v[126:127], v[120:121]
	v_add_f64 v[116:117], v[116:117], 0
	v_div_fixup_f64 v[118:119], v[118:119], v[10:11], s[76:77]
	v_add_f64 v[116:117], v[118:119], v[116:117]
	v_fma_f64 v[118:119], -v[124:125], v[128:129], 1.0
	v_fmac_f64_e32 v[128:129], v[128:129], v[118:119]
	v_fma_f64 v[118:119], -v[124:125], v[128:129], 1.0
	v_fmac_f64_e32 v[128:129], v[128:129], v[118:119]
	v_div_scale_f64 v[118:119], vcc, s[80:81], v[122:123], s[80:81]
	v_mul_f64 v[120:121], v[118:119], v[128:129]
	v_fma_f64 v[118:119], -v[124:125], v[120:121], v[118:119]
	v_add_f64 v[124:125], v[6:7], s[82:83]
	v_div_scale_f64 v[126:127], s[4:5], v[124:125], v[124:125], s[84:85]
	v_rcp_f64_e32 v[130:131], v[126:127]
	v_div_fmas_f64 v[118:119], v[118:119], v[128:129], v[120:121]
	v_div_fixup_f64 v[118:119], v[118:119], v[122:123], s[80:81]
	v_add_f64 v[116:117], v[116:117], v[118:119]
	v_fma_f64 v[118:119], -v[126:127], v[130:131], 1.0
	v_fmac_f64_e32 v[130:131], v[130:131], v[118:119]
	v_fma_f64 v[118:119], -v[126:127], v[130:131], 1.0
	v_fmac_f64_e32 v[130:131], v[130:131], v[118:119]
	v_div_scale_f64 v[118:119], vcc, s[84:85], v[124:125], s[84:85]
	v_mul_f64 v[120:121], v[118:119], v[130:131]
	v_add_f64 v[122:123], v[6:7], 4.0
	v_fma_f64 v[118:119], -v[126:127], v[120:121], v[118:119]
	v_div_scale_f64 v[126:127], s[4:5], v[122:123], v[122:123], s[86:87]
	v_rcp_f64_e32 v[128:129], v[126:127]
	v_div_fmas_f64 v[118:119], v[118:119], v[130:131], v[120:121]
	v_div_fixup_f64 v[118:119], v[118:119], v[124:125], s[84:85]
	v_add_f64 v[116:117], v[118:119], v[116:117]
	v_fma_f64 v[118:119], -v[126:127], v[128:129], 1.0
	v_fmac_f64_e32 v[128:129], v[128:129], v[118:119]
	v_fma_f64 v[118:119], -v[126:127], v[128:129], 1.0
	v_fmac_f64_e32 v[128:129], v[128:129], v[118:119]
	v_div_scale_f64 v[118:119], vcc, s[86:87], v[122:123], s[86:87]
	v_mul_f64 v[120:121], v[118:119], v[128:129]
	v_add_f64 v[124:125], v[6:7], s[14:15]
	v_fma_f64 v[118:119], -v[126:127], v[120:121], v[118:119]
	v_div_scale_f64 v[126:127], s[4:5], v[124:125], v[124:125], s[88:89]
	v_rcp_f64_e32 v[130:131], v[126:127]
	v_div_fmas_f64 v[118:119], v[118:119], v[128:129], v[120:121]
	v_div_fixup_f64 v[118:119], v[118:119], v[122:123], s[86:87]
	v_add_f64 v[116:117], v[116:117], v[118:119]
	v_fma_f64 v[118:119], -v[126:127], v[130:131], 1.0
	v_fmac_f64_e32 v[130:131], v[130:131], v[118:119]
	v_fma_f64 v[118:119], -v[126:127], v[130:131], 1.0
	v_fmac_f64_e32 v[130:131], v[130:131], v[118:119]
	v_div_scale_f64 v[118:119], vcc, s[88:89], v[124:125], s[88:89]
	v_mul_f64 v[120:121], v[118:119], v[130:131]
	v_add_f64 v[122:123], v[6:7], 2.0
	v_fma_f64 v[118:119], -v[126:127], v[120:121], v[118:119]
	v_div_scale_f64 v[126:127], s[4:5], v[122:123], v[122:123], s[90:91]
	v_rcp_f64_e32 v[128:129], v[126:127]
	v_div_fmas_f64 v[118:119], v[118:119], v[130:131], v[120:121]
	v_div_fixup_f64 v[118:119], v[118:119], v[124:125], s[88:89]
	v_add_f64 v[116:117], v[118:119], v[116:117]
	v_fma_f64 v[118:119], -v[126:127], v[128:129], 1.0
	v_fmac_f64_e32 v[128:129], v[128:129], v[118:119]
	v_fma_f64 v[118:119], -v[126:127], v[128:129], 1.0
	v_fmac_f64_e32 v[128:129], v[128:129], v[118:119]
	v_div_scale_f64 v[118:119], vcc, s[90:91], v[122:123], s[90:91]
	v_mul_f64 v[120:121], v[118:119], v[128:129]
	v_add_f64 v[124:125], v[6:7], 1.0
	v_fma_f64 v[118:119], -v[126:127], v[120:121], v[118:119]
	v_div_scale_f64 v[126:127], s[4:5], v[124:125], v[124:125], s[92:93]
	v_rcp_f64_e32 v[130:131], v[126:127]
	v_div_fmas_f64 v[118:119], v[118:119], v[128:129], v[120:121]
	v_div_fixup_f64 v[118:119], v[118:119], v[122:123], s[90:91]
	v_add_f64 v[116:117], v[116:117], v[118:119]
	v_fma_f64 v[118:119], -v[126:127], v[130:131], 1.0
	v_fmac_f64_e32 v[130:131], v[130:131], v[118:119]
	v_fma_f64 v[118:119], -v[126:127], v[130:131], 1.0
	v_fmac_f64_e32 v[130:131], v[130:131], v[118:119]
	v_div_scale_f64 v[118:119], vcc, s[92:93], v[124:125], s[92:93]
	v_mul_f64 v[120:121], v[118:119], v[130:131]
	v_fma_f64 v[118:119], -v[126:127], v[120:121], v[118:119]
	v_add_f64 v[10:11], v[10:11], 0.5
	s_nop 0
	v_div_fmas_f64 v[118:119], v[118:119], v[130:131], v[120:121]
	v_div_fixup_f64 v[118:119], v[118:119], v[124:125], s[92:93]
	v_add_f64 v[116:117], v[118:119], v[116:117]
	v_add_f64 v[116:117], v[116:117], s[12:13]
	v_frexp_mant_f64_e32 v[118:119], v[116:117]
	v_cmp_gt_f64_e32 vcc, s[36:37], v[118:119]
	v_cndmask_b32_e64 v17, v90, 2.0, vcc
	v_frexp_exp_i32_f64_e32 v120, v[116:117]
	v_mul_f64 v[118:119], v[118:119], v[16:17]
	v_subbrev_co_u32_e32 v17, vcc, 0, v120, vcc
	v_add_f64 v[120:121], v[118:119], 1.0
	v_rcp_f64_e32 v[122:123], v[120:121]
	v_add_f64 v[126:127], v[120:121], -1.0
	v_add_f64 v[124:125], v[118:119], -1.0
	v_add_f64 v[118:119], v[118:119], -v[126:127]
	v_fma_f64 v[126:127], -v[120:121], v[122:123], 1.0
	v_fmac_f64_e32 v[122:123], v[126:127], v[122:123]
	v_fma_f64 v[126:127], -v[120:121], v[122:123], 1.0
	v_fmac_f64_e32 v[122:123], v[126:127], v[122:123]
	v_mul_f64 v[126:127], v[124:125], v[122:123]
	v_mul_f64 v[128:129], v[120:121], v[126:127]
	v_fma_f64 v[120:121], v[126:127], v[120:121], -v[128:129]
	v_fmac_f64_e32 v[120:121], v[126:127], v[118:119]
	v_add_f64 v[118:119], v[128:129], v[120:121]
	v_add_f64 v[130:131], v[124:125], -v[118:119]
	v_add_f64 v[128:129], v[118:119], -v[128:129]
	v_add_f64 v[124:125], v[124:125], -v[130:131]
	v_add_f64 v[118:119], v[124:125], -v[118:119]
	v_add_f64 v[120:121], v[128:129], -v[120:121]
	v_add_f64 v[118:119], v[120:121], v[118:119]
	v_add_f64 v[118:119], v[130:131], v[118:119]
	v_mul_f64 v[118:119], v[122:123], v[118:119]
	v_add_f64 v[120:121], v[126:127], v[118:119]
	v_add_f64 v[122:123], v[120:121], -v[126:127]
	v_add_f64 v[118:119], v[118:119], -v[122:123]
	v_mul_f64 v[122:123], v[120:121], v[120:121]
	v_fma_f64 v[124:125], s[40:41], v[122:123], v[0:1]
	v_fma_f64 v[124:125], v[122:123], v[124:125], s[42:43]
	;; [unrolled: 1-line block ×6, first 2 shown]
	v_ldexp_f64 v[126:127], v[120:121], 1
	v_mul_f64 v[120:121], v[120:121], v[122:123]
	v_mul_f64 v[120:121], v[120:121], v[124:125]
	v_add_f64 v[122:123], v[126:127], v[120:121]
	v_add_f64 v[124:125], v[122:123], -v[126:127]
	v_ldexp_f64 v[118:119], v[118:119], 1
	v_add_f64 v[120:121], v[120:121], -v[124:125]
	v_add_f64 v[118:119], v[118:119], v[120:121]
	v_add_f64 v[120:121], v[122:123], v[118:119]
	v_add_f64 v[122:123], v[120:121], -v[122:123]
	v_add_f64 v[118:119], v[118:119], -v[122:123]
	v_cvt_f64_i32_e32 v[122:123], v17
	v_mul_f64 v[124:125], v[122:123], s[52:53]
	v_fma_f64 v[126:127], v[122:123], s[52:53], -v[124:125]
	v_fmac_f64_e32 v[126:127], s[54:55], v[122:123]
	v_add_f64 v[122:123], v[124:125], v[126:127]
	v_add_f64 v[124:125], v[122:123], -v[124:125]
	v_add_f64 v[124:125], v[126:127], -v[124:125]
	v_add_f64 v[126:127], v[122:123], v[120:121]
	v_add_f64 v[128:129], v[126:127], -v[122:123]
	v_add_f64 v[130:131], v[126:127], -v[128:129]
	;; [unrolled: 1-line block ×4, first 2 shown]
	v_add_f64 v[120:121], v[120:121], v[122:123]
	v_add_f64 v[122:123], v[124:125], v[118:119]
	v_add_f64 v[128:129], v[122:123], -v[124:125]
	v_add_f64 v[130:131], v[122:123], -v[128:129]
	v_add_f64 v[120:121], v[122:123], v[120:121]
	v_add_f64 v[124:125], v[124:125], -v[130:131]
	v_add_f64 v[118:119], v[118:119], -v[128:129]
	v_add_f64 v[122:123], v[126:127], v[120:121]
	v_add_f64 v[118:119], v[118:119], v[124:125]
	v_add_f64 v[124:125], v[122:123], -v[126:127]
	v_add_f64 v[120:121], v[120:121], -v[124:125]
	v_add_f64 v[118:119], v[118:119], v[120:121]
	v_add_f64 v[118:119], v[122:123], v[118:119]
	v_cmp_class_f64_e64 vcc, v[116:117], s11
	v_div_scale_f64 v[120:121], s[4:5], s[34:35], s[34:35], v[10:11]
	v_cndmask_b32_e32 v119, v119, v117, vcc
	v_cndmask_b32_e32 v118, v118, v116, vcc
	v_rcp_f64_e32 v[122:123], v[120:121]
	v_add_f64 v[118:119], v[118:119], s[66:67]
	v_add_f64 v[118:119], v[118:119], s[68:69]
	v_cmp_ngt_f64_e32 vcc, 0, v[116:117]
	v_cndmask_b32_e32 v17, v91, v119, vcc
	v_cmp_nge_f64_e32 vcc, 0, v[116:117]
	v_cndmask_b32_e32 v118, 0, v118, vcc
	v_cmp_neq_f64_e32 vcc, 0, v[116:117]
	v_fma_f64 v[116:117], -v[120:121], v[122:123], 1.0
	v_fmac_f64_e32 v[122:123], v[122:123], v[116:117]
	v_fma_f64 v[116:117], -v[120:121], v[122:123], 1.0
	v_cndmask_b32_e32 v119, v92, v17, vcc
	v_fmac_f64_e32 v[122:123], v[122:123], v[116:117]
	v_div_scale_f64 v[116:117], vcc, v[10:11], s[34:35], v[10:11]
	v_mul_f64 v[124:125], v[116:117], v[122:123]
	v_fma_f64 v[116:117], -v[120:121], v[124:125], v[116:117]
	v_add_f64 v[6:7], v[6:7], 0.5
	s_nop 0
	v_div_fmas_f64 v[116:117], v[116:117], v[122:123], v[124:125]
	v_div_fixup_f64 v[10:11], v[116:117], s[34:35], v[10:11]
	v_frexp_mant_f64_e32 v[116:117], v[10:11]
	v_cmp_gt_f64_e32 vcc, s[36:37], v[116:117]
	v_cndmask_b32_e64 v17, v90, 2.0, vcc
	v_frexp_exp_i32_f64_e32 v120, v[10:11]
	v_mul_f64 v[116:117], v[116:117], v[16:17]
	v_subbrev_co_u32_e32 v17, vcc, 0, v120, vcc
	v_add_f64 v[120:121], v[116:117], 1.0
	v_rcp_f64_e32 v[122:123], v[120:121]
	v_add_f64 v[126:127], v[120:121], -1.0
	v_add_f64 v[124:125], v[116:117], -1.0
	v_add_f64 v[116:117], v[116:117], -v[126:127]
	v_fma_f64 v[126:127], -v[120:121], v[122:123], 1.0
	v_fmac_f64_e32 v[122:123], v[126:127], v[122:123]
	v_fma_f64 v[126:127], -v[120:121], v[122:123], 1.0
	v_fmac_f64_e32 v[122:123], v[126:127], v[122:123]
	v_mul_f64 v[126:127], v[124:125], v[122:123]
	v_mul_f64 v[128:129], v[120:121], v[126:127]
	v_fma_f64 v[120:121], v[126:127], v[120:121], -v[128:129]
	v_fmac_f64_e32 v[120:121], v[126:127], v[116:117]
	v_add_f64 v[116:117], v[128:129], v[120:121]
	v_add_f64 v[130:131], v[124:125], -v[116:117]
	v_add_f64 v[128:129], v[116:117], -v[128:129]
	;; [unrolled: 1-line block ×5, first 2 shown]
	v_add_f64 v[116:117], v[120:121], v[116:117]
	v_add_f64 v[116:117], v[130:131], v[116:117]
	v_mul_f64 v[116:117], v[122:123], v[116:117]
	v_add_f64 v[120:121], v[126:127], v[116:117]
	v_add_f64 v[122:123], v[120:121], -v[126:127]
	v_add_f64 v[116:117], v[116:117], -v[122:123]
	v_mul_f64 v[122:123], v[120:121], v[120:121]
	v_fmac_f64_e32 v[0:1], s[40:41], v[122:123]
	v_fma_f64 v[0:1], v[122:123], v[0:1], s[42:43]
	v_fma_f64 v[0:1], v[122:123], v[0:1], s[44:45]
	;; [unrolled: 1-line block ×5, first 2 shown]
	v_ldexp_f64 v[124:125], v[120:121], 1
	v_mul_f64 v[120:121], v[120:121], v[122:123]
	v_mul_f64 v[0:1], v[120:121], v[0:1]
	v_add_f64 v[120:121], v[124:125], v[0:1]
	v_add_f64 v[122:123], v[120:121], -v[124:125]
	v_ldexp_f64 v[116:117], v[116:117], 1
	v_add_f64 v[0:1], v[0:1], -v[122:123]
	v_add_f64 v[0:1], v[116:117], v[0:1]
	v_add_f64 v[116:117], v[120:121], v[0:1]
	v_add_f64 v[120:121], v[116:117], -v[120:121]
	v_add_f64 v[0:1], v[0:1], -v[120:121]
	v_cvt_f64_i32_e32 v[120:121], v17
	v_mul_f64 v[122:123], v[120:121], s[52:53]
	v_fma_f64 v[124:125], v[120:121], s[52:53], -v[122:123]
	v_fmac_f64_e32 v[124:125], s[54:55], v[120:121]
	v_add_f64 v[120:121], v[122:123], v[124:125]
	v_add_f64 v[122:123], v[120:121], -v[122:123]
	v_add_f64 v[122:123], v[124:125], -v[122:123]
	v_add_f64 v[124:125], v[120:121], v[116:117]
	v_add_f64 v[126:127], v[124:125], -v[120:121]
	v_add_f64 v[128:129], v[124:125], -v[126:127]
	;; [unrolled: 1-line block ×4, first 2 shown]
	v_add_f64 v[116:117], v[116:117], v[120:121]
	v_add_f64 v[120:121], v[122:123], v[0:1]
	v_add_f64 v[126:127], v[120:121], -v[122:123]
	v_add_f64 v[128:129], v[120:121], -v[126:127]
	v_add_f64 v[116:117], v[120:121], v[116:117]
	v_add_f64 v[122:123], v[122:123], -v[128:129]
	v_add_f64 v[0:1], v[0:1], -v[126:127]
	v_add_f64 v[120:121], v[124:125], v[116:117]
	v_add_f64 v[0:1], v[0:1], v[122:123]
	v_add_f64 v[122:123], v[120:121], -v[124:125]
	v_add_f64 v[116:117], v[116:117], -v[122:123]
	v_add_f64 v[0:1], v[0:1], v[116:117]
	v_add_f64 v[0:1], v[120:121], v[0:1]
	v_cmp_class_f64_e64 vcc, v[10:11], s11
	v_cndmask_b32_e32 v0, v0, v10, vcc
	v_cndmask_b32_e32 v1, v1, v11, vcc
	v_cmp_ngt_f64_e32 vcc, 0, v[10:11]
	v_cndmask_b32_e32 v1, v91, v1, vcc
	v_cmp_nge_f64_e32 vcc, 0, v[10:11]
	v_cndmask_b32_e32 v0, 0, v0, vcc
	v_cmp_neq_f64_e32 vcc, 0, v[10:11]
	v_cndmask_b32_e32 v1, v92, v1, vcc
	v_fmac_f64_e32 v[118:119], v[6:7], v[0:1]
	v_add_f64 v[0:1], v[4:5], -v[118:119]
	v_cvt_u32_f64_e32 v4, v[8:9]
	v_cmp_le_f64_e32 vcc, v[2:3], v[0:1]
	v_cndmask_b32_e64 v117, 0, 1, vcc
	v_cndmask_b32_e32 v77, v77, v4, vcc
	v_mov_b32_e32 v116, v115
.LBB88_22:                              ;   in Loop: Header=BB88_12 Depth=2
	s_or_b64 exec, exec, s[22:23]
	v_cmp_gt_i32_e32 vcc, 2, v117
	s_or_b64 s[18:19], vcc, s[18:19]
	v_mov_b32_e32 v17, v116
	v_mov_b32_e32 v0, v89
	v_mov_b32_e32 v1, v88
	v_mov_b32_e32 v2, v87
	v_mov_b32_e32 v3, v86
	s_andn2_b64 exec, exec, s[18:19]
	s_cbranch_execnz .LBB88_12
; %bb.23:                               ;   in Loop: Header=BB88_12 Depth=2
	s_or_b64 exec, exec, s[18:19]
	v_cmp_ne_u32_e32 vcc, 0, v117
	s_or_b64 s[56:57], vcc, s[56:57]
	s_mov_b64 s[18:19], 0
	v_mov_b32_e32 v17, v116
	v_mov_b32_e32 v0, v89
	;; [unrolled: 1-line block ×5, first 2 shown]
	s_andn2_b64 exec, exec, s[56:57]
	s_cbranch_execnz .LBB88_12
; %bb.24:                               ;   in Loop: Header=BB88_6 Depth=1
	s_or_b64 exec, exec, s[56:57]
                                        ; implicit-def: $vgpr74_vgpr75
                                        ; implicit-def: $vgpr17
                                        ; implicit-def: $vgpr95
                                        ; implicit-def: $vgpr96
                                        ; implicit-def: $vgpr103
                                        ; implicit-def: $vgpr94
                                        ; implicit-def: $vgpr3
                                        ; implicit-def: $vgpr4_vgpr5
                                        ; implicit-def: $vgpr97
                                        ; implicit-def: $vgpr98
                                        ; implicit-def: $vgpr99
                                        ; implicit-def: $vgpr100
                                        ; implicit-def: $vgpr102
                                        ; implicit-def: $vgpr104
                                        ; implicit-def: $vgpr105
                                        ; implicit-def: $vgpr106
                                        ; implicit-def: $vgpr107
                                        ; implicit-def: $vgpr108
                                        ; implicit-def: $vgpr109
                                        ; implicit-def: $vgpr110
                                        ; implicit-def: $vgpr111
                                        ; implicit-def: $vgpr112
                                        ; implicit-def: $vgpr101
                                        ; implicit-def: $vgpr113
.LBB88_25:                              ;   in Loop: Header=BB88_6 Depth=1
	s_andn2_saveexec_b64 s[18:19], s[24:25]
	s_cbranch_execz .LBB88_37
; %bb.26:                               ;   in Loop: Header=BB88_6 Depth=1
	v_add_co_u32_e32 v6, vcc, 1, v95
	v_cndmask_b32_e64 v7, 0, 1, vcc
	v_addc_co_u32_e32 v10, vcc, 0, v96, vcc
	v_cmp_eq_u32_e32 vcc, 0, v10
	v_cndmask_b32_e32 v7, 0, v7, vcc
	v_add_u32_e32 v8, v7, v12
	v_cmp_eq_u32_e32 vcc, 0, v8
	v_cndmask_b32_e32 v11, 0, v7, vcc
	v_mad_u64_u32 v[6:7], s[4:5], v6, s8, 0
	v_mad_u64_u32 v[8:9], s[4:5], v8, s33, 0
	v_xor_b32_e32 v7, v7, v75
	v_xor_b32_e32 v9, v9, v74
	v_xor_b32_e32 v7, v11, v7
	v_xor_b32_e32 v9, v10, v9
	v_mad_u64_u32 v[74:75], s[4:5], v7, s33, 0
	v_mad_u64_u32 v[10:11], s[4:5], v9, s8, 0
	v_xor_b32_e32 v7, v97, v75
	v_xor_b32_e32 v7, v7, v8
	v_xor_b32_e32 v8, v98, v11
	v_xor_b32_e32 v8, v8, v6
	;; [unrolled: 6-line block ×8, first 2 shown]
	v_mad_u64_u32 v[76:77], s[4:5], v7, s8, 0
	v_mad_u64_u32 v[8:9], s[4:5], v6, s33, 0
	v_xor_b32_e32 v6, v113, v77
	v_xor_b32_e32 v6, v6, v10
	v_mad_u64_u32 v[6:7], s[4:5], v6, s33, 0
	v_xor_b32_e32 v7, v7, v8
	v_xor_b32_e32 v10, v103, v7
	v_cmp_lt_i32_e32 vcc, 1, v17
                                        ; implicit-def: $vgpr8
	s_and_saveexec_b64 s[4:5], vcc
	s_xor_b64 s[4:5], exec, s[4:5]
	s_cbranch_execz .LBB88_32
; %bb.27:                               ;   in Loop: Header=BB88_6 Depth=1
	v_cmp_lt_i32_e32 vcc, 2, v17
                                        ; implicit-def: $vgpr8
	s_and_saveexec_b64 s[22:23], vcc
	s_xor_b64 s[22:23], exec, s[22:23]
; %bb.28:                               ;   in Loop: Header=BB88_6 Depth=1
	v_xor_b32_e32 v0, v101, v9
	v_xor_b32_e32 v0, v0, v74
	v_mul_hi_u32 v0, v0, s8
	v_xor_b32_e32 v0, v0, v76
	v_xor_b32_e32 v8, v94, v0
; %bb.29:                               ;   in Loop: Header=BB88_6 Depth=1
	s_andn2_saveexec_b64 s[22:23], s[22:23]
; %bb.30:                               ;   in Loop: Header=BB88_6 Depth=1
	v_mov_b32_e32 v8, v6
	v_mov_b32_e32 v6, v10
	;; [unrolled: 1-line block ×4, first 2 shown]
; %bb.31:                               ;   in Loop: Header=BB88_6 Depth=1
	s_or_b64 exec, exec, s[22:23]
                                        ; implicit-def: $vgpr17
.LBB88_32:                              ;   in Loop: Header=BB88_6 Depth=1
	s_andn2_saveexec_b64 s[4:5], s[4:5]
	s_cbranch_execz .LBB88_36
; %bb.33:                               ;   in Loop: Header=BB88_6 Depth=1
	v_cmp_eq_u32_e32 vcc, 1, v17
	v_mov_b32_e32 v8, v3
	v_mov_b32_e32 v6, v2
	;; [unrolled: 1-line block ×3, first 2 shown]
	s_and_saveexec_b64 s[22:23], vcc
; %bb.34:                               ;   in Loop: Header=BB88_6 Depth=1
	v_mov_b32_e32 v8, v10
	v_mov_b32_e32 v6, v3
	;; [unrolled: 1-line block ×4, first 2 shown]
; %bb.35:                               ;   in Loop: Header=BB88_6 Depth=1
	s_or_b64 exec, exec, s[22:23]
	v_mov_b32_e32 v3, v0
	v_mov_b32_e32 v10, v7
.LBB88_36:                              ;   in Loop: Header=BB88_6 Depth=1
	s_or_b64 exec, exec, s[4:5]
	v_mov_b32_e32 v11, v16
	v_lshlrev_b64 v[0:1], 21, v[10:11]
	v_xor_b32_e32 v2, v0, v3
	v_cvt_f64_u32_e32 v[0:1], v1
	v_ldexp_f64 v[0:1], v[0:1], 32
	v_cvt_f64_u32_e32 v[2:3], v2
	v_add_f64 v[0:1], v[0:1], v[2:3]
	v_mov_b32_e32 v2, 0
	v_mov_b32_e32 v3, 0x3ca00000
	v_fmac_f64_e32 v[2:3], 0x3ca00000, v[0:1]
	v_mov_b32_e32 v9, v16
	v_lshlrev_b64 v[0:1], 21, v[8:9]
	v_frexp_mant_f64_e32 v[8:9], v[2:3]
	v_cmp_gt_f64_e32 vcc, s[36:37], v[8:9]
	v_cndmask_b32_e64 v17, v90, 2.0, vcc
	v_frexp_exp_i32_f64_e32 v10, v[2:3]
	v_mul_f64 v[8:9], v[8:9], v[16:17]
	v_subbrev_co_u32_e32 v17, vcc, 0, v10, vcc
	v_add_f64 v[10:11], v[8:9], 1.0
	v_rcp_f64_e32 v[74:75], v[10:11]
	v_add_f64 v[78:79], v[10:11], -1.0
	v_add_f64 v[76:77], v[8:9], -1.0
	v_add_f64 v[8:9], v[8:9], -v[78:79]
	v_fma_f64 v[78:79], -v[10:11], v[74:75], 1.0
	v_fmac_f64_e32 v[74:75], v[78:79], v[74:75]
	v_fma_f64 v[78:79], -v[10:11], v[74:75], 1.0
	v_fmac_f64_e32 v[74:75], v[78:79], v[74:75]
	v_mul_f64 v[78:79], v[76:77], v[74:75]
	v_mul_f64 v[80:81], v[10:11], v[78:79]
	v_fma_f64 v[10:11], v[78:79], v[10:11], -v[80:81]
	v_fmac_f64_e32 v[10:11], v[78:79], v[8:9]
	v_add_f64 v[8:9], v[80:81], v[10:11]
	v_add_f64 v[82:83], v[76:77], -v[8:9]
	v_add_f64 v[80:81], v[8:9], -v[80:81]
	;; [unrolled: 1-line block ×5, first 2 shown]
	v_add_f64 v[8:9], v[10:11], v[8:9]
	v_add_f64 v[8:9], v[82:83], v[8:9]
	v_mul_f64 v[8:9], v[74:75], v[8:9]
	v_add_f64 v[10:11], v[78:79], v[8:9]
	v_add_f64 v[74:75], v[10:11], -v[78:79]
	v_add_f64 v[8:9], v[8:9], -v[74:75]
	v_mul_f64 v[74:75], v[10:11], v[10:11]
	v_pk_mov_b32 v[76:77], v[20:21], v[20:21] op_sel:[0,1]
	v_fmac_f64_e32 v[76:77], s[40:41], v[74:75]
	v_pk_mov_b32 v[78:79], v[22:23], v[22:23] op_sel:[0,1]
	v_fmac_f64_e32 v[78:79], v[74:75], v[76:77]
	;; [unrolled: 2-line block ×6, first 2 shown]
	v_ldexp_f64 v[76:77], v[10:11], 1
	v_mul_f64 v[10:11], v[10:11], v[74:75]
	v_mul_f64 v[10:11], v[10:11], v[78:79]
	v_add_f64 v[74:75], v[76:77], v[10:11]
	v_add_f64 v[76:77], v[74:75], -v[76:77]
	v_ldexp_f64 v[8:9], v[8:9], 1
	v_add_f64 v[10:11], v[10:11], -v[76:77]
	v_add_f64 v[8:9], v[8:9], v[10:11]
	v_add_f64 v[10:11], v[74:75], v[8:9]
	v_add_f64 v[74:75], v[10:11], -v[74:75]
	v_add_f64 v[8:9], v[8:9], -v[74:75]
	v_cvt_f64_i32_e32 v[74:75], v17
	v_mul_f64 v[76:77], v[74:75], s[52:53]
	v_fma_f64 v[78:79], v[74:75], s[52:53], -v[76:77]
	v_fmac_f64_e32 v[78:79], s[54:55], v[74:75]
	v_add_f64 v[74:75], v[76:77], v[78:79]
	v_add_f64 v[76:77], v[74:75], -v[76:77]
	v_add_f64 v[76:77], v[78:79], -v[76:77]
	v_add_f64 v[78:79], v[74:75], v[10:11]
	v_add_f64 v[80:81], v[78:79], -v[74:75]
	v_add_f64 v[82:83], v[78:79], -v[80:81]
	;; [unrolled: 1-line block ×4, first 2 shown]
	v_add_f64 v[10:11], v[10:11], v[74:75]
	v_add_f64 v[74:75], v[76:77], v[8:9]
	v_add_f64 v[80:81], v[74:75], -v[76:77]
	v_add_f64 v[82:83], v[74:75], -v[80:81]
	v_add_f64 v[10:11], v[74:75], v[10:11]
	v_add_f64 v[76:77], v[76:77], -v[82:83]
	v_add_f64 v[8:9], v[8:9], -v[80:81]
	v_add_f64 v[74:75], v[78:79], v[10:11]
	v_add_f64 v[8:9], v[8:9], v[76:77]
	v_add_f64 v[76:77], v[74:75], -v[78:79]
	v_add_f64 v[10:11], v[10:11], -v[76:77]
	s_mov_b32 s24, 0
	v_add_f64 v[8:9], v[8:9], v[10:11]
	s_mov_b32 s25, 0x7ff00000
	v_add_f64 v[8:9], v[74:75], v[8:9]
	v_cmp_eq_f64_e32 vcc, s[24:25], v[2:3]
	v_cndmask_b32_e32 v9, v9, v3, vcc
	v_cndmask_b32_e32 v8, v8, v2, vcc
	v_mul_f64 v[8:9], v[8:9], -2.0
	v_cmp_neq_f64_e32 vcc, 0, v[2:3]
	s_mov_b32 s4, 0
	v_cndmask_b32_e32 v3, v93, v9, vcc
	v_cndmask_b32_e32 v2, 0, v8, vcc
	s_brev_b32 s5, 8
	v_cmp_gt_f64_e32 vcc, s[4:5], v[2:3]
	v_cndmask_b32_e64 v8, 0, 1, vcc
	v_lshlrev_b32_e32 v8, 8, v8
	v_ldexp_f64 v[2:3], v[2:3], v8
	v_xor_b32_e32 v6, v0, v6
	v_cvt_f64_u32_e32 v[0:1], v1
	v_rsq_f64_e32 v[8:9], v[2:3]
	v_ldexp_f64 v[0:1], v[0:1], 32
	v_cvt_f64_u32_e32 v[6:7], v6
	v_add_f64 v[0:1], v[0:1], v[6:7]
	v_mov_b32_e32 v6, 0
	v_mov_b32_e32 v7, 0x3cb00000
	v_fmac_f64_e32 v[6:7], 0x3cb00000, v[0:1]
	v_mul_f64 v[0:1], v[2:3], v[8:9]
	v_mul_f64 v[8:9], v[8:9], 0.5
	v_fma_f64 v[10:11], -v[8:9], v[0:1], 0.5
	v_fmac_f64_e32 v[0:1], v[0:1], v[10:11]
	v_fma_f64 v[74:75], -v[0:1], v[0:1], v[2:3]
	v_fmac_f64_e32 v[8:9], v[8:9], v[10:11]
	v_fmac_f64_e32 v[0:1], v[74:75], v[8:9]
	v_fma_f64 v[10:11], -v[0:1], v[0:1], v[2:3]
	v_fmac_f64_e32 v[0:1], v[10:11], v[8:9]
	v_cndmask_b32_e32 v8, 0, v19, vcc
	v_ldexp_f64 v[0:1], v[0:1], v8
	v_cmp_class_f64_e32 vcc, v[2:3], v15
	v_cndmask_b32_e32 v1, v1, v3, vcc
	v_cndmask_b32_e32 v0, v0, v2, vcc
	v_mul_f64 v[2:3], v[6:7], 0.5
	v_fract_f64_e32 v[8:9], v[2:3]
	v_add_f64 v[8:9], v[8:9], v[8:9]
	v_cmp_neq_f64_e32 vcc, s[24:25], v[2:3]
	v_cndmask_b32_e32 v2, 0, v8, vcc
	v_cndmask_b32_e32 v3, 0, v9, vcc
	v_cmp_lt_f64_e32 vcc, 1.0, v[6:7]
	v_cndmask_b32_e32 v3, v7, v3, vcc
	v_cndmask_b32_e32 v2, v6, v2, vcc
	v_add_f64 v[8:9], v[2:3], v[2:3]
	v_rndne_f64_e32 v[8:9], v[8:9]
	v_fmac_f64_e32 v[2:3], -0.5, v[8:9]
	s_mov_b32 s22, 0xf99eb0bb
	v_cvt_i32_f64_e32 v17, v[8:9]
	v_mul_f64 v[8:9], v[2:3], v[2:3]
	v_pk_mov_b32 v[10:11], v[50:51], v[50:51] op_sel:[0,1]
	s_mov_b32 s23, 0x3f3e357e
	v_fmac_f64_e32 v[10:11], s[22:23], v[8:9]
	v_pk_mov_b32 v[74:75], v[52:53], v[52:53] op_sel:[0,1]
	v_fmac_f64_e32 v[74:75], v[8:9], v[10:11]
	v_pk_mov_b32 v[10:11], v[54:55], v[54:55] op_sel:[0,1]
	;; [unrolled: 2-line block ×4, first 2 shown]
	v_fmac_f64_e32 v[10:11], v[8:9], v[74:75]
	v_mul_f64 v[74:75], v[2:3], v[8:9]
	s_mov_b32 s22, 0x54442d18
	v_mul_f64 v[10:11], v[74:75], v[10:11]
	s_mov_b32 s23, 0x400921fb
	v_fmac_f64_e32 v[10:11], s[22:23], v[2:3]
	s_mov_b32 s22, 0x2e21c33
	v_pk_mov_b32 v[2:3], v[60:61], v[60:61] op_sel:[0,1]
	s_mov_b32 s23, 0xbf1b1673
	v_fmac_f64_e32 v[2:3], s[22:23], v[8:9]
	v_pk_mov_b32 v[74:75], v[62:63], v[62:63] op_sel:[0,1]
	v_fmac_f64_e32 v[74:75], v[8:9], v[2:3]
	v_pk_mov_b32 v[2:3], v[64:65], v[64:65] op_sel:[0,1]
	;; [unrolled: 2-line block ×5, first 2 shown]
	v_fmac_f64_e32 v[74:75], v[8:9], v[2:3]
	v_fma_f64 v[2:3], v[8:9], v[74:75], 1.0
	v_and_b32_e32 v9, 1, v17
	v_lshlrev_b32_e32 v8, 30, v17
	v_cmp_eq_u32_e32 vcc, 0, v9
	v_cndmask_b32_e32 v10, v2, v10, vcc
	v_cndmask_b32_e32 v2, v3, v11, vcc
	v_xor_b32_e32 v3, v8, v7
	v_and_b32_e32 v3, 0x80000000, v3
	v_cmp_gt_f64_e32 vcc, s[4:5], v[4:5]
	v_xor_b32_e32 v11, v2, v3
	v_cndmask_b32_e64 v2, 0, 1, vcc
	v_lshlrev_b32_e32 v2, 8, v2
	v_ldexp_f64 v[2:3], v[4:5], v2
	v_rsq_f64_e32 v[8:9], v[2:3]
	v_cmp_lg_f64_e64 s[4:5], s[24:25], v[6:7]
	v_cndmask_b32_e64 v6, 0, v10, s[4:5]
	v_cndmask_b32_e64 v7, v91, v11, s[4:5]
	v_mul_f64 v[0:1], v[0:1], v[6:7]
	v_mul_f64 v[6:7], v[2:3], v[8:9]
	v_mul_f64 v[8:9], v[8:9], 0.5
	v_fma_f64 v[10:11], -v[8:9], v[6:7], 0.5
	v_fmac_f64_e32 v[6:7], v[6:7], v[10:11]
	v_fma_f64 v[74:75], -v[6:7], v[6:7], v[2:3]
	v_fmac_f64_e32 v[8:9], v[8:9], v[10:11]
	v_fmac_f64_e32 v[6:7], v[74:75], v[8:9]
	v_fma_f64 v[10:11], -v[6:7], v[6:7], v[2:3]
	v_fmac_f64_e32 v[6:7], v[10:11], v[8:9]
	v_cndmask_b32_e32 v8, 0, v19, vcc
	v_ldexp_f64 v[6:7], v[6:7], v8
	v_cmp_class_f64_e32 vcc, v[2:3], v15
	v_cndmask_b32_e32 v3, v7, v3, vcc
	v_cndmask_b32_e32 v2, v6, v2, vcc
	v_fmac_f64_e32 v[4:5], v[2:3], v[0:1]
	v_trunc_f64_e32 v[0:1], v[4:5]
	v_add_f64 v[2:3], v[4:5], -v[0:1]
	v_cmp_ge_f64_e64 vcc, |v[2:3]|, 0.5
	v_cndmask_b32_e32 v2, 0, v90, vcc
	s_brev_b32 s4, -2
	v_bfi_b32 v17, s4, v2, v5
	v_add_f64 v[0:1], v[0:1], v[16:17]
	v_cvt_u32_f64_e32 v77, v[0:1]
.LBB88_37:                              ;   in Loop: Header=BB88_6 Depth=1
	s_or_b64 exec, exec, s[18:19]
                                        ; implicit-def: $vgpr6
                                        ; implicit-def: $vgpr74_vgpr75
                                        ; implicit-def: $vgpr17
                                        ; implicit-def: $vgpr95
                                        ; implicit-def: $vgpr96
                                        ; implicit-def: $vgpr103
                                        ; implicit-def: $vgpr94
                                        ; implicit-def: $vgpr3
                                        ; implicit-def: $vgpr4_vgpr5
                                        ; implicit-def: $vgpr97
                                        ; implicit-def: $vgpr98
                                        ; implicit-def: $vgpr99
                                        ; implicit-def: $vgpr100
                                        ; implicit-def: $vgpr102
                                        ; implicit-def: $vgpr104
                                        ; implicit-def: $vgpr105
                                        ; implicit-def: $vgpr106
                                        ; implicit-def: $vgpr107
                                        ; implicit-def: $vgpr108
                                        ; implicit-def: $vgpr109
                                        ; implicit-def: $vgpr110
                                        ; implicit-def: $vgpr111
                                        ; implicit-def: $vgpr112
                                        ; implicit-def: $vgpr101
                                        ; implicit-def: $vgpr113
.LBB88_38:                              ;   in Loop: Header=BB88_6 Depth=1
	s_andn2_saveexec_b64 s[4:5], s[26:27]
	s_cbranch_execz .LBB88_4
; %bb.39:                               ;   in Loop: Header=BB88_6 Depth=1
	v_readlane_b32 s18, v132, 19
	v_readlane_b32 s19, v132, 20
	s_mov_b32 s18, s58
	v_mul_f64 v[8:9], v[4:5], s[18:19]
	v_rndne_f64_e32 v[10:11], v[8:9]
	s_mov_b32 s60, s52
	v_fma_f64 v[4:5], v[10:11], s[60:61], -v[4:5]
	s_mov_b32 s62, s54
	v_fmac_f64_e32 v[4:5], s[62:63], v[10:11]
	v_pk_mov_b32 v[8:9], v[32:33], v[32:33] op_sel:[0,1]
	v_fmac_f64_e32 v[8:9], s[64:65], v[4:5]
	v_pk_mov_b32 v[76:77], v[34:35], v[34:35] op_sel:[0,1]
	;; [unrolled: 2-line block ×9, first 2 shown]
	v_fmac_f64_e32 v[78:79], v[4:5], v[76:77]
	v_fma_f64 v[76:77], v[4:5], v[78:79], 1.0
	v_fma_f64 v[4:5], v[4:5], v[76:77], 1.0
	v_cvt_i32_f64_e32 v7, v[10:11]
	s_movk_i32 s18, 0x6433
	s_mov_b32 s23, s19
	v_mov_b32_e32 v8, 0
	v_ldexp_f64 v[4:5], v[4:5], v7
	v_cmp_nlt_f16_e32 vcc, s18, v6
	v_writelane_b32 v132, s22, 19
	v_mov_b32_e32 v9, 0x3ff00000
	v_mov_b32_e32 v80, 0
	v_cndmask_b32_e32 v11, 0, v5, vcc
	v_cndmask_b32_e32 v10, 0, v4, vcc
	s_mov_b32 s51, -1
	s_mov_b64 s[18:19], 0
	v_mov_b32_e32 v81, v12
	v_writelane_b32 v132, s23, 20
	s_branch .LBB88_41
.LBB88_40:                              ;   in Loop: Header=BB88_41 Depth=2
	s_or_b64 exec, exec, s[22:23]
	v_cmp_eq_u32_e32 vcc, 1, v17
	v_cndmask_b32_e32 v0, v0, v1, vcc
	v_cmp_eq_u32_e32 vcc, 2, v17
	v_cndmask_b32_e32 v0, v0, v2, vcc
	;; [unrolled: 2-line block ×6, first 2 shown]
	v_lshrrev_b32_e32 v0, 11, v0
	v_cvt_f64_u32_e32 v[0:1], v0
	v_ldexp_f64 v[0:1], v[0:1], 32
	v_cvt_f64_u32_e32 v[2:3], v2
	v_add_f64 v[0:1], v[0:1], v[2:3]
	v_mov_b32_e32 v2, 0
	v_mov_b32_e32 v3, 0x3ca00000
	v_fmac_f64_e32 v[2:3], 0x3ca00000, v[0:1]
	v_mul_f64 v[8:9], v[8:9], v[2:3]
	v_cmp_ngt_f64_e32 vcc, v[8:9], v[10:11]
	s_add_i32 s51, s51, 1
	s_or_b64 s[18:19], vcc, s[18:19]
	v_mov_b32_e32 v77, s51
	v_mov_b32_e32 v17, v83
	;; [unrolled: 1-line block ×6, first 2 shown]
	s_andn2_b64 exec, exec, s[18:19]
	s_cbranch_execz .LBB88_3
.LBB88_41:                              ;   Parent Loop BB88_6 Depth=1
                                        ; =>  This Inner Loop Header: Depth=2
	v_add_u32_e32 v82, 1, v17
	v_pk_mov_b32 v[6:7], v[2:3], v[2:3] op_sel:[0,1]
	v_cmp_eq_u32_e32 vcc, 4, v82
	v_pk_mov_b32 v[4:5], v[0:1], v[0:1] op_sel:[0,1]
	v_mov_b32_e32 v79, v0
	v_mov_b32_e32 v78, v1
	;; [unrolled: 1-line block ×4, first 2 shown]
	s_and_saveexec_b64 s[22:23], vcc
	s_cbranch_execz .LBB88_43
; %bb.42:                               ;   in Loop: Header=BB88_41 Depth=2
	v_add_co_u32_e32 v95, vcc, 1, v95
	v_cndmask_b32_e64 v4, 0, 1, vcc
	v_addc_co_u32_e32 v96, vcc, 0, v96, vcc
	v_cmp_eq_u32_e32 vcc, 0, v96
	v_cndmask_b32_e32 v4, 0, v4, vcc
	v_add_u32_e32 v81, v4, v81
	v_cmp_eq_u32_e32 vcc, 0, v81
	v_cndmask_b32_e32 v4, 0, v4, vcc
	v_add_u32_e32 v80, v4, v80
	v_mad_u64_u32 v[4:5], s[56:57], v95, s8, 0
	v_mad_u64_u32 v[6:7], s[56:57], v81, s33, 0
	v_xor_b32_e32 v5, v5, v75
	v_xor_b32_e32 v7, v7, v74
	v_xor_b32_e32 v5, v80, v5
	v_xor_b32_e32 v7, v96, v7
	v_mad_u64_u32 v[78:79], s[56:57], v5, s33, 0
	v_mad_u64_u32 v[76:77], s[56:57], v7, s8, 0
	v_xor_b32_e32 v5, v97, v79
	v_xor_b32_e32 v5, v5, v6
	v_xor_b32_e32 v6, v98, v77
	v_xor_b32_e32 v6, v6, v4
	;; [unrolled: 6-line block ×10, first 2 shown]
	v_mov_b32_e32 v82, 0
	v_mov_b32_e32 v5, v78
	;; [unrolled: 1-line block ×5, first 2 shown]
.LBB88_43:                              ;   in Loop: Header=BB88_41 Depth=2
	s_or_b64 exec, exec, s[22:23]
	v_add_u32_e32 v83, 1, v82
	v_cmp_eq_u32_e32 vcc, 4, v83
	s_and_saveexec_b64 s[22:23], vcc
	s_cbranch_execz .LBB88_40
; %bb.44:                               ;   in Loop: Header=BB88_41 Depth=2
	v_add_co_u32_e32 v95, vcc, 1, v95
	v_cndmask_b32_e64 v76, 0, 1, vcc
	v_addc_co_u32_e32 v96, vcc, 0, v96, vcc
	v_cmp_eq_u32_e32 vcc, 0, v96
	v_cndmask_b32_e32 v76, 0, v76, vcc
	v_add_u32_e32 v81, v76, v81
	v_cmp_eq_u32_e32 vcc, 0, v81
	v_cndmask_b32_e32 v76, 0, v76, vcc
	v_add_u32_e32 v80, v76, v80
	v_mad_u64_u32 v[76:77], s[56:57], v95, s8, 0
	v_mad_u64_u32 v[78:79], s[56:57], v81, s33, 0
	v_xor_b32_e32 v77, v77, v75
	v_xor_b32_e32 v79, v79, v74
	v_xor_b32_e32 v77, v80, v77
	v_xor_b32_e32 v79, v96, v79
	v_mad_u64_u32 v[86:87], s[56:57], v77, s33, 0
	v_mad_u64_u32 v[84:85], s[56:57], v79, s8, 0
	v_xor_b32_e32 v77, v97, v87
	v_xor_b32_e32 v77, v77, v78
	v_xor_b32_e32 v78, v98, v85
	v_xor_b32_e32 v78, v78, v76
	;; [unrolled: 6-line block ×9, first 2 shown]
	v_mad_u64_u32 v[76:77], s[56:57], v76, s8, 0
	v_mad_u64_u32 v[78:79], s[56:57], v78, s33, 0
	v_xor_b32_e32 v79, v79, v114
	v_xor_b32_e32 v77, v77, v88
	v_mov_b32_e32 v83, 0
	v_xor_b32_e32 v79, v103, v79
	v_xor_b32_e32 v84, v94, v77
	s_branch .LBB88_40
.LBB88_45:
	s_or_b64 exec, exec, s[6:7]
	s_and_b64 exec, exec, s[94:95]
	s_cbranch_execnz .LBB88_48
.LBB88_46:
	s_endpgm
.LBB88_47:
	s_mov_b64 s[94:95], -1
	s_and_b64 exec, exec, s[94:95]
	s_cbranch_execz .LBB88_46
.LBB88_48:
	s_trap 2
	; divergent unreachable
	s_endpgm
	.section	.rodata,"a",@progbits
	.p2align	6, 0x0
	.amdhsa_kernel _ZN2at4cuda12_GLOBAL__N_121kernelPointwiseApply2IZN12_GLOBAL__N_119poisson_cuda_kernelIN3c104HalfEEEvRKNS_10TensorBaseES9_NS_15PhiloxCudaStateEEUlRS6_RKS6_E_S6_S6_mLi1ELi1ELi1ELi512ELi2EEEvNS0_6detail10TensorInfoIT0_T2_EENSG_IT1_SI_EESI_T_
		.amdhsa_group_segment_fixed_size 0
		.amdhsa_private_segment_fixed_size 0
		.amdhsa_kernarg_size 1128
		.amdhsa_user_sgpr_count 6
		.amdhsa_user_sgpr_private_segment_buffer 1
		.amdhsa_user_sgpr_dispatch_ptr 0
		.amdhsa_user_sgpr_queue_ptr 0
		.amdhsa_user_sgpr_kernarg_segment_ptr 1
		.amdhsa_user_sgpr_dispatch_id 0
		.amdhsa_user_sgpr_flat_scratch_init 0
		.amdhsa_user_sgpr_kernarg_preload_length 0
		.amdhsa_user_sgpr_kernarg_preload_offset 0
		.amdhsa_user_sgpr_private_segment_size 0
		.amdhsa_uses_dynamic_stack 0
		.amdhsa_system_sgpr_private_segment_wavefront_offset 0
		.amdhsa_system_sgpr_workgroup_id_x 1
		.amdhsa_system_sgpr_workgroup_id_y 0
		.amdhsa_system_sgpr_workgroup_id_z 0
		.amdhsa_system_sgpr_workgroup_info 0
		.amdhsa_system_vgpr_workitem_id 0
		.amdhsa_next_free_vgpr 133
		.amdhsa_next_free_sgpr 96
		.amdhsa_accum_offset 136
		.amdhsa_reserve_vcc 1
		.amdhsa_reserve_flat_scratch 0
		.amdhsa_float_round_mode_32 0
		.amdhsa_float_round_mode_16_64 0
		.amdhsa_float_denorm_mode_32 3
		.amdhsa_float_denorm_mode_16_64 3
		.amdhsa_dx10_clamp 1
		.amdhsa_ieee_mode 1
		.amdhsa_fp16_overflow 0
		.amdhsa_tg_split 0
		.amdhsa_exception_fp_ieee_invalid_op 0
		.amdhsa_exception_fp_denorm_src 0
		.amdhsa_exception_fp_ieee_div_zero 0
		.amdhsa_exception_fp_ieee_overflow 0
		.amdhsa_exception_fp_ieee_underflow 0
		.amdhsa_exception_fp_ieee_inexact 0
		.amdhsa_exception_int_div_zero 0
	.end_amdhsa_kernel
	.section	.text._ZN2at4cuda12_GLOBAL__N_121kernelPointwiseApply2IZN12_GLOBAL__N_119poisson_cuda_kernelIN3c104HalfEEEvRKNS_10TensorBaseES9_NS_15PhiloxCudaStateEEUlRS6_RKS6_E_S6_S6_mLi1ELi1ELi1ELi512ELi2EEEvNS0_6detail10TensorInfoIT0_T2_EENSG_IT1_SI_EESI_T_,"axG",@progbits,_ZN2at4cuda12_GLOBAL__N_121kernelPointwiseApply2IZN12_GLOBAL__N_119poisson_cuda_kernelIN3c104HalfEEEvRKNS_10TensorBaseES9_NS_15PhiloxCudaStateEEUlRS6_RKS6_E_S6_S6_mLi1ELi1ELi1ELi512ELi2EEEvNS0_6detail10TensorInfoIT0_T2_EENSG_IT1_SI_EESI_T_,comdat
.Lfunc_end88:
	.size	_ZN2at4cuda12_GLOBAL__N_121kernelPointwiseApply2IZN12_GLOBAL__N_119poisson_cuda_kernelIN3c104HalfEEEvRKNS_10TensorBaseES9_NS_15PhiloxCudaStateEEUlRS6_RKS6_E_S6_S6_mLi1ELi1ELi1ELi512ELi2EEEvNS0_6detail10TensorInfoIT0_T2_EENSG_IT1_SI_EESI_T_, .Lfunc_end88-_ZN2at4cuda12_GLOBAL__N_121kernelPointwiseApply2IZN12_GLOBAL__N_119poisson_cuda_kernelIN3c104HalfEEEvRKNS_10TensorBaseES9_NS_15PhiloxCudaStateEEUlRS6_RKS6_E_S6_S6_mLi1ELi1ELi1ELi512ELi2EEEvNS0_6detail10TensorInfoIT0_T2_EENSG_IT1_SI_EESI_T_
                                        ; -- End function
	.section	.AMDGPU.csdata,"",@progbits
; Kernel info:
; codeLenInByte = 13608
; NumSgprs: 100
; NumVgprs: 133
; NumAgprs: 0
; TotalNumVgprs: 133
; ScratchSize: 0
; MemoryBound: 0
; FloatMode: 240
; IeeeMode: 1
; LDSByteSize: 0 bytes/workgroup (compile time only)
; SGPRBlocks: 12
; VGPRBlocks: 16
; NumSGPRsForWavesPerEU: 100
; NumVGPRsForWavesPerEU: 133
; AccumOffset: 136
; Occupancy: 3
; WaveLimiterHint : 1
; COMPUTE_PGM_RSRC2:SCRATCH_EN: 0
; COMPUTE_PGM_RSRC2:USER_SGPR: 6
; COMPUTE_PGM_RSRC2:TRAP_HANDLER: 0
; COMPUTE_PGM_RSRC2:TGID_X_EN: 1
; COMPUTE_PGM_RSRC2:TGID_Y_EN: 0
; COMPUTE_PGM_RSRC2:TGID_Z_EN: 0
; COMPUTE_PGM_RSRC2:TIDIG_COMP_CNT: 0
; COMPUTE_PGM_RSRC3_GFX90A:ACCUM_OFFSET: 33
; COMPUTE_PGM_RSRC3_GFX90A:TG_SPLIT: 0
	.section	.text._ZN2at4cuda12_GLOBAL__N_121kernelPointwiseApply2IZN12_GLOBAL__N_119poisson_cuda_kernelIN3c104HalfEEEvRKNS_10TensorBaseES9_NS_15PhiloxCudaStateEEUlRS6_RKS6_E_S6_S6_mLin1ELin1ELi1ELi512ELi2EEEvNS0_6detail10TensorInfoIT0_T2_EENSG_IT1_SI_EESI_T_,"axG",@progbits,_ZN2at4cuda12_GLOBAL__N_121kernelPointwiseApply2IZN12_GLOBAL__N_119poisson_cuda_kernelIN3c104HalfEEEvRKNS_10TensorBaseES9_NS_15PhiloxCudaStateEEUlRS6_RKS6_E_S6_S6_mLin1ELin1ELi1ELi512ELi2EEEvNS0_6detail10TensorInfoIT0_T2_EENSG_IT1_SI_EESI_T_,comdat
	.globl	_ZN2at4cuda12_GLOBAL__N_121kernelPointwiseApply2IZN12_GLOBAL__N_119poisson_cuda_kernelIN3c104HalfEEEvRKNS_10TensorBaseES9_NS_15PhiloxCudaStateEEUlRS6_RKS6_E_S6_S6_mLin1ELin1ELi1ELi512ELi2EEEvNS0_6detail10TensorInfoIT0_T2_EENSG_IT1_SI_EESI_T_ ; -- Begin function _ZN2at4cuda12_GLOBAL__N_121kernelPointwiseApply2IZN12_GLOBAL__N_119poisson_cuda_kernelIN3c104HalfEEEvRKNS_10TensorBaseES9_NS_15PhiloxCudaStateEEUlRS6_RKS6_E_S6_S6_mLin1ELin1ELi1ELi512ELi2EEEvNS0_6detail10TensorInfoIT0_T2_EENSG_IT1_SI_EESI_T_
	.p2align	8
	.type	_ZN2at4cuda12_GLOBAL__N_121kernelPointwiseApply2IZN12_GLOBAL__N_119poisson_cuda_kernelIN3c104HalfEEEvRKNS_10TensorBaseES9_NS_15PhiloxCudaStateEEUlRS6_RKS6_E_S6_S6_mLin1ELin1ELi1ELi512ELi2EEEvNS0_6detail10TensorInfoIT0_T2_EENSG_IT1_SI_EESI_T_,@function
_ZN2at4cuda12_GLOBAL__N_121kernelPointwiseApply2IZN12_GLOBAL__N_119poisson_cuda_kernelIN3c104HalfEEEvRKNS_10TensorBaseES9_NS_15PhiloxCudaStateEEUlRS6_RKS6_E_S6_S6_mLin1ELin1ELi1ELi512ELi2EEEvNS0_6detail10TensorInfoIT0_T2_EENSG_IT1_SI_EESI_T_: ; @_ZN2at4cuda12_GLOBAL__N_121kernelPointwiseApply2IZN12_GLOBAL__N_119poisson_cuda_kernelIN3c104HalfEEEvRKNS_10TensorBaseES9_NS_15PhiloxCudaStateEEUlRS6_RKS6_E_S6_S6_mLin1ELin1ELi1ELi512ELi2EEEvNS0_6detail10TensorInfoIT0_T2_EENSG_IT1_SI_EESI_T_
; %bb.0:
	s_load_dword s2, s[4:5], 0x374
	s_load_dwordx8 s[8:15], s[4:5], 0x340
	s_add_u32 s0, s4, 0x368
	s_addc_u32 s1, s5, 0
	v_mov_b32_e32 v14, 0
	s_waitcnt lgkmcnt(0)
	s_and_b32 s2, s2, 0xffff
	s_mul_i32 s6, s6, s2
	v_add_u32_e32 v12, s6, v0
	v_mov_b32_e32 v13, v14
	v_cmp_gt_u64_e32 vcc, s[8:9], v[12:13]
	s_and_saveexec_b64 s[6:7], vcc
	s_cbranch_execz .LBB89_63
; %bb.1:
	s_load_dword s3, s[0:1], 0x0
	s_load_dword s18, s[4:5], 0x198
	;; [unrolled: 1-line block ×4, first 2 shown]
	s_load_dwordx2 s[20:21], s[4:5], 0x1a0
                                        ; implicit-def: $vgpr134 : SGPR spill to VGPR lane
	s_add_u32 s16, s4, 0x1a0
	s_addc_u32 s17, s5, 0
	s_waitcnt lgkmcnt(0)
	s_cmp_gt_i32 s18, 1
                                        ; kill: killed $sgpr0 killed $sgpr1
	s_cselect_b64 s[0:1], -1, 0
	v_writelane_b32 v134, s20, 0
	v_writelane_b32 v134, s21, 1
	s_load_dwordx2 s[20:21], s[4:5], 0xd0
	s_cmp_gt_i32 s19, 1
	s_mov_b32 s33, 0xcd9e8d57
	s_mul_i32 s2, s3, s2
	s_mov_b32 s38, 0
	s_waitcnt lgkmcnt(0)
	v_writelane_b32 v134, s20, 2
	v_writelane_b32 v134, s21, 3
	;; [unrolled: 1-line block ×4, first 2 shown]
	s_load_dwordx2 s[0:1], s[4:5], 0x270
	s_mov_b32 s44, 0x55555555
	s_mov_b32 s46, 0x6b47b09a
	;; [unrolled: 1-line block ×4, first 2 shown]
	s_waitcnt lgkmcnt(0)
	v_writelane_b32 v134, s0, 6
	v_writelane_b32 v134, s1, 7
	s_cselect_b64 s[0:1], -1, 0
	v_writelane_b32 v134, s0, 8
	v_writelane_b32 v134, s1, 9
	s_load_dwordx2 s[0:1], s[4:5], 0x0
	s_mov_b32 s52, 0x16291751
	s_mov_b32 s54, 0x9b27acf1
	;; [unrolled: 1-line block ×4, first 2 shown]
	s_waitcnt lgkmcnt(0)
	v_writelane_b32 v134, s0, 10
	v_writelane_b32 v134, s1, 11
	s_getpc_b64 s[0:1]
	s_add_u32 s0, s0, .str@rel32@lo+4
	s_addc_u32 s1, s1, .str@rel32@hi+12
	s_cmp_eq_u64 s[0:1], 0
	s_cselect_b64 s[0:1], -1, 0
	s_bitcmp1_b32 s6, 0
	s_cselect_b64 s[6:7], -1, 0
	v_writelane_b32 v134, s6, 12
	v_writelane_b32 v134, s7, 13
	v_mad_u64_u32 v[16:17], s[6:7], v12, s33, 0
	v_writelane_b32 v134, s2, 14
	s_mov_b32 s6, 0
	s_add_i32 s2, s18, 1
	v_writelane_b32 v134, s2, 15
	s_add_i32 s2, s18, -1
	s_mov_b32 s3, s6
	s_lshl_b64 s[2:3], s[2:3], 3
	s_add_u32 s2, s2, s4
	s_addc_u32 s3, s3, s5
	s_add_u32 s2, s2, 8
	s_addc_u32 s3, s3, 0
	v_writelane_b32 v134, s2, 16
	v_writelane_b32 v134, s3, 17
	s_add_i32 s2, s19, 1
	v_writelane_b32 v134, s2, 18
	s_add_i32 s2, s19, -1
	s_mov_b32 s3, s6
	s_lshl_b64 s[2:3], s[2:3], 3
	s_add_u32 s2, s2, s16
	s_addc_u32 s3, s3, s17
	s_add_u32 s2, s2, 8
	s_addc_u32 s3, s3, 0
	v_writelane_b32 v134, s2, 19
	v_writelane_b32 v134, s3, 20
	s_xor_b64 s[0:1], s[0:1], -1
	v_writelane_b32 v134, s0, 21
	s_mov_b32 s62, 0x3b39803f
	s_mov_b32 s66, 0x652b82fe
	v_writelane_b32 v134, s1, 22
	s_mov_b32 s74, 0x6a5dcb37
	s_mov_b32 s76, 0
	;; [unrolled: 1-line block ×15, first 2 shown]
	s_movk_i32 s64, 0xf950
	s_mov_b32 s24, 0xc864beb5
	s_mov_b32 s18, 0
	;; [unrolled: 1-line block ×4, first 2 shown]
	s_mov_b64 s[26:27], 0
	v_mov_b32_e32 v18, v17
	s_mov_b32 s70, 0xd2511f53
	s_mov_b32 s39, 0x40080000
	;; [unrolled: 1-line block ×12, first 2 shown]
	s_movk_i32 s71, 0x204
	s_mov_b32 s67, 0x3ff71547
	s_mov_b32 s69, 0xbfe62e42
	v_mov_b32_e32 v20, 0x6b47b09a
	v_mov_b32_e32 v22, 0xd7f4df2e
	;; [unrolled: 1-line block ×26, first 2 shown]
	v_pk_mov_b32 v[72:73], v[12:13], v[12:13] op_sel:[0,1]
	v_mov_b32_e32 v13, 0x260
	v_mov_b32_e32 v17, 0xffffff80
	v_mov_b32_e32 v19, 0x3ff00000
	v_mov_b32_e32 v92, 0x7ff80000
	v_mov_b32_e32 v93, 0xfff00000
	v_mov_b32_e32 v94, 0x7ff00000
	v_mov_b32_e32 v21, 0x3fc38538
	v_mov_b32_e32 v23, 0x3fc7474d
	v_mov_b32_e32 v25, 0x3fcc71c0
	v_mov_b32_e32 v27, 0x3fd24924
	v_mov_b32_e32 v29, 0x3fd99999
	v_mov_b32_e32 v31, 0x3fe55555
	v_mov_b32_e32 v33, 0x3e928af3
	v_mov_b32_e32 v35, 0x3ec71dee
	v_mov_b32_e32 v37, 0x3efa0199
	v_mov_b32_e32 v39, 0x3f2a01a0
	v_mov_b32_e32 v41, 0x3f56c16c
	v_mov_b32_e32 v43, 0x3f811111
	v_mov_b32_e32 v45, 0x3fa55555
	v_mov_b32_e32 v47, 0x3fc55555
	v_mov_b32_e32 v49, 0x3fe00000
	v_mov_b32_e32 v51, 0xbf7e2fe7
	v_mov_b32_e32 v53, 0x3fb50782
	v_mov_b32_e32 v55, 0xbfe32d2c
	v_mov_b32_e32 v57, 0x400466bc
	v_mov_b32_e32 v59, 0xc014abbc
	v_mov_b32_e32 v61, 0x3f5f9c89
	v_mov_b32_e32 v63, 0xbf9a6d1e
	v_mov_b32_e32 v65, 0x3fce1f50
	v_mov_b32_e32 v67, 0xbff55d3c
	v_mov_b32_e32 v69, 0x40103c1f
	v_mov_b32_e32 v71, 0xc013bd3c
	s_mov_b32 s73, 0xbc7abc9e
	s_mov_b32 s75, 0x3e5ade15
	s_mov_b32 s77, 0x40900000
	s_mov_b32 s79, 0xc090cc00
	s_mov_b32 s81, 0x40200000
	s_mov_b32 s83, 0x3e843550
	s_mov_b32 s85, 0x401c0000
	s_mov_b32 s87, 0x3ee4f051
	s_mov_b32 s89, 0x40180000
	s_mov_b32 s91, 0xbfc1bcb2
	s_mov_b32 s93, 0x40140000
	s_mov_b32 s95, 0x402903c2
	s_mov_b32 s37, 0xc06613ae
	s_mov_b32 s35, 0x40881a96
	s_mov_b32 s41, 0xc093ac8e
	s_mov_b32 s43, 0x40852429
	s_mov_b32 s65, 0x3fefffff
	s_mov_b32 s25, 0x3fed67f1
	s_mov_b32 s19, 0xc01c0000
	s_mov_b32 s23, 0x4005bf0a
	v_writelane_b32 v134, s0, 23
	v_writelane_b32 v134, s1, 24
                                        ; implicit-def: $sgpr28_sgpr29
                                        ; implicit-def: $sgpr30_sgpr31
	s_branch .LBB89_5
.LBB89_2:                               ;   in Loop: Header=BB89_5 Depth=1
	s_or_b64 exec, exec, s[0:1]
.LBB89_3:                               ;   in Loop: Header=BB89_5 Depth=1
	s_or_b64 exec, exec, s[4:5]
	v_cvt_f32_u32_e32 v2, v79
	v_readlane_b32 s0, v134, 10
	v_lshlrev_b64 v[0:1], 1, v[74:75]
	v_readlane_b32 s1, v134, 11
	v_cvt_f16_f32_e32 v2, v2
	v_mov_b32_e32 v3, s1
	v_add_co_u32_e32 v0, vcc, s0, v0
	v_addc_co_u32_e32 v1, vcc, v3, v1, vcc
	s_mov_b32 s0, 0
	global_store_short v[0:1], v2, off
	v_mov_b32_e32 v0, s0
	v_readlane_b32 s0, v134, 14
	v_add_co_u32_e32 v72, vcc, s0, v72
	v_addc_co_u32_e32 v73, vcc, v73, v0, vcc
	v_cmp_le_u64_e32 vcc, s[8:9], v[72:73]
	s_andn2_b64 s[30:31], s[30:31], exec
	s_orn2_b64 s[0:1], vcc, exec
.LBB89_4:                               ;   in Loop: Header=BB89_5 Depth=1
	s_or_b64 exec, exec, s[2:3]
	s_and_b64 s[0:1], exec, s[0:1]
	s_or_b64 s[26:27], s[0:1], s[26:27]
	s_andn2_b64 s[0:1], s[28:29], exec
	s_and_b64 s[2:3], s[30:31], exec
	s_or_b64 s[28:29], s[0:1], s[2:3]
	s_andn2_b64 exec, exec, s[26:27]
	s_cbranch_execz .LBB89_62
.LBB89_5:                               ; =>This Loop Header: Depth=1
                                        ;     Child Loop BB89_7 Depth 2
                                        ;     Child Loop BB89_16 Depth 2
	;; [unrolled: 1-line block ×4, first 2 shown]
	v_sub_u32_e32 v0, s8, v72
	v_cmp_lt_i32_e64 s[0:1], 0, v0
	v_pk_mov_b32 v[74:75], 0, 0
	s_and_saveexec_b64 s[4:5], s[0:1]
	s_cbranch_execz .LBB89_14
; %bb.6:                                ;   in Loop: Header=BB89_5 Depth=1
	v_readlane_b32 s2, v134, 4
	v_readlane_b32 s3, v134, 5
	;; [unrolled: 1-line block ×3, first 2 shown]
	s_andn2_b64 vcc, exec, s[2:3]
	v_pk_mov_b32 v[0:1], 0, 0
	v_readlane_b32 s7, v134, 17
	v_readlane_b32 s59, v134, 15
	v_pk_mov_b32 v[2:3], v[72:73], v[72:73] op_sel:[0,1]
	v_pk_mov_b32 v[4:5], v[72:73], v[72:73] op_sel:[0,1]
	s_cbranch_vccnz .LBB89_13
.LBB89_7:                               ;   Parent Loop BB89_5 Depth=1
                                        ; =>  This Inner Loop Header: Depth=2
	s_load_dwordx2 s[16:17], s[6:7], 0x0
                                        ; implicit-def: $vgpr4_vgpr5
	s_waitcnt lgkmcnt(0)
	v_or_b32_e32 v15, s17, v3
	v_cmp_ne_u64_e32 vcc, 0, v[14:15]
	s_and_saveexec_b64 s[2:3], vcc
	s_xor_b64 s[20:21], exec, s[2:3]
	s_cbranch_execz .LBB89_9
; %bb.8:                                ;   in Loop: Header=BB89_7 Depth=2
	v_cvt_f32_u32_e32 v4, s16
	v_cvt_f32_u32_e32 v5, s17
	s_sub_u32 s2, 0, s16
	s_subb_u32 s3, 0, s17
	v_mac_f32_e32 v4, 0x4f800000, v5
	v_rcp_f32_e32 v4, v4
	v_mul_f32_e32 v4, 0x5f7ffffc, v4
	v_mul_f32_e32 v5, 0x2f800000, v4
	v_trunc_f32_e32 v5, v5
	v_mac_f32_e32 v4, 0xcf800000, v5
	v_cvt_u32_f32_e32 v5, v5
	v_cvt_u32_f32_e32 v4, v4
	v_mul_lo_u32 v6, s2, v5
	v_mul_hi_u32 v8, s2, v4
	v_mul_lo_u32 v7, s3, v4
	v_add_u32_e32 v6, v8, v6
	v_mul_lo_u32 v9, s2, v4
	v_add_u32_e32 v6, v6, v7
	v_mul_hi_u32 v8, v4, v9
	v_mul_lo_u32 v10, v4, v6
	v_mul_hi_u32 v7, v4, v6
	v_add_co_u32_e32 v8, vcc, v8, v10
	v_addc_co_u32_e32 v7, vcc, 0, v7, vcc
	v_mul_hi_u32 v11, v5, v9
	v_mul_lo_u32 v9, v5, v9
	v_add_co_u32_e32 v8, vcc, v8, v9
	v_mul_hi_u32 v10, v5, v6
	v_addc_co_u32_e32 v7, vcc, v7, v11, vcc
	v_addc_co_u32_e32 v8, vcc, 0, v10, vcc
	v_mul_lo_u32 v6, v5, v6
	v_add_co_u32_e32 v6, vcc, v7, v6
	v_addc_co_u32_e32 v7, vcc, 0, v8, vcc
	v_add_co_u32_e32 v4, vcc, v4, v6
	v_addc_co_u32_e32 v5, vcc, v5, v7, vcc
	v_mul_lo_u32 v6, s2, v5
	v_mul_hi_u32 v7, s2, v4
	v_add_u32_e32 v6, v7, v6
	v_mul_lo_u32 v7, s3, v4
	v_add_u32_e32 v6, v6, v7
	v_mul_lo_u32 v8, s2, v4
	v_mul_hi_u32 v9, v5, v8
	v_mul_lo_u32 v10, v5, v8
	v_mul_lo_u32 v15, v4, v6
	v_mul_hi_u32 v8, v4, v8
	v_mul_hi_u32 v11, v4, v6
	v_add_co_u32_e32 v8, vcc, v8, v15
	v_addc_co_u32_e32 v11, vcc, 0, v11, vcc
	v_add_co_u32_e32 v8, vcc, v8, v10
	v_mul_hi_u32 v7, v5, v6
	v_addc_co_u32_e32 v8, vcc, v11, v9, vcc
	v_addc_co_u32_e32 v7, vcc, 0, v7, vcc
	v_mul_lo_u32 v6, v5, v6
	v_add_co_u32_e32 v6, vcc, v8, v6
	v_addc_co_u32_e32 v7, vcc, 0, v7, vcc
	v_add_co_u32_e32 v6, vcc, v4, v6
	v_addc_co_u32_e32 v7, vcc, v5, v7, vcc
	v_mad_u64_u32 v[4:5], s[2:3], v2, v7, 0
	v_mul_hi_u32 v8, v2, v6
	v_add_co_u32_e32 v8, vcc, v8, v4
	v_addc_co_u32_e32 v9, vcc, 0, v5, vcc
	v_mad_u64_u32 v[4:5], s[2:3], v3, v7, 0
	v_mad_u64_u32 v[6:7], s[2:3], v3, v6, 0
	v_add_co_u32_e32 v6, vcc, v8, v6
	v_addc_co_u32_e32 v6, vcc, v9, v7, vcc
	v_addc_co_u32_e32 v5, vcc, 0, v5, vcc
	v_add_co_u32_e32 v6, vcc, v6, v4
	v_addc_co_u32_e32 v7, vcc, 0, v5, vcc
	v_mul_lo_u32 v8, s17, v6
	v_mul_lo_u32 v9, s16, v7
	v_mad_u64_u32 v[4:5], s[2:3], s16, v6, 0
	v_add3_u32 v5, v5, v9, v8
	v_sub_u32_e32 v8, v3, v5
	v_mov_b32_e32 v9, s17
	v_sub_co_u32_e32 v4, vcc, v2, v4
	v_subb_co_u32_e64 v8, s[2:3], v8, v9, vcc
	v_subrev_co_u32_e64 v9, s[2:3], s16, v4
	v_subbrev_co_u32_e64 v8, s[2:3], 0, v8, s[2:3]
	v_cmp_le_u32_e64 s[2:3], s17, v8
	v_cndmask_b32_e64 v10, 0, -1, s[2:3]
	v_cmp_le_u32_e64 s[2:3], s16, v9
	v_cndmask_b32_e64 v9, 0, -1, s[2:3]
	v_cmp_eq_u32_e64 s[2:3], s17, v8
	v_cndmask_b32_e64 v8, v10, v9, s[2:3]
	v_add_co_u32_e64 v9, s[2:3], 2, v6
	v_addc_co_u32_e64 v10, s[2:3], 0, v7, s[2:3]
	v_add_co_u32_e64 v11, s[2:3], 1, v6
	v_addc_co_u32_e64 v15, s[2:3], 0, v7, s[2:3]
	v_subb_co_u32_e32 v5, vcc, v3, v5, vcc
	v_cmp_ne_u32_e64 s[2:3], 0, v8
	v_cmp_le_u32_e32 vcc, s17, v5
	v_cndmask_b32_e64 v8, v15, v10, s[2:3]
	v_cndmask_b32_e64 v10, 0, -1, vcc
	v_cmp_le_u32_e32 vcc, s16, v4
	v_cndmask_b32_e64 v4, 0, -1, vcc
	v_cmp_eq_u32_e32 vcc, s17, v5
	v_cndmask_b32_e32 v4, v10, v4, vcc
	v_cmp_ne_u32_e32 vcc, 0, v4
	v_cndmask_b32_e64 v4, v11, v9, s[2:3]
	v_cndmask_b32_e32 v5, v7, v8, vcc
	v_cndmask_b32_e32 v4, v6, v4, vcc
.LBB89_9:                               ;   in Loop: Header=BB89_7 Depth=2
	s_andn2_saveexec_b64 s[2:3], s[20:21]
	s_cbranch_execz .LBB89_11
; %bb.10:                               ;   in Loop: Header=BB89_7 Depth=2
	v_cvt_f32_u32_e32 v4, s16
	s_sub_i32 s20, 0, s16
	v_rcp_iflag_f32_e32 v4, v4
	v_mul_f32_e32 v4, 0x4f7ffffe, v4
	v_cvt_u32_f32_e32 v4, v4
	v_mul_lo_u32 v5, s20, v4
	v_mul_hi_u32 v5, v4, v5
	v_add_u32_e32 v4, v4, v5
	v_mul_hi_u32 v4, v2, v4
	v_mul_lo_u32 v5, v4, s16
	v_sub_u32_e32 v5, v2, v5
	v_add_u32_e32 v6, 1, v4
	v_subrev_u32_e32 v7, s16, v5
	v_cmp_le_u32_e32 vcc, s16, v5
	v_cndmask_b32_e32 v5, v5, v7, vcc
	v_cndmask_b32_e32 v4, v4, v6, vcc
	v_add_u32_e32 v6, 1, v4
	v_cmp_le_u32_e32 vcc, s16, v5
	v_cndmask_b32_e32 v4, v4, v6, vcc
	v_mov_b32_e32 v5, v14
.LBB89_11:                              ;   in Loop: Header=BB89_7 Depth=2
	s_or_b64 exec, exec, s[2:3]
	v_mad_u64_u32 v[6:7], s[2:3], v4, s16, 0
	s_load_dwordx2 s[2:3], s[6:7], 0xc8
	v_mul_lo_u32 v8, v5, s16
	v_mul_lo_u32 v9, v4, s17
	v_add3_u32 v7, v7, v9, v8
	v_sub_co_u32_e32 v2, vcc, v2, v6
	s_add_i32 s59, s59, -1
	v_subb_co_u32_e32 v3, vcc, v3, v7, vcc
	s_add_u32 s6, s6, -8
	s_waitcnt lgkmcnt(0)
	v_mul_lo_u32 v3, s2, v3
	v_mul_lo_u32 v6, s3, v2
	v_mad_u64_u32 v[0:1], s[2:3], s2, v2, v[0:1]
	s_addc_u32 s7, s7, -1
	s_cmp_gt_u32 s59, 2
	v_add3_u32 v1, v6, v1, v3
	s_cbranch_scc0 .LBB89_13
; %bb.12:                               ;   in Loop: Header=BB89_7 Depth=2
	v_pk_mov_b32 v[2:3], v[4:5], v[4:5] op_sel:[0,1]
	s_branch .LBB89_7
.LBB89_13:                              ;   in Loop: Header=BB89_5 Depth=1
	v_readlane_b32 s6, v134, 2
	v_readlane_b32 s7, v134, 3
	v_mad_u64_u32 v[74:75], s[2:3], s6, v4, v[0:1]
	v_mul_lo_u32 v0, s6, v5
	v_mul_lo_u32 v1, s7, v4
	v_add3_u32 v75, v1, v75, v0
.LBB89_14:                              ;   in Loop: Header=BB89_5 Depth=1
	s_or_b64 exec, exec, s[4:5]
	v_pk_mov_b32 v[0:1], 0, 0
	s_and_saveexec_b64 s[2:3], s[0:1]
	s_cbranch_execz .LBB89_23
; %bb.15:                               ;   in Loop: Header=BB89_5 Depth=1
	v_readlane_b32 s0, v134, 8
	v_readlane_b32 s1, v134, 9
	;; [unrolled: 1-line block ×3, first 2 shown]
	s_andn2_b64 vcc, exec, s[0:1]
	v_pk_mov_b32 v[0:1], 0, 0
	v_readlane_b32 s5, v134, 20
	v_readlane_b32 s20, v134, 18
	v_pk_mov_b32 v[2:3], v[72:73], v[72:73] op_sel:[0,1]
	v_pk_mov_b32 v[4:5], v[72:73], v[72:73] op_sel:[0,1]
	s_cbranch_vccnz .LBB89_22
.LBB89_16:                              ;   Parent Loop BB89_5 Depth=1
                                        ; =>  This Inner Loop Header: Depth=2
	s_load_dwordx2 s[6:7], s[4:5], 0x0
                                        ; implicit-def: $vgpr4_vgpr5
	s_waitcnt lgkmcnt(0)
	v_or_b32_e32 v15, s7, v3
	v_cmp_ne_u64_e32 vcc, 0, v[14:15]
	s_and_saveexec_b64 s[0:1], vcc
	s_xor_b64 s[16:17], exec, s[0:1]
	s_cbranch_execz .LBB89_18
; %bb.17:                               ;   in Loop: Header=BB89_16 Depth=2
	v_cvt_f32_u32_e32 v4, s6
	v_cvt_f32_u32_e32 v5, s7
	s_sub_u32 s0, 0, s6
	s_subb_u32 s1, 0, s7
	v_mac_f32_e32 v4, 0x4f800000, v5
	v_rcp_f32_e32 v4, v4
	v_mul_f32_e32 v4, 0x5f7ffffc, v4
	v_mul_f32_e32 v5, 0x2f800000, v4
	v_trunc_f32_e32 v5, v5
	v_mac_f32_e32 v4, 0xcf800000, v5
	v_cvt_u32_f32_e32 v5, v5
	v_cvt_u32_f32_e32 v4, v4
	v_mul_lo_u32 v6, s0, v5
	v_mul_hi_u32 v8, s0, v4
	v_mul_lo_u32 v7, s1, v4
	v_add_u32_e32 v6, v8, v6
	v_mul_lo_u32 v9, s0, v4
	v_add_u32_e32 v6, v6, v7
	v_mul_hi_u32 v8, v4, v9
	v_mul_lo_u32 v10, v4, v6
	v_mul_hi_u32 v7, v4, v6
	v_add_co_u32_e32 v8, vcc, v8, v10
	v_addc_co_u32_e32 v7, vcc, 0, v7, vcc
	v_mul_hi_u32 v11, v5, v9
	v_mul_lo_u32 v9, v5, v9
	v_add_co_u32_e32 v8, vcc, v8, v9
	v_mul_hi_u32 v10, v5, v6
	v_addc_co_u32_e32 v7, vcc, v7, v11, vcc
	v_addc_co_u32_e32 v8, vcc, 0, v10, vcc
	v_mul_lo_u32 v6, v5, v6
	v_add_co_u32_e32 v6, vcc, v7, v6
	v_addc_co_u32_e32 v7, vcc, 0, v8, vcc
	v_add_co_u32_e32 v4, vcc, v4, v6
	v_addc_co_u32_e32 v5, vcc, v5, v7, vcc
	v_mul_lo_u32 v6, s0, v5
	v_mul_hi_u32 v7, s0, v4
	v_add_u32_e32 v6, v7, v6
	v_mul_lo_u32 v7, s1, v4
	v_add_u32_e32 v6, v6, v7
	v_mul_lo_u32 v8, s0, v4
	v_mul_hi_u32 v9, v5, v8
	v_mul_lo_u32 v10, v5, v8
	v_mul_lo_u32 v15, v4, v6
	v_mul_hi_u32 v8, v4, v8
	v_mul_hi_u32 v11, v4, v6
	v_add_co_u32_e32 v8, vcc, v8, v15
	v_addc_co_u32_e32 v11, vcc, 0, v11, vcc
	v_add_co_u32_e32 v8, vcc, v8, v10
	v_mul_hi_u32 v7, v5, v6
	v_addc_co_u32_e32 v8, vcc, v11, v9, vcc
	v_addc_co_u32_e32 v7, vcc, 0, v7, vcc
	v_mul_lo_u32 v6, v5, v6
	v_add_co_u32_e32 v6, vcc, v8, v6
	v_addc_co_u32_e32 v7, vcc, 0, v7, vcc
	v_add_co_u32_e32 v6, vcc, v4, v6
	v_addc_co_u32_e32 v7, vcc, v5, v7, vcc
	v_mad_u64_u32 v[4:5], s[0:1], v2, v7, 0
	v_mul_hi_u32 v8, v2, v6
	v_add_co_u32_e32 v8, vcc, v8, v4
	v_addc_co_u32_e32 v9, vcc, 0, v5, vcc
	v_mad_u64_u32 v[4:5], s[0:1], v3, v7, 0
	v_mad_u64_u32 v[6:7], s[0:1], v3, v6, 0
	v_add_co_u32_e32 v6, vcc, v8, v6
	v_addc_co_u32_e32 v6, vcc, v9, v7, vcc
	v_addc_co_u32_e32 v5, vcc, 0, v5, vcc
	v_add_co_u32_e32 v6, vcc, v6, v4
	v_addc_co_u32_e32 v7, vcc, 0, v5, vcc
	v_mul_lo_u32 v8, s7, v6
	v_mul_lo_u32 v9, s6, v7
	v_mad_u64_u32 v[4:5], s[0:1], s6, v6, 0
	v_add3_u32 v5, v5, v9, v8
	v_sub_u32_e32 v8, v3, v5
	v_mov_b32_e32 v9, s7
	v_sub_co_u32_e32 v4, vcc, v2, v4
	v_subb_co_u32_e64 v8, s[0:1], v8, v9, vcc
	v_subrev_co_u32_e64 v9, s[0:1], s6, v4
	v_subbrev_co_u32_e64 v8, s[0:1], 0, v8, s[0:1]
	v_cmp_le_u32_e64 s[0:1], s7, v8
	v_cndmask_b32_e64 v10, 0, -1, s[0:1]
	v_cmp_le_u32_e64 s[0:1], s6, v9
	v_cndmask_b32_e64 v9, 0, -1, s[0:1]
	v_cmp_eq_u32_e64 s[0:1], s7, v8
	v_cndmask_b32_e64 v8, v10, v9, s[0:1]
	v_add_co_u32_e64 v9, s[0:1], 2, v6
	v_addc_co_u32_e64 v10, s[0:1], 0, v7, s[0:1]
	v_add_co_u32_e64 v11, s[0:1], 1, v6
	v_addc_co_u32_e64 v15, s[0:1], 0, v7, s[0:1]
	v_subb_co_u32_e32 v5, vcc, v3, v5, vcc
	v_cmp_ne_u32_e64 s[0:1], 0, v8
	v_cmp_le_u32_e32 vcc, s7, v5
	v_cndmask_b32_e64 v8, v15, v10, s[0:1]
	v_cndmask_b32_e64 v10, 0, -1, vcc
	v_cmp_le_u32_e32 vcc, s6, v4
	v_cndmask_b32_e64 v4, 0, -1, vcc
	v_cmp_eq_u32_e32 vcc, s7, v5
	v_cndmask_b32_e32 v4, v10, v4, vcc
	v_cmp_ne_u32_e32 vcc, 0, v4
	v_cndmask_b32_e64 v4, v11, v9, s[0:1]
	v_cndmask_b32_e32 v5, v7, v8, vcc
	v_cndmask_b32_e32 v4, v6, v4, vcc
.LBB89_18:                              ;   in Loop: Header=BB89_16 Depth=2
	s_andn2_saveexec_b64 s[0:1], s[16:17]
	s_cbranch_execz .LBB89_20
; %bb.19:                               ;   in Loop: Header=BB89_16 Depth=2
	v_cvt_f32_u32_e32 v4, s6
	s_sub_i32 s16, 0, s6
	v_rcp_iflag_f32_e32 v4, v4
	v_mul_f32_e32 v4, 0x4f7ffffe, v4
	v_cvt_u32_f32_e32 v4, v4
	v_mul_lo_u32 v5, s16, v4
	v_mul_hi_u32 v5, v4, v5
	v_add_u32_e32 v4, v4, v5
	v_mul_hi_u32 v4, v2, v4
	v_mul_lo_u32 v5, v4, s6
	v_sub_u32_e32 v5, v2, v5
	v_add_u32_e32 v6, 1, v4
	v_subrev_u32_e32 v7, s6, v5
	v_cmp_le_u32_e32 vcc, s6, v5
	v_cndmask_b32_e32 v5, v5, v7, vcc
	v_cndmask_b32_e32 v4, v4, v6, vcc
	v_add_u32_e32 v6, 1, v4
	v_cmp_le_u32_e32 vcc, s6, v5
	v_cndmask_b32_e32 v4, v4, v6, vcc
	v_mov_b32_e32 v5, v14
.LBB89_20:                              ;   in Loop: Header=BB89_16 Depth=2
	s_or_b64 exec, exec, s[0:1]
	v_mad_u64_u32 v[6:7], s[0:1], v4, s6, 0
	s_load_dwordx2 s[0:1], s[4:5], 0xc8
	v_mul_lo_u32 v8, v5, s6
	v_mul_lo_u32 v9, v4, s7
	v_add3_u32 v7, v7, v9, v8
	v_sub_co_u32_e32 v2, vcc, v2, v6
	s_add_i32 s20, s20, -1
	v_subb_co_u32_e32 v3, vcc, v3, v7, vcc
	s_add_u32 s4, s4, -8
	s_waitcnt lgkmcnt(0)
	v_mul_lo_u32 v3, s0, v3
	v_mul_lo_u32 v6, s1, v2
	v_mad_u64_u32 v[0:1], s[0:1], s0, v2, v[0:1]
	s_addc_u32 s5, s5, -1
	s_cmp_gt_u32 s20, 2
	v_add3_u32 v1, v6, v1, v3
	s_cbranch_scc0 .LBB89_22
; %bb.21:                               ;   in Loop: Header=BB89_16 Depth=2
	v_pk_mov_b32 v[2:3], v[4:5], v[4:5] op_sel:[0,1]
	s_branch .LBB89_16
.LBB89_22:                              ;   in Loop: Header=BB89_5 Depth=1
	v_readlane_b32 s4, v134, 6
	v_readlane_b32 s5, v134, 7
	v_mad_u64_u32 v[0:1], s[0:1], s4, v4, v[0:1]
	v_mul_lo_u32 v2, s4, v5
	v_mul_lo_u32 v3, s5, v4
	v_add3_u32 v1, v3, v1, v2
.LBB89_23:                              ;   in Loop: Header=BB89_5 Depth=1
	s_or_b64 exec, exec, s[2:3]
	v_readlane_b32 s0, v134, 0
	v_lshlrev_b64 v[0:1], 1, v[0:1]
	v_readlane_b32 s1, v134, 1
	v_mov_b32_e32 v2, s1
	v_add_co_u32_e32 v0, vcc, s0, v0
	v_addc_co_u32_e32 v1, vcc, v2, v1, vcc
	global_load_ushort v6, v[0:1], off
	v_readlane_b32 s2, v134, 21
	v_readlane_b32 s3, v134, 22
	s_mov_b64 s[0:1], -1
	s_or_b64 s[30:31], s[30:31], exec
	s_waitcnt vmcnt(0)
	v_cmp_le_f16_e32 vcc, 0, v6
	s_and_b64 s[4:5], s[2:3], vcc
	s_and_saveexec_b64 s[2:3], s[4:5]
	s_cbranch_execz .LBB89_4
; %bb.24:                               ;   in Loop: Header=BB89_5 Depth=1
	v_readlane_b32 s0, v134, 12
	v_readlane_b32 s1, v134, 13
	s_andn2_b64 vcc, exec, s[0:1]
	v_pk_mov_b32 v[0:1], s[12:13], s[12:13] op_sel:[0,1]
	v_pk_mov_b32 v[76:77], s[10:11], s[10:11] op_sel:[0,1]
	s_cbranch_vccnz .LBB89_26
; %bb.25:                               ;   in Loop: Header=BB89_5 Depth=1
	v_pk_mov_b32 v[0:1], s[12:13], s[12:13] op_sel:[0,1]
	flat_load_dwordx2 v[0:1], v[0:1]
	v_pk_mov_b32 v[2:3], s[10:11], s[10:11] op_sel:[0,1]
	flat_load_dwordx2 v[76:77], v[2:3]
	v_mov_b32_e32 v2, s15
	s_waitcnt vmcnt(0) lgkmcnt(0)
	v_add_co_u32_e32 v0, vcc, s14, v0
	v_addc_co_u32_e32 v1, vcc, v1, v2, vcc
.LBB89_26:                              ;   in Loop: Header=BB89_5 Depth=1
	v_alignbit_b32 v96, v1, v0, 2
	v_and_b32_e32 v15, 3, v0
	v_lshrrev_b32_e32 v97, 2, v1
	v_mad_u64_u32 v[0:1], s[0:1], v96, s70, 0
	v_xor_b32_e32 v3, v18, v76
	v_mov_b32_e32 v2, v77
	v_xor_b32_e32 v1, v1, v77
	s_mov_b32 s0, 0xbb67ae85
	v_xor_b32_e32 v3, v3, v97
	v_add_co_u32_e32 v99, vcc, s0, v2
	v_mad_u64_u32 v[4:5], s[0:1], v3, s70, 0
	v_mad_u64_u32 v[8:9], s[0:1], v1, s33, 0
	v_add_co_u32_e32 v98, vcc, 0x9e3779b9, v76
	v_xor_b32_e32 v1, v16, v9
	v_xor_b32_e32 v3, v99, v5
	s_mov_b32 s0, 0x3c6ef372
	v_xor_b32_e32 v1, v1, v98
	v_xor_b32_e32 v3, v3, v0
	v_add_co_u32_e32 v100, vcc, s0, v76
	s_mov_b32 s0, 0x76cf5d0a
	v_add_co_u32_e32 v101, vcc, s0, v2
	v_mad_u64_u32 v[0:1], s[0:1], v1, s70, 0
	v_mad_u64_u32 v[10:11], s[0:1], v3, s33, 0
	v_xor_b32_e32 v3, v100, v11
	v_xor_b32_e32 v1, v101, v1
	s_mov_b32 s0, 0xdaa66d2b
	v_xor_b32_e32 v3, v3, v8
	v_xor_b32_e32 v1, v1, v4
	v_add_co_u32_e32 v103, vcc, s0, v76
	s_mov_b32 s0, 0x32370b8f
	v_add_co_u32_e32 v104, vcc, s0, v2
	v_mad_u64_u32 v[4:5], s[0:1], v3, s70, 0
	v_mad_u64_u32 v[8:9], s[0:1], v1, s33, 0
	;; [unrolled: 10-line block ×7, first 2 shown]
	v_xor_b32_e32 v1, v102, v1
	v_xor_b32_e32 v1, v1, v8
	;; [unrolled: 1-line block ×4, first 2 shown]
	v_mad_u64_u32 v[4:5], s[0:1], v1, s70, 0
	v_mov_b32_e32 v3, v4
	v_cvt_f32_f16_e32 v4, v6
	v_mad_u64_u32 v[8:9], s[0:1], v7, s33, 0
	v_add_u32_e32 v105, 0x8ff34781, v76
	v_add_u32_e32 v95, 0x96a522ad, v77
	v_xor_b32_e32 v0, v9, v0
	v_xor_b32_e32 v2, v5, v2
	s_movk_i32 s0, 0x5400
	v_mov_b32_e32 v1, v8
	v_xor_b32_e32 v0, v105, v0
	v_xor_b32_e32 v2, v95, v2
	v_cvt_f64_f32_e32 v[4:5], v4
	v_cmp_ngt_f16_e32 vcc, s0, v6
                                        ; implicit-def: $vgpr79
	s_and_saveexec_b64 s[0:1], vcc
	s_xor_b64 s[16:17], exec, s[0:1]
	s_cbranch_execz .LBB89_55
; %bb.27:                               ;   in Loop: Header=BB89_5 Depth=1
	s_movk_i32 s0, 0x6bd0
	v_cmp_ge_f16_e32 vcc, s0, v6
                                        ; implicit-def: $vgpr79
	s_and_saveexec_b64 s[0:1], vcc
	s_xor_b64 s[0:1], exec, s[0:1]
	s_cbranch_execz .LBB89_42
; %bb.28:                               ;   in Loop: Header=BB89_5 Depth=1
	s_mov_b32 s4, 0xae147ae1
	v_writelane_b32 v134, s0, 25
	s_mov_b32 s5, 0xc00ae147
	v_writelane_b32 v134, s1, 26
	v_div_scale_f64 v[6:7], s[0:1], v[4:5], v[4:5], s[4:5]
	v_rcp_f64_e32 v[8:9], v[6:7]
	s_mov_b32 s0, 0
	v_mul_f64 v[80:81], v[4:5], s[38:39]
	s_brev_b32 s1, 8
	v_cmp_gt_f64_e64 s[0:1], s[0:1], v[80:81]
	v_cndmask_b32_e64 v82, 0, 1, s[0:1]
	v_fma_f64 v[78:79], -v[6:7], v[8:9], 1.0
	v_lshlrev_b32_e32 v82, 8, v82
	v_fmac_f64_e32 v[8:9], v[8:9], v[78:79]
	v_ldexp_f64 v[80:81], v[80:81], v82
	v_fma_f64 v[78:79], -v[6:7], v[8:9], 1.0
	v_rsq_f64_e32 v[82:83], v[80:81]
	v_div_scale_f64 v[10:11], vcc, s[4:5], v[4:5], s[4:5]
	v_fmac_f64_e32 v[8:9], v[8:9], v[78:79]
	v_mul_f64 v[78:79], v[10:11], v[8:9]
	v_fma_f64 v[6:7], -v[6:7], v[78:79], v[10:11]
	s_nop 0
	v_div_fmas_f64 v[6:7], v[6:7], v[8:9], v[78:79]
	v_mul_f64 v[8:9], v[80:81], v[82:83]
	v_mul_f64 v[10:11], v[82:83], 0.5
	v_fma_f64 v[78:79], -v[10:11], v[8:9], 0.5
	v_fmac_f64_e32 v[8:9], v[8:9], v[78:79]
	v_fma_f64 v[82:83], -v[8:9], v[8:9], v[80:81]
	v_fmac_f64_e32 v[10:11], v[10:11], v[78:79]
	v_fmac_f64_e32 v[8:9], v[82:83], v[10:11]
	v_fma_f64 v[78:79], -v[8:9], v[8:9], v[80:81]
	v_fmac_f64_e32 v[8:9], v[78:79], v[10:11]
	v_cndmask_b32_e64 v10, 0, v17, s[0:1]
	v_ldexp_f64 v[8:9], v[8:9], v10
	v_cmp_class_f64_e32 vcc, v[80:81], v13
	s_mov_b32 s6, 0x54442d18
	v_cndmask_b32_e32 v9, v9, v81, vcc
	v_cndmask_b32_e32 v8, v8, v80, vcc
	s_mov_b32 s7, 0x400921fb
	v_div_scale_f64 v[10:11], s[0:1], v[8:9], v[8:9], s[6:7]
	v_rcp_f64_e32 v[80:81], v[10:11]
	s_mov_b32 s0, 0x95810625
	v_div_fixup_f64 v[6:7], v[6:7], v[4:5], s[4:5]
	s_mov_b32 s1, 0x3fe88b43
	v_fma_f64 v[82:83], -v[10:11], v[80:81], 1.0
	v_fmac_f64_e32 v[80:81], v[80:81], v[82:83]
	v_fma_f64 v[82:83], -v[10:11], v[80:81], 1.0
	v_fmac_f64_e32 v[80:81], v[80:81], v[82:83]
	v_div_scale_f64 v[82:83], vcc, s[6:7], v[8:9], s[6:7]
	v_mul_f64 v[84:85], v[82:83], v[80:81]
	v_fma_f64 v[10:11], -v[10:11], v[84:85], v[82:83]
	v_add_f64 v[6:7], v[6:7], s[0:1]
	s_nop 0
	v_div_fmas_f64 v[10:11], v[10:11], v[80:81], v[84:85]
	v_div_fixup_f64 v[80:81], v[10:11], v[8:9], s[6:7]
	v_frexp_mant_f64_e32 v[8:9], v[6:7]
	v_cmp_gt_f64_e32 vcc, s[44:45], v[8:9]
	v_mov_b32_e32 v78, 0
	v_cndmask_b32_e64 v79, v19, 2.0, vcc
	v_frexp_exp_i32_f64_e32 v10, v[6:7]
	v_mul_f64 v[8:9], v[8:9], v[78:79]
	v_subbrev_co_u32_e32 v79, vcc, 0, v10, vcc
	v_add_f64 v[10:11], v[8:9], 1.0
	v_rcp_f64_e32 v[84:85], v[10:11]
	v_add_f64 v[88:89], v[10:11], -1.0
	v_add_f64 v[86:87], v[8:9], -1.0
	v_add_f64 v[8:9], v[8:9], -v[88:89]
	v_fma_f64 v[88:89], -v[10:11], v[84:85], 1.0
	v_fmac_f64_e32 v[84:85], v[88:89], v[84:85]
	v_fma_f64 v[88:89], -v[10:11], v[84:85], 1.0
	v_fmac_f64_e32 v[84:85], v[88:89], v[84:85]
	v_mul_f64 v[88:89], v[86:87], v[84:85]
	v_mul_f64 v[90:91], v[10:11], v[88:89]
	v_fma_f64 v[10:11], v[88:89], v[10:11], -v[90:91]
	v_fmac_f64_e32 v[10:11], v[88:89], v[8:9]
	v_add_f64 v[8:9], v[90:91], v[10:11]
	v_add_f64 v[116:117], v[86:87], -v[8:9]
	v_add_f64 v[90:91], v[8:9], -v[90:91]
	v_add_f64 v[86:87], v[86:87], -v[116:117]
	v_add_f64 v[8:9], v[86:87], -v[8:9]
	v_add_f64 v[10:11], v[90:91], -v[10:11]
	v_add_f64 v[8:9], v[10:11], v[8:9]
	v_add_f64 v[8:9], v[116:117], v[8:9]
	v_mul_f64 v[8:9], v[84:85], v[8:9]
	v_add_f64 v[10:11], v[88:89], v[8:9]
	v_add_f64 v[84:85], v[10:11], -v[88:89]
	v_add_f64 v[8:9], v[8:9], -v[84:85]
	v_mul_f64 v[84:85], v[10:11], v[10:11]
	v_pk_mov_b32 v[86:87], s[46:47], s[46:47] op_sel:[0,1]
	v_fma_f64 v[88:89], s[48:49], v[84:85], v[86:87]
	v_fma_f64 v[88:89], v[84:85], v[88:89], s[50:51]
	;; [unrolled: 1-line block ×5, first 2 shown]
	s_mov_b32 s59, s45
	v_fma_f64 v[88:89], v[84:85], v[88:89], s[58:59]
	v_ldexp_f64 v[90:91], v[10:11], 1
	v_mul_f64 v[10:11], v[10:11], v[84:85]
	v_mul_f64 v[10:11], v[10:11], v[88:89]
	v_add_f64 v[84:85], v[90:91], v[10:11]
	v_add_f64 v[88:89], v[84:85], -v[90:91]
	v_ldexp_f64 v[8:9], v[8:9], 1
	v_add_f64 v[10:11], v[10:11], -v[88:89]
	v_add_f64 v[8:9], v[8:9], v[10:11]
	v_add_f64 v[10:11], v[84:85], v[8:9]
	v_add_f64 v[84:85], v[10:11], -v[84:85]
	v_add_f64 v[8:9], v[8:9], -v[84:85]
	v_cvt_f64_i32_e32 v[84:85], v79
	v_mul_f64 v[88:89], v[84:85], s[60:61]
	v_fma_f64 v[90:91], v[84:85], s[60:61], -v[88:89]
	v_fmac_f64_e32 v[90:91], s[62:63], v[84:85]
	v_add_f64 v[84:85], v[88:89], v[90:91]
	v_add_f64 v[88:89], v[84:85], -v[88:89]
	v_add_f64 v[88:89], v[90:91], -v[88:89]
	v_add_f64 v[90:91], v[84:85], v[10:11]
	v_add_f64 v[116:117], v[90:91], -v[84:85]
	v_add_f64 v[118:119], v[90:91], -v[116:117]
	;; [unrolled: 1-line block ×4, first 2 shown]
	v_add_f64 v[10:11], v[10:11], v[84:85]
	v_add_f64 v[84:85], v[88:89], v[8:9]
	v_add_f64 v[116:117], v[84:85], -v[88:89]
	v_add_f64 v[118:119], v[84:85], -v[116:117]
	v_add_f64 v[10:11], v[84:85], v[10:11]
	v_add_f64 v[88:89], v[88:89], -v[118:119]
	v_add_f64 v[8:9], v[8:9], -v[116:117]
	v_add_f64 v[84:85], v[90:91], v[10:11]
	v_add_f64 v[8:9], v[8:9], v[88:89]
	v_add_f64 v[88:89], v[84:85], -v[90:91]
	v_add_f64 v[10:11], v[10:11], -v[88:89]
	v_add_f64 v[8:9], v[8:9], v[10:11]
	v_add_f64 v[8:9], v[84:85], v[8:9]
	v_cmp_class_f64_e64 vcc, v[6:7], s71
	v_cndmask_b32_e32 v8, v8, v6, vcc
	v_cndmask_b32_e32 v9, v9, v7, vcc
	v_cmp_ngt_f64_e32 vcc, 0, v[6:7]
	v_cndmask_b32_e32 v9, v92, v9, vcc
	v_cmp_nge_f64_e32 vcc, 0, v[6:7]
	v_cndmask_b32_e32 v8, 0, v8, vcc
	v_cmp_neq_f64_e32 vcc, 0, v[6:7]
	v_cndmask_b32_e32 v9, v93, v9, vcc
	v_add_f64 v[6:7], v[8:9], -v[4:5]
	v_frexp_mant_f64_e32 v[8:9], v[80:81]
	v_cmp_gt_f64_e32 vcc, s[44:45], v[8:9]
	v_cndmask_b32_e64 v79, v19, 2.0, vcc
	v_frexp_exp_i32_f64_e32 v10, v[80:81]
	v_mul_f64 v[8:9], v[8:9], v[78:79]
	v_subbrev_co_u32_e32 v79, vcc, 0, v10, vcc
	v_add_f64 v[10:11], v[8:9], 1.0
	v_rcp_f64_e32 v[84:85], v[10:11]
	v_add_f64 v[90:91], v[10:11], -1.0
	v_add_f64 v[88:89], v[8:9], -1.0
	v_add_f64 v[8:9], v[8:9], -v[90:91]
	v_fma_f64 v[90:91], -v[10:11], v[84:85], 1.0
	v_fmac_f64_e32 v[84:85], v[90:91], v[84:85]
	v_fma_f64 v[90:91], -v[10:11], v[84:85], 1.0
	v_fmac_f64_e32 v[84:85], v[90:91], v[84:85]
	v_mul_f64 v[90:91], v[88:89], v[84:85]
	v_mul_f64 v[116:117], v[10:11], v[90:91]
	v_fma_f64 v[10:11], v[90:91], v[10:11], -v[116:117]
	v_fmac_f64_e32 v[10:11], v[90:91], v[8:9]
	v_add_f64 v[8:9], v[116:117], v[10:11]
	v_add_f64 v[118:119], v[88:89], -v[8:9]
	v_add_f64 v[116:117], v[8:9], -v[116:117]
	;; [unrolled: 1-line block ×5, first 2 shown]
	v_add_f64 v[8:9], v[10:11], v[8:9]
	v_add_f64 v[8:9], v[118:119], v[8:9]
	v_mul_f64 v[8:9], v[84:85], v[8:9]
	v_add_f64 v[10:11], v[90:91], v[8:9]
	v_add_f64 v[84:85], v[10:11], -v[90:91]
	v_add_f64 v[8:9], v[8:9], -v[84:85]
	v_mul_f64 v[84:85], v[10:11], v[10:11]
	v_fma_f64 v[88:89], s[48:49], v[84:85], v[86:87]
	v_fma_f64 v[88:89], v[84:85], v[88:89], s[50:51]
	;; [unrolled: 1-line block ×6, first 2 shown]
	v_ldexp_f64 v[90:91], v[10:11], 1
	v_mul_f64 v[10:11], v[10:11], v[84:85]
	v_mul_f64 v[10:11], v[10:11], v[88:89]
	v_add_f64 v[84:85], v[90:91], v[10:11]
	v_add_f64 v[88:89], v[84:85], -v[90:91]
	v_ldexp_f64 v[8:9], v[8:9], 1
	v_add_f64 v[10:11], v[10:11], -v[88:89]
	v_add_f64 v[8:9], v[8:9], v[10:11]
	v_add_f64 v[10:11], v[84:85], v[8:9]
	v_add_f64 v[84:85], v[10:11], -v[84:85]
	v_add_f64 v[8:9], v[8:9], -v[84:85]
	v_cvt_f64_i32_e32 v[84:85], v79
	v_mul_f64 v[88:89], v[84:85], s[60:61]
	v_fma_f64 v[90:91], v[84:85], s[60:61], -v[88:89]
	v_fmac_f64_e32 v[90:91], s[62:63], v[84:85]
	v_add_f64 v[84:85], v[88:89], v[90:91]
	v_add_f64 v[88:89], v[84:85], -v[88:89]
	v_add_f64 v[88:89], v[90:91], -v[88:89]
	v_add_f64 v[90:91], v[84:85], v[10:11]
	v_add_f64 v[116:117], v[90:91], -v[84:85]
	v_add_f64 v[118:119], v[90:91], -v[116:117]
	;; [unrolled: 1-line block ×4, first 2 shown]
	v_add_f64 v[10:11], v[10:11], v[84:85]
	v_add_f64 v[84:85], v[88:89], v[8:9]
	v_add_f64 v[116:117], v[84:85], -v[88:89]
	v_add_f64 v[118:119], v[84:85], -v[116:117]
	v_add_f64 v[10:11], v[84:85], v[10:11]
	v_add_f64 v[88:89], v[88:89], -v[118:119]
	v_add_f64 v[8:9], v[8:9], -v[116:117]
	v_add_f64 v[84:85], v[90:91], v[10:11]
	v_add_f64 v[8:9], v[8:9], v[88:89]
	v_add_f64 v[88:89], v[84:85], -v[90:91]
	v_add_f64 v[10:11], v[10:11], -v[88:89]
	s_mov_b32 s0, 0
	v_add_f64 v[8:9], v[8:9], v[10:11]
	s_mov_b32 s1, 0x7ff00000
	v_add_f64 v[8:9], v[84:85], v[8:9]
	v_cmp_eq_f64_e32 vcc, s[0:1], v[80:81]
	v_cndmask_b32_e32 v8, v8, v80, vcc
	v_cndmask_b32_e32 v9, v9, v81, vcc
	v_cmp_neq_f64_e32 vcc, 0, v[80:81]
	v_cndmask_b32_e32 v9, v93, v9, vcc
	v_cndmask_b32_e32 v8, 0, v8, vcc
	v_mul_f64 v[82:83], v[80:81], v[4:5]
	v_add_f64 v[84:85], v[6:7], -v[8:9]
	v_frexp_exp_i32_f64_e32 v6, v[4:5]
	v_frexp_mant_f64_e32 v[4:5], v[4:5]
	v_cmp_gt_f64_e32 vcc, s[44:45], v[4:5]
	v_cndmask_b32_e64 v79, v19, 2.0, vcc
	v_mul_f64 v[4:5], v[4:5], v[78:79]
	v_subbrev_co_u32_e32 v79, vcc, 0, v6, vcc
	v_add_f64 v[6:7], v[4:5], 1.0
	v_rcp_f64_e32 v[8:9], v[6:7]
	v_add_f64 v[88:89], v[6:7], -1.0
	v_add_f64 v[10:11], v[4:5], -1.0
	v_add_f64 v[4:5], v[4:5], -v[88:89]
	v_fma_f64 v[88:89], -v[6:7], v[8:9], 1.0
	v_fmac_f64_e32 v[8:9], v[88:89], v[8:9]
	v_fma_f64 v[88:89], -v[6:7], v[8:9], 1.0
	v_fmac_f64_e32 v[8:9], v[88:89], v[8:9]
	v_mul_f64 v[88:89], v[10:11], v[8:9]
	v_mul_f64 v[90:91], v[6:7], v[88:89]
	v_fma_f64 v[6:7], v[88:89], v[6:7], -v[90:91]
	v_fmac_f64_e32 v[6:7], v[88:89], v[4:5]
	v_add_f64 v[4:5], v[90:91], v[6:7]
	v_add_f64 v[116:117], v[10:11], -v[4:5]
	v_add_f64 v[90:91], v[4:5], -v[90:91]
	;; [unrolled: 1-line block ×5, first 2 shown]
	v_add_f64 v[4:5], v[6:7], v[4:5]
	v_add_f64 v[4:5], v[116:117], v[4:5]
	v_mul_f64 v[4:5], v[8:9], v[4:5]
	v_add_f64 v[6:7], v[88:89], v[4:5]
	v_add_f64 v[8:9], v[6:7], -v[88:89]
	v_add_f64 v[4:5], v[4:5], -v[8:9]
	v_mul_f64 v[8:9], v[6:7], v[6:7]
	v_fmac_f64_e32 v[86:87], s[48:49], v[8:9]
	v_fma_f64 v[10:11], v[8:9], v[86:87], s[50:51]
	v_fma_f64 v[10:11], v[8:9], v[10:11], s[52:53]
	;; [unrolled: 1-line block ×5, first 2 shown]
	v_ldexp_f64 v[86:87], v[6:7], 1
	v_mul_f64 v[6:7], v[6:7], v[8:9]
	v_mul_f64 v[6:7], v[6:7], v[10:11]
	v_add_f64 v[8:9], v[86:87], v[6:7]
	v_add_f64 v[10:11], v[8:9], -v[86:87]
	v_ldexp_f64 v[4:5], v[4:5], 1
	v_add_f64 v[6:7], v[6:7], -v[10:11]
	v_add_f64 v[4:5], v[4:5], v[6:7]
	v_add_f64 v[6:7], v[8:9], v[4:5]
	v_add_f64 v[8:9], v[6:7], -v[8:9]
	v_add_f64 v[4:5], v[4:5], -v[8:9]
	v_cvt_f64_i32_e32 v[8:9], v79
	v_mul_f64 v[10:11], v[8:9], s[60:61]
	v_fma_f64 v[86:87], v[8:9], s[60:61], -v[10:11]
	v_fmac_f64_e32 v[86:87], s[62:63], v[8:9]
	v_add_f64 v[8:9], v[10:11], v[86:87]
	v_add_f64 v[10:11], v[8:9], -v[10:11]
	v_add_f64 v[10:11], v[86:87], -v[10:11]
	v_add_f64 v[86:87], v[8:9], v[6:7]
	v_add_f64 v[88:89], v[86:87], -v[8:9]
	v_add_f64 v[90:91], v[86:87], -v[88:89]
	;; [unrolled: 1-line block ×4, first 2 shown]
	v_add_f64 v[6:7], v[6:7], v[8:9]
	v_add_f64 v[8:9], v[10:11], v[4:5]
	v_add_f64 v[88:89], v[8:9], -v[10:11]
	v_add_f64 v[90:91], v[8:9], -v[88:89]
	v_add_f64 v[6:7], v[8:9], v[6:7]
	v_add_f64 v[10:11], v[10:11], -v[90:91]
	v_add_f64 v[4:5], v[4:5], -v[88:89]
	v_add_f64 v[8:9], v[86:87], v[6:7]
	v_add_f64 v[4:5], v[4:5], v[10:11]
	v_add_f64 v[10:11], v[8:9], -v[86:87]
	v_add_f64 v[6:7], v[6:7], -v[10:11]
	v_add_f64 v[4:5], v[4:5], v[6:7]
	v_add_f64 v[86:87], v[8:9], v[4:5]
	s_mov_b64 s[4:5], 0
	s_mov_b64 s[6:7], 0
	v_mov_b32_e32 v115, v12
                                        ; implicit-def: $vgpr79
.LBB89_29:                              ;   Parent Loop BB89_5 Depth=1
                                        ; =>  This Inner Loop Header: Depth=2
	v_add_u32_e32 v116, 1, v15
	v_pk_mov_b32 v[10:11], v[2:3], v[2:3] op_sel:[0,1]
	v_cmp_eq_u32_e32 vcc, 4, v116
	v_pk_mov_b32 v[8:9], v[0:1], v[0:1] op_sel:[0,1]
	v_mov_b32_e32 v91, v0
	v_mov_b32_e32 v90, v1
	;; [unrolled: 1-line block ×4, first 2 shown]
	s_and_saveexec_b64 s[0:1], vcc
	s_cbranch_execz .LBB89_31
; %bb.30:                               ;   in Loop: Header=BB89_29 Depth=2
	v_add_co_u32_e32 v96, vcc, 1, v96
	v_cndmask_b32_e64 v4, 0, 1, vcc
	v_addc_co_u32_e32 v97, vcc, 0, v97, vcc
	v_cmp_eq_u32_e32 vcc, 0, v97
	v_cndmask_b32_e32 v4, 0, v4, vcc
	v_add_u32_e32 v115, v4, v115
	v_cmp_eq_u32_e32 vcc, 0, v115
	v_cndmask_b32_e32 v4, 0, v4, vcc
	v_add_u32_e32 v78, v4, v78
	v_mad_u64_u32 v[4:5], s[20:21], v96, s70, 0
	v_mad_u64_u32 v[6:7], s[20:21], v115, s33, 0
	v_xor_b32_e32 v5, v5, v77
	v_xor_b32_e32 v7, v7, v76
	v_xor_b32_e32 v5, v78, v5
	v_xor_b32_e32 v7, v97, v7
	v_mad_u64_u32 v[10:11], s[20:21], v5, s33, 0
	v_mad_u64_u32 v[8:9], s[20:21], v7, s70, 0
	v_xor_b32_e32 v5, v98, v11
	v_xor_b32_e32 v5, v5, v6
	v_xor_b32_e32 v6, v99, v9
	v_xor_b32_e32 v6, v6, v4
	;; [unrolled: 6-line block ×10, first 2 shown]
	v_mov_b32_e32 v116, 0
	v_mov_b32_e32 v9, v90
	;; [unrolled: 1-line block ×5, first 2 shown]
.LBB89_31:                              ;   in Loop: Header=BB89_29 Depth=2
	s_or_b64 exec, exec, s[0:1]
	v_add_u32_e32 v117, 1, v116
	v_pk_mov_b32 v[4:5], v[8:9], v[8:9] op_sel:[0,1]
	v_cmp_eq_u32_e32 vcc, 4, v117
	v_pk_mov_b32 v[6:7], v[10:11], v[10:11] op_sel:[0,1]
	s_and_saveexec_b64 s[0:1], vcc
	s_cbranch_execz .LBB89_33
; %bb.32:                               ;   in Loop: Header=BB89_29 Depth=2
	v_add_co_u32_e32 v96, vcc, 1, v96
	v_cndmask_b32_e64 v4, 0, 1, vcc
	v_addc_co_u32_e32 v97, vcc, 0, v97, vcc
	v_cmp_eq_u32_e32 vcc, 0, v97
	v_cndmask_b32_e32 v4, 0, v4, vcc
	v_add_u32_e32 v115, v4, v115
	v_cmp_eq_u32_e32 vcc, 0, v115
	v_cndmask_b32_e32 v4, 0, v4, vcc
	v_add_u32_e32 v78, v4, v78
	v_mad_u64_u32 v[4:5], s[20:21], v96, s70, 0
	v_mad_u64_u32 v[6:7], s[20:21], v115, s33, 0
	v_xor_b32_e32 v5, v5, v77
	v_xor_b32_e32 v7, v7, v76
	v_xor_b32_e32 v5, v78, v5
	v_xor_b32_e32 v7, v97, v7
	v_mad_u64_u32 v[90:91], s[20:21], v5, s33, 0
	v_mad_u64_u32 v[88:89], s[20:21], v7, s70, 0
	v_xor_b32_e32 v5, v98, v91
	v_xor_b32_e32 v5, v5, v6
	v_xor_b32_e32 v6, v99, v89
	v_xor_b32_e32 v6, v6, v4
	;; [unrolled: 6-line block ×10, first 2 shown]
	v_mov_b32_e32 v117, 0
	v_mov_b32_e32 v5, v90
	;; [unrolled: 1-line block ×5, first 2 shown]
.LBB89_33:                              ;   in Loop: Header=BB89_29 Depth=2
	s_or_b64 exec, exec, s[0:1]
	v_cmp_eq_u32_e32 vcc, 1, v15
	v_cndmask_b32_e32 v0, v0, v1, vcc
	v_cmp_eq_u32_e32 vcc, 2, v15
	v_cndmask_b32_e32 v0, v0, v2, vcc
	;; [unrolled: 2-line block ×6, first 2 shown]
	v_lshrrev_b32_e32 v0, 11, v0
	v_cvt_f64_u32_e32 v[0:1], v0
	v_ldexp_f64 v[0:1], v[0:1], 32
	v_cvt_f64_u32_e32 v[2:3], v2
	v_add_f64 v[0:1], v[0:1], v[2:3]
	v_mov_b32_e32 v2, 0
	v_mov_b32_e32 v3, 0x3ca00000
	v_fmac_f64_e32 v[2:3], 0x3ca00000, v[0:1]
	v_add_f64 v[0:1], -v[2:3], 1.0
	v_div_scale_f64 v[8:9], s[0:1], v[2:3], v[2:3], v[0:1]
	v_rcp_f64_e32 v[10:11], v[8:9]
	v_fma_f64 v[118:119], -v[8:9], v[10:11], 1.0
	v_fmac_f64_e32 v[10:11], v[10:11], v[118:119]
	v_fma_f64 v[118:119], -v[8:9], v[10:11], 1.0
	v_fmac_f64_e32 v[10:11], v[10:11], v[118:119]
	v_div_scale_f64 v[118:119], vcc, v[0:1], v[2:3], v[0:1]
	v_mul_f64 v[120:121], v[118:119], v[10:11]
	v_fma_f64 v[8:9], -v[8:9], v[120:121], v[118:119]
	s_nop 1
	v_div_fmas_f64 v[8:9], v[8:9], v[10:11], v[120:121]
	v_div_fixup_f64 v[0:1], v[8:9], v[2:3], v[0:1]
	v_frexp_mant_f64_e32 v[2:3], v[0:1]
	v_cmp_gt_f64_e32 vcc, s[44:45], v[2:3]
	v_cndmask_b32_e64 v15, v19, 2.0, vcc
	v_frexp_exp_i32_f64_e32 v8, v[0:1]
	v_mul_f64 v[2:3], v[2:3], v[14:15]
	v_subbrev_co_u32_e32 v15, vcc, 0, v8, vcc
	v_add_f64 v[8:9], v[2:3], 1.0
	v_rcp_f64_e32 v[10:11], v[8:9]
	v_add_f64 v[120:121], v[8:9], -1.0
	v_add_f64 v[118:119], v[2:3], -1.0
	v_add_f64 v[2:3], v[2:3], -v[120:121]
	v_fma_f64 v[120:121], -v[8:9], v[10:11], 1.0
	v_fmac_f64_e32 v[10:11], v[120:121], v[10:11]
	v_fma_f64 v[120:121], -v[8:9], v[10:11], 1.0
	v_fmac_f64_e32 v[10:11], v[120:121], v[10:11]
	v_mul_f64 v[120:121], v[118:119], v[10:11]
	v_mul_f64 v[122:123], v[8:9], v[120:121]
	v_fma_f64 v[8:9], v[120:121], v[8:9], -v[122:123]
	v_fmac_f64_e32 v[8:9], v[120:121], v[2:3]
	v_add_f64 v[2:3], v[122:123], v[8:9]
	v_add_f64 v[124:125], v[118:119], -v[2:3]
	v_add_f64 v[122:123], v[2:3], -v[122:123]
	;; [unrolled: 1-line block ×5, first 2 shown]
	v_add_f64 v[2:3], v[8:9], v[2:3]
	v_add_f64 v[2:3], v[124:125], v[2:3]
	v_mul_f64 v[2:3], v[10:11], v[2:3]
	v_add_f64 v[8:9], v[120:121], v[2:3]
	v_add_f64 v[10:11], v[8:9], -v[120:121]
	v_add_f64 v[2:3], v[2:3], -v[10:11]
	v_mul_f64 v[10:11], v[8:9], v[8:9]
	v_pk_mov_b32 v[118:119], v[20:21], v[20:21] op_sel:[0,1]
	v_fmac_f64_e32 v[118:119], s[48:49], v[10:11]
	v_pk_mov_b32 v[120:121], v[22:23], v[22:23] op_sel:[0,1]
	v_fmac_f64_e32 v[120:121], v[10:11], v[118:119]
	;; [unrolled: 2-line block ×6, first 2 shown]
	v_ldexp_f64 v[118:119], v[8:9], 1
	v_mul_f64 v[8:9], v[8:9], v[10:11]
	v_mul_f64 v[8:9], v[8:9], v[120:121]
	v_add_f64 v[10:11], v[118:119], v[8:9]
	v_add_f64 v[118:119], v[10:11], -v[118:119]
	v_ldexp_f64 v[2:3], v[2:3], 1
	v_add_f64 v[8:9], v[8:9], -v[118:119]
	v_add_f64 v[2:3], v[2:3], v[8:9]
	v_add_f64 v[8:9], v[10:11], v[2:3]
	v_add_f64 v[10:11], v[8:9], -v[10:11]
	v_add_f64 v[2:3], v[2:3], -v[10:11]
	v_cvt_f64_i32_e32 v[10:11], v15
	v_mul_f64 v[118:119], v[10:11], s[60:61]
	v_fma_f64 v[120:121], v[10:11], s[60:61], -v[118:119]
	v_fmac_f64_e32 v[120:121], s[62:63], v[10:11]
	v_add_f64 v[10:11], v[118:119], v[120:121]
	v_add_f64 v[118:119], v[10:11], -v[118:119]
	v_add_f64 v[118:119], v[120:121], -v[118:119]
	v_add_f64 v[120:121], v[10:11], v[8:9]
	v_add_f64 v[122:123], v[120:121], -v[10:11]
	v_add_f64 v[124:125], v[120:121], -v[122:123]
	;; [unrolled: 1-line block ×4, first 2 shown]
	v_add_f64 v[8:9], v[8:9], v[10:11]
	v_add_f64 v[10:11], v[118:119], v[2:3]
	v_add_f64 v[122:123], v[10:11], -v[118:119]
	v_add_f64 v[124:125], v[10:11], -v[122:123]
	v_add_f64 v[8:9], v[10:11], v[8:9]
	v_add_f64 v[118:119], v[118:119], -v[124:125]
	v_add_f64 v[2:3], v[2:3], -v[122:123]
	v_add_f64 v[10:11], v[120:121], v[8:9]
	v_add_f64 v[2:3], v[2:3], v[118:119]
	v_add_f64 v[118:119], v[10:11], -v[120:121]
	v_add_f64 v[8:9], v[8:9], -v[118:119]
	v_add_f64 v[2:3], v[2:3], v[8:9]
	v_add_f64 v[2:3], v[10:11], v[2:3]
	v_cmp_class_f64_e64 vcc, v[0:1], s71
	v_cndmask_b32_e32 v2, v2, v0, vcc
	v_cndmask_b32_e32 v3, v3, v1, vcc
	v_cmp_ngt_f64_e32 vcc, 0, v[0:1]
	v_cndmask_b32_e32 v3, v92, v3, vcc
	v_cmp_nge_f64_e32 vcc, 0, v[0:1]
	v_cndmask_b32_e32 v2, 0, v2, vcc
	v_cmp_neq_f64_e32 vcc, 0, v[0:1]
	v_cndmask_b32_e32 v3, v93, v3, vcc
	v_add_f64 v[0:1], v[82:83], -v[2:3]
	v_div_scale_f64 v[2:3], s[0:1], v[80:81], v[80:81], v[0:1]
	v_rcp_f64_e32 v[8:9], v[2:3]
	v_fma_f64 v[10:11], -v[2:3], v[8:9], 1.0
	v_fmac_f64_e32 v[8:9], v[8:9], v[10:11]
	v_fma_f64 v[10:11], -v[2:3], v[8:9], 1.0
	v_fmac_f64_e32 v[8:9], v[8:9], v[10:11]
	v_div_scale_f64 v[10:11], vcc, v[0:1], v[80:81], v[0:1]
	v_mul_f64 v[118:119], v[10:11], v[8:9]
	v_fma_f64 v[2:3], -v[2:3], v[118:119], v[10:11]
	s_nop 1
	v_div_fmas_f64 v[2:3], v[2:3], v[8:9], v[118:119]
	v_div_fixup_f64 v[10:11], v[2:3], v[80:81], v[0:1]
	v_add_f64 v[0:1], v[10:11], 0.5
	v_floor_f64_e32 v[8:9], v[0:1]
	v_cmp_ngt_f64_e32 vcc, 0, v[8:9]
	v_mov_b32_e32 v118, 2
	s_and_saveexec_b64 s[20:21], vcc
	s_cbranch_execz .LBB89_39
; %bb.34:                               ;   in Loop: Header=BB89_29 Depth=2
	v_add_u32_e32 v15, 1, v117
	v_pk_mov_b32 v[0:1], v[4:5], v[4:5] op_sel:[0,1]
	v_cmp_eq_u32_e32 vcc, 4, v15
	v_pk_mov_b32 v[2:3], v[6:7], v[6:7] op_sel:[0,1]
	s_and_saveexec_b64 s[0:1], vcc
	s_cbranch_execz .LBB89_36
; %bb.35:                               ;   in Loop: Header=BB89_29 Depth=2
	v_add_co_u32_e32 v96, vcc, 1, v96
	v_cndmask_b32_e64 v0, 0, 1, vcc
	v_addc_co_u32_e32 v97, vcc, 0, v97, vcc
	v_cmp_eq_u32_e32 vcc, 0, v97
	v_cndmask_b32_e32 v0, 0, v0, vcc
	v_add_u32_e32 v115, v0, v115
	v_cmp_eq_u32_e32 vcc, 0, v115
	v_cndmask_b32_e32 v0, 0, v0, vcc
	v_add_u32_e32 v78, v0, v78
	v_mad_u64_u32 v[0:1], vcc, v96, s70, 0
	v_mad_u64_u32 v[2:3], vcc, v115, s33, 0
	v_xor_b32_e32 v1, v1, v77
	v_xor_b32_e32 v3, v3, v76
	v_xor_b32_e32 v1, v78, v1
	v_xor_b32_e32 v3, v97, v3
	v_mad_u64_u32 v[90:91], vcc, v1, s33, 0
	v_mad_u64_u32 v[88:89], vcc, v3, s70, 0
	v_xor_b32_e32 v1, v98, v91
	v_xor_b32_e32 v1, v1, v2
	v_xor_b32_e32 v2, v99, v89
	v_xor_b32_e32 v2, v2, v0
	;; [unrolled: 6-line block ×10, first 2 shown]
	v_mov_b32_e32 v15, 0
	v_mov_b32_e32 v1, v90
	v_mov_b32_e32 v3, v88
	v_mov_b32_e32 v91, v0
	v_mov_b32_e32 v89, v2
.LBB89_36:                              ;   in Loop: Header=BB89_29 Depth=2
	s_or_b64 exec, exec, s[0:1]
	v_add_u32_e32 v116, 1, v15
	v_cmp_eq_u32_e32 vcc, 4, v116
	s_and_saveexec_b64 s[0:1], vcc
	s_cbranch_execz .LBB89_38
; %bb.37:                               ;   in Loop: Header=BB89_29 Depth=2
	v_add_co_u32_e32 v96, vcc, 1, v96
	v_cndmask_b32_e64 v88, 0, 1, vcc
	v_addc_co_u32_e32 v97, vcc, 0, v97, vcc
	v_cmp_eq_u32_e32 vcc, 0, v97
	v_cndmask_b32_e32 v88, 0, v88, vcc
	v_add_u32_e32 v115, v88, v115
	v_cmp_eq_u32_e32 vcc, 0, v115
	v_cndmask_b32_e32 v88, 0, v88, vcc
	v_add_u32_e32 v78, v88, v78
	v_mad_u64_u32 v[88:89], vcc, v96, s70, 0
	v_mad_u64_u32 v[90:91], vcc, v115, s33, 0
	v_xor_b32_e32 v89, v89, v77
	v_xor_b32_e32 v91, v91, v76
	v_xor_b32_e32 v89, v78, v89
	v_xor_b32_e32 v91, v97, v91
	v_mad_u64_u32 v[120:121], vcc, v89, s33, 0
	v_mad_u64_u32 v[118:119], vcc, v91, s70, 0
	v_xor_b32_e32 v89, v98, v121
	v_xor_b32_e32 v89, v89, v90
	v_xor_b32_e32 v90, v99, v119
	v_xor_b32_e32 v90, v90, v88
	;; [unrolled: 6-line block ×9, first 2 shown]
	v_mad_u64_u32 v[88:89], vcc, v88, s70, 0
	v_mad_u64_u32 v[90:91], vcc, v90, s33, 0
	v_xor_b32_e32 v91, v91, v124
	v_xor_b32_e32 v89, v89, v122
	v_mov_b32_e32 v116, 0
	v_xor_b32_e32 v91, v105, v91
	v_xor_b32_e32 v89, v95, v89
.LBB89_38:                              ;   in Loop: Header=BB89_29 Depth=2
	s_or_b64 exec, exec, s[0:1]
	v_cmp_eq_u32_e32 vcc, 1, v117
	v_cndmask_b32_e32 v4, v4, v5, vcc
	v_cmp_eq_u32_e32 vcc, 2, v117
	v_cndmask_b32_e32 v4, v4, v6, vcc
	;; [unrolled: 2-line block ×6, first 2 shown]
	v_lshrrev_b32_e32 v0, 11, v0
	v_cvt_f64_u32_e32 v[0:1], v0
	v_ldexp_f64 v[0:1], v[0:1], 32
	v_cvt_f64_u32_e32 v[2:3], v4
	v_add_f64 v[0:1], v[0:1], v[2:3]
	v_mov_b32_e32 v2, 0
	v_mov_b32_e32 v3, 0x3ca00000
	v_fma_f64 v[4:5], -v[80:81], v[10:11], v[82:83]
	v_fmac_f64_e32 v[2:3], 0x3ca00000, v[0:1]
	v_mul_f64 v[0:1], v[4:5], s[66:67]
	v_rndne_f64_e32 v[0:1], v[0:1]
	s_mov_b32 s68, s60
	v_fma_f64 v[6:7], s[68:69], v[0:1], v[4:5]
	s_mov_b32 s72, s62
	v_fmac_f64_e32 v[6:7], s[72:73], v[0:1]
	v_pk_mov_b32 v[10:11], v[32:33], v[32:33] op_sel:[0,1]
	v_fmac_f64_e32 v[10:11], s[74:75], v[6:7]
	v_pk_mov_b32 v[118:119], v[34:35], v[34:35] op_sel:[0,1]
	v_fmac_f64_e32 v[118:119], v[6:7], v[10:11]
	v_pk_mov_b32 v[10:11], v[36:37], v[36:37] op_sel:[0,1]
	v_fmac_f64_e32 v[10:11], v[6:7], v[118:119]
	v_pk_mov_b32 v[118:119], v[38:39], v[38:39] op_sel:[0,1]
	v_fmac_f64_e32 v[118:119], v[6:7], v[10:11]
	v_pk_mov_b32 v[10:11], v[40:41], v[40:41] op_sel:[0,1]
	v_fmac_f64_e32 v[10:11], v[6:7], v[118:119]
	v_pk_mov_b32 v[118:119], v[42:43], v[42:43] op_sel:[0,1]
	v_fmac_f64_e32 v[118:119], v[6:7], v[10:11]
	v_pk_mov_b32 v[10:11], v[44:45], v[44:45] op_sel:[0,1]
	v_fmac_f64_e32 v[10:11], v[6:7], v[118:119]
	v_pk_mov_b32 v[118:119], v[46:47], v[46:47] op_sel:[0,1]
	v_fmac_f64_e32 v[118:119], v[6:7], v[10:11]
	v_pk_mov_b32 v[10:11], v[48:49], v[48:49] op_sel:[0,1]
	v_fmac_f64_e32 v[10:11], v[6:7], v[118:119]
	v_fma_f64 v[10:11], v[6:7], v[10:11], 1.0
	v_fma_f64 v[6:7], v[6:7], v[10:11], 1.0
	v_cvt_i32_f64_e32 v0, v[0:1]
	v_ldexp_f64 v[0:1], v[6:7], v0
	v_add_f64 v[0:1], v[0:1], 1.0
	v_cmp_nlt_f64_e32 vcc, s[76:77], v[4:5]
	v_cmp_ngt_f64_e64 s[0:1], s[78:79], v[4:5]
	v_cndmask_b32_e32 v1, v94, v1, vcc
	s_and_b64 vcc, s[0:1], vcc
	v_cndmask_b32_e64 v1, v19, v1, s[0:1]
	v_cndmask_b32_e32 v0, 0, v0, vcc
	v_mul_f64 v[0:1], v[0:1], v[0:1]
	v_div_scale_f64 v[6:7], s[0:1], v[0:1], v[0:1], v[2:3]
	v_rcp_f64_e32 v[10:11], v[6:7]
	s_mov_b32 s59, s45
	v_fma_f64 v[118:119], -v[6:7], v[10:11], 1.0
	v_fmac_f64_e32 v[10:11], v[10:11], v[118:119]
	v_fma_f64 v[118:119], -v[6:7], v[10:11], 1.0
	v_fmac_f64_e32 v[10:11], v[10:11], v[118:119]
	v_div_scale_f64 v[118:119], vcc, v[2:3], v[0:1], v[2:3]
	v_mul_f64 v[120:121], v[118:119], v[10:11]
	v_fma_f64 v[6:7], -v[6:7], v[120:121], v[118:119]
	s_nop 1
	v_div_fmas_f64 v[6:7], v[6:7], v[10:11], v[120:121]
	v_div_fixup_f64 v[2:3], v[6:7], v[0:1], v[2:3]
	v_frexp_mant_f64_e32 v[0:1], v[2:3]
	v_cmp_gt_f64_e32 vcc, s[44:45], v[0:1]
	v_cndmask_b32_e64 v15, v19, 2.0, vcc
	v_frexp_exp_i32_f64_e32 v6, v[2:3]
	v_mul_f64 v[0:1], v[0:1], v[14:15]
	v_subbrev_co_u32_e32 v15, vcc, 0, v6, vcc
	v_add_f64 v[6:7], v[0:1], 1.0
	v_rcp_f64_e32 v[10:11], v[6:7]
	v_add_f64 v[120:121], v[6:7], -1.0
	v_add_f64 v[118:119], v[0:1], -1.0
	v_add_f64 v[0:1], v[0:1], -v[120:121]
	v_fma_f64 v[120:121], -v[6:7], v[10:11], 1.0
	v_fmac_f64_e32 v[10:11], v[120:121], v[10:11]
	v_fma_f64 v[120:121], -v[6:7], v[10:11], 1.0
	v_fmac_f64_e32 v[10:11], v[120:121], v[10:11]
	v_mul_f64 v[120:121], v[118:119], v[10:11]
	v_mul_f64 v[122:123], v[6:7], v[120:121]
	v_fma_f64 v[6:7], v[120:121], v[6:7], -v[122:123]
	v_fmac_f64_e32 v[6:7], v[120:121], v[0:1]
	v_add_f64 v[0:1], v[122:123], v[6:7]
	v_add_f64 v[124:125], v[118:119], -v[0:1]
	v_add_f64 v[122:123], v[0:1], -v[122:123]
	;; [unrolled: 1-line block ×5, first 2 shown]
	v_add_f64 v[0:1], v[6:7], v[0:1]
	v_add_f64 v[0:1], v[124:125], v[0:1]
	v_mul_f64 v[0:1], v[10:11], v[0:1]
	v_add_f64 v[6:7], v[120:121], v[0:1]
	v_add_f64 v[10:11], v[6:7], -v[120:121]
	v_add_f64 v[10:11], v[0:1], -v[10:11]
	v_mul_f64 v[118:119], v[6:7], v[6:7]
	v_pk_mov_b32 v[0:1], s[46:47], s[46:47] op_sel:[0,1]
	v_fma_f64 v[120:121], s[48:49], v[118:119], v[0:1]
	v_fma_f64 v[120:121], v[118:119], v[120:121], s[50:51]
	;; [unrolled: 1-line block ×6, first 2 shown]
	v_ldexp_f64 v[122:123], v[6:7], 1
	v_mul_f64 v[6:7], v[6:7], v[118:119]
	v_mul_f64 v[6:7], v[6:7], v[120:121]
	v_add_f64 v[118:119], v[122:123], v[6:7]
	v_add_f64 v[120:121], v[118:119], -v[122:123]
	v_ldexp_f64 v[10:11], v[10:11], 1
	v_add_f64 v[6:7], v[6:7], -v[120:121]
	v_add_f64 v[6:7], v[10:11], v[6:7]
	v_add_f64 v[10:11], v[118:119], v[6:7]
	v_add_f64 v[118:119], v[10:11], -v[118:119]
	v_add_f64 v[6:7], v[6:7], -v[118:119]
	v_cvt_f64_i32_e32 v[118:119], v15
	v_mul_f64 v[120:121], v[118:119], s[60:61]
	v_fma_f64 v[122:123], v[118:119], s[60:61], -v[120:121]
	v_fmac_f64_e32 v[122:123], s[62:63], v[118:119]
	v_add_f64 v[118:119], v[120:121], v[122:123]
	v_add_f64 v[120:121], v[118:119], -v[120:121]
	v_add_f64 v[120:121], v[122:123], -v[120:121]
	v_add_f64 v[122:123], v[118:119], v[10:11]
	v_add_f64 v[124:125], v[122:123], -v[118:119]
	v_add_f64 v[126:127], v[122:123], -v[124:125]
	;; [unrolled: 1-line block ×4, first 2 shown]
	v_add_f64 v[10:11], v[10:11], v[118:119]
	v_add_f64 v[118:119], v[120:121], v[6:7]
	v_add_f64 v[124:125], v[118:119], -v[120:121]
	v_add_f64 v[126:127], v[118:119], -v[124:125]
	v_add_f64 v[10:11], v[118:119], v[10:11]
	v_add_f64 v[120:121], v[120:121], -v[126:127]
	v_add_f64 v[6:7], v[6:7], -v[124:125]
	v_add_f64 v[118:119], v[122:123], v[10:11]
	v_add_f64 v[6:7], v[6:7], v[120:121]
	v_add_f64 v[120:121], v[118:119], -v[122:123]
	v_add_f64 v[10:11], v[10:11], -v[120:121]
	v_add_f64 v[6:7], v[6:7], v[10:11]
	v_add_f64 v[6:7], v[118:119], v[6:7]
	v_cmp_class_f64_e64 vcc, v[2:3], s71
	v_cndmask_b32_e32 v15, v6, v2, vcc
	v_cndmask_b32_e32 v6, v7, v3, vcc
	v_cmp_neq_f64_e32 vcc, 0, v[2:3]
	v_cndmask_b32_e32 v3, v93, v6, vcc
	v_add_f64 v[6:7], v[8:9], 1.0
	v_add_f64 v[6:7], v[6:7], -1.0
	v_add_f64 v[118:119], v[6:7], s[80:81]
	v_div_scale_f64 v[10:11], s[0:1], v[118:119], v[118:119], s[82:83]
	v_rcp_f64_e32 v[120:121], v[10:11]
	v_cndmask_b32_e32 v2, 0, v15, vcc
	v_add_f64 v[2:3], v[4:5], v[2:3]
	v_fma_f64 v[4:5], v[86:87], v[8:9], v[84:85]
	v_fma_f64 v[122:123], -v[10:11], v[120:121], 1.0
	v_fmac_f64_e32 v[120:121], v[120:121], v[122:123]
	v_fma_f64 v[122:123], -v[10:11], v[120:121], 1.0
	v_fmac_f64_e32 v[120:121], v[120:121], v[122:123]
	v_div_scale_f64 v[122:123], vcc, s[82:83], v[118:119], s[82:83]
	v_mul_f64 v[124:125], v[122:123], v[120:121]
	v_fma_f64 v[122:123], -v[10:11], v[124:125], v[122:123]
	v_add_f64 v[10:11], v[6:7], s[84:85]
	v_div_scale_f64 v[126:127], s[0:1], v[10:11], v[10:11], s[86:87]
	v_rcp_f64_e32 v[128:129], v[126:127]
	v_div_fmas_f64 v[120:121], v[122:123], v[120:121], v[124:125]
	v_div_fixup_f64 v[118:119], v[120:121], v[118:119], s[82:83]
	v_add_f64 v[124:125], v[6:7], s[88:89]
	v_fma_f64 v[120:121], -v[126:127], v[128:129], 1.0
	v_fmac_f64_e32 v[128:129], v[128:129], v[120:121]
	v_fma_f64 v[120:121], -v[126:127], v[128:129], 1.0
	v_fmac_f64_e32 v[128:129], v[128:129], v[120:121]
	v_div_scale_f64 v[120:121], vcc, s[86:87], v[10:11], s[86:87]
	v_mul_f64 v[122:123], v[120:121], v[128:129]
	v_fma_f64 v[120:121], -v[126:127], v[122:123], v[120:121]
	v_div_scale_f64 v[126:127], s[0:1], v[124:125], v[124:125], s[90:91]
	v_rcp_f64_e32 v[130:131], v[126:127]
	v_div_fmas_f64 v[120:121], v[120:121], v[128:129], v[122:123]
	v_add_f64 v[118:119], v[118:119], 0
	v_div_fixup_f64 v[120:121], v[120:121], v[10:11], s[86:87]
	v_add_f64 v[118:119], v[120:121], v[118:119]
	v_fma_f64 v[120:121], -v[126:127], v[130:131], 1.0
	v_fmac_f64_e32 v[130:131], v[130:131], v[120:121]
	v_fma_f64 v[120:121], -v[126:127], v[130:131], 1.0
	v_fmac_f64_e32 v[130:131], v[130:131], v[120:121]
	v_div_scale_f64 v[120:121], vcc, s[90:91], v[124:125], s[90:91]
	v_mul_f64 v[122:123], v[120:121], v[130:131]
	v_fma_f64 v[120:121], -v[126:127], v[122:123], v[120:121]
	v_add_f64 v[126:127], v[6:7], s[92:93]
	v_div_scale_f64 v[128:129], s[0:1], v[126:127], v[126:127], s[94:95]
	v_rcp_f64_e32 v[132:133], v[128:129]
	v_div_fmas_f64 v[120:121], v[120:121], v[130:131], v[122:123]
	v_div_fixup_f64 v[120:121], v[120:121], v[124:125], s[90:91]
	v_add_f64 v[118:119], v[118:119], v[120:121]
	v_fma_f64 v[120:121], -v[128:129], v[132:133], 1.0
	v_fmac_f64_e32 v[132:133], v[132:133], v[120:121]
	v_fma_f64 v[120:121], -v[128:129], v[132:133], 1.0
	v_fmac_f64_e32 v[132:133], v[132:133], v[120:121]
	v_div_scale_f64 v[120:121], vcc, s[94:95], v[126:127], s[94:95]
	v_mul_f64 v[122:123], v[120:121], v[132:133]
	v_add_f64 v[124:125], v[6:7], 4.0
	v_fma_f64 v[120:121], -v[128:129], v[122:123], v[120:121]
	v_div_scale_f64 v[128:129], s[0:1], v[124:125], v[124:125], s[36:37]
	v_rcp_f64_e32 v[130:131], v[128:129]
	v_div_fmas_f64 v[120:121], v[120:121], v[132:133], v[122:123]
	v_div_fixup_f64 v[120:121], v[120:121], v[126:127], s[94:95]
	v_add_f64 v[118:119], v[120:121], v[118:119]
	v_fma_f64 v[120:121], -v[128:129], v[130:131], 1.0
	v_fmac_f64_e32 v[130:131], v[130:131], v[120:121]
	v_fma_f64 v[120:121], -v[128:129], v[130:131], 1.0
	v_fmac_f64_e32 v[130:131], v[130:131], v[120:121]
	v_div_scale_f64 v[120:121], vcc, s[36:37], v[124:125], s[36:37]
	v_mul_f64 v[122:123], v[120:121], v[130:131]
	v_add_f64 v[126:127], v[6:7], s[38:39]
	v_fma_f64 v[120:121], -v[128:129], v[122:123], v[120:121]
	v_div_scale_f64 v[128:129], s[0:1], v[126:127], v[126:127], s[34:35]
	v_rcp_f64_e32 v[132:133], v[128:129]
	v_div_fmas_f64 v[120:121], v[120:121], v[130:131], v[122:123]
	v_div_fixup_f64 v[120:121], v[120:121], v[124:125], s[36:37]
	v_add_f64 v[118:119], v[118:119], v[120:121]
	v_fma_f64 v[120:121], -v[128:129], v[132:133], 1.0
	v_fmac_f64_e32 v[132:133], v[132:133], v[120:121]
	v_fma_f64 v[120:121], -v[128:129], v[132:133], 1.0
	v_fmac_f64_e32 v[132:133], v[132:133], v[120:121]
	v_div_scale_f64 v[120:121], vcc, s[34:35], v[126:127], s[34:35]
	v_mul_f64 v[122:123], v[120:121], v[132:133]
	v_add_f64 v[124:125], v[6:7], 2.0
	v_fma_f64 v[120:121], -v[128:129], v[122:123], v[120:121]
	v_div_scale_f64 v[128:129], s[0:1], v[124:125], v[124:125], s[40:41]
	v_rcp_f64_e32 v[130:131], v[128:129]
	v_div_fmas_f64 v[120:121], v[120:121], v[132:133], v[122:123]
	v_div_fixup_f64 v[120:121], v[120:121], v[126:127], s[34:35]
	v_add_f64 v[118:119], v[120:121], v[118:119]
	v_fma_f64 v[120:121], -v[128:129], v[130:131], 1.0
	v_fmac_f64_e32 v[130:131], v[130:131], v[120:121]
	v_fma_f64 v[120:121], -v[128:129], v[130:131], 1.0
	v_fmac_f64_e32 v[130:131], v[130:131], v[120:121]
	v_div_scale_f64 v[120:121], vcc, s[40:41], v[124:125], s[40:41]
	v_mul_f64 v[122:123], v[120:121], v[130:131]
	v_add_f64 v[126:127], v[6:7], 1.0
	v_fma_f64 v[120:121], -v[128:129], v[122:123], v[120:121]
	v_div_scale_f64 v[128:129], s[0:1], v[126:127], v[126:127], s[42:43]
	v_rcp_f64_e32 v[132:133], v[128:129]
	v_div_fmas_f64 v[120:121], v[120:121], v[130:131], v[122:123]
	v_div_fixup_f64 v[120:121], v[120:121], v[124:125], s[40:41]
	v_add_f64 v[118:119], v[118:119], v[120:121]
	v_fma_f64 v[120:121], -v[128:129], v[132:133], 1.0
	v_fmac_f64_e32 v[132:133], v[132:133], v[120:121]
	v_fma_f64 v[120:121], -v[128:129], v[132:133], 1.0
	v_fmac_f64_e32 v[132:133], v[132:133], v[120:121]
	v_div_scale_f64 v[120:121], vcc, s[42:43], v[126:127], s[42:43]
	v_mul_f64 v[122:123], v[120:121], v[132:133]
	v_fma_f64 v[120:121], -v[128:129], v[122:123], v[120:121]
	v_add_f64 v[10:11], v[10:11], 0.5
	s_nop 0
	v_div_fmas_f64 v[120:121], v[120:121], v[132:133], v[122:123]
	v_div_fixup_f64 v[120:121], v[120:121], v[126:127], s[42:43]
	v_add_f64 v[118:119], v[120:121], v[118:119]
	v_add_f64 v[118:119], v[118:119], s[64:65]
	v_frexp_mant_f64_e32 v[120:121], v[118:119]
	v_cmp_gt_f64_e32 vcc, s[44:45], v[120:121]
	v_cndmask_b32_e64 v15, v19, 2.0, vcc
	v_mul_f64 v[120:121], v[120:121], v[14:15]
	v_add_f64 v[122:123], v[120:121], 1.0
	v_rcp_f64_e32 v[124:125], v[122:123]
	v_add_f64 v[128:129], v[122:123], -1.0
	v_add_f64 v[126:127], v[120:121], -1.0
	v_add_f64 v[120:121], v[120:121], -v[128:129]
	v_fma_f64 v[128:129], -v[122:123], v[124:125], 1.0
	v_fmac_f64_e32 v[124:125], v[128:129], v[124:125]
	v_fma_f64 v[128:129], -v[122:123], v[124:125], 1.0
	v_fmac_f64_e32 v[124:125], v[128:129], v[124:125]
	v_mul_f64 v[128:129], v[126:127], v[124:125]
	v_mul_f64 v[130:131], v[122:123], v[128:129]
	v_fma_f64 v[122:123], v[128:129], v[122:123], -v[130:131]
	v_fmac_f64_e32 v[122:123], v[128:129], v[120:121]
	v_add_f64 v[120:121], v[130:131], v[122:123]
	v_add_f64 v[132:133], v[126:127], -v[120:121]
	v_add_f64 v[130:131], v[120:121], -v[130:131]
	;; [unrolled: 1-line block ×5, first 2 shown]
	v_add_f64 v[120:121], v[122:123], v[120:121]
	v_add_f64 v[120:121], v[132:133], v[120:121]
	v_mul_f64 v[120:121], v[124:125], v[120:121]
	v_add_f64 v[122:123], v[128:129], v[120:121]
	v_add_f64 v[124:125], v[122:123], -v[128:129]
	v_add_f64 v[120:121], v[120:121], -v[124:125]
	v_mul_f64 v[124:125], v[122:123], v[122:123]
	v_fma_f64 v[126:127], s[48:49], v[124:125], v[0:1]
	v_fma_f64 v[126:127], v[124:125], v[126:127], s[50:51]
	;; [unrolled: 1-line block ×6, first 2 shown]
	v_ldexp_f64 v[128:129], v[122:123], 1
	v_mul_f64 v[122:123], v[122:123], v[124:125]
	v_mul_f64 v[122:123], v[122:123], v[126:127]
	v_add_f64 v[124:125], v[128:129], v[122:123]
	v_add_f64 v[126:127], v[124:125], -v[128:129]
	v_ldexp_f64 v[120:121], v[120:121], 1
	v_add_f64 v[122:123], v[122:123], -v[126:127]
	v_add_f64 v[120:121], v[120:121], v[122:123]
	v_frexp_exp_i32_f64_e32 v117, v[118:119]
	v_add_f64 v[122:123], v[124:125], v[120:121]
	v_subbrev_co_u32_e32 v15, vcc, 0, v117, vcc
	v_add_f64 v[124:125], v[122:123], -v[124:125]
	v_add_f64 v[120:121], v[120:121], -v[124:125]
	v_cvt_f64_i32_e32 v[124:125], v15
	v_mul_f64 v[126:127], v[124:125], s[60:61]
	v_fma_f64 v[128:129], v[124:125], s[60:61], -v[126:127]
	v_fmac_f64_e32 v[128:129], s[62:63], v[124:125]
	v_add_f64 v[124:125], v[126:127], v[128:129]
	v_add_f64 v[126:127], v[124:125], -v[126:127]
	v_add_f64 v[126:127], v[128:129], -v[126:127]
	v_add_f64 v[128:129], v[124:125], v[122:123]
	v_add_f64 v[130:131], v[128:129], -v[124:125]
	v_add_f64 v[132:133], v[128:129], -v[130:131]
	;; [unrolled: 1-line block ×4, first 2 shown]
	v_add_f64 v[122:123], v[122:123], v[124:125]
	v_add_f64 v[124:125], v[126:127], v[120:121]
	v_add_f64 v[130:131], v[124:125], -v[126:127]
	v_add_f64 v[132:133], v[124:125], -v[130:131]
	v_add_f64 v[122:123], v[124:125], v[122:123]
	v_add_f64 v[126:127], v[126:127], -v[132:133]
	v_add_f64 v[120:121], v[120:121], -v[130:131]
	v_add_f64 v[124:125], v[128:129], v[122:123]
	v_add_f64 v[120:121], v[120:121], v[126:127]
	v_add_f64 v[126:127], v[124:125], -v[128:129]
	v_add_f64 v[122:123], v[122:123], -v[126:127]
	v_add_f64 v[120:121], v[120:121], v[122:123]
	v_add_f64 v[120:121], v[124:125], v[120:121]
	v_cmp_class_f64_e64 vcc, v[118:119], s71
	v_div_scale_f64 v[122:123], s[0:1], s[22:23], s[22:23], v[10:11]
	v_cndmask_b32_e32 v121, v121, v119, vcc
	v_cndmask_b32_e32 v120, v120, v118, vcc
	v_rcp_f64_e32 v[124:125], v[122:123]
	v_add_f64 v[120:121], v[120:121], s[24:25]
	v_add_f64 v[120:121], v[120:121], s[18:19]
	v_cmp_ngt_f64_e32 vcc, 0, v[118:119]
	v_cndmask_b32_e32 v15, v92, v121, vcc
	v_cmp_nge_f64_e32 vcc, 0, v[118:119]
	v_cndmask_b32_e32 v120, 0, v120, vcc
	v_cmp_neq_f64_e32 vcc, 0, v[118:119]
	v_fma_f64 v[118:119], -v[122:123], v[124:125], 1.0
	v_fmac_f64_e32 v[124:125], v[124:125], v[118:119]
	v_fma_f64 v[118:119], -v[122:123], v[124:125], 1.0
	v_cndmask_b32_e32 v121, v93, v15, vcc
	v_fmac_f64_e32 v[124:125], v[124:125], v[118:119]
	v_div_scale_f64 v[118:119], vcc, v[10:11], s[22:23], v[10:11]
	v_mul_f64 v[126:127], v[118:119], v[124:125]
	v_fma_f64 v[118:119], -v[122:123], v[126:127], v[118:119]
	v_add_f64 v[6:7], v[6:7], 0.5
	s_nop 0
	v_div_fmas_f64 v[118:119], v[118:119], v[124:125], v[126:127]
	v_div_fixup_f64 v[10:11], v[118:119], s[22:23], v[10:11]
	v_frexp_mant_f64_e32 v[118:119], v[10:11]
	v_cmp_gt_f64_e32 vcc, s[44:45], v[118:119]
	v_cndmask_b32_e64 v15, v19, 2.0, vcc
	v_mul_f64 v[118:119], v[118:119], v[14:15]
	v_add_f64 v[122:123], v[118:119], 1.0
	v_rcp_f64_e32 v[124:125], v[122:123]
	v_add_f64 v[128:129], v[122:123], -1.0
	v_add_f64 v[126:127], v[118:119], -1.0
	v_add_f64 v[118:119], v[118:119], -v[128:129]
	v_fma_f64 v[128:129], -v[122:123], v[124:125], 1.0
	v_fmac_f64_e32 v[124:125], v[128:129], v[124:125]
	v_fma_f64 v[128:129], -v[122:123], v[124:125], 1.0
	v_fmac_f64_e32 v[124:125], v[128:129], v[124:125]
	v_mul_f64 v[128:129], v[126:127], v[124:125]
	v_mul_f64 v[130:131], v[122:123], v[128:129]
	v_fma_f64 v[122:123], v[128:129], v[122:123], -v[130:131]
	v_fmac_f64_e32 v[122:123], v[128:129], v[118:119]
	v_add_f64 v[118:119], v[130:131], v[122:123]
	v_add_f64 v[132:133], v[126:127], -v[118:119]
	v_add_f64 v[130:131], v[118:119], -v[130:131]
	;; [unrolled: 1-line block ×5, first 2 shown]
	v_add_f64 v[118:119], v[122:123], v[118:119]
	v_add_f64 v[118:119], v[132:133], v[118:119]
	v_mul_f64 v[118:119], v[124:125], v[118:119]
	v_add_f64 v[122:123], v[128:129], v[118:119]
	v_add_f64 v[124:125], v[122:123], -v[128:129]
	v_add_f64 v[118:119], v[118:119], -v[124:125]
	v_mul_f64 v[124:125], v[122:123], v[122:123]
	v_fmac_f64_e32 v[0:1], s[48:49], v[124:125]
	v_fma_f64 v[0:1], v[124:125], v[0:1], s[50:51]
	v_fma_f64 v[0:1], v[124:125], v[0:1], s[52:53]
	;; [unrolled: 1-line block ×5, first 2 shown]
	v_ldexp_f64 v[126:127], v[122:123], 1
	v_mul_f64 v[122:123], v[122:123], v[124:125]
	v_mul_f64 v[0:1], v[122:123], v[0:1]
	v_add_f64 v[122:123], v[126:127], v[0:1]
	v_add_f64 v[124:125], v[122:123], -v[126:127]
	v_ldexp_f64 v[118:119], v[118:119], 1
	v_add_f64 v[0:1], v[0:1], -v[124:125]
	v_add_f64 v[0:1], v[118:119], v[0:1]
	v_frexp_exp_i32_f64_e32 v117, v[10:11]
	v_add_f64 v[118:119], v[122:123], v[0:1]
	v_subbrev_co_u32_e32 v15, vcc, 0, v117, vcc
	v_add_f64 v[122:123], v[118:119], -v[122:123]
	v_add_f64 v[0:1], v[0:1], -v[122:123]
	v_cvt_f64_i32_e32 v[122:123], v15
	v_mul_f64 v[124:125], v[122:123], s[60:61]
	v_fma_f64 v[126:127], v[122:123], s[60:61], -v[124:125]
	v_fmac_f64_e32 v[126:127], s[62:63], v[122:123]
	v_add_f64 v[122:123], v[124:125], v[126:127]
	v_add_f64 v[124:125], v[122:123], -v[124:125]
	v_add_f64 v[124:125], v[126:127], -v[124:125]
	v_add_f64 v[126:127], v[122:123], v[118:119]
	v_add_f64 v[128:129], v[126:127], -v[122:123]
	v_add_f64 v[130:131], v[126:127], -v[128:129]
	;; [unrolled: 1-line block ×4, first 2 shown]
	v_add_f64 v[118:119], v[118:119], v[122:123]
	v_add_f64 v[122:123], v[124:125], v[0:1]
	v_add_f64 v[128:129], v[122:123], -v[124:125]
	v_add_f64 v[130:131], v[122:123], -v[128:129]
	v_add_f64 v[118:119], v[122:123], v[118:119]
	v_add_f64 v[124:125], v[124:125], -v[130:131]
	v_add_f64 v[0:1], v[0:1], -v[128:129]
	v_add_f64 v[122:123], v[126:127], v[118:119]
	v_add_f64 v[0:1], v[0:1], v[124:125]
	v_add_f64 v[124:125], v[122:123], -v[126:127]
	v_add_f64 v[118:119], v[118:119], -v[124:125]
	v_add_f64 v[0:1], v[0:1], v[118:119]
	v_add_f64 v[0:1], v[122:123], v[0:1]
	v_cmp_class_f64_e64 vcc, v[10:11], s71
	v_cndmask_b32_e32 v0, v0, v10, vcc
	v_cndmask_b32_e32 v1, v1, v11, vcc
	v_cmp_ngt_f64_e32 vcc, 0, v[10:11]
	v_cndmask_b32_e32 v1, v92, v1, vcc
	v_cmp_nge_f64_e32 vcc, 0, v[10:11]
	v_cndmask_b32_e32 v0, 0, v0, vcc
	v_cmp_neq_f64_e32 vcc, 0, v[10:11]
	v_cndmask_b32_e32 v1, v93, v1, vcc
	v_fmac_f64_e32 v[120:121], v[6:7], v[0:1]
	v_add_f64 v[0:1], v[4:5], -v[120:121]
	v_cvt_u32_f64_e32 v4, v[8:9]
	v_cmp_le_f64_e32 vcc, v[2:3], v[0:1]
	v_cndmask_b32_e64 v118, 0, 1, vcc
	v_cndmask_b32_e32 v79, v79, v4, vcc
	v_mov_b32_e32 v117, v116
.LBB89_39:                              ;   in Loop: Header=BB89_29 Depth=2
	s_or_b64 exec, exec, s[20:21]
	v_cmp_gt_i32_e32 vcc, 2, v118
	s_or_b64 s[6:7], vcc, s[6:7]
	v_mov_b32_e32 v15, v117
	v_mov_b32_e32 v0, v91
	;; [unrolled: 1-line block ×5, first 2 shown]
	s_andn2_b64 exec, exec, s[6:7]
	s_cbranch_execnz .LBB89_29
; %bb.40:                               ;   in Loop: Header=BB89_29 Depth=2
	s_or_b64 exec, exec, s[6:7]
	v_cmp_ne_u32_e32 vcc, 0, v118
	s_or_b64 s[4:5], vcc, s[4:5]
	s_mov_b64 s[6:7], 0
	v_mov_b32_e32 v15, v117
	v_mov_b32_e32 v0, v91
	v_mov_b32_e32 v1, v90
	v_mov_b32_e32 v2, v89
	v_mov_b32_e32 v3, v88
	s_andn2_b64 exec, exec, s[4:5]
	s_cbranch_execnz .LBB89_29
; %bb.41:                               ;   in Loop: Header=BB89_5 Depth=1
	s_or_b64 exec, exec, s[4:5]
	v_readlane_b32 s0, v134, 25
	v_readlane_b32 s1, v134, 26
                                        ; implicit-def: $vgpr76_vgpr77
                                        ; implicit-def: $vgpr15
                                        ; implicit-def: $vgpr96
                                        ; implicit-def: $vgpr97
                                        ; implicit-def: $vgpr105
                                        ; implicit-def: $vgpr95
                                        ; implicit-def: $vgpr3
                                        ; implicit-def: $vgpr4_vgpr5
                                        ; implicit-def: $vgpr98
                                        ; implicit-def: $vgpr99
                                        ; implicit-def: $vgpr100
                                        ; implicit-def: $vgpr101
                                        ; implicit-def: $vgpr103
                                        ; implicit-def: $vgpr104
                                        ; implicit-def: $vgpr106
                                        ; implicit-def: $vgpr107
                                        ; implicit-def: $vgpr108
                                        ; implicit-def: $vgpr109
                                        ; implicit-def: $vgpr110
                                        ; implicit-def: $vgpr111
                                        ; implicit-def: $vgpr112
                                        ; implicit-def: $vgpr113
                                        ; implicit-def: $vgpr102
                                        ; implicit-def: $vgpr114
.LBB89_42:                              ;   in Loop: Header=BB89_5 Depth=1
	s_andn2_saveexec_b64 s[4:5], s[0:1]
	s_cbranch_execz .LBB89_54
; %bb.43:                               ;   in Loop: Header=BB89_5 Depth=1
	v_add_co_u32_e32 v6, vcc, 1, v96
	v_cndmask_b32_e64 v7, 0, 1, vcc
	v_addc_co_u32_e32 v10, vcc, 0, v97, vcc
	v_cmp_eq_u32_e32 vcc, 0, v10
	v_cndmask_b32_e32 v7, 0, v7, vcc
	v_add_u32_e32 v8, v7, v12
	v_cmp_eq_u32_e32 vcc, 0, v8
	v_cndmask_b32_e32 v11, 0, v7, vcc
	v_mad_u64_u32 v[6:7], s[0:1], v6, s70, 0
	v_mad_u64_u32 v[8:9], s[0:1], v8, s33, 0
	v_xor_b32_e32 v7, v7, v77
	v_xor_b32_e32 v9, v9, v76
	v_xor_b32_e32 v7, v11, v7
	v_xor_b32_e32 v9, v10, v9
	v_mad_u64_u32 v[76:77], s[0:1], v7, s33, 0
	v_mad_u64_u32 v[10:11], s[0:1], v9, s70, 0
	v_xor_b32_e32 v7, v98, v77
	v_xor_b32_e32 v7, v7, v8
	v_xor_b32_e32 v8, v99, v11
	v_xor_b32_e32 v8, v8, v6
	;; [unrolled: 6-line block ×8, first 2 shown]
	v_mad_u64_u32 v[78:79], s[0:1], v7, s70, 0
	v_mad_u64_u32 v[8:9], s[0:1], v6, s33, 0
	v_xor_b32_e32 v6, v114, v79
	v_xor_b32_e32 v6, v6, v10
	v_mad_u64_u32 v[6:7], s[0:1], v6, s33, 0
	v_xor_b32_e32 v7, v7, v8
	v_xor_b32_e32 v10, v105, v7
	v_cmp_lt_i32_e32 vcc, 1, v15
                                        ; implicit-def: $vgpr8
	s_and_saveexec_b64 s[0:1], vcc
	s_xor_b64 s[0:1], exec, s[0:1]
	s_cbranch_execz .LBB89_49
; %bb.44:                               ;   in Loop: Header=BB89_5 Depth=1
	v_cmp_lt_i32_e32 vcc, 2, v15
                                        ; implicit-def: $vgpr8
	s_and_saveexec_b64 s[6:7], vcc
	s_xor_b64 s[6:7], exec, s[6:7]
; %bb.45:                               ;   in Loop: Header=BB89_5 Depth=1
	v_xor_b32_e32 v0, v102, v9
	v_xor_b32_e32 v0, v0, v76
	v_mul_hi_u32 v0, v0, s70
	v_xor_b32_e32 v0, v0, v78
	v_xor_b32_e32 v8, v95, v0
; %bb.46:                               ;   in Loop: Header=BB89_5 Depth=1
	s_andn2_saveexec_b64 s[6:7], s[6:7]
; %bb.47:                               ;   in Loop: Header=BB89_5 Depth=1
	v_mov_b32_e32 v8, v6
	v_mov_b32_e32 v6, v10
	;; [unrolled: 1-line block ×4, first 2 shown]
; %bb.48:                               ;   in Loop: Header=BB89_5 Depth=1
	s_or_b64 exec, exec, s[6:7]
                                        ; implicit-def: $vgpr15
.LBB89_49:                              ;   in Loop: Header=BB89_5 Depth=1
	s_andn2_saveexec_b64 s[0:1], s[0:1]
	s_cbranch_execz .LBB89_53
; %bb.50:                               ;   in Loop: Header=BB89_5 Depth=1
	v_cmp_eq_u32_e32 vcc, 1, v15
	v_mov_b32_e32 v8, v3
	v_mov_b32_e32 v6, v2
	;; [unrolled: 1-line block ×3, first 2 shown]
	s_and_saveexec_b64 s[6:7], vcc
; %bb.51:                               ;   in Loop: Header=BB89_5 Depth=1
	v_mov_b32_e32 v8, v10
	v_mov_b32_e32 v6, v3
	;; [unrolled: 1-line block ×4, first 2 shown]
; %bb.52:                               ;   in Loop: Header=BB89_5 Depth=1
	s_or_b64 exec, exec, s[6:7]
	v_mov_b32_e32 v3, v0
	v_mov_b32_e32 v10, v7
.LBB89_53:                              ;   in Loop: Header=BB89_5 Depth=1
	s_or_b64 exec, exec, s[0:1]
	v_mov_b32_e32 v11, v14
	v_lshlrev_b64 v[0:1], 21, v[10:11]
	v_xor_b32_e32 v2, v0, v3
	v_cvt_f64_u32_e32 v[0:1], v1
	v_ldexp_f64 v[0:1], v[0:1], 32
	v_cvt_f64_u32_e32 v[2:3], v2
	v_add_f64 v[0:1], v[0:1], v[2:3]
	v_mov_b32_e32 v2, 0
	v_mov_b32_e32 v3, 0x3ca00000
	v_fmac_f64_e32 v[2:3], 0x3ca00000, v[0:1]
	v_mov_b32_e32 v9, v14
	v_lshlrev_b64 v[0:1], 21, v[8:9]
	v_frexp_mant_f64_e32 v[8:9], v[2:3]
	v_cmp_gt_f64_e32 vcc, s[44:45], v[8:9]
	v_cndmask_b32_e64 v15, v19, 2.0, vcc
	v_frexp_exp_i32_f64_e32 v10, v[2:3]
	v_mul_f64 v[8:9], v[8:9], v[14:15]
	v_subbrev_co_u32_e32 v15, vcc, 0, v10, vcc
	v_add_f64 v[10:11], v[8:9], 1.0
	v_rcp_f64_e32 v[76:77], v[10:11]
	v_add_f64 v[80:81], v[10:11], -1.0
	v_add_f64 v[78:79], v[8:9], -1.0
	v_add_f64 v[8:9], v[8:9], -v[80:81]
	v_fma_f64 v[80:81], -v[10:11], v[76:77], 1.0
	v_fmac_f64_e32 v[76:77], v[80:81], v[76:77]
	v_fma_f64 v[80:81], -v[10:11], v[76:77], 1.0
	v_fmac_f64_e32 v[76:77], v[80:81], v[76:77]
	v_mul_f64 v[80:81], v[78:79], v[76:77]
	v_mul_f64 v[82:83], v[10:11], v[80:81]
	v_fma_f64 v[10:11], v[80:81], v[10:11], -v[82:83]
	v_fmac_f64_e32 v[10:11], v[80:81], v[8:9]
	v_add_f64 v[8:9], v[82:83], v[10:11]
	v_add_f64 v[84:85], v[78:79], -v[8:9]
	v_add_f64 v[82:83], v[8:9], -v[82:83]
	;; [unrolled: 1-line block ×5, first 2 shown]
	v_add_f64 v[8:9], v[10:11], v[8:9]
	v_add_f64 v[8:9], v[84:85], v[8:9]
	v_mul_f64 v[8:9], v[76:77], v[8:9]
	v_add_f64 v[10:11], v[80:81], v[8:9]
	v_add_f64 v[76:77], v[10:11], -v[80:81]
	v_add_f64 v[8:9], v[8:9], -v[76:77]
	v_mul_f64 v[76:77], v[10:11], v[10:11]
	v_pk_mov_b32 v[78:79], v[20:21], v[20:21] op_sel:[0,1]
	v_fmac_f64_e32 v[78:79], s[48:49], v[76:77]
	v_pk_mov_b32 v[80:81], v[22:23], v[22:23] op_sel:[0,1]
	v_fmac_f64_e32 v[80:81], v[76:77], v[78:79]
	;; [unrolled: 2-line block ×6, first 2 shown]
	v_ldexp_f64 v[78:79], v[10:11], 1
	v_mul_f64 v[10:11], v[10:11], v[76:77]
	v_mul_f64 v[10:11], v[10:11], v[80:81]
	v_add_f64 v[76:77], v[78:79], v[10:11]
	v_add_f64 v[78:79], v[76:77], -v[78:79]
	v_ldexp_f64 v[8:9], v[8:9], 1
	v_add_f64 v[10:11], v[10:11], -v[78:79]
	v_add_f64 v[8:9], v[8:9], v[10:11]
	v_add_f64 v[10:11], v[76:77], v[8:9]
	v_add_f64 v[76:77], v[10:11], -v[76:77]
	v_add_f64 v[8:9], v[8:9], -v[76:77]
	v_cvt_f64_i32_e32 v[76:77], v15
	v_mul_f64 v[78:79], v[76:77], s[60:61]
	v_fma_f64 v[80:81], v[76:77], s[60:61], -v[78:79]
	v_fmac_f64_e32 v[80:81], s[62:63], v[76:77]
	v_add_f64 v[76:77], v[78:79], v[80:81]
	v_add_f64 v[78:79], v[76:77], -v[78:79]
	v_add_f64 v[78:79], v[80:81], -v[78:79]
	v_add_f64 v[80:81], v[76:77], v[10:11]
	v_add_f64 v[82:83], v[80:81], -v[76:77]
	v_add_f64 v[84:85], v[80:81], -v[82:83]
	;; [unrolled: 1-line block ×4, first 2 shown]
	v_add_f64 v[10:11], v[10:11], v[76:77]
	v_add_f64 v[76:77], v[78:79], v[8:9]
	v_add_f64 v[82:83], v[76:77], -v[78:79]
	v_add_f64 v[84:85], v[76:77], -v[82:83]
	v_add_f64 v[10:11], v[76:77], v[10:11]
	v_add_f64 v[78:79], v[78:79], -v[84:85]
	v_add_f64 v[8:9], v[8:9], -v[82:83]
	v_add_f64 v[76:77], v[80:81], v[10:11]
	v_add_f64 v[8:9], v[8:9], v[78:79]
	v_add_f64 v[78:79], v[76:77], -v[80:81]
	v_add_f64 v[10:11], v[10:11], -v[78:79]
	s_mov_b32 s20, 0
	v_add_f64 v[8:9], v[8:9], v[10:11]
	s_mov_b32 s21, 0x7ff00000
	v_add_f64 v[8:9], v[76:77], v[8:9]
	v_cmp_eq_f64_e32 vcc, s[20:21], v[2:3]
	v_cndmask_b32_e32 v9, v9, v3, vcc
	v_cndmask_b32_e32 v8, v8, v2, vcc
	v_mul_f64 v[8:9], v[8:9], -2.0
	v_cmp_neq_f64_e32 vcc, 0, v[2:3]
	s_mov_b32 s0, 0
	v_cndmask_b32_e32 v3, v94, v9, vcc
	v_cndmask_b32_e32 v2, 0, v8, vcc
	s_brev_b32 s1, 8
	v_cmp_gt_f64_e32 vcc, s[0:1], v[2:3]
	v_cndmask_b32_e64 v8, 0, 1, vcc
	v_lshlrev_b32_e32 v8, 8, v8
	v_ldexp_f64 v[2:3], v[2:3], v8
	v_xor_b32_e32 v6, v0, v6
	v_cvt_f64_u32_e32 v[0:1], v1
	v_rsq_f64_e32 v[8:9], v[2:3]
	v_ldexp_f64 v[0:1], v[0:1], 32
	v_cvt_f64_u32_e32 v[6:7], v6
	v_add_f64 v[0:1], v[0:1], v[6:7]
	v_mov_b32_e32 v6, 0
	v_mov_b32_e32 v7, 0x3cb00000
	v_fmac_f64_e32 v[6:7], 0x3cb00000, v[0:1]
	v_mul_f64 v[0:1], v[2:3], v[8:9]
	v_mul_f64 v[8:9], v[8:9], 0.5
	v_fma_f64 v[10:11], -v[8:9], v[0:1], 0.5
	v_fmac_f64_e32 v[0:1], v[0:1], v[10:11]
	v_fma_f64 v[76:77], -v[0:1], v[0:1], v[2:3]
	v_fmac_f64_e32 v[8:9], v[8:9], v[10:11]
	v_fmac_f64_e32 v[0:1], v[76:77], v[8:9]
	v_fma_f64 v[10:11], -v[0:1], v[0:1], v[2:3]
	v_fmac_f64_e32 v[0:1], v[10:11], v[8:9]
	v_cndmask_b32_e32 v8, 0, v17, vcc
	v_ldexp_f64 v[0:1], v[0:1], v8
	v_cmp_class_f64_e32 vcc, v[2:3], v13
	v_cndmask_b32_e32 v1, v1, v3, vcc
	v_cndmask_b32_e32 v0, v0, v2, vcc
	v_mul_f64 v[2:3], v[6:7], 0.5
	v_fract_f64_e32 v[8:9], v[2:3]
	v_add_f64 v[8:9], v[8:9], v[8:9]
	v_cmp_neq_f64_e32 vcc, s[20:21], v[2:3]
	v_cndmask_b32_e32 v2, 0, v8, vcc
	v_cndmask_b32_e32 v3, 0, v9, vcc
	v_cmp_lt_f64_e32 vcc, 1.0, v[6:7]
	v_cndmask_b32_e32 v3, v7, v3, vcc
	v_cndmask_b32_e32 v2, v6, v2, vcc
	v_add_f64 v[8:9], v[2:3], v[2:3]
	v_rndne_f64_e32 v[8:9], v[8:9]
	v_fmac_f64_e32 v[2:3], -0.5, v[8:9]
	s_mov_b32 s6, 0xf99eb0bb
	v_cvt_i32_f64_e32 v15, v[8:9]
	v_mul_f64 v[8:9], v[2:3], v[2:3]
	v_pk_mov_b32 v[10:11], v[50:51], v[50:51] op_sel:[0,1]
	s_mov_b32 s7, 0x3f3e357e
	v_fmac_f64_e32 v[10:11], s[6:7], v[8:9]
	v_pk_mov_b32 v[76:77], v[52:53], v[52:53] op_sel:[0,1]
	v_fmac_f64_e32 v[76:77], v[8:9], v[10:11]
	v_pk_mov_b32 v[10:11], v[54:55], v[54:55] op_sel:[0,1]
	;; [unrolled: 2-line block ×4, first 2 shown]
	v_fmac_f64_e32 v[10:11], v[8:9], v[76:77]
	v_mul_f64 v[76:77], v[2:3], v[8:9]
	s_mov_b32 s6, 0x54442d18
	v_mul_f64 v[10:11], v[76:77], v[10:11]
	s_mov_b32 s7, 0x400921fb
	v_fmac_f64_e32 v[10:11], s[6:7], v[2:3]
	s_mov_b32 s6, 0x2e21c33
	v_pk_mov_b32 v[2:3], v[60:61], v[60:61] op_sel:[0,1]
	s_mov_b32 s7, 0xbf1b1673
	v_fmac_f64_e32 v[2:3], s[6:7], v[8:9]
	v_pk_mov_b32 v[76:77], v[62:63], v[62:63] op_sel:[0,1]
	v_fmac_f64_e32 v[76:77], v[8:9], v[2:3]
	v_pk_mov_b32 v[2:3], v[64:65], v[64:65] op_sel:[0,1]
	;; [unrolled: 2-line block ×5, first 2 shown]
	v_fmac_f64_e32 v[76:77], v[8:9], v[2:3]
	v_fma_f64 v[2:3], v[8:9], v[76:77], 1.0
	v_and_b32_e32 v9, 1, v15
	v_lshlrev_b32_e32 v8, 30, v15
	v_cmp_eq_u32_e32 vcc, 0, v9
	v_cndmask_b32_e32 v10, v2, v10, vcc
	v_cndmask_b32_e32 v2, v3, v11, vcc
	v_xor_b32_e32 v3, v8, v7
	v_and_b32_e32 v3, 0x80000000, v3
	v_cmp_gt_f64_e32 vcc, s[0:1], v[4:5]
	v_xor_b32_e32 v11, v2, v3
	v_cndmask_b32_e64 v2, 0, 1, vcc
	v_lshlrev_b32_e32 v2, 8, v2
	v_ldexp_f64 v[2:3], v[4:5], v2
	v_rsq_f64_e32 v[8:9], v[2:3]
	v_cmp_lg_f64_e64 s[0:1], s[20:21], v[6:7]
	v_cndmask_b32_e64 v6, 0, v10, s[0:1]
	v_cndmask_b32_e64 v7, v92, v11, s[0:1]
	v_mul_f64 v[0:1], v[0:1], v[6:7]
	v_mul_f64 v[6:7], v[2:3], v[8:9]
	v_mul_f64 v[8:9], v[8:9], 0.5
	v_fma_f64 v[10:11], -v[8:9], v[6:7], 0.5
	v_fmac_f64_e32 v[6:7], v[6:7], v[10:11]
	v_fma_f64 v[76:77], -v[6:7], v[6:7], v[2:3]
	v_fmac_f64_e32 v[8:9], v[8:9], v[10:11]
	v_fmac_f64_e32 v[6:7], v[76:77], v[8:9]
	v_fma_f64 v[10:11], -v[6:7], v[6:7], v[2:3]
	v_fmac_f64_e32 v[6:7], v[10:11], v[8:9]
	v_cndmask_b32_e32 v8, 0, v17, vcc
	v_ldexp_f64 v[6:7], v[6:7], v8
	v_cmp_class_f64_e32 vcc, v[2:3], v13
	v_cndmask_b32_e32 v3, v7, v3, vcc
	v_cndmask_b32_e32 v2, v6, v2, vcc
	v_fmac_f64_e32 v[4:5], v[2:3], v[0:1]
	v_trunc_f64_e32 v[0:1], v[4:5]
	v_add_f64 v[2:3], v[4:5], -v[0:1]
	v_cmp_ge_f64_e64 vcc, |v[2:3]|, 0.5
	v_cndmask_b32_e32 v2, 0, v19, vcc
	s_brev_b32 s0, -2
	v_bfi_b32 v15, s0, v2, v5
	v_add_f64 v[0:1], v[0:1], v[14:15]
	v_cvt_u32_f64_e32 v79, v[0:1]
.LBB89_54:                              ;   in Loop: Header=BB89_5 Depth=1
	s_or_b64 exec, exec, s[4:5]
                                        ; implicit-def: $vgpr6
                                        ; implicit-def: $vgpr76_vgpr77
                                        ; implicit-def: $vgpr15
                                        ; implicit-def: $vgpr96
                                        ; implicit-def: $vgpr97
                                        ; implicit-def: $vgpr105
                                        ; implicit-def: $vgpr95
                                        ; implicit-def: $vgpr3
                                        ; implicit-def: $vgpr4_vgpr5
                                        ; implicit-def: $vgpr98
                                        ; implicit-def: $vgpr99
                                        ; implicit-def: $vgpr100
                                        ; implicit-def: $vgpr101
                                        ; implicit-def: $vgpr103
                                        ; implicit-def: $vgpr104
                                        ; implicit-def: $vgpr106
                                        ; implicit-def: $vgpr107
                                        ; implicit-def: $vgpr108
                                        ; implicit-def: $vgpr109
                                        ; implicit-def: $vgpr110
                                        ; implicit-def: $vgpr111
                                        ; implicit-def: $vgpr112
                                        ; implicit-def: $vgpr113
                                        ; implicit-def: $vgpr102
                                        ; implicit-def: $vgpr114
.LBB89_55:                              ;   in Loop: Header=BB89_5 Depth=1
	s_andn2_saveexec_b64 s[4:5], s[16:17]
	s_cbranch_execz .LBB89_3
; %bb.56:                               ;   in Loop: Header=BB89_5 Depth=1
	v_readlane_b32 s0, v134, 23
	v_readlane_b32 s1, v134, 24
	s_mov_b32 s0, s66
	v_mul_f64 v[8:9], v[4:5], s[0:1]
	v_rndne_f64_e32 v[10:11], v[8:9]
	s_mov_b32 s68, s60
	v_fma_f64 v[4:5], v[10:11], s[68:69], -v[4:5]
	s_mov_b32 s72, s62
	v_fmac_f64_e32 v[4:5], s[72:73], v[10:11]
	v_pk_mov_b32 v[8:9], v[32:33], v[32:33] op_sel:[0,1]
	v_fmac_f64_e32 v[8:9], s[74:75], v[4:5]
	v_pk_mov_b32 v[78:79], v[34:35], v[34:35] op_sel:[0,1]
	;; [unrolled: 2-line block ×9, first 2 shown]
	v_fmac_f64_e32 v[80:81], v[4:5], v[78:79]
	v_fma_f64 v[78:79], v[4:5], v[80:81], 1.0
	s_mov_b32 s0, 0xe400
	v_fma_f64 v[4:5], v[4:5], v[78:79], 1.0
	v_cvt_i32_f64_e32 v7, v[10:11]
	v_cmp_ngt_f16_e32 vcc, s0, v6
	s_movk_i32 s0, 0x6433
	s_mov_b32 s7, s1
	v_ldexp_f64 v[4:5], v[4:5], v7
	v_cmp_nlt_f16_e64 s[0:1], s0, v6
	v_mov_b32_e32 v8, 0
	v_cndmask_b32_e32 v5, v94, v5, vcc
	s_and_b64 vcc, s[0:1], vcc
	v_writelane_b32 v134, s6, 23
	v_mov_b32_e32 v9, 0x3ff00000
	v_mov_b32_e32 v82, 0
	v_cndmask_b32_e64 v11, 0, v5, s[0:1]
	v_cndmask_b32_e32 v10, 0, v4, vcc
	s_mov_b32 s16, -1
	s_mov_b64 s[0:1], 0
	v_mov_b32_e32 v83, v12
	v_writelane_b32 v134, s7, 24
	s_branch .LBB89_58
.LBB89_57:                              ;   in Loop: Header=BB89_58 Depth=2
	s_or_b64 exec, exec, s[6:7]
	v_cmp_eq_u32_e32 vcc, 1, v15
	v_cndmask_b32_e32 v0, v0, v1, vcc
	v_cmp_eq_u32_e32 vcc, 2, v15
	v_cndmask_b32_e32 v0, v0, v2, vcc
	;; [unrolled: 2-line block ×6, first 2 shown]
	v_lshrrev_b32_e32 v0, 11, v0
	v_cvt_f64_u32_e32 v[0:1], v0
	v_ldexp_f64 v[0:1], v[0:1], 32
	v_cvt_f64_u32_e32 v[2:3], v2
	v_add_f64 v[0:1], v[0:1], v[2:3]
	v_mov_b32_e32 v2, 0
	v_mov_b32_e32 v3, 0x3ca00000
	v_fmac_f64_e32 v[2:3], 0x3ca00000, v[0:1]
	v_mul_f64 v[8:9], v[8:9], v[2:3]
	v_cmp_ngt_f64_e32 vcc, v[8:9], v[10:11]
	s_add_i32 s16, s16, 1
	s_or_b64 s[0:1], vcc, s[0:1]
	v_mov_b32_e32 v79, s16
	v_mov_b32_e32 v15, v85
	;; [unrolled: 1-line block ×6, first 2 shown]
	s_andn2_b64 exec, exec, s[0:1]
	s_cbranch_execz .LBB89_2
.LBB89_58:                              ;   Parent Loop BB89_5 Depth=1
                                        ; =>  This Inner Loop Header: Depth=2
	v_add_u32_e32 v84, 1, v15
	v_pk_mov_b32 v[6:7], v[2:3], v[2:3] op_sel:[0,1]
	v_cmp_eq_u32_e32 vcc, 4, v84
	v_pk_mov_b32 v[4:5], v[0:1], v[0:1] op_sel:[0,1]
	v_mov_b32_e32 v81, v0
	v_mov_b32_e32 v80, v1
	;; [unrolled: 1-line block ×4, first 2 shown]
	s_and_saveexec_b64 s[6:7], vcc
	s_cbranch_execz .LBB89_60
; %bb.59:                               ;   in Loop: Header=BB89_58 Depth=2
	v_add_co_u32_e32 v96, vcc, 1, v96
	v_cndmask_b32_e64 v4, 0, 1, vcc
	v_addc_co_u32_e32 v97, vcc, 0, v97, vcc
	v_cmp_eq_u32_e32 vcc, 0, v97
	v_cndmask_b32_e32 v4, 0, v4, vcc
	v_add_u32_e32 v83, v4, v83
	v_cmp_eq_u32_e32 vcc, 0, v83
	v_cndmask_b32_e32 v4, 0, v4, vcc
	v_add_u32_e32 v82, v4, v82
	v_mad_u64_u32 v[4:5], s[20:21], v96, s70, 0
	v_mad_u64_u32 v[6:7], s[20:21], v83, s33, 0
	v_xor_b32_e32 v5, v5, v77
	v_xor_b32_e32 v7, v7, v76
	v_xor_b32_e32 v5, v82, v5
	v_xor_b32_e32 v7, v97, v7
	v_mad_u64_u32 v[80:81], s[20:21], v5, s33, 0
	v_mad_u64_u32 v[78:79], s[20:21], v7, s70, 0
	v_xor_b32_e32 v5, v98, v81
	v_xor_b32_e32 v5, v5, v6
	v_xor_b32_e32 v6, v99, v79
	v_xor_b32_e32 v6, v6, v4
	;; [unrolled: 6-line block ×10, first 2 shown]
	v_mov_b32_e32 v84, 0
	v_mov_b32_e32 v5, v80
	v_mov_b32_e32 v7, v78
	v_mov_b32_e32 v81, v4
	v_mov_b32_e32 v86, v6
.LBB89_60:                              ;   in Loop: Header=BB89_58 Depth=2
	s_or_b64 exec, exec, s[6:7]
	v_add_u32_e32 v85, 1, v84
	v_cmp_eq_u32_e32 vcc, 4, v85
	s_and_saveexec_b64 s[6:7], vcc
	s_cbranch_execz .LBB89_57
; %bb.61:                               ;   in Loop: Header=BB89_58 Depth=2
	v_add_co_u32_e32 v96, vcc, 1, v96
	v_cndmask_b32_e64 v78, 0, 1, vcc
	v_addc_co_u32_e32 v97, vcc, 0, v97, vcc
	v_cmp_eq_u32_e32 vcc, 0, v97
	v_cndmask_b32_e32 v78, 0, v78, vcc
	v_add_u32_e32 v83, v78, v83
	v_cmp_eq_u32_e32 vcc, 0, v83
	v_cndmask_b32_e32 v78, 0, v78, vcc
	v_add_u32_e32 v82, v78, v82
	v_mad_u64_u32 v[78:79], s[20:21], v96, s70, 0
	v_mad_u64_u32 v[80:81], s[20:21], v83, s33, 0
	v_xor_b32_e32 v79, v79, v77
	v_xor_b32_e32 v81, v81, v76
	v_xor_b32_e32 v79, v82, v79
	v_xor_b32_e32 v81, v97, v81
	v_mad_u64_u32 v[88:89], s[20:21], v79, s33, 0
	v_mad_u64_u32 v[86:87], s[20:21], v81, s70, 0
	v_xor_b32_e32 v79, v98, v89
	v_xor_b32_e32 v79, v79, v80
	v_xor_b32_e32 v80, v99, v87
	v_xor_b32_e32 v80, v80, v78
	;; [unrolled: 6-line block ×9, first 2 shown]
	v_mad_u64_u32 v[78:79], s[20:21], v78, s70, 0
	v_mad_u64_u32 v[80:81], s[20:21], v80, s33, 0
	v_xor_b32_e32 v81, v81, v116
	v_xor_b32_e32 v79, v79, v90
	v_mov_b32_e32 v85, 0
	v_xor_b32_e32 v81, v105, v81
	v_xor_b32_e32 v86, v95, v79
	s_branch .LBB89_57
.LBB89_62:
	s_or_b64 exec, exec, s[26:27]
	s_and_saveexec_b64 s[0:1], s[28:29]
	s_xor_b64 s[0:1], exec, s[0:1]
	s_cbranch_execnz .LBB89_64
.LBB89_63:
	s_endpgm
.LBB89_64:
	s_trap 2
	; divergent unreachable
	s_endpgm
	.section	.rodata,"a",@progbits
	.p2align	6, 0x0
	.amdhsa_kernel _ZN2at4cuda12_GLOBAL__N_121kernelPointwiseApply2IZN12_GLOBAL__N_119poisson_cuda_kernelIN3c104HalfEEEvRKNS_10TensorBaseES9_NS_15PhiloxCudaStateEEUlRS6_RKS6_E_S6_S6_mLin1ELin1ELi1ELi512ELi2EEEvNS0_6detail10TensorInfoIT0_T2_EENSG_IT1_SI_EESI_T_
		.amdhsa_group_segment_fixed_size 0
		.amdhsa_private_segment_fixed_size 0
		.amdhsa_kernarg_size 1128
		.amdhsa_user_sgpr_count 6
		.amdhsa_user_sgpr_private_segment_buffer 1
		.amdhsa_user_sgpr_dispatch_ptr 0
		.amdhsa_user_sgpr_queue_ptr 0
		.amdhsa_user_sgpr_kernarg_segment_ptr 1
		.amdhsa_user_sgpr_dispatch_id 0
		.amdhsa_user_sgpr_flat_scratch_init 0
		.amdhsa_user_sgpr_kernarg_preload_length 0
		.amdhsa_user_sgpr_kernarg_preload_offset 0
		.amdhsa_user_sgpr_private_segment_size 0
		.amdhsa_uses_dynamic_stack 0
		.amdhsa_system_sgpr_private_segment_wavefront_offset 0
		.amdhsa_system_sgpr_workgroup_id_x 1
		.amdhsa_system_sgpr_workgroup_id_y 0
		.amdhsa_system_sgpr_workgroup_id_z 0
		.amdhsa_system_sgpr_workgroup_info 0
		.amdhsa_system_vgpr_workitem_id 0
		.amdhsa_next_free_vgpr 135
		.amdhsa_next_free_sgpr 96
		.amdhsa_accum_offset 136
		.amdhsa_reserve_vcc 1
		.amdhsa_reserve_flat_scratch 0
		.amdhsa_float_round_mode_32 0
		.amdhsa_float_round_mode_16_64 0
		.amdhsa_float_denorm_mode_32 3
		.amdhsa_float_denorm_mode_16_64 3
		.amdhsa_dx10_clamp 1
		.amdhsa_ieee_mode 1
		.amdhsa_fp16_overflow 0
		.amdhsa_tg_split 0
		.amdhsa_exception_fp_ieee_invalid_op 0
		.amdhsa_exception_fp_denorm_src 0
		.amdhsa_exception_fp_ieee_div_zero 0
		.amdhsa_exception_fp_ieee_overflow 0
		.amdhsa_exception_fp_ieee_underflow 0
		.amdhsa_exception_fp_ieee_inexact 0
		.amdhsa_exception_int_div_zero 0
	.end_amdhsa_kernel
	.section	.text._ZN2at4cuda12_GLOBAL__N_121kernelPointwiseApply2IZN12_GLOBAL__N_119poisson_cuda_kernelIN3c104HalfEEEvRKNS_10TensorBaseES9_NS_15PhiloxCudaStateEEUlRS6_RKS6_E_S6_S6_mLin1ELin1ELi1ELi512ELi2EEEvNS0_6detail10TensorInfoIT0_T2_EENSG_IT1_SI_EESI_T_,"axG",@progbits,_ZN2at4cuda12_GLOBAL__N_121kernelPointwiseApply2IZN12_GLOBAL__N_119poisson_cuda_kernelIN3c104HalfEEEvRKNS_10TensorBaseES9_NS_15PhiloxCudaStateEEUlRS6_RKS6_E_S6_S6_mLin1ELin1ELi1ELi512ELi2EEEvNS0_6detail10TensorInfoIT0_T2_EENSG_IT1_SI_EESI_T_,comdat
.Lfunc_end89:
	.size	_ZN2at4cuda12_GLOBAL__N_121kernelPointwiseApply2IZN12_GLOBAL__N_119poisson_cuda_kernelIN3c104HalfEEEvRKNS_10TensorBaseES9_NS_15PhiloxCudaStateEEUlRS6_RKS6_E_S6_S6_mLin1ELin1ELi1ELi512ELi2EEEvNS0_6detail10TensorInfoIT0_T2_EENSG_IT1_SI_EESI_T_, .Lfunc_end89-_ZN2at4cuda12_GLOBAL__N_121kernelPointwiseApply2IZN12_GLOBAL__N_119poisson_cuda_kernelIN3c104HalfEEEvRKNS_10TensorBaseES9_NS_15PhiloxCudaStateEEUlRS6_RKS6_E_S6_S6_mLin1ELin1ELi1ELi512ELi2EEEvNS0_6detail10TensorInfoIT0_T2_EENSG_IT1_SI_EESI_T_
                                        ; -- End function
	.section	.AMDGPU.csdata,"",@progbits
; Kernel info:
; codeLenInByte = 15436
; NumSgprs: 100
; NumVgprs: 135
; NumAgprs: 0
; TotalNumVgprs: 135
; ScratchSize: 0
; MemoryBound: 0
; FloatMode: 240
; IeeeMode: 1
; LDSByteSize: 0 bytes/workgroup (compile time only)
; SGPRBlocks: 12
; VGPRBlocks: 16
; NumSGPRsForWavesPerEU: 100
; NumVGPRsForWavesPerEU: 135
; AccumOffset: 136
; Occupancy: 3
; WaveLimiterHint : 1
; COMPUTE_PGM_RSRC2:SCRATCH_EN: 0
; COMPUTE_PGM_RSRC2:USER_SGPR: 6
; COMPUTE_PGM_RSRC2:TRAP_HANDLER: 0
; COMPUTE_PGM_RSRC2:TGID_X_EN: 1
; COMPUTE_PGM_RSRC2:TGID_Y_EN: 0
; COMPUTE_PGM_RSRC2:TGID_Z_EN: 0
; COMPUTE_PGM_RSRC2:TIDIG_COMP_CNT: 0
; COMPUTE_PGM_RSRC3_GFX90A:ACCUM_OFFSET: 33
; COMPUTE_PGM_RSRC3_GFX90A:TG_SPLIT: 0
	.section	.text._ZN2at4cuda12_GLOBAL__N_121kernelPointwiseApply2IZN12_GLOBAL__N_119poisson_cuda_kernelIN3c108BFloat16EEEvRKNS_10TensorBaseES9_NS_15PhiloxCudaStateEEUlRS6_RKS6_E_S6_S6_jLi1ELi1ELi1ELi512ELi2EEEvNS0_6detail10TensorInfoIT0_T2_EENSG_IT1_SI_EESI_T_,"axG",@progbits,_ZN2at4cuda12_GLOBAL__N_121kernelPointwiseApply2IZN12_GLOBAL__N_119poisson_cuda_kernelIN3c108BFloat16EEEvRKNS_10TensorBaseES9_NS_15PhiloxCudaStateEEUlRS6_RKS6_E_S6_S6_jLi1ELi1ELi1ELi512ELi2EEEvNS0_6detail10TensorInfoIT0_T2_EENSG_IT1_SI_EESI_T_,comdat
	.globl	_ZN2at4cuda12_GLOBAL__N_121kernelPointwiseApply2IZN12_GLOBAL__N_119poisson_cuda_kernelIN3c108BFloat16EEEvRKNS_10TensorBaseES9_NS_15PhiloxCudaStateEEUlRS6_RKS6_E_S6_S6_jLi1ELi1ELi1ELi512ELi2EEEvNS0_6detail10TensorInfoIT0_T2_EENSG_IT1_SI_EESI_T_ ; -- Begin function _ZN2at4cuda12_GLOBAL__N_121kernelPointwiseApply2IZN12_GLOBAL__N_119poisson_cuda_kernelIN3c108BFloat16EEEvRKNS_10TensorBaseES9_NS_15PhiloxCudaStateEEUlRS6_RKS6_E_S6_S6_jLi1ELi1ELi1ELi512ELi2EEEvNS0_6detail10TensorInfoIT0_T2_EENSG_IT1_SI_EESI_T_
	.p2align	8
	.type	_ZN2at4cuda12_GLOBAL__N_121kernelPointwiseApply2IZN12_GLOBAL__N_119poisson_cuda_kernelIN3c108BFloat16EEEvRKNS_10TensorBaseES9_NS_15PhiloxCudaStateEEUlRS6_RKS6_E_S6_S6_jLi1ELi1ELi1ELi512ELi2EEEvNS0_6detail10TensorInfoIT0_T2_EENSG_IT1_SI_EESI_T_,@function
_ZN2at4cuda12_GLOBAL__N_121kernelPointwiseApply2IZN12_GLOBAL__N_119poisson_cuda_kernelIN3c108BFloat16EEEvRKNS_10TensorBaseES9_NS_15PhiloxCudaStateEEUlRS6_RKS6_E_S6_S6_jLi1ELi1ELi1ELi512ELi2EEEvNS0_6detail10TensorInfoIT0_T2_EENSG_IT1_SI_EESI_T_: ; @_ZN2at4cuda12_GLOBAL__N_121kernelPointwiseApply2IZN12_GLOBAL__N_119poisson_cuda_kernelIN3c108BFloat16EEEvRKNS_10TensorBaseES9_NS_15PhiloxCudaStateEEUlRS6_RKS6_E_S6_S6_jLi1ELi1ELi1ELi512ELi2EEEvNS0_6detail10TensorInfoIT0_T2_EENSG_IT1_SI_EESI_T_
; %bb.0:
	s_load_dword s2, s[4:5], 0x1e4
	s_load_dword s45, s[4:5], 0x1b0
	s_add_u32 s0, s4, 0x1d8
	s_addc_u32 s1, s5, 0
	s_waitcnt lgkmcnt(0)
	s_and_b32 s2, s2, 0xffff
	s_mul_i32 s6, s6, s2
	v_add_u32_e32 v17, s6, v0
	v_cmp_gt_u32_e32 vcc, s45, v17
	s_and_saveexec_b64 s[6:7], vcc
	s_cbranch_execz .LBB90_46
; %bb.1:
	s_getpc_b64 s[6:7]
	s_add_u32 s6, s6, .str@rel32@lo+4
	s_addc_u32 s7, s7, .str@rel32@hi+12
	s_cmp_eq_u64 s[6:7], 0
	s_mov_b64 s[6:7], 0
	s_cbranch_scc1 .LBB90_47
; %bb.2:
	s_load_dword s3, s[4:5], 0x1d0
	s_load_dwordx2 s[8:9], s[4:5], 0x0
                                        ; implicit-def: $vgpr132 : SGPR spill to VGPR lane
                                        ; kill: killed $sgpr0 killed $sgpr1
	s_mov_b32 s22, 0
	s_mov_b32 s28, 0x55555555
	;; [unrolled: 1-line block ×3, first 2 shown]
	s_waitcnt lgkmcnt(0)
	s_bitcmp1_b32 s3, 0
	v_writelane_b32 v132, s8, 0
	v_writelane_b32 v132, s9, 1
	s_load_dword s8, s[4:5], 0x6c
	s_mov_b32 s34, 0xbf559e2b
	s_mov_b32 s36, 0xd7f4df2e
	;; [unrolled: 1-line block ×4, first 2 shown]
	s_waitcnt lgkmcnt(0)
	v_writelane_b32 v132, s8, 2
	s_load_dwordx2 s[18:19], s[4:5], 0xd8
	s_load_dword s8, s[4:5], 0x144
	s_mov_b32 s42, 0x998ef7b6
	s_mov_b32 s46, 0xfefa39ef
	;; [unrolled: 1-line block ×4, first 2 shown]
	s_waitcnt lgkmcnt(0)
	v_writelane_b32 v132, s8, 3
	s_load_dwordx2 s[8:9], s[4:5], 0x1c8
	s_mov_b32 s58, 0x6a5dcb37
	s_mov_b32 s60, 0
	s_mov_b32 s62, 0
	s_mov_b32 s64, 0
	s_waitcnt lgkmcnt(0)
	v_writelane_b32 v132, s8, 4
	v_writelane_b32 v132, s9, 5
	s_load_dwordx4 s[8:11], s[4:5], 0x1b8
	s_mov_b32 s66, 0x8f3faeef
	s_mov_b32 s68, 0
	;; [unrolled: 1-line block ×4, first 2 shown]
	s_waitcnt lgkmcnt(0)
	v_writelane_b32 v132, s8, 6
	v_writelane_b32 v132, s9, 7
	;; [unrolled: 1-line block ×4, first 2 shown]
	s_load_dword s8, s[0:1], 0x0
	s_mov_b32 s11, 0xcd9e8d57
	v_mad_u64_u32 v[12:13], s[0:1], v17, s11, 0
	s_mov_b32 s74, 0x992b2855
	s_waitcnt lgkmcnt(0)
	s_mul_i32 s0, s8, s2
	v_writelane_b32 v132, s0, 10
	s_cselect_b64 s[0:1], -1, 0
	v_cndmask_b32_e64 v0, 0, 1, s[0:1]
	v_cmp_ne_u32_e64 s[0:1], 1, v0
	v_writelane_b32 v132, s0, 11
	v_writelane_b32 v132, s1, 12
	s_mov_b32 s76, 0
	s_mov_b32 s78, 0x7f8b9c81
	;; [unrolled: 1-line block ×6, first 2 shown]
	s_movk_i32 s90, 0xf950
	s_mov_b32 s92, 0xc864beb5
	s_mov_b32 s94, 0
	;; [unrolled: 1-line block ×4, first 2 shown]
	v_mov_b32_e32 v14, 0
	v_mov_b32_e32 v16, v13
	;; [unrolled: 1-line block ×3, first 2 shown]
	s_mov_b32 s33, 0xd2511f53
	s_mov_b32 s23, 0x40080000
	;; [unrolled: 1-line block ×12, first 2 shown]
	s_movk_i32 s10, 0x204
	s_mov_b32 s53, 0x3ff71547
	s_mov_b32 s55, 0xbfe62e42
	;; [unrolled: 1-line block ×8, first 2 shown]
	v_mov_b32_e32 v18, 0x6b47b09a
	v_mov_b32_e32 v20, 0xd7f4df2e
	;; [unrolled: 1-line block ×59, first 2 shown]
	s_mov_b32 s69, 0x401c0000
	s_mov_b32 s71, 0x3ee4f051
	;; [unrolled: 1-line block ×14, first 2 shown]
	v_writelane_b32 v132, s0, 13
                                        ; kill: killed $sgpr4 killed $sgpr5
	v_writelane_b32 v132, s1, 14
                                        ; implicit-def: $sgpr88_sgpr89
                                        ; implicit-def: $sgpr16_sgpr17
                                        ; implicit-def: $sgpr24_sgpr25
	s_branch .LBB90_6
.LBB90_3:                               ;   in Loop: Header=BB90_6 Depth=1
	s_or_b64 exec, exec, s[4:5]
.LBB90_4:                               ;   in Loop: Header=BB90_6 Depth=1
	s_or_b64 exec, exec, s[0:1]
	v_readlane_b32 s0, v132, 2
	v_mul_lo_u32 v0, v92, s0
	v_cvt_f32_u32_e32 v3, v73
	v_cndmask_b32_e64 v0, 0, v0, s[2:3]
	v_mov_b32_e32 v1, v14
	v_readlane_b32 s0, v132, 0
	v_lshlrev_b64 v[0:1], 1, v[0:1]
	v_readlane_b32 s1, v132, 1
	v_mov_b32_e32 v2, s1
	v_add_co_u32_e32 v0, vcc, s0, v0
	v_addc_co_u32_e32 v1, vcc, v2, v1, vcc
	v_bfe_u32 v2, v3, 16, 1
	s_movk_i32 s0, 0x7fff
	v_add3_u32 v2, v3, v2, s0
	v_readlane_b32 s0, v132, 10
	v_add_u32_e32 v92, s0, v92
	v_cmp_le_u32_e32 vcc, s45, v92
	s_andn2_b64 s[0:1], s[16:17], exec
	s_and_b64 s[2:3], vcc, exec
	s_andn2_b64 s[24:25], s[24:25], exec
	s_or_b64 s[16:17], s[0:1], s[2:3]
	global_store_short_d16_hi v[0:1], v2, off
.LBB90_5:                               ;   in Loop: Header=BB90_6 Depth=1
	s_or_b64 exec, exec, s[26:27]
	s_and_b64 s[0:1], exec, s[16:17]
	s_or_b64 s[6:7], s[0:1], s[6:7]
	s_andn2_b64 s[0:1], s[88:89], exec
	s_and_b64 s[2:3], s[24:25], exec
	s_or_b64 s[88:89], s[0:1], s[2:3]
	s_andn2_b64 exec, exec, s[6:7]
	s_cbranch_execz .LBB90_45
.LBB90_6:                               ; =>This Loop Header: Depth=1
                                        ;     Child Loop BB90_12 Depth 2
                                        ;     Child Loop BB90_41 Depth 2
	v_sub_u32_e32 v0, s45, v92
	v_readlane_b32 s0, v132, 3
	v_mul_lo_u32 v1, v92, s0
	v_cmp_lt_i32_e64 s[2:3], 0, v0
	v_cndmask_b32_e64 v0, 0, v1, s[2:3]
	v_mov_b32_e32 v1, v14
	v_lshlrev_b64 v[0:1], 1, v[0:1]
	v_add_co_u32_e32 v0, vcc, s18, v0
	v_addc_co_u32_e32 v1, vcc, v13, v1, vcc
	global_load_ushort v0, v[0:1], off
	s_or_b64 s[24:25], s[24:25], exec
	s_or_b64 s[16:17], s[16:17], exec
	s_waitcnt vmcnt(0)
	v_lshlrev_b32_e32 v6, 16, v0
	v_cmp_le_f32_e32 vcc, 0, v6
	s_and_saveexec_b64 s[26:27], vcc
	s_cbranch_execz .LBB90_5
; %bb.7:                                ;   in Loop: Header=BB90_6 Depth=1
	v_readlane_b32 s0, v132, 11
	v_readlane_b32 s12, v132, 6
	;; [unrolled: 1-line block ×6, first 2 shown]
	s_and_b64 vcc, exec, s[0:1]
	v_pk_mov_b32 v[0:1], s[14:15], s[14:15] op_sel:[0,1]
	v_pk_mov_b32 v[70:71], s[12:13], s[12:13] op_sel:[0,1]
	s_cbranch_vccnz .LBB90_9
; %bb.8:                                ;   in Loop: Header=BB90_6 Depth=1
	v_readlane_b32 s12, v132, 6
	v_readlane_b32 s14, v132, 8
	v_readlane_b32 s15, v132, 9
	v_pk_mov_b32 v[0:1], s[14:15], s[14:15] op_sel:[0,1]
	v_readlane_b32 s13, v132, 7
	flat_load_dwordx2 v[0:1], v[0:1]
	v_pk_mov_b32 v[2:3], s[12:13], s[12:13] op_sel:[0,1]
	flat_load_dwordx2 v[70:71], v[2:3]
	v_readlane_b32 s0, v132, 4
	v_readlane_b32 s1, v132, 5
	v_mov_b32_e32 v2, s1
	s_waitcnt vmcnt(0) lgkmcnt(0)
	v_add_co_u32_e32 v0, vcc, s0, v0
	v_addc_co_u32_e32 v1, vcc, v1, v2, vcc
.LBB90_9:                               ;   in Loop: Header=BB90_6 Depth=1
	v_alignbit_b32 v94, v1, v0, 2
	v_and_b32_e32 v15, 3, v0
	v_lshrrev_b32_e32 v95, 2, v1
	v_mad_u64_u32 v[0:1], s[0:1], v94, s33, 0
	v_xor_b32_e32 v3, v16, v70
	v_mov_b32_e32 v2, v71
	v_xor_b32_e32 v1, v1, v71
	s_mov_b32 s0, 0xbb67ae85
	v_xor_b32_e32 v3, v3, v95
	v_add_co_u32_e32 v97, vcc, s0, v2
	v_mad_u64_u32 v[4:5], s[0:1], v3, s33, 0
	v_mad_u64_u32 v[8:9], s[0:1], v1, s11, 0
	v_add_co_u32_e32 v96, vcc, 0x9e3779b9, v70
	v_xor_b32_e32 v1, v12, v9
	v_xor_b32_e32 v3, v97, v5
	s_mov_b32 s0, 0x3c6ef372
	v_xor_b32_e32 v1, v1, v96
	v_xor_b32_e32 v3, v3, v0
	v_add_co_u32_e32 v98, vcc, s0, v70
	s_mov_b32 s0, 0x76cf5d0a
	v_add_co_u32_e32 v99, vcc, s0, v2
	v_mad_u64_u32 v[0:1], s[0:1], v1, s33, 0
	v_mad_u64_u32 v[10:11], s[0:1], v3, s11, 0
	v_xor_b32_e32 v3, v98, v11
	v_xor_b32_e32 v1, v99, v1
	s_mov_b32 s0, 0xdaa66d2b
	v_xor_b32_e32 v3, v3, v8
	v_xor_b32_e32 v1, v1, v4
	v_add_co_u32_e32 v101, vcc, s0, v70
	s_mov_b32 s0, 0x32370b8f
	v_add_co_u32_e32 v102, vcc, s0, v2
	v_mad_u64_u32 v[4:5], s[0:1], v3, s33, 0
	v_mad_u64_u32 v[8:9], s[0:1], v1, s11, 0
	;; [unrolled: 10-line block ×7, first 2 shown]
	v_xor_b32_e32 v1, v100, v1
	v_xor_b32_e32 v3, v112, v3
	;; [unrolled: 1-line block ×4, first 2 shown]
	v_mad_u64_u32 v[4:5], s[0:1], v1, s33, 0
	v_mad_u64_u32 v[8:9], s[0:1], v7, s11, 0
	v_add_u32_e32 v103, 0x8ff34781, v70
	v_add_u32_e32 v93, 0x96a522ad, v71
	v_xor_b32_e32 v0, v9, v0
	v_xor_b32_e32 v2, v5, v2
	s_mov_b32 s0, 0x42800000
	v_mov_b32_e32 v3, v4
	v_mov_b32_e32 v1, v8
	v_xor_b32_e32 v0, v103, v0
	v_xor_b32_e32 v2, v93, v2
	v_cvt_f64_f32_e32 v[4:5], v6
	v_cmp_ngt_f32_e32 vcc, s0, v6
                                        ; implicit-def: $vgpr73
	s_and_saveexec_b64 s[0:1], vcc
	s_xor_b64 s[50:51], exec, s[0:1]
	s_cbranch_execz .LBB90_38
; %bb.10:                               ;   in Loop: Header=BB90_6 Depth=1
	s_mov_b32 s0, 0x457a0000
	v_cmp_ge_f32_e32 vcc, s0, v6
                                        ; implicit-def: $vgpr73
	s_and_saveexec_b64 s[0:1], vcc
	s_xor_b64 s[12:13], exec, s[0:1]
	s_cbranch_execz .LBB90_25
; %bb.11:                               ;   in Loop: Header=BB90_6 Depth=1
	s_mov_b32 s8, 0xae147ae1
	s_mov_b32 s9, 0xc00ae147
	v_div_scale_f64 v[6:7], s[0:1], v[4:5], v[4:5], s[8:9]
	v_rcp_f64_e32 v[8:9], v[6:7]
	s_mov_b32 s0, 0
	v_mul_f64 v[74:75], v[4:5], s[22:23]
	s_brev_b32 s1, 8
	v_cmp_gt_f64_e64 s[4:5], s[0:1], v[74:75]
	v_cndmask_b32_e64 v76, 0, 1, s[4:5]
	v_fma_f64 v[72:73], -v[6:7], v[8:9], 1.0
	v_lshlrev_b32_e32 v76, 8, v76
	v_fmac_f64_e32 v[8:9], v[8:9], v[72:73]
	v_ldexp_f64 v[74:75], v[74:75], v76
	v_fma_f64 v[72:73], -v[6:7], v[8:9], 1.0
	v_rsq_f64_e32 v[76:77], v[74:75]
	v_div_scale_f64 v[10:11], vcc, s[8:9], v[4:5], s[8:9]
	v_fmac_f64_e32 v[8:9], v[8:9], v[72:73]
	v_mul_f64 v[72:73], v[10:11], v[8:9]
	v_fma_f64 v[6:7], -v[6:7], v[72:73], v[10:11]
	s_nop 0
	v_div_fmas_f64 v[6:7], v[6:7], v[8:9], v[72:73]
	v_mul_f64 v[8:9], v[74:75], v[76:77]
	v_mul_f64 v[10:11], v[76:77], 0.5
	v_fma_f64 v[72:73], -v[10:11], v[8:9], 0.5
	v_fmac_f64_e32 v[8:9], v[8:9], v[72:73]
	v_fma_f64 v[76:77], -v[8:9], v[8:9], v[74:75]
	v_fmac_f64_e32 v[10:11], v[10:11], v[72:73]
	v_fmac_f64_e32 v[8:9], v[76:77], v[10:11]
	v_fma_f64 v[72:73], -v[8:9], v[8:9], v[74:75]
	v_fmac_f64_e32 v[8:9], v[72:73], v[10:11]
	v_cndmask_b32_e64 v10, 0, v87, s[4:5]
	v_ldexp_f64 v[8:9], v[8:9], v10
	v_cmp_class_f64_e32 vcc, v[74:75], v86
	s_mov_b32 s4, 0x54442d18
	v_cndmask_b32_e32 v9, v9, v75, vcc
	v_cndmask_b32_e32 v8, v8, v74, vcc
	s_mov_b32 s5, 0x400921fb
	v_div_scale_f64 v[10:11], s[0:1], v[8:9], v[8:9], s[4:5]
	v_rcp_f64_e32 v[74:75], v[10:11]
	s_mov_b32 s0, 0x95810625
	v_div_fixup_f64 v[6:7], v[6:7], v[4:5], s[8:9]
	s_mov_b32 s1, 0x3fe88b43
	v_fma_f64 v[76:77], -v[10:11], v[74:75], 1.0
	v_fmac_f64_e32 v[74:75], v[74:75], v[76:77]
	v_fma_f64 v[76:77], -v[10:11], v[74:75], 1.0
	v_fmac_f64_e32 v[74:75], v[74:75], v[76:77]
	v_div_scale_f64 v[76:77], vcc, s[4:5], v[8:9], s[4:5]
	v_mul_f64 v[78:79], v[76:77], v[74:75]
	v_fma_f64 v[10:11], -v[10:11], v[78:79], v[76:77]
	v_add_f64 v[6:7], v[6:7], s[0:1]
	s_nop 0
	v_div_fmas_f64 v[10:11], v[10:11], v[74:75], v[78:79]
	v_div_fixup_f64 v[74:75], v[10:11], v[8:9], s[4:5]
	v_frexp_mant_f64_e32 v[8:9], v[6:7]
	v_cmp_gt_f64_e32 vcc, s[28:29], v[8:9]
	v_mov_b32_e32 v72, 0
	v_cndmask_b32_e64 v73, v88, 2.0, vcc
	v_frexp_exp_i32_f64_e32 v10, v[6:7]
	v_mul_f64 v[8:9], v[8:9], v[72:73]
	v_subbrev_co_u32_e32 v73, vcc, 0, v10, vcc
	v_add_f64 v[10:11], v[8:9], 1.0
	v_rcp_f64_e32 v[78:79], v[10:11]
	v_add_f64 v[82:83], v[10:11], -1.0
	v_add_f64 v[80:81], v[8:9], -1.0
	v_add_f64 v[8:9], v[8:9], -v[82:83]
	v_fma_f64 v[82:83], -v[10:11], v[78:79], 1.0
	v_fmac_f64_e32 v[78:79], v[82:83], v[78:79]
	v_fma_f64 v[82:83], -v[10:11], v[78:79], 1.0
	v_fmac_f64_e32 v[78:79], v[82:83], v[78:79]
	v_mul_f64 v[82:83], v[80:81], v[78:79]
	v_mul_f64 v[84:85], v[10:11], v[82:83]
	v_fma_f64 v[10:11], v[82:83], v[10:11], -v[84:85]
	v_fmac_f64_e32 v[10:11], v[82:83], v[8:9]
	v_add_f64 v[8:9], v[84:85], v[10:11]
	v_add_f64 v[114:115], v[80:81], -v[8:9]
	v_add_f64 v[84:85], v[8:9], -v[84:85]
	;; [unrolled: 1-line block ×5, first 2 shown]
	v_add_f64 v[8:9], v[10:11], v[8:9]
	v_add_f64 v[8:9], v[114:115], v[8:9]
	v_mul_f64 v[8:9], v[78:79], v[8:9]
	v_add_f64 v[10:11], v[82:83], v[8:9]
	v_add_f64 v[78:79], v[10:11], -v[82:83]
	v_add_f64 v[8:9], v[8:9], -v[78:79]
	v_mul_f64 v[78:79], v[10:11], v[10:11]
	v_pk_mov_b32 v[80:81], s[30:31], s[30:31] op_sel:[0,1]
	v_fma_f64 v[82:83], s[34:35], v[78:79], v[80:81]
	v_fma_f64 v[82:83], v[78:79], v[82:83], s[36:37]
	;; [unrolled: 1-line block ×4, first 2 shown]
	s_mov_b32 s19, s45
	v_fma_f64 v[82:83], v[78:79], v[82:83], s[42:43]
	s_mov_b32 s45, s29
	v_fma_f64 v[82:83], v[78:79], v[82:83], s[44:45]
	v_ldexp_f64 v[84:85], v[10:11], 1
	v_mul_f64 v[10:11], v[10:11], v[78:79]
	v_mul_f64 v[10:11], v[10:11], v[82:83]
	v_add_f64 v[78:79], v[84:85], v[10:11]
	v_add_f64 v[82:83], v[78:79], -v[84:85]
	v_ldexp_f64 v[8:9], v[8:9], 1
	v_add_f64 v[10:11], v[10:11], -v[82:83]
	v_add_f64 v[8:9], v[8:9], v[10:11]
	v_add_f64 v[10:11], v[78:79], v[8:9]
	v_add_f64 v[78:79], v[10:11], -v[78:79]
	v_add_f64 v[8:9], v[8:9], -v[78:79]
	v_cvt_f64_i32_e32 v[78:79], v73
	v_mul_f64 v[82:83], v[78:79], s[46:47]
	v_fma_f64 v[84:85], v[78:79], s[46:47], -v[82:83]
	v_fmac_f64_e32 v[84:85], s[48:49], v[78:79]
	v_add_f64 v[78:79], v[82:83], v[84:85]
	v_add_f64 v[82:83], v[78:79], -v[82:83]
	v_add_f64 v[82:83], v[84:85], -v[82:83]
	v_add_f64 v[84:85], v[78:79], v[10:11]
	v_add_f64 v[114:115], v[84:85], -v[78:79]
	v_add_f64 v[116:117], v[84:85], -v[114:115]
	;; [unrolled: 1-line block ×4, first 2 shown]
	v_add_f64 v[10:11], v[10:11], v[78:79]
	v_add_f64 v[78:79], v[82:83], v[8:9]
	v_add_f64 v[114:115], v[78:79], -v[82:83]
	v_add_f64 v[116:117], v[78:79], -v[114:115]
	v_add_f64 v[10:11], v[78:79], v[10:11]
	v_add_f64 v[82:83], v[82:83], -v[116:117]
	v_add_f64 v[8:9], v[8:9], -v[114:115]
	v_add_f64 v[78:79], v[84:85], v[10:11]
	v_add_f64 v[8:9], v[8:9], v[82:83]
	v_add_f64 v[82:83], v[78:79], -v[84:85]
	v_add_f64 v[10:11], v[10:11], -v[82:83]
	v_add_f64 v[8:9], v[8:9], v[10:11]
	v_add_f64 v[8:9], v[78:79], v[8:9]
	v_cmp_class_f64_e64 vcc, v[6:7], s10
	v_cndmask_b32_e32 v8, v8, v6, vcc
	v_cndmask_b32_e32 v9, v9, v7, vcc
	v_cmp_ngt_f64_e32 vcc, 0, v[6:7]
	v_cndmask_b32_e32 v9, v89, v9, vcc
	v_cmp_nge_f64_e32 vcc, 0, v[6:7]
	v_cndmask_b32_e32 v8, 0, v8, vcc
	v_cmp_neq_f64_e32 vcc, 0, v[6:7]
	v_cndmask_b32_e32 v9, v90, v9, vcc
	v_add_f64 v[6:7], v[8:9], -v[4:5]
	v_frexp_mant_f64_e32 v[8:9], v[74:75]
	v_cmp_gt_f64_e32 vcc, s[28:29], v[8:9]
	v_cndmask_b32_e64 v73, v88, 2.0, vcc
	v_frexp_exp_i32_f64_e32 v10, v[74:75]
	v_mul_f64 v[8:9], v[8:9], v[72:73]
	v_subbrev_co_u32_e32 v73, vcc, 0, v10, vcc
	v_add_f64 v[10:11], v[8:9], 1.0
	v_rcp_f64_e32 v[78:79], v[10:11]
	v_add_f64 v[84:85], v[10:11], -1.0
	v_add_f64 v[82:83], v[8:9], -1.0
	v_add_f64 v[8:9], v[8:9], -v[84:85]
	v_fma_f64 v[84:85], -v[10:11], v[78:79], 1.0
	v_fmac_f64_e32 v[78:79], v[84:85], v[78:79]
	v_fma_f64 v[84:85], -v[10:11], v[78:79], 1.0
	v_fmac_f64_e32 v[78:79], v[84:85], v[78:79]
	v_mul_f64 v[84:85], v[82:83], v[78:79]
	v_mul_f64 v[114:115], v[10:11], v[84:85]
	v_fma_f64 v[10:11], v[84:85], v[10:11], -v[114:115]
	v_fmac_f64_e32 v[10:11], v[84:85], v[8:9]
	v_add_f64 v[8:9], v[114:115], v[10:11]
	v_add_f64 v[116:117], v[82:83], -v[8:9]
	v_add_f64 v[114:115], v[8:9], -v[114:115]
	;; [unrolled: 1-line block ×5, first 2 shown]
	v_add_f64 v[8:9], v[10:11], v[8:9]
	v_add_f64 v[8:9], v[116:117], v[8:9]
	v_mul_f64 v[8:9], v[78:79], v[8:9]
	v_add_f64 v[10:11], v[84:85], v[8:9]
	v_add_f64 v[78:79], v[10:11], -v[84:85]
	v_add_f64 v[8:9], v[8:9], -v[78:79]
	v_mul_f64 v[78:79], v[10:11], v[10:11]
	v_fma_f64 v[82:83], s[34:35], v[78:79], v[80:81]
	v_fma_f64 v[82:83], v[78:79], v[82:83], s[36:37]
	v_fma_f64 v[82:83], v[78:79], v[82:83], s[38:39]
	v_fma_f64 v[82:83], v[78:79], v[82:83], s[40:41]
	v_fma_f64 v[82:83], v[78:79], v[82:83], s[42:43]
	v_fma_f64 v[82:83], v[78:79], v[82:83], s[44:45]
	v_ldexp_f64 v[84:85], v[10:11], 1
	v_mul_f64 v[10:11], v[10:11], v[78:79]
	v_mul_f64 v[10:11], v[10:11], v[82:83]
	v_add_f64 v[78:79], v[84:85], v[10:11]
	v_add_f64 v[82:83], v[78:79], -v[84:85]
	v_ldexp_f64 v[8:9], v[8:9], 1
	v_add_f64 v[10:11], v[10:11], -v[82:83]
	v_add_f64 v[8:9], v[8:9], v[10:11]
	v_add_f64 v[10:11], v[78:79], v[8:9]
	v_add_f64 v[78:79], v[10:11], -v[78:79]
	v_add_f64 v[8:9], v[8:9], -v[78:79]
	v_cvt_f64_i32_e32 v[78:79], v73
	v_mul_f64 v[82:83], v[78:79], s[46:47]
	v_fma_f64 v[84:85], v[78:79], s[46:47], -v[82:83]
	v_fmac_f64_e32 v[84:85], s[48:49], v[78:79]
	v_add_f64 v[78:79], v[82:83], v[84:85]
	v_add_f64 v[82:83], v[78:79], -v[82:83]
	v_add_f64 v[82:83], v[84:85], -v[82:83]
	v_add_f64 v[84:85], v[78:79], v[10:11]
	v_add_f64 v[114:115], v[84:85], -v[78:79]
	v_add_f64 v[116:117], v[84:85], -v[114:115]
	v_add_f64 v[78:79], v[78:79], -v[116:117]
	v_add_f64 v[10:11], v[10:11], -v[114:115]
	v_add_f64 v[10:11], v[10:11], v[78:79]
	v_add_f64 v[78:79], v[82:83], v[8:9]
	v_add_f64 v[114:115], v[78:79], -v[82:83]
	v_add_f64 v[116:117], v[78:79], -v[114:115]
	v_add_f64 v[10:11], v[78:79], v[10:11]
	v_add_f64 v[82:83], v[82:83], -v[116:117]
	v_add_f64 v[8:9], v[8:9], -v[114:115]
	v_add_f64 v[78:79], v[84:85], v[10:11]
	v_add_f64 v[8:9], v[8:9], v[82:83]
	v_add_f64 v[82:83], v[78:79], -v[84:85]
	v_add_f64 v[10:11], v[10:11], -v[82:83]
	s_mov_b32 s0, 0
	v_add_f64 v[8:9], v[8:9], v[10:11]
	s_mov_b32 s1, 0x7ff00000
	v_add_f64 v[8:9], v[78:79], v[8:9]
	v_cmp_eq_f64_e32 vcc, s[0:1], v[74:75]
	v_cndmask_b32_e32 v8, v8, v74, vcc
	v_cndmask_b32_e32 v9, v9, v75, vcc
	v_cmp_neq_f64_e32 vcc, 0, v[74:75]
	v_cndmask_b32_e32 v9, v90, v9, vcc
	v_cndmask_b32_e32 v8, 0, v8, vcc
	v_mul_f64 v[76:77], v[74:75], v[4:5]
	v_add_f64 v[78:79], v[6:7], -v[8:9]
	v_frexp_exp_i32_f64_e32 v6, v[4:5]
	v_frexp_mant_f64_e32 v[4:5], v[4:5]
	v_cmp_gt_f64_e32 vcc, s[28:29], v[4:5]
	v_cndmask_b32_e64 v73, v88, 2.0, vcc
	v_mul_f64 v[4:5], v[4:5], v[72:73]
	v_subbrev_co_u32_e32 v73, vcc, 0, v6, vcc
	v_add_f64 v[6:7], v[4:5], 1.0
	v_rcp_f64_e32 v[8:9], v[6:7]
	v_add_f64 v[82:83], v[6:7], -1.0
	v_add_f64 v[10:11], v[4:5], -1.0
	v_add_f64 v[4:5], v[4:5], -v[82:83]
	v_fma_f64 v[82:83], -v[6:7], v[8:9], 1.0
	v_fmac_f64_e32 v[8:9], v[82:83], v[8:9]
	v_fma_f64 v[82:83], -v[6:7], v[8:9], 1.0
	v_fmac_f64_e32 v[8:9], v[82:83], v[8:9]
	v_mul_f64 v[82:83], v[10:11], v[8:9]
	v_mul_f64 v[84:85], v[6:7], v[82:83]
	v_fma_f64 v[6:7], v[82:83], v[6:7], -v[84:85]
	v_fmac_f64_e32 v[6:7], v[82:83], v[4:5]
	v_add_f64 v[4:5], v[84:85], v[6:7]
	v_add_f64 v[114:115], v[10:11], -v[4:5]
	v_add_f64 v[84:85], v[4:5], -v[84:85]
	;; [unrolled: 1-line block ×5, first 2 shown]
	v_add_f64 v[4:5], v[6:7], v[4:5]
	v_add_f64 v[4:5], v[114:115], v[4:5]
	v_mul_f64 v[4:5], v[8:9], v[4:5]
	v_add_f64 v[6:7], v[82:83], v[4:5]
	v_add_f64 v[8:9], v[6:7], -v[82:83]
	v_add_f64 v[4:5], v[4:5], -v[8:9]
	v_mul_f64 v[8:9], v[6:7], v[6:7]
	v_fmac_f64_e32 v[80:81], s[34:35], v[8:9]
	v_fma_f64 v[10:11], v[8:9], v[80:81], s[36:37]
	v_fma_f64 v[10:11], v[8:9], v[10:11], s[38:39]
	;; [unrolled: 1-line block ×5, first 2 shown]
	v_ldexp_f64 v[80:81], v[6:7], 1
	v_mul_f64 v[6:7], v[6:7], v[8:9]
	v_mul_f64 v[6:7], v[6:7], v[10:11]
	v_add_f64 v[8:9], v[80:81], v[6:7]
	v_add_f64 v[10:11], v[8:9], -v[80:81]
	v_ldexp_f64 v[4:5], v[4:5], 1
	v_add_f64 v[6:7], v[6:7], -v[10:11]
	v_add_f64 v[4:5], v[4:5], v[6:7]
	v_add_f64 v[6:7], v[8:9], v[4:5]
	v_add_f64 v[8:9], v[6:7], -v[8:9]
	v_add_f64 v[4:5], v[4:5], -v[8:9]
	v_cvt_f64_i32_e32 v[8:9], v73
	v_mul_f64 v[10:11], v[8:9], s[46:47]
	v_fma_f64 v[80:81], v[8:9], s[46:47], -v[10:11]
	v_fmac_f64_e32 v[80:81], s[48:49], v[8:9]
	v_add_f64 v[8:9], v[10:11], v[80:81]
	v_add_f64 v[10:11], v[8:9], -v[10:11]
	v_add_f64 v[10:11], v[80:81], -v[10:11]
	v_add_f64 v[80:81], v[8:9], v[6:7]
	v_add_f64 v[82:83], v[80:81], -v[8:9]
	v_add_f64 v[84:85], v[80:81], -v[82:83]
	;; [unrolled: 1-line block ×4, first 2 shown]
	v_add_f64 v[6:7], v[6:7], v[8:9]
	v_add_f64 v[8:9], v[10:11], v[4:5]
	v_add_f64 v[82:83], v[8:9], -v[10:11]
	v_add_f64 v[84:85], v[8:9], -v[82:83]
	v_add_f64 v[6:7], v[8:9], v[6:7]
	v_add_f64 v[10:11], v[10:11], -v[84:85]
	v_add_f64 v[4:5], v[4:5], -v[82:83]
	v_add_f64 v[8:9], v[80:81], v[6:7]
	v_add_f64 v[4:5], v[4:5], v[10:11]
	v_add_f64 v[10:11], v[8:9], -v[80:81]
	v_add_f64 v[6:7], v[6:7], -v[10:11]
	v_add_f64 v[4:5], v[4:5], v[6:7]
	v_add_f64 v[80:81], v[8:9], v[4:5]
	s_mov_b64 s[14:15], 0
	s_mov_b64 s[0:1], 0
	v_mov_b32_e32 v113, v17
                                        ; implicit-def: $vgpr73
.LBB90_12:                              ;   Parent Loop BB90_6 Depth=1
                                        ; =>  This Inner Loop Header: Depth=2
	v_add_u32_e32 v114, 1, v15
	v_pk_mov_b32 v[10:11], v[2:3], v[2:3] op_sel:[0,1]
	v_cmp_eq_u32_e32 vcc, 4, v114
	v_pk_mov_b32 v[8:9], v[0:1], v[0:1] op_sel:[0,1]
	v_mov_b32_e32 v85, v0
	v_mov_b32_e32 v84, v1
	v_mov_b32_e32 v83, v2
	v_mov_b32_e32 v82, v3
	s_and_saveexec_b64 s[4:5], vcc
	s_cbranch_execz .LBB90_14
; %bb.13:                               ;   in Loop: Header=BB90_12 Depth=2
	v_add_co_u32_e32 v94, vcc, 1, v94
	v_cndmask_b32_e64 v4, 0, 1, vcc
	v_addc_co_u32_e32 v95, vcc, 0, v95, vcc
	v_cmp_eq_u32_e32 vcc, 0, v95
	v_cndmask_b32_e32 v4, 0, v4, vcc
	v_add_u32_e32 v113, v4, v113
	v_cmp_eq_u32_e32 vcc, 0, v113
	v_cndmask_b32_e32 v4, 0, v4, vcc
	v_add_u32_e32 v72, v4, v72
	v_mad_u64_u32 v[4:5], s[8:9], v94, s33, 0
	v_mad_u64_u32 v[6:7], s[8:9], v113, s11, 0
	v_xor_b32_e32 v5, v5, v71
	v_xor_b32_e32 v7, v7, v70
	v_xor_b32_e32 v5, v72, v5
	v_xor_b32_e32 v7, v95, v7
	v_mad_u64_u32 v[10:11], s[8:9], v5, s11, 0
	v_mad_u64_u32 v[8:9], s[8:9], v7, s33, 0
	v_xor_b32_e32 v5, v96, v11
	v_xor_b32_e32 v5, v5, v6
	v_xor_b32_e32 v6, v97, v9
	v_xor_b32_e32 v6, v6, v4
	;; [unrolled: 6-line block ×10, first 2 shown]
	v_mov_b32_e32 v114, 0
	v_mov_b32_e32 v9, v84
	;; [unrolled: 1-line block ×5, first 2 shown]
.LBB90_14:                              ;   in Loop: Header=BB90_12 Depth=2
	s_or_b64 exec, exec, s[4:5]
	v_add_u32_e32 v115, 1, v114
	v_pk_mov_b32 v[4:5], v[8:9], v[8:9] op_sel:[0,1]
	v_cmp_eq_u32_e32 vcc, 4, v115
	v_pk_mov_b32 v[6:7], v[10:11], v[10:11] op_sel:[0,1]
	s_and_saveexec_b64 s[4:5], vcc
	s_cbranch_execz .LBB90_16
; %bb.15:                               ;   in Loop: Header=BB90_12 Depth=2
	v_add_co_u32_e32 v94, vcc, 1, v94
	v_cndmask_b32_e64 v4, 0, 1, vcc
	v_addc_co_u32_e32 v95, vcc, 0, v95, vcc
	v_cmp_eq_u32_e32 vcc, 0, v95
	v_cndmask_b32_e32 v4, 0, v4, vcc
	v_add_u32_e32 v113, v4, v113
	v_cmp_eq_u32_e32 vcc, 0, v113
	v_cndmask_b32_e32 v4, 0, v4, vcc
	v_add_u32_e32 v72, v4, v72
	v_mad_u64_u32 v[4:5], s[8:9], v94, s33, 0
	v_mad_u64_u32 v[6:7], s[8:9], v113, s11, 0
	v_xor_b32_e32 v5, v5, v71
	v_xor_b32_e32 v7, v7, v70
	v_xor_b32_e32 v5, v72, v5
	v_xor_b32_e32 v7, v95, v7
	v_mad_u64_u32 v[84:85], s[8:9], v5, s11, 0
	v_mad_u64_u32 v[82:83], s[8:9], v7, s33, 0
	v_xor_b32_e32 v5, v96, v85
	v_xor_b32_e32 v5, v5, v6
	v_xor_b32_e32 v6, v97, v83
	v_xor_b32_e32 v6, v6, v4
	;; [unrolled: 6-line block ×10, first 2 shown]
	v_mov_b32_e32 v115, 0
	v_mov_b32_e32 v5, v84
	;; [unrolled: 1-line block ×5, first 2 shown]
.LBB90_16:                              ;   in Loop: Header=BB90_12 Depth=2
	s_or_b64 exec, exec, s[4:5]
	v_cmp_eq_u32_e32 vcc, 1, v15
	v_cndmask_b32_e32 v0, v0, v1, vcc
	v_cmp_eq_u32_e32 vcc, 2, v15
	v_cndmask_b32_e32 v0, v0, v2, vcc
	;; [unrolled: 2-line block ×6, first 2 shown]
	v_lshrrev_b32_e32 v0, 11, v0
	v_cvt_f64_u32_e32 v[0:1], v0
	v_ldexp_f64 v[0:1], v[0:1], 32
	v_cvt_f64_u32_e32 v[2:3], v2
	v_add_f64 v[0:1], v[0:1], v[2:3]
	v_mov_b32_e32 v2, 0
	v_mov_b32_e32 v3, 0x3ca00000
	v_fmac_f64_e32 v[2:3], 0x3ca00000, v[0:1]
	v_add_f64 v[0:1], -v[2:3], 1.0
	v_div_scale_f64 v[8:9], s[4:5], v[2:3], v[2:3], v[0:1]
	v_rcp_f64_e32 v[10:11], v[8:9]
	v_fma_f64 v[116:117], -v[8:9], v[10:11], 1.0
	v_fmac_f64_e32 v[10:11], v[10:11], v[116:117]
	v_fma_f64 v[116:117], -v[8:9], v[10:11], 1.0
	v_fmac_f64_e32 v[10:11], v[10:11], v[116:117]
	v_div_scale_f64 v[116:117], vcc, v[0:1], v[2:3], v[0:1]
	v_mul_f64 v[118:119], v[116:117], v[10:11]
	v_fma_f64 v[8:9], -v[8:9], v[118:119], v[116:117]
	s_nop 1
	v_div_fmas_f64 v[8:9], v[8:9], v[10:11], v[118:119]
	v_div_fixup_f64 v[0:1], v[8:9], v[2:3], v[0:1]
	v_frexp_mant_f64_e32 v[2:3], v[0:1]
	v_cmp_gt_f64_e32 vcc, s[28:29], v[2:3]
	v_cndmask_b32_e64 v15, v88, 2.0, vcc
	v_frexp_exp_i32_f64_e32 v8, v[0:1]
	v_mul_f64 v[2:3], v[2:3], v[14:15]
	v_subbrev_co_u32_e32 v15, vcc, 0, v8, vcc
	v_add_f64 v[8:9], v[2:3], 1.0
	v_rcp_f64_e32 v[10:11], v[8:9]
	v_add_f64 v[118:119], v[8:9], -1.0
	v_add_f64 v[116:117], v[2:3], -1.0
	v_add_f64 v[2:3], v[2:3], -v[118:119]
	v_fma_f64 v[118:119], -v[8:9], v[10:11], 1.0
	v_fmac_f64_e32 v[10:11], v[118:119], v[10:11]
	v_fma_f64 v[118:119], -v[8:9], v[10:11], 1.0
	v_fmac_f64_e32 v[10:11], v[118:119], v[10:11]
	v_mul_f64 v[118:119], v[116:117], v[10:11]
	v_mul_f64 v[120:121], v[8:9], v[118:119]
	v_fma_f64 v[8:9], v[118:119], v[8:9], -v[120:121]
	v_fmac_f64_e32 v[8:9], v[118:119], v[2:3]
	v_add_f64 v[2:3], v[120:121], v[8:9]
	v_add_f64 v[122:123], v[116:117], -v[2:3]
	v_add_f64 v[120:121], v[2:3], -v[120:121]
	v_add_f64 v[116:117], v[116:117], -v[122:123]
	v_add_f64 v[2:3], v[116:117], -v[2:3]
	v_add_f64 v[8:9], v[120:121], -v[8:9]
	v_add_f64 v[2:3], v[8:9], v[2:3]
	v_add_f64 v[2:3], v[122:123], v[2:3]
	v_mul_f64 v[2:3], v[10:11], v[2:3]
	v_add_f64 v[8:9], v[118:119], v[2:3]
	v_add_f64 v[10:11], v[8:9], -v[118:119]
	v_add_f64 v[2:3], v[2:3], -v[10:11]
	v_mul_f64 v[10:11], v[8:9], v[8:9]
	v_pk_mov_b32 v[116:117], v[18:19], v[18:19] op_sel:[0,1]
	v_fmac_f64_e32 v[116:117], s[34:35], v[10:11]
	v_pk_mov_b32 v[118:119], v[20:21], v[20:21] op_sel:[0,1]
	v_fmac_f64_e32 v[118:119], v[10:11], v[116:117]
	;; [unrolled: 2-line block ×6, first 2 shown]
	v_ldexp_f64 v[116:117], v[8:9], 1
	v_mul_f64 v[8:9], v[8:9], v[10:11]
	v_mul_f64 v[8:9], v[8:9], v[118:119]
	v_add_f64 v[10:11], v[116:117], v[8:9]
	v_add_f64 v[116:117], v[10:11], -v[116:117]
	v_ldexp_f64 v[2:3], v[2:3], 1
	v_add_f64 v[8:9], v[8:9], -v[116:117]
	v_add_f64 v[2:3], v[2:3], v[8:9]
	v_add_f64 v[8:9], v[10:11], v[2:3]
	v_add_f64 v[10:11], v[8:9], -v[10:11]
	v_add_f64 v[2:3], v[2:3], -v[10:11]
	v_cvt_f64_i32_e32 v[10:11], v15
	v_mul_f64 v[116:117], v[10:11], s[46:47]
	v_fma_f64 v[118:119], v[10:11], s[46:47], -v[116:117]
	v_fmac_f64_e32 v[118:119], s[48:49], v[10:11]
	v_add_f64 v[10:11], v[116:117], v[118:119]
	v_add_f64 v[116:117], v[10:11], -v[116:117]
	v_add_f64 v[116:117], v[118:119], -v[116:117]
	v_add_f64 v[118:119], v[10:11], v[8:9]
	v_add_f64 v[120:121], v[118:119], -v[10:11]
	v_add_f64 v[122:123], v[118:119], -v[120:121]
	;; [unrolled: 1-line block ×4, first 2 shown]
	v_add_f64 v[8:9], v[8:9], v[10:11]
	v_add_f64 v[10:11], v[116:117], v[2:3]
	v_add_f64 v[120:121], v[10:11], -v[116:117]
	v_add_f64 v[122:123], v[10:11], -v[120:121]
	v_add_f64 v[8:9], v[10:11], v[8:9]
	v_add_f64 v[116:117], v[116:117], -v[122:123]
	v_add_f64 v[2:3], v[2:3], -v[120:121]
	v_add_f64 v[10:11], v[118:119], v[8:9]
	v_add_f64 v[2:3], v[2:3], v[116:117]
	v_add_f64 v[116:117], v[10:11], -v[118:119]
	v_add_f64 v[8:9], v[8:9], -v[116:117]
	v_add_f64 v[2:3], v[2:3], v[8:9]
	v_add_f64 v[2:3], v[10:11], v[2:3]
	v_cmp_class_f64_e64 vcc, v[0:1], s10
	v_cndmask_b32_e32 v2, v2, v0, vcc
	v_cndmask_b32_e32 v3, v3, v1, vcc
	v_cmp_ngt_f64_e32 vcc, 0, v[0:1]
	v_cndmask_b32_e32 v3, v89, v3, vcc
	v_cmp_nge_f64_e32 vcc, 0, v[0:1]
	v_cndmask_b32_e32 v2, 0, v2, vcc
	v_cmp_neq_f64_e32 vcc, 0, v[0:1]
	v_cndmask_b32_e32 v3, v90, v3, vcc
	v_add_f64 v[0:1], v[76:77], -v[2:3]
	v_div_scale_f64 v[2:3], s[4:5], v[74:75], v[74:75], v[0:1]
	v_rcp_f64_e32 v[8:9], v[2:3]
	v_fma_f64 v[10:11], -v[2:3], v[8:9], 1.0
	v_fmac_f64_e32 v[8:9], v[8:9], v[10:11]
	v_fma_f64 v[10:11], -v[2:3], v[8:9], 1.0
	v_fmac_f64_e32 v[8:9], v[8:9], v[10:11]
	v_div_scale_f64 v[10:11], vcc, v[0:1], v[74:75], v[0:1]
	v_mul_f64 v[116:117], v[10:11], v[8:9]
	v_fma_f64 v[2:3], -v[2:3], v[116:117], v[10:11]
	s_nop 1
	v_div_fmas_f64 v[2:3], v[2:3], v[8:9], v[116:117]
	v_div_fixup_f64 v[10:11], v[2:3], v[74:75], v[0:1]
	v_add_f64 v[0:1], v[10:11], 0.5
	v_floor_f64_e32 v[8:9], v[0:1]
	v_cmp_ngt_f64_e32 vcc, 0, v[8:9]
	v_mov_b32_e32 v116, 2
	s_and_saveexec_b64 s[8:9], vcc
	s_cbranch_execz .LBB90_22
; %bb.17:                               ;   in Loop: Header=BB90_12 Depth=2
	v_add_u32_e32 v15, 1, v115
	v_pk_mov_b32 v[0:1], v[4:5], v[4:5] op_sel:[0,1]
	v_cmp_eq_u32_e32 vcc, 4, v15
	v_pk_mov_b32 v[2:3], v[6:7], v[6:7] op_sel:[0,1]
	s_and_saveexec_b64 s[4:5], vcc
	s_cbranch_execz .LBB90_19
; %bb.18:                               ;   in Loop: Header=BB90_12 Depth=2
	v_add_co_u32_e32 v94, vcc, 1, v94
	v_cndmask_b32_e64 v0, 0, 1, vcc
	v_addc_co_u32_e32 v95, vcc, 0, v95, vcc
	v_cmp_eq_u32_e32 vcc, 0, v95
	v_cndmask_b32_e32 v0, 0, v0, vcc
	v_add_u32_e32 v113, v0, v113
	v_cmp_eq_u32_e32 vcc, 0, v113
	v_cndmask_b32_e32 v0, 0, v0, vcc
	v_add_u32_e32 v72, v0, v72
	v_mad_u64_u32 v[0:1], vcc, v94, s33, 0
	v_mad_u64_u32 v[2:3], vcc, v113, s11, 0
	v_xor_b32_e32 v1, v1, v71
	v_xor_b32_e32 v3, v3, v70
	v_xor_b32_e32 v1, v72, v1
	v_xor_b32_e32 v3, v95, v3
	v_mad_u64_u32 v[84:85], vcc, v1, s11, 0
	v_mad_u64_u32 v[82:83], vcc, v3, s33, 0
	v_xor_b32_e32 v1, v96, v85
	v_xor_b32_e32 v1, v1, v2
	v_xor_b32_e32 v2, v97, v83
	v_xor_b32_e32 v2, v2, v0
	;; [unrolled: 6-line block ×10, first 2 shown]
	v_mov_b32_e32 v15, 0
	v_mov_b32_e32 v1, v84
	v_mov_b32_e32 v3, v82
	v_mov_b32_e32 v85, v0
	v_mov_b32_e32 v83, v2
.LBB90_19:                              ;   in Loop: Header=BB90_12 Depth=2
	s_or_b64 exec, exec, s[4:5]
	v_add_u32_e32 v114, 1, v15
	v_cmp_eq_u32_e32 vcc, 4, v114
	s_and_saveexec_b64 s[4:5], vcc
	s_cbranch_execz .LBB90_21
; %bb.20:                               ;   in Loop: Header=BB90_12 Depth=2
	v_add_co_u32_e32 v94, vcc, 1, v94
	v_cndmask_b32_e64 v82, 0, 1, vcc
	v_addc_co_u32_e32 v95, vcc, 0, v95, vcc
	v_cmp_eq_u32_e32 vcc, 0, v95
	v_cndmask_b32_e32 v82, 0, v82, vcc
	v_add_u32_e32 v113, v82, v113
	v_cmp_eq_u32_e32 vcc, 0, v113
	v_cndmask_b32_e32 v82, 0, v82, vcc
	v_add_u32_e32 v72, v82, v72
	v_mad_u64_u32 v[82:83], vcc, v94, s33, 0
	v_mad_u64_u32 v[84:85], vcc, v113, s11, 0
	v_xor_b32_e32 v83, v83, v71
	v_xor_b32_e32 v85, v85, v70
	v_xor_b32_e32 v83, v72, v83
	v_xor_b32_e32 v85, v95, v85
	v_mad_u64_u32 v[118:119], vcc, v83, s11, 0
	v_mad_u64_u32 v[116:117], vcc, v85, s33, 0
	v_xor_b32_e32 v83, v96, v119
	v_xor_b32_e32 v83, v83, v84
	v_xor_b32_e32 v84, v97, v117
	v_xor_b32_e32 v84, v84, v82
	;; [unrolled: 6-line block ×9, first 2 shown]
	v_mad_u64_u32 v[82:83], vcc, v82, s33, 0
	v_mad_u64_u32 v[84:85], vcc, v84, s11, 0
	v_xor_b32_e32 v85, v85, v122
	v_xor_b32_e32 v83, v83, v120
	v_mov_b32_e32 v114, 0
	v_xor_b32_e32 v85, v103, v85
	v_xor_b32_e32 v83, v93, v83
.LBB90_21:                              ;   in Loop: Header=BB90_12 Depth=2
	s_or_b64 exec, exec, s[4:5]
	v_cmp_eq_u32_e32 vcc, 1, v115
	v_cndmask_b32_e32 v4, v4, v5, vcc
	v_cmp_eq_u32_e32 vcc, 2, v115
	v_cndmask_b32_e32 v4, v4, v6, vcc
	;; [unrolled: 2-line block ×6, first 2 shown]
	v_lshrrev_b32_e32 v0, 11, v0
	v_cvt_f64_u32_e32 v[0:1], v0
	v_ldexp_f64 v[0:1], v[0:1], 32
	v_cvt_f64_u32_e32 v[2:3], v4
	v_add_f64 v[0:1], v[0:1], v[2:3]
	v_mov_b32_e32 v2, 0
	v_mov_b32_e32 v3, 0x3ca00000
	v_fma_f64 v[4:5], -v[74:75], v[10:11], v[76:77]
	v_fmac_f64_e32 v[2:3], 0x3ca00000, v[0:1]
	v_mul_f64 v[0:1], v[4:5], s[52:53]
	v_rndne_f64_e32 v[0:1], v[0:1]
	s_mov_b32 s54, s46
	v_fma_f64 v[6:7], s[54:55], v[0:1], v[4:5]
	s_mov_b32 s56, s48
	v_fmac_f64_e32 v[6:7], s[56:57], v[0:1]
	v_pk_mov_b32 v[10:11], v[30:31], v[30:31] op_sel:[0,1]
	v_fmac_f64_e32 v[10:11], s[58:59], v[6:7]
	v_pk_mov_b32 v[116:117], v[32:33], v[32:33] op_sel:[0,1]
	v_fmac_f64_e32 v[116:117], v[6:7], v[10:11]
	v_pk_mov_b32 v[10:11], v[34:35], v[34:35] op_sel:[0,1]
	v_fmac_f64_e32 v[10:11], v[6:7], v[116:117]
	v_pk_mov_b32 v[116:117], v[36:37], v[36:37] op_sel:[0,1]
	v_fmac_f64_e32 v[116:117], v[6:7], v[10:11]
	v_pk_mov_b32 v[10:11], v[38:39], v[38:39] op_sel:[0,1]
	v_fmac_f64_e32 v[10:11], v[6:7], v[116:117]
	v_pk_mov_b32 v[116:117], v[40:41], v[40:41] op_sel:[0,1]
	v_fmac_f64_e32 v[116:117], v[6:7], v[10:11]
	v_pk_mov_b32 v[10:11], v[42:43], v[42:43] op_sel:[0,1]
	v_fmac_f64_e32 v[10:11], v[6:7], v[116:117]
	v_pk_mov_b32 v[116:117], v[44:45], v[44:45] op_sel:[0,1]
	v_fmac_f64_e32 v[116:117], v[6:7], v[10:11]
	v_pk_mov_b32 v[10:11], v[46:47], v[46:47] op_sel:[0,1]
	v_fmac_f64_e32 v[10:11], v[6:7], v[116:117]
	v_fma_f64 v[10:11], v[6:7], v[10:11], 1.0
	v_fma_f64 v[6:7], v[6:7], v[10:11], 1.0
	v_cvt_i32_f64_e32 v0, v[0:1]
	v_ldexp_f64 v[0:1], v[6:7], v0
	v_add_f64 v[0:1], v[0:1], 1.0
	v_cmp_nlt_f64_e32 vcc, s[60:61], v[4:5]
	v_cmp_ngt_f64_e64 s[4:5], s[62:63], v[4:5]
	v_cndmask_b32_e32 v1, v91, v1, vcc
	s_and_b64 vcc, s[4:5], vcc
	v_cndmask_b32_e64 v1, v88, v1, s[4:5]
	v_cndmask_b32_e32 v0, 0, v0, vcc
	v_mul_f64 v[0:1], v[0:1], v[0:1]
	v_div_scale_f64 v[6:7], s[4:5], v[0:1], v[0:1], v[2:3]
	v_rcp_f64_e32 v[10:11], v[6:7]
	s_mov_b32 s45, s29
	v_fma_f64 v[116:117], -v[6:7], v[10:11], 1.0
	v_fmac_f64_e32 v[10:11], v[10:11], v[116:117]
	v_fma_f64 v[116:117], -v[6:7], v[10:11], 1.0
	v_fmac_f64_e32 v[10:11], v[10:11], v[116:117]
	v_div_scale_f64 v[116:117], vcc, v[2:3], v[0:1], v[2:3]
	v_mul_f64 v[118:119], v[116:117], v[10:11]
	v_fma_f64 v[6:7], -v[6:7], v[118:119], v[116:117]
	s_nop 1
	v_div_fmas_f64 v[6:7], v[6:7], v[10:11], v[118:119]
	v_div_fixup_f64 v[2:3], v[6:7], v[0:1], v[2:3]
	v_frexp_mant_f64_e32 v[0:1], v[2:3]
	v_cmp_gt_f64_e32 vcc, s[28:29], v[0:1]
	v_cndmask_b32_e64 v15, v88, 2.0, vcc
	v_frexp_exp_i32_f64_e32 v6, v[2:3]
	v_mul_f64 v[0:1], v[0:1], v[14:15]
	v_subbrev_co_u32_e32 v15, vcc, 0, v6, vcc
	v_add_f64 v[6:7], v[0:1], 1.0
	v_rcp_f64_e32 v[10:11], v[6:7]
	v_add_f64 v[118:119], v[6:7], -1.0
	v_add_f64 v[116:117], v[0:1], -1.0
	v_add_f64 v[0:1], v[0:1], -v[118:119]
	v_fma_f64 v[118:119], -v[6:7], v[10:11], 1.0
	v_fmac_f64_e32 v[10:11], v[118:119], v[10:11]
	v_fma_f64 v[118:119], -v[6:7], v[10:11], 1.0
	v_fmac_f64_e32 v[10:11], v[118:119], v[10:11]
	v_mul_f64 v[118:119], v[116:117], v[10:11]
	v_mul_f64 v[120:121], v[6:7], v[118:119]
	v_fma_f64 v[6:7], v[118:119], v[6:7], -v[120:121]
	v_fmac_f64_e32 v[6:7], v[118:119], v[0:1]
	v_add_f64 v[0:1], v[120:121], v[6:7]
	v_add_f64 v[122:123], v[116:117], -v[0:1]
	v_add_f64 v[120:121], v[0:1], -v[120:121]
	;; [unrolled: 1-line block ×5, first 2 shown]
	v_add_f64 v[0:1], v[6:7], v[0:1]
	v_add_f64 v[0:1], v[122:123], v[0:1]
	v_mul_f64 v[0:1], v[10:11], v[0:1]
	v_add_f64 v[6:7], v[118:119], v[0:1]
	v_add_f64 v[10:11], v[6:7], -v[118:119]
	v_add_f64 v[10:11], v[0:1], -v[10:11]
	v_mul_f64 v[116:117], v[6:7], v[6:7]
	v_pk_mov_b32 v[0:1], s[30:31], s[30:31] op_sel:[0,1]
	v_fma_f64 v[118:119], s[34:35], v[116:117], v[0:1]
	v_fma_f64 v[118:119], v[116:117], v[118:119], s[36:37]
	;; [unrolled: 1-line block ×6, first 2 shown]
	v_ldexp_f64 v[120:121], v[6:7], 1
	v_mul_f64 v[6:7], v[6:7], v[116:117]
	v_mul_f64 v[6:7], v[6:7], v[118:119]
	v_add_f64 v[116:117], v[120:121], v[6:7]
	v_add_f64 v[118:119], v[116:117], -v[120:121]
	v_ldexp_f64 v[10:11], v[10:11], 1
	v_add_f64 v[6:7], v[6:7], -v[118:119]
	v_add_f64 v[6:7], v[10:11], v[6:7]
	v_add_f64 v[10:11], v[116:117], v[6:7]
	v_add_f64 v[116:117], v[10:11], -v[116:117]
	v_add_f64 v[6:7], v[6:7], -v[116:117]
	v_cvt_f64_i32_e32 v[116:117], v15
	v_mul_f64 v[118:119], v[116:117], s[46:47]
	v_fma_f64 v[120:121], v[116:117], s[46:47], -v[118:119]
	v_fmac_f64_e32 v[120:121], s[48:49], v[116:117]
	v_add_f64 v[116:117], v[118:119], v[120:121]
	v_add_f64 v[118:119], v[116:117], -v[118:119]
	v_add_f64 v[118:119], v[120:121], -v[118:119]
	v_add_f64 v[120:121], v[116:117], v[10:11]
	v_add_f64 v[122:123], v[120:121], -v[116:117]
	v_add_f64 v[124:125], v[120:121], -v[122:123]
	;; [unrolled: 1-line block ×4, first 2 shown]
	v_add_f64 v[10:11], v[10:11], v[116:117]
	v_add_f64 v[116:117], v[118:119], v[6:7]
	v_add_f64 v[122:123], v[116:117], -v[118:119]
	v_add_f64 v[124:125], v[116:117], -v[122:123]
	v_add_f64 v[10:11], v[116:117], v[10:11]
	v_add_f64 v[118:119], v[118:119], -v[124:125]
	v_add_f64 v[6:7], v[6:7], -v[122:123]
	v_add_f64 v[116:117], v[120:121], v[10:11]
	v_add_f64 v[6:7], v[6:7], v[118:119]
	v_add_f64 v[118:119], v[116:117], -v[120:121]
	v_add_f64 v[10:11], v[10:11], -v[118:119]
	v_add_f64 v[6:7], v[6:7], v[10:11]
	v_add_f64 v[6:7], v[116:117], v[6:7]
	v_cmp_class_f64_e64 vcc, v[2:3], s10
	v_cndmask_b32_e32 v15, v6, v2, vcc
	v_cndmask_b32_e32 v6, v7, v3, vcc
	v_cmp_neq_f64_e32 vcc, 0, v[2:3]
	v_cndmask_b32_e32 v3, v90, v6, vcc
	v_add_f64 v[6:7], v[8:9], 1.0
	v_add_f64 v[6:7], v[6:7], -1.0
	v_add_f64 v[116:117], v[6:7], s[64:65]
	v_div_scale_f64 v[10:11], s[4:5], v[116:117], v[116:117], s[66:67]
	v_rcp_f64_e32 v[118:119], v[10:11]
	v_cndmask_b32_e32 v2, 0, v15, vcc
	v_add_f64 v[2:3], v[4:5], v[2:3]
	v_fma_f64 v[4:5], v[80:81], v[8:9], v[78:79]
	v_fma_f64 v[120:121], -v[10:11], v[118:119], 1.0
	v_fmac_f64_e32 v[118:119], v[118:119], v[120:121]
	v_fma_f64 v[120:121], -v[10:11], v[118:119], 1.0
	v_fmac_f64_e32 v[118:119], v[118:119], v[120:121]
	v_div_scale_f64 v[120:121], vcc, s[66:67], v[116:117], s[66:67]
	v_mul_f64 v[122:123], v[120:121], v[118:119]
	v_fma_f64 v[120:121], -v[10:11], v[122:123], v[120:121]
	v_add_f64 v[10:11], v[6:7], s[68:69]
	v_div_scale_f64 v[124:125], s[4:5], v[10:11], v[10:11], s[70:71]
	v_rcp_f64_e32 v[126:127], v[124:125]
	v_div_fmas_f64 v[118:119], v[120:121], v[118:119], v[122:123]
	v_div_fixup_f64 v[116:117], v[118:119], v[116:117], s[66:67]
	v_add_f64 v[122:123], v[6:7], s[72:73]
	v_fma_f64 v[118:119], -v[124:125], v[126:127], 1.0
	v_fmac_f64_e32 v[126:127], v[126:127], v[118:119]
	v_fma_f64 v[118:119], -v[124:125], v[126:127], 1.0
	v_fmac_f64_e32 v[126:127], v[126:127], v[118:119]
	v_div_scale_f64 v[118:119], vcc, s[70:71], v[10:11], s[70:71]
	v_mul_f64 v[120:121], v[118:119], v[126:127]
	v_fma_f64 v[118:119], -v[124:125], v[120:121], v[118:119]
	v_div_scale_f64 v[124:125], s[4:5], v[122:123], v[122:123], s[74:75]
	v_rcp_f64_e32 v[128:129], v[124:125]
	v_div_fmas_f64 v[118:119], v[118:119], v[126:127], v[120:121]
	v_add_f64 v[116:117], v[116:117], 0
	v_div_fixup_f64 v[118:119], v[118:119], v[10:11], s[70:71]
	v_add_f64 v[116:117], v[118:119], v[116:117]
	v_fma_f64 v[118:119], -v[124:125], v[128:129], 1.0
	v_fmac_f64_e32 v[128:129], v[128:129], v[118:119]
	v_fma_f64 v[118:119], -v[124:125], v[128:129], 1.0
	v_fmac_f64_e32 v[128:129], v[128:129], v[118:119]
	v_div_scale_f64 v[118:119], vcc, s[74:75], v[122:123], s[74:75]
	v_mul_f64 v[120:121], v[118:119], v[128:129]
	v_fma_f64 v[118:119], -v[124:125], v[120:121], v[118:119]
	v_add_f64 v[124:125], v[6:7], s[76:77]
	v_div_scale_f64 v[126:127], s[4:5], v[124:125], v[124:125], s[78:79]
	v_rcp_f64_e32 v[130:131], v[126:127]
	v_div_fmas_f64 v[118:119], v[118:119], v[128:129], v[120:121]
	v_div_fixup_f64 v[118:119], v[118:119], v[122:123], s[74:75]
	v_add_f64 v[116:117], v[116:117], v[118:119]
	v_fma_f64 v[118:119], -v[126:127], v[130:131], 1.0
	v_fmac_f64_e32 v[130:131], v[130:131], v[118:119]
	v_fma_f64 v[118:119], -v[126:127], v[130:131], 1.0
	v_fmac_f64_e32 v[130:131], v[130:131], v[118:119]
	v_div_scale_f64 v[118:119], vcc, s[78:79], v[124:125], s[78:79]
	v_mul_f64 v[120:121], v[118:119], v[130:131]
	v_add_f64 v[122:123], v[6:7], 4.0
	v_fma_f64 v[118:119], -v[126:127], v[120:121], v[118:119]
	v_div_scale_f64 v[126:127], s[4:5], v[122:123], v[122:123], s[80:81]
	v_rcp_f64_e32 v[128:129], v[126:127]
	v_div_fmas_f64 v[118:119], v[118:119], v[130:131], v[120:121]
	v_div_fixup_f64 v[118:119], v[118:119], v[124:125], s[78:79]
	v_add_f64 v[116:117], v[118:119], v[116:117]
	v_fma_f64 v[118:119], -v[126:127], v[128:129], 1.0
	v_fmac_f64_e32 v[128:129], v[128:129], v[118:119]
	v_fma_f64 v[118:119], -v[126:127], v[128:129], 1.0
	v_fmac_f64_e32 v[128:129], v[128:129], v[118:119]
	v_div_scale_f64 v[118:119], vcc, s[80:81], v[122:123], s[80:81]
	v_mul_f64 v[120:121], v[118:119], v[128:129]
	v_add_f64 v[124:125], v[6:7], s[22:23]
	v_fma_f64 v[118:119], -v[126:127], v[120:121], v[118:119]
	v_div_scale_f64 v[126:127], s[4:5], v[124:125], v[124:125], s[82:83]
	v_rcp_f64_e32 v[130:131], v[126:127]
	v_div_fmas_f64 v[118:119], v[118:119], v[128:129], v[120:121]
	v_div_fixup_f64 v[118:119], v[118:119], v[122:123], s[80:81]
	v_add_f64 v[116:117], v[116:117], v[118:119]
	v_fma_f64 v[118:119], -v[126:127], v[130:131], 1.0
	v_fmac_f64_e32 v[130:131], v[130:131], v[118:119]
	v_fma_f64 v[118:119], -v[126:127], v[130:131], 1.0
	v_fmac_f64_e32 v[130:131], v[130:131], v[118:119]
	v_div_scale_f64 v[118:119], vcc, s[82:83], v[124:125], s[82:83]
	v_mul_f64 v[120:121], v[118:119], v[130:131]
	v_add_f64 v[122:123], v[6:7], 2.0
	v_fma_f64 v[118:119], -v[126:127], v[120:121], v[118:119]
	v_div_scale_f64 v[126:127], s[4:5], v[122:123], v[122:123], s[84:85]
	v_rcp_f64_e32 v[128:129], v[126:127]
	v_div_fmas_f64 v[118:119], v[118:119], v[130:131], v[120:121]
	v_div_fixup_f64 v[118:119], v[118:119], v[124:125], s[82:83]
	v_add_f64 v[116:117], v[118:119], v[116:117]
	v_fma_f64 v[118:119], -v[126:127], v[128:129], 1.0
	v_fmac_f64_e32 v[128:129], v[128:129], v[118:119]
	v_fma_f64 v[118:119], -v[126:127], v[128:129], 1.0
	v_fmac_f64_e32 v[128:129], v[128:129], v[118:119]
	v_div_scale_f64 v[118:119], vcc, s[84:85], v[122:123], s[84:85]
	v_mul_f64 v[120:121], v[118:119], v[128:129]
	v_add_f64 v[124:125], v[6:7], 1.0
	v_fma_f64 v[118:119], -v[126:127], v[120:121], v[118:119]
	v_div_scale_f64 v[126:127], s[4:5], v[124:125], v[124:125], s[86:87]
	v_rcp_f64_e32 v[130:131], v[126:127]
	v_div_fmas_f64 v[118:119], v[118:119], v[128:129], v[120:121]
	v_div_fixup_f64 v[118:119], v[118:119], v[122:123], s[84:85]
	v_add_f64 v[116:117], v[116:117], v[118:119]
	v_fma_f64 v[118:119], -v[126:127], v[130:131], 1.0
	v_fmac_f64_e32 v[130:131], v[130:131], v[118:119]
	v_fma_f64 v[118:119], -v[126:127], v[130:131], 1.0
	v_fmac_f64_e32 v[130:131], v[130:131], v[118:119]
	v_div_scale_f64 v[118:119], vcc, s[86:87], v[124:125], s[86:87]
	v_mul_f64 v[120:121], v[118:119], v[130:131]
	v_fma_f64 v[118:119], -v[126:127], v[120:121], v[118:119]
	v_add_f64 v[10:11], v[10:11], 0.5
	s_nop 0
	v_div_fmas_f64 v[118:119], v[118:119], v[130:131], v[120:121]
	v_div_fixup_f64 v[118:119], v[118:119], v[124:125], s[86:87]
	v_add_f64 v[116:117], v[118:119], v[116:117]
	v_add_f64 v[116:117], v[116:117], s[90:91]
	v_frexp_mant_f64_e32 v[118:119], v[116:117]
	v_cmp_gt_f64_e32 vcc, s[28:29], v[118:119]
	v_cndmask_b32_e64 v15, v88, 2.0, vcc
	v_mul_f64 v[118:119], v[118:119], v[14:15]
	v_add_f64 v[120:121], v[118:119], 1.0
	v_rcp_f64_e32 v[122:123], v[120:121]
	v_add_f64 v[126:127], v[120:121], -1.0
	v_add_f64 v[124:125], v[118:119], -1.0
	v_add_f64 v[118:119], v[118:119], -v[126:127]
	v_fma_f64 v[126:127], -v[120:121], v[122:123], 1.0
	v_fmac_f64_e32 v[122:123], v[126:127], v[122:123]
	v_fma_f64 v[126:127], -v[120:121], v[122:123], 1.0
	v_fmac_f64_e32 v[122:123], v[126:127], v[122:123]
	v_mul_f64 v[126:127], v[124:125], v[122:123]
	v_mul_f64 v[128:129], v[120:121], v[126:127]
	v_fma_f64 v[120:121], v[126:127], v[120:121], -v[128:129]
	v_fmac_f64_e32 v[120:121], v[126:127], v[118:119]
	v_add_f64 v[118:119], v[128:129], v[120:121]
	v_add_f64 v[130:131], v[124:125], -v[118:119]
	v_add_f64 v[128:129], v[118:119], -v[128:129]
	;; [unrolled: 1-line block ×5, first 2 shown]
	v_add_f64 v[118:119], v[120:121], v[118:119]
	v_add_f64 v[118:119], v[130:131], v[118:119]
	v_mul_f64 v[118:119], v[122:123], v[118:119]
	v_add_f64 v[120:121], v[126:127], v[118:119]
	v_add_f64 v[122:123], v[120:121], -v[126:127]
	v_add_f64 v[118:119], v[118:119], -v[122:123]
	v_mul_f64 v[122:123], v[120:121], v[120:121]
	v_fma_f64 v[124:125], s[34:35], v[122:123], v[0:1]
	v_fma_f64 v[124:125], v[122:123], v[124:125], s[36:37]
	;; [unrolled: 1-line block ×6, first 2 shown]
	v_ldexp_f64 v[126:127], v[120:121], 1
	v_mul_f64 v[120:121], v[120:121], v[122:123]
	v_mul_f64 v[120:121], v[120:121], v[124:125]
	v_add_f64 v[122:123], v[126:127], v[120:121]
	v_add_f64 v[124:125], v[122:123], -v[126:127]
	v_ldexp_f64 v[118:119], v[118:119], 1
	v_add_f64 v[120:121], v[120:121], -v[124:125]
	v_add_f64 v[118:119], v[118:119], v[120:121]
	v_frexp_exp_i32_f64_e32 v115, v[116:117]
	v_add_f64 v[120:121], v[122:123], v[118:119]
	v_subbrev_co_u32_e32 v15, vcc, 0, v115, vcc
	v_add_f64 v[122:123], v[120:121], -v[122:123]
	v_add_f64 v[118:119], v[118:119], -v[122:123]
	v_cvt_f64_i32_e32 v[122:123], v15
	v_mul_f64 v[124:125], v[122:123], s[46:47]
	v_fma_f64 v[126:127], v[122:123], s[46:47], -v[124:125]
	v_fmac_f64_e32 v[126:127], s[48:49], v[122:123]
	v_add_f64 v[122:123], v[124:125], v[126:127]
	v_add_f64 v[124:125], v[122:123], -v[124:125]
	v_add_f64 v[124:125], v[126:127], -v[124:125]
	v_add_f64 v[126:127], v[122:123], v[120:121]
	v_add_f64 v[128:129], v[126:127], -v[122:123]
	v_add_f64 v[130:131], v[126:127], -v[128:129]
	;; [unrolled: 1-line block ×4, first 2 shown]
	v_add_f64 v[120:121], v[120:121], v[122:123]
	v_add_f64 v[122:123], v[124:125], v[118:119]
	v_add_f64 v[128:129], v[122:123], -v[124:125]
	v_add_f64 v[130:131], v[122:123], -v[128:129]
	v_add_f64 v[120:121], v[122:123], v[120:121]
	v_add_f64 v[124:125], v[124:125], -v[130:131]
	v_add_f64 v[118:119], v[118:119], -v[128:129]
	v_add_f64 v[122:123], v[126:127], v[120:121]
	v_add_f64 v[118:119], v[118:119], v[124:125]
	v_add_f64 v[124:125], v[122:123], -v[126:127]
	v_add_f64 v[120:121], v[120:121], -v[124:125]
	v_add_f64 v[118:119], v[118:119], v[120:121]
	v_add_f64 v[118:119], v[122:123], v[118:119]
	v_cmp_class_f64_e64 vcc, v[116:117], s10
	v_div_scale_f64 v[120:121], s[4:5], s[20:21], s[20:21], v[10:11]
	v_cndmask_b32_e32 v119, v119, v117, vcc
	v_cndmask_b32_e32 v118, v118, v116, vcc
	v_rcp_f64_e32 v[122:123], v[120:121]
	v_add_f64 v[118:119], v[118:119], s[92:93]
	v_add_f64 v[118:119], v[118:119], s[94:95]
	v_cmp_ngt_f64_e32 vcc, 0, v[116:117]
	v_cndmask_b32_e32 v15, v89, v119, vcc
	v_cmp_nge_f64_e32 vcc, 0, v[116:117]
	v_cndmask_b32_e32 v118, 0, v118, vcc
	v_cmp_neq_f64_e32 vcc, 0, v[116:117]
	v_fma_f64 v[116:117], -v[120:121], v[122:123], 1.0
	v_fmac_f64_e32 v[122:123], v[122:123], v[116:117]
	v_fma_f64 v[116:117], -v[120:121], v[122:123], 1.0
	v_cndmask_b32_e32 v119, v90, v15, vcc
	v_fmac_f64_e32 v[122:123], v[122:123], v[116:117]
	v_div_scale_f64 v[116:117], vcc, v[10:11], s[20:21], v[10:11]
	v_mul_f64 v[124:125], v[116:117], v[122:123]
	v_fma_f64 v[116:117], -v[120:121], v[124:125], v[116:117]
	v_add_f64 v[6:7], v[6:7], 0.5
	s_nop 0
	v_div_fmas_f64 v[116:117], v[116:117], v[122:123], v[124:125]
	v_div_fixup_f64 v[10:11], v[116:117], s[20:21], v[10:11]
	v_frexp_mant_f64_e32 v[116:117], v[10:11]
	v_cmp_gt_f64_e32 vcc, s[28:29], v[116:117]
	v_cndmask_b32_e64 v15, v88, 2.0, vcc
	v_mul_f64 v[116:117], v[116:117], v[14:15]
	v_add_f64 v[120:121], v[116:117], 1.0
	v_rcp_f64_e32 v[122:123], v[120:121]
	v_add_f64 v[126:127], v[120:121], -1.0
	v_add_f64 v[124:125], v[116:117], -1.0
	v_add_f64 v[116:117], v[116:117], -v[126:127]
	v_fma_f64 v[126:127], -v[120:121], v[122:123], 1.0
	v_fmac_f64_e32 v[122:123], v[126:127], v[122:123]
	v_fma_f64 v[126:127], -v[120:121], v[122:123], 1.0
	v_fmac_f64_e32 v[122:123], v[126:127], v[122:123]
	v_mul_f64 v[126:127], v[124:125], v[122:123]
	v_mul_f64 v[128:129], v[120:121], v[126:127]
	v_fma_f64 v[120:121], v[126:127], v[120:121], -v[128:129]
	v_fmac_f64_e32 v[120:121], v[126:127], v[116:117]
	v_add_f64 v[116:117], v[128:129], v[120:121]
	v_add_f64 v[130:131], v[124:125], -v[116:117]
	v_add_f64 v[128:129], v[116:117], -v[128:129]
	;; [unrolled: 1-line block ×5, first 2 shown]
	v_add_f64 v[116:117], v[120:121], v[116:117]
	v_add_f64 v[116:117], v[130:131], v[116:117]
	v_mul_f64 v[116:117], v[122:123], v[116:117]
	v_add_f64 v[120:121], v[126:127], v[116:117]
	v_add_f64 v[122:123], v[120:121], -v[126:127]
	v_add_f64 v[116:117], v[116:117], -v[122:123]
	v_mul_f64 v[122:123], v[120:121], v[120:121]
	v_fmac_f64_e32 v[0:1], s[34:35], v[122:123]
	v_fma_f64 v[0:1], v[122:123], v[0:1], s[36:37]
	v_fma_f64 v[0:1], v[122:123], v[0:1], s[38:39]
	;; [unrolled: 1-line block ×5, first 2 shown]
	v_ldexp_f64 v[124:125], v[120:121], 1
	v_mul_f64 v[120:121], v[120:121], v[122:123]
	v_mul_f64 v[0:1], v[120:121], v[0:1]
	v_add_f64 v[120:121], v[124:125], v[0:1]
	v_add_f64 v[122:123], v[120:121], -v[124:125]
	v_ldexp_f64 v[116:117], v[116:117], 1
	v_add_f64 v[0:1], v[0:1], -v[122:123]
	v_add_f64 v[0:1], v[116:117], v[0:1]
	v_frexp_exp_i32_f64_e32 v115, v[10:11]
	v_add_f64 v[116:117], v[120:121], v[0:1]
	v_subbrev_co_u32_e32 v15, vcc, 0, v115, vcc
	v_add_f64 v[120:121], v[116:117], -v[120:121]
	v_add_f64 v[0:1], v[0:1], -v[120:121]
	v_cvt_f64_i32_e32 v[120:121], v15
	v_mul_f64 v[122:123], v[120:121], s[46:47]
	v_fma_f64 v[124:125], v[120:121], s[46:47], -v[122:123]
	v_fmac_f64_e32 v[124:125], s[48:49], v[120:121]
	v_add_f64 v[120:121], v[122:123], v[124:125]
	v_add_f64 v[122:123], v[120:121], -v[122:123]
	v_add_f64 v[122:123], v[124:125], -v[122:123]
	v_add_f64 v[124:125], v[120:121], v[116:117]
	v_add_f64 v[126:127], v[124:125], -v[120:121]
	v_add_f64 v[128:129], v[124:125], -v[126:127]
	;; [unrolled: 1-line block ×4, first 2 shown]
	v_add_f64 v[116:117], v[116:117], v[120:121]
	v_add_f64 v[120:121], v[122:123], v[0:1]
	v_add_f64 v[126:127], v[120:121], -v[122:123]
	v_add_f64 v[128:129], v[120:121], -v[126:127]
	v_add_f64 v[116:117], v[120:121], v[116:117]
	v_add_f64 v[122:123], v[122:123], -v[128:129]
	v_add_f64 v[0:1], v[0:1], -v[126:127]
	v_add_f64 v[120:121], v[124:125], v[116:117]
	v_add_f64 v[0:1], v[0:1], v[122:123]
	v_add_f64 v[122:123], v[120:121], -v[124:125]
	v_add_f64 v[116:117], v[116:117], -v[122:123]
	v_add_f64 v[0:1], v[0:1], v[116:117]
	v_add_f64 v[0:1], v[120:121], v[0:1]
	v_cmp_class_f64_e64 vcc, v[10:11], s10
	v_cndmask_b32_e32 v0, v0, v10, vcc
	v_cndmask_b32_e32 v1, v1, v11, vcc
	v_cmp_ngt_f64_e32 vcc, 0, v[10:11]
	v_cndmask_b32_e32 v1, v89, v1, vcc
	v_cmp_nge_f64_e32 vcc, 0, v[10:11]
	v_cndmask_b32_e32 v0, 0, v0, vcc
	v_cmp_neq_f64_e32 vcc, 0, v[10:11]
	v_cndmask_b32_e32 v1, v90, v1, vcc
	v_fmac_f64_e32 v[118:119], v[6:7], v[0:1]
	v_add_f64 v[0:1], v[4:5], -v[118:119]
	v_cvt_u32_f64_e32 v4, v[8:9]
	v_cmp_le_f64_e32 vcc, v[2:3], v[0:1]
	v_cndmask_b32_e64 v116, 0, 1, vcc
	v_cndmask_b32_e32 v73, v73, v4, vcc
	v_mov_b32_e32 v115, v114
.LBB90_22:                              ;   in Loop: Header=BB90_12 Depth=2
	s_or_b64 exec, exec, s[8:9]
	v_cmp_gt_i32_e32 vcc, 2, v116
	s_or_b64 s[0:1], vcc, s[0:1]
	v_mov_b32_e32 v15, v115
	v_mov_b32_e32 v0, v85
	;; [unrolled: 1-line block ×5, first 2 shown]
	s_andn2_b64 exec, exec, s[0:1]
	s_cbranch_execnz .LBB90_12
; %bb.23:                               ;   in Loop: Header=BB90_12 Depth=2
	s_or_b64 exec, exec, s[0:1]
	v_cmp_ne_u32_e32 vcc, 0, v116
	s_or_b64 s[14:15], vcc, s[14:15]
	s_mov_b64 s[0:1], 0
	v_mov_b32_e32 v15, v115
	v_mov_b32_e32 v0, v85
	;; [unrolled: 1-line block ×5, first 2 shown]
	s_andn2_b64 exec, exec, s[14:15]
	s_cbranch_execnz .LBB90_12
; %bb.24:                               ;   in Loop: Header=BB90_6 Depth=1
	s_or_b64 exec, exec, s[14:15]
	s_mov_b32 s45, s19
                                        ; implicit-def: $vgpr70_vgpr71
                                        ; implicit-def: $vgpr15
                                        ; implicit-def: $vgpr94
                                        ; implicit-def: $vgpr95
                                        ; implicit-def: $vgpr103
                                        ; implicit-def: $vgpr93
                                        ; implicit-def: $vgpr3
                                        ; implicit-def: $vgpr4_vgpr5
                                        ; implicit-def: $vgpr96
                                        ; implicit-def: $vgpr97
                                        ; implicit-def: $vgpr98
                                        ; implicit-def: $vgpr99
                                        ; implicit-def: $vgpr101
                                        ; implicit-def: $vgpr102
                                        ; implicit-def: $vgpr104
                                        ; implicit-def: $vgpr105
                                        ; implicit-def: $vgpr106
                                        ; implicit-def: $vgpr107
                                        ; implicit-def: $vgpr108
                                        ; implicit-def: $vgpr109
                                        ; implicit-def: $vgpr110
                                        ; implicit-def: $vgpr111
                                        ; implicit-def: $vgpr100
                                        ; implicit-def: $vgpr112
.LBB90_25:                              ;   in Loop: Header=BB90_6 Depth=1
	s_andn2_saveexec_b64 s[0:1], s[12:13]
	s_cbranch_execz .LBB90_37
; %bb.26:                               ;   in Loop: Header=BB90_6 Depth=1
	v_add_co_u32_e32 v6, vcc, 1, v94
	v_cndmask_b32_e64 v7, 0, 1, vcc
	v_addc_co_u32_e32 v10, vcc, 0, v95, vcc
	v_cmp_eq_u32_e32 vcc, 0, v10
	v_cndmask_b32_e32 v7, 0, v7, vcc
	v_add_u32_e32 v8, v7, v17
	v_cmp_eq_u32_e32 vcc, 0, v8
	v_cndmask_b32_e32 v11, 0, v7, vcc
	v_mad_u64_u32 v[6:7], s[4:5], v6, s33, 0
	v_mad_u64_u32 v[8:9], s[4:5], v8, s11, 0
	v_xor_b32_e32 v7, v7, v71
	v_xor_b32_e32 v9, v9, v70
	v_xor_b32_e32 v7, v11, v7
	v_xor_b32_e32 v9, v10, v9
	v_mad_u64_u32 v[70:71], s[4:5], v7, s11, 0
	v_mad_u64_u32 v[10:11], s[4:5], v9, s33, 0
	v_xor_b32_e32 v7, v96, v71
	v_xor_b32_e32 v7, v7, v8
	v_xor_b32_e32 v8, v97, v11
	v_xor_b32_e32 v8, v8, v6
	;; [unrolled: 6-line block ×8, first 2 shown]
	v_mad_u64_u32 v[72:73], s[4:5], v7, s33, 0
	v_mad_u64_u32 v[8:9], s[4:5], v6, s11, 0
	v_xor_b32_e32 v6, v112, v73
	v_xor_b32_e32 v6, v6, v10
	v_mad_u64_u32 v[6:7], s[4:5], v6, s11, 0
	v_xor_b32_e32 v7, v7, v8
	v_xor_b32_e32 v10, v103, v7
	v_cmp_lt_i32_e32 vcc, 1, v15
                                        ; implicit-def: $vgpr8
	s_and_saveexec_b64 s[4:5], vcc
	s_xor_b64 s[4:5], exec, s[4:5]
	s_cbranch_execz .LBB90_32
; %bb.27:                               ;   in Loop: Header=BB90_6 Depth=1
	v_cmp_lt_i32_e32 vcc, 2, v15
                                        ; implicit-def: $vgpr8
	s_and_saveexec_b64 s[8:9], vcc
	s_xor_b64 s[8:9], exec, s[8:9]
; %bb.28:                               ;   in Loop: Header=BB90_6 Depth=1
	v_xor_b32_e32 v0, v100, v9
	v_xor_b32_e32 v0, v0, v70
	v_mul_hi_u32 v0, v0, s33
	v_xor_b32_e32 v0, v0, v72
	v_xor_b32_e32 v8, v93, v0
; %bb.29:                               ;   in Loop: Header=BB90_6 Depth=1
	s_andn2_saveexec_b64 s[8:9], s[8:9]
; %bb.30:                               ;   in Loop: Header=BB90_6 Depth=1
	v_mov_b32_e32 v8, v6
	v_mov_b32_e32 v6, v10
	;; [unrolled: 1-line block ×4, first 2 shown]
; %bb.31:                               ;   in Loop: Header=BB90_6 Depth=1
	s_or_b64 exec, exec, s[8:9]
                                        ; implicit-def: $vgpr15
.LBB90_32:                              ;   in Loop: Header=BB90_6 Depth=1
	s_andn2_saveexec_b64 s[4:5], s[4:5]
	s_cbranch_execz .LBB90_36
; %bb.33:                               ;   in Loop: Header=BB90_6 Depth=1
	v_cmp_eq_u32_e32 vcc, 1, v15
	v_mov_b32_e32 v8, v3
	v_mov_b32_e32 v6, v2
	;; [unrolled: 1-line block ×3, first 2 shown]
	s_and_saveexec_b64 s[8:9], vcc
; %bb.34:                               ;   in Loop: Header=BB90_6 Depth=1
	v_mov_b32_e32 v8, v10
	v_mov_b32_e32 v6, v3
	v_mov_b32_e32 v7, v2
	v_mov_b32_e32 v0, v1
; %bb.35:                               ;   in Loop: Header=BB90_6 Depth=1
	s_or_b64 exec, exec, s[8:9]
	v_mov_b32_e32 v3, v0
	v_mov_b32_e32 v10, v7
.LBB90_36:                              ;   in Loop: Header=BB90_6 Depth=1
	s_or_b64 exec, exec, s[4:5]
	v_mov_b32_e32 v11, v14
	v_lshlrev_b64 v[0:1], 21, v[10:11]
	v_xor_b32_e32 v2, v0, v3
	v_cvt_f64_u32_e32 v[0:1], v1
	v_ldexp_f64 v[0:1], v[0:1], 32
	v_cvt_f64_u32_e32 v[2:3], v2
	v_add_f64 v[0:1], v[0:1], v[2:3]
	v_mov_b32_e32 v2, 0
	v_mov_b32_e32 v3, 0x3ca00000
	v_fmac_f64_e32 v[2:3], 0x3ca00000, v[0:1]
	v_mov_b32_e32 v9, v14
	v_lshlrev_b64 v[0:1], 21, v[8:9]
	v_frexp_mant_f64_e32 v[8:9], v[2:3]
	v_cmp_gt_f64_e32 vcc, s[28:29], v[8:9]
	v_cndmask_b32_e64 v15, v88, 2.0, vcc
	v_frexp_exp_i32_f64_e32 v10, v[2:3]
	v_mul_f64 v[8:9], v[8:9], v[14:15]
	v_subbrev_co_u32_e32 v15, vcc, 0, v10, vcc
	v_add_f64 v[10:11], v[8:9], 1.0
	v_rcp_f64_e32 v[70:71], v[10:11]
	v_add_f64 v[74:75], v[10:11], -1.0
	v_add_f64 v[72:73], v[8:9], -1.0
	v_add_f64 v[8:9], v[8:9], -v[74:75]
	v_fma_f64 v[74:75], -v[10:11], v[70:71], 1.0
	v_fmac_f64_e32 v[70:71], v[74:75], v[70:71]
	v_fma_f64 v[74:75], -v[10:11], v[70:71], 1.0
	v_fmac_f64_e32 v[70:71], v[74:75], v[70:71]
	v_mul_f64 v[74:75], v[72:73], v[70:71]
	v_mul_f64 v[76:77], v[10:11], v[74:75]
	v_fma_f64 v[10:11], v[74:75], v[10:11], -v[76:77]
	v_fmac_f64_e32 v[10:11], v[74:75], v[8:9]
	v_add_f64 v[8:9], v[76:77], v[10:11]
	v_add_f64 v[78:79], v[72:73], -v[8:9]
	v_add_f64 v[76:77], v[8:9], -v[76:77]
	;; [unrolled: 1-line block ×5, first 2 shown]
	v_add_f64 v[8:9], v[10:11], v[8:9]
	v_add_f64 v[8:9], v[78:79], v[8:9]
	v_mul_f64 v[8:9], v[70:71], v[8:9]
	v_add_f64 v[10:11], v[74:75], v[8:9]
	v_add_f64 v[70:71], v[10:11], -v[74:75]
	v_add_f64 v[8:9], v[8:9], -v[70:71]
	v_mul_f64 v[70:71], v[10:11], v[10:11]
	v_pk_mov_b32 v[72:73], v[18:19], v[18:19] op_sel:[0,1]
	v_fmac_f64_e32 v[72:73], s[34:35], v[70:71]
	v_pk_mov_b32 v[74:75], v[20:21], v[20:21] op_sel:[0,1]
	v_fmac_f64_e32 v[74:75], v[70:71], v[72:73]
	;; [unrolled: 2-line block ×6, first 2 shown]
	v_ldexp_f64 v[72:73], v[10:11], 1
	v_mul_f64 v[10:11], v[10:11], v[70:71]
	v_mul_f64 v[10:11], v[10:11], v[74:75]
	v_add_f64 v[70:71], v[72:73], v[10:11]
	v_add_f64 v[72:73], v[70:71], -v[72:73]
	v_ldexp_f64 v[8:9], v[8:9], 1
	v_add_f64 v[10:11], v[10:11], -v[72:73]
	v_add_f64 v[8:9], v[8:9], v[10:11]
	v_add_f64 v[10:11], v[70:71], v[8:9]
	v_add_f64 v[70:71], v[10:11], -v[70:71]
	v_add_f64 v[8:9], v[8:9], -v[70:71]
	v_cvt_f64_i32_e32 v[70:71], v15
	v_mul_f64 v[72:73], v[70:71], s[46:47]
	v_fma_f64 v[74:75], v[70:71], s[46:47], -v[72:73]
	v_fmac_f64_e32 v[74:75], s[48:49], v[70:71]
	v_add_f64 v[70:71], v[72:73], v[74:75]
	v_add_f64 v[72:73], v[70:71], -v[72:73]
	v_add_f64 v[72:73], v[74:75], -v[72:73]
	v_add_f64 v[74:75], v[70:71], v[10:11]
	v_add_f64 v[76:77], v[74:75], -v[70:71]
	v_add_f64 v[78:79], v[74:75], -v[76:77]
	;; [unrolled: 1-line block ×4, first 2 shown]
	v_add_f64 v[10:11], v[10:11], v[70:71]
	v_add_f64 v[70:71], v[72:73], v[8:9]
	v_add_f64 v[76:77], v[70:71], -v[72:73]
	v_add_f64 v[78:79], v[70:71], -v[76:77]
	v_add_f64 v[10:11], v[70:71], v[10:11]
	v_add_f64 v[72:73], v[72:73], -v[78:79]
	v_add_f64 v[8:9], v[8:9], -v[76:77]
	v_add_f64 v[70:71], v[74:75], v[10:11]
	v_add_f64 v[8:9], v[8:9], v[72:73]
	v_add_f64 v[72:73], v[70:71], -v[74:75]
	v_add_f64 v[10:11], v[10:11], -v[72:73]
	s_mov_b32 s12, 0
	v_add_f64 v[8:9], v[8:9], v[10:11]
	s_mov_b32 s13, 0x7ff00000
	v_add_f64 v[8:9], v[70:71], v[8:9]
	v_cmp_eq_f64_e32 vcc, s[12:13], v[2:3]
	v_cndmask_b32_e32 v9, v9, v3, vcc
	v_cndmask_b32_e32 v8, v8, v2, vcc
	v_mul_f64 v[8:9], v[8:9], -2.0
	v_cmp_neq_f64_e32 vcc, 0, v[2:3]
	s_mov_b32 s4, 0
	v_cndmask_b32_e32 v3, v91, v9, vcc
	v_cndmask_b32_e32 v2, 0, v8, vcc
	s_brev_b32 s5, 8
	v_cmp_gt_f64_e32 vcc, s[4:5], v[2:3]
	v_cndmask_b32_e64 v8, 0, 1, vcc
	v_lshlrev_b32_e32 v8, 8, v8
	v_ldexp_f64 v[2:3], v[2:3], v8
	v_xor_b32_e32 v6, v0, v6
	v_cvt_f64_u32_e32 v[0:1], v1
	v_rsq_f64_e32 v[8:9], v[2:3]
	v_ldexp_f64 v[0:1], v[0:1], 32
	v_cvt_f64_u32_e32 v[6:7], v6
	v_add_f64 v[0:1], v[0:1], v[6:7]
	v_mov_b32_e32 v6, 0
	v_mov_b32_e32 v7, 0x3cb00000
	v_fmac_f64_e32 v[6:7], 0x3cb00000, v[0:1]
	v_mul_f64 v[0:1], v[2:3], v[8:9]
	v_mul_f64 v[8:9], v[8:9], 0.5
	v_fma_f64 v[10:11], -v[8:9], v[0:1], 0.5
	v_fmac_f64_e32 v[0:1], v[0:1], v[10:11]
	v_fma_f64 v[70:71], -v[0:1], v[0:1], v[2:3]
	v_fmac_f64_e32 v[8:9], v[8:9], v[10:11]
	v_fmac_f64_e32 v[0:1], v[70:71], v[8:9]
	v_fma_f64 v[10:11], -v[0:1], v[0:1], v[2:3]
	v_fmac_f64_e32 v[0:1], v[10:11], v[8:9]
	v_cndmask_b32_e32 v8, 0, v87, vcc
	v_ldexp_f64 v[0:1], v[0:1], v8
	v_cmp_class_f64_e32 vcc, v[2:3], v86
	v_cndmask_b32_e32 v1, v1, v3, vcc
	v_cndmask_b32_e32 v0, v0, v2, vcc
	v_mul_f64 v[2:3], v[6:7], 0.5
	v_fract_f64_e32 v[8:9], v[2:3]
	v_add_f64 v[8:9], v[8:9], v[8:9]
	v_cmp_neq_f64_e32 vcc, s[12:13], v[2:3]
	v_cndmask_b32_e32 v2, 0, v8, vcc
	v_cndmask_b32_e32 v3, 0, v9, vcc
	v_cmp_lt_f64_e32 vcc, 1.0, v[6:7]
	v_cndmask_b32_e32 v3, v7, v3, vcc
	v_cndmask_b32_e32 v2, v6, v2, vcc
	v_add_f64 v[8:9], v[2:3], v[2:3]
	v_rndne_f64_e32 v[8:9], v[8:9]
	v_fmac_f64_e32 v[2:3], -0.5, v[8:9]
	s_mov_b32 s8, 0xf99eb0bb
	v_cvt_i32_f64_e32 v15, v[8:9]
	v_mul_f64 v[8:9], v[2:3], v[2:3]
	v_pk_mov_b32 v[10:11], v[48:49], v[48:49] op_sel:[0,1]
	s_mov_b32 s9, 0x3f3e357e
	v_fmac_f64_e32 v[10:11], s[8:9], v[8:9]
	v_pk_mov_b32 v[70:71], v[50:51], v[50:51] op_sel:[0,1]
	v_fmac_f64_e32 v[70:71], v[8:9], v[10:11]
	v_pk_mov_b32 v[10:11], v[52:53], v[52:53] op_sel:[0,1]
	;; [unrolled: 2-line block ×4, first 2 shown]
	v_fmac_f64_e32 v[10:11], v[8:9], v[70:71]
	v_mul_f64 v[70:71], v[2:3], v[8:9]
	s_mov_b32 s8, 0x54442d18
	v_mul_f64 v[10:11], v[70:71], v[10:11]
	s_mov_b32 s9, 0x400921fb
	v_fmac_f64_e32 v[10:11], s[8:9], v[2:3]
	s_mov_b32 s8, 0x2e21c33
	v_pk_mov_b32 v[2:3], v[58:59], v[58:59] op_sel:[0,1]
	s_mov_b32 s9, 0xbf1b1673
	v_fmac_f64_e32 v[2:3], s[8:9], v[8:9]
	v_pk_mov_b32 v[70:71], v[60:61], v[60:61] op_sel:[0,1]
	v_fmac_f64_e32 v[70:71], v[8:9], v[2:3]
	v_pk_mov_b32 v[2:3], v[62:63], v[62:63] op_sel:[0,1]
	;; [unrolled: 2-line block ×5, first 2 shown]
	v_fmac_f64_e32 v[70:71], v[8:9], v[2:3]
	v_fma_f64 v[2:3], v[8:9], v[70:71], 1.0
	v_and_b32_e32 v9, 1, v15
	v_lshlrev_b32_e32 v8, 30, v15
	v_cmp_eq_u32_e32 vcc, 0, v9
	v_cndmask_b32_e32 v10, v2, v10, vcc
	v_cndmask_b32_e32 v2, v3, v11, vcc
	v_xor_b32_e32 v3, v8, v7
	v_and_b32_e32 v3, 0x80000000, v3
	v_cmp_gt_f64_e32 vcc, s[4:5], v[4:5]
	v_xor_b32_e32 v11, v2, v3
	v_cndmask_b32_e64 v2, 0, 1, vcc
	v_lshlrev_b32_e32 v2, 8, v2
	v_ldexp_f64 v[2:3], v[4:5], v2
	v_rsq_f64_e32 v[8:9], v[2:3]
	v_cmp_lg_f64_e64 s[4:5], s[12:13], v[6:7]
	v_cndmask_b32_e64 v6, 0, v10, s[4:5]
	v_cndmask_b32_e64 v7, v89, v11, s[4:5]
	v_mul_f64 v[0:1], v[0:1], v[6:7]
	v_mul_f64 v[6:7], v[2:3], v[8:9]
	v_mul_f64 v[8:9], v[8:9], 0.5
	v_fma_f64 v[10:11], -v[8:9], v[6:7], 0.5
	v_fmac_f64_e32 v[6:7], v[6:7], v[10:11]
	v_fma_f64 v[70:71], -v[6:7], v[6:7], v[2:3]
	v_fmac_f64_e32 v[8:9], v[8:9], v[10:11]
	v_fmac_f64_e32 v[6:7], v[70:71], v[8:9]
	v_fma_f64 v[10:11], -v[6:7], v[6:7], v[2:3]
	v_fmac_f64_e32 v[6:7], v[10:11], v[8:9]
	v_cndmask_b32_e32 v8, 0, v87, vcc
	v_ldexp_f64 v[6:7], v[6:7], v8
	v_cmp_class_f64_e32 vcc, v[2:3], v86
	v_cndmask_b32_e32 v3, v7, v3, vcc
	v_cndmask_b32_e32 v2, v6, v2, vcc
	v_fmac_f64_e32 v[4:5], v[2:3], v[0:1]
	v_trunc_f64_e32 v[0:1], v[4:5]
	v_add_f64 v[2:3], v[4:5], -v[0:1]
	v_cmp_ge_f64_e64 vcc, |v[2:3]|, 0.5
	v_cndmask_b32_e32 v2, 0, v88, vcc
	s_brev_b32 s4, -2
	v_bfi_b32 v15, s4, v2, v5
	v_add_f64 v[0:1], v[0:1], v[14:15]
	v_cvt_u32_f64_e32 v73, v[0:1]
.LBB90_37:                              ;   in Loop: Header=BB90_6 Depth=1
	s_or_b64 exec, exec, s[0:1]
                                        ; implicit-def: $vgpr6
                                        ; implicit-def: $vgpr70_vgpr71
                                        ; implicit-def: $vgpr15
                                        ; implicit-def: $vgpr94
                                        ; implicit-def: $vgpr95
                                        ; implicit-def: $vgpr103
                                        ; implicit-def: $vgpr93
                                        ; implicit-def: $vgpr3
                                        ; implicit-def: $vgpr4_vgpr5
                                        ; implicit-def: $vgpr96
                                        ; implicit-def: $vgpr97
                                        ; implicit-def: $vgpr98
                                        ; implicit-def: $vgpr99
                                        ; implicit-def: $vgpr101
                                        ; implicit-def: $vgpr102
                                        ; implicit-def: $vgpr104
                                        ; implicit-def: $vgpr105
                                        ; implicit-def: $vgpr106
                                        ; implicit-def: $vgpr107
                                        ; implicit-def: $vgpr108
                                        ; implicit-def: $vgpr109
                                        ; implicit-def: $vgpr110
                                        ; implicit-def: $vgpr111
                                        ; implicit-def: $vgpr100
                                        ; implicit-def: $vgpr112
.LBB90_38:                              ;   in Loop: Header=BB90_6 Depth=1
	s_andn2_saveexec_b64 s[0:1], s[50:51]
	s_cbranch_execz .LBB90_4
; %bb.39:                               ;   in Loop: Header=BB90_6 Depth=1
	v_readlane_b32 s4, v132, 13
	v_readlane_b32 s5, v132, 14
	s_mov_b32 s4, s52
	v_mul_f64 v[8:9], v[4:5], s[4:5]
	v_rndne_f64_e32 v[10:11], v[8:9]
	s_mov_b32 s54, s46
	v_fma_f64 v[4:5], v[10:11], s[54:55], -v[4:5]
	s_mov_b32 s56, s48
	v_fmac_f64_e32 v[4:5], s[56:57], v[10:11]
	v_pk_mov_b32 v[8:9], v[30:31], v[30:31] op_sel:[0,1]
	v_fmac_f64_e32 v[8:9], s[58:59], v[4:5]
	v_pk_mov_b32 v[72:73], v[32:33], v[32:33] op_sel:[0,1]
	;; [unrolled: 2-line block ×9, first 2 shown]
	v_fmac_f64_e32 v[74:75], v[4:5], v[72:73]
	v_fma_f64 v[72:73], v[4:5], v[74:75], 1.0
	v_fma_f64 v[4:5], v[4:5], v[72:73], 1.0
	v_cvt_i32_f64_e32 v7, v[10:11]
	s_mov_b32 s4, 0x44866000
	s_mov_b32 s9, s5
	v_mov_b32_e32 v8, 0
	v_ldexp_f64 v[4:5], v[4:5], v7
	v_cmp_nlt_f32_e32 vcc, s4, v6
	v_writelane_b32 v132, s8, 13
	v_mov_b32_e32 v9, 0x3ff00000
	v_mov_b32_e32 v76, 0
	v_cndmask_b32_e32 v11, 0, v5, vcc
	v_cndmask_b32_e32 v10, 0, v4, vcc
	s_mov_b32 s12, -1
	s_mov_b64 s[4:5], 0
	v_mov_b32_e32 v77, v17
	v_writelane_b32 v132, s9, 14
	s_branch .LBB90_41
.LBB90_40:                              ;   in Loop: Header=BB90_41 Depth=2
	s_or_b64 exec, exec, s[8:9]
	v_cmp_eq_u32_e32 vcc, 1, v15
	v_cndmask_b32_e32 v0, v0, v1, vcc
	v_cmp_eq_u32_e32 vcc, 2, v15
	v_cndmask_b32_e32 v0, v0, v2, vcc
	;; [unrolled: 2-line block ×6, first 2 shown]
	v_lshrrev_b32_e32 v0, 11, v0
	v_cvt_f64_u32_e32 v[0:1], v0
	v_ldexp_f64 v[0:1], v[0:1], 32
	v_cvt_f64_u32_e32 v[2:3], v2
	v_add_f64 v[0:1], v[0:1], v[2:3]
	v_mov_b32_e32 v2, 0
	v_mov_b32_e32 v3, 0x3ca00000
	v_fmac_f64_e32 v[2:3], 0x3ca00000, v[0:1]
	v_mul_f64 v[8:9], v[8:9], v[2:3]
	v_cmp_ngt_f64_e32 vcc, v[8:9], v[10:11]
	s_add_i32 s12, s12, 1
	s_or_b64 s[4:5], vcc, s[4:5]
	v_mov_b32_e32 v73, s12
	v_mov_b32_e32 v15, v79
	;; [unrolled: 1-line block ×6, first 2 shown]
	s_andn2_b64 exec, exec, s[4:5]
	s_cbranch_execz .LBB90_3
.LBB90_41:                              ;   Parent Loop BB90_6 Depth=1
                                        ; =>  This Inner Loop Header: Depth=2
	v_add_u32_e32 v78, 1, v15
	v_pk_mov_b32 v[6:7], v[2:3], v[2:3] op_sel:[0,1]
	v_cmp_eq_u32_e32 vcc, 4, v78
	v_pk_mov_b32 v[4:5], v[0:1], v[0:1] op_sel:[0,1]
	v_mov_b32_e32 v75, v0
	v_mov_b32_e32 v74, v1
	;; [unrolled: 1-line block ×4, first 2 shown]
	s_and_saveexec_b64 s[8:9], vcc
	s_cbranch_execz .LBB90_43
; %bb.42:                               ;   in Loop: Header=BB90_41 Depth=2
	v_add_co_u32_e32 v94, vcc, 1, v94
	v_cndmask_b32_e64 v4, 0, 1, vcc
	v_addc_co_u32_e32 v95, vcc, 0, v95, vcc
	v_cmp_eq_u32_e32 vcc, 0, v95
	v_cndmask_b32_e32 v4, 0, v4, vcc
	v_add_u32_e32 v77, v4, v77
	v_cmp_eq_u32_e32 vcc, 0, v77
	v_cndmask_b32_e32 v4, 0, v4, vcc
	v_add_u32_e32 v76, v4, v76
	v_mad_u64_u32 v[4:5], s[14:15], v94, s33, 0
	v_mad_u64_u32 v[6:7], s[14:15], v77, s11, 0
	v_xor_b32_e32 v5, v5, v71
	v_xor_b32_e32 v7, v7, v70
	v_xor_b32_e32 v5, v76, v5
	v_xor_b32_e32 v7, v95, v7
	v_mad_u64_u32 v[74:75], s[14:15], v5, s11, 0
	v_mad_u64_u32 v[72:73], s[14:15], v7, s33, 0
	v_xor_b32_e32 v5, v96, v75
	v_xor_b32_e32 v5, v5, v6
	v_xor_b32_e32 v6, v97, v73
	v_xor_b32_e32 v6, v6, v4
	;; [unrolled: 6-line block ×10, first 2 shown]
	v_mov_b32_e32 v78, 0
	v_mov_b32_e32 v5, v74
	;; [unrolled: 1-line block ×5, first 2 shown]
.LBB90_43:                              ;   in Loop: Header=BB90_41 Depth=2
	s_or_b64 exec, exec, s[8:9]
	v_add_u32_e32 v79, 1, v78
	v_cmp_eq_u32_e32 vcc, 4, v79
	s_and_saveexec_b64 s[8:9], vcc
	s_cbranch_execz .LBB90_40
; %bb.44:                               ;   in Loop: Header=BB90_41 Depth=2
	v_add_co_u32_e32 v94, vcc, 1, v94
	v_cndmask_b32_e64 v72, 0, 1, vcc
	v_addc_co_u32_e32 v95, vcc, 0, v95, vcc
	v_cmp_eq_u32_e32 vcc, 0, v95
	v_cndmask_b32_e32 v72, 0, v72, vcc
	v_add_u32_e32 v77, v72, v77
	v_cmp_eq_u32_e32 vcc, 0, v77
	v_cndmask_b32_e32 v72, 0, v72, vcc
	v_add_u32_e32 v76, v72, v76
	v_mad_u64_u32 v[72:73], s[14:15], v94, s33, 0
	v_mad_u64_u32 v[74:75], s[14:15], v77, s11, 0
	v_xor_b32_e32 v73, v73, v71
	v_xor_b32_e32 v75, v75, v70
	v_xor_b32_e32 v73, v76, v73
	v_xor_b32_e32 v75, v95, v75
	v_mad_u64_u32 v[82:83], s[14:15], v73, s11, 0
	v_mad_u64_u32 v[80:81], s[14:15], v75, s33, 0
	v_xor_b32_e32 v73, v96, v83
	v_xor_b32_e32 v73, v73, v74
	v_xor_b32_e32 v74, v97, v81
	v_xor_b32_e32 v74, v74, v72
	;; [unrolled: 6-line block ×9, first 2 shown]
	v_mad_u64_u32 v[72:73], s[14:15], v72, s33, 0
	v_mad_u64_u32 v[74:75], s[14:15], v74, s11, 0
	v_xor_b32_e32 v75, v75, v114
	v_xor_b32_e32 v73, v73, v84
	v_mov_b32_e32 v79, 0
	v_xor_b32_e32 v75, v103, v75
	v_xor_b32_e32 v80, v93, v73
	s_branch .LBB90_40
.LBB90_45:
	s_or_b64 exec, exec, s[6:7]
	s_and_b64 exec, exec, s[88:89]
	s_cbranch_execnz .LBB90_48
.LBB90_46:
	s_endpgm
.LBB90_47:
	s_mov_b64 s[88:89], -1
	s_and_b64 exec, exec, s[88:89]
	s_cbranch_execz .LBB90_46
.LBB90_48:
	s_trap 2
	; divergent unreachable
	s_endpgm
	.section	.rodata,"a",@progbits
	.p2align	6, 0x0
	.amdhsa_kernel _ZN2at4cuda12_GLOBAL__N_121kernelPointwiseApply2IZN12_GLOBAL__N_119poisson_cuda_kernelIN3c108BFloat16EEEvRKNS_10TensorBaseES9_NS_15PhiloxCudaStateEEUlRS6_RKS6_E_S6_S6_jLi1ELi1ELi1ELi512ELi2EEEvNS0_6detail10TensorInfoIT0_T2_EENSG_IT1_SI_EESI_T_
		.amdhsa_group_segment_fixed_size 0
		.amdhsa_private_segment_fixed_size 0
		.amdhsa_kernarg_size 728
		.amdhsa_user_sgpr_count 6
		.amdhsa_user_sgpr_private_segment_buffer 1
		.amdhsa_user_sgpr_dispatch_ptr 0
		.amdhsa_user_sgpr_queue_ptr 0
		.amdhsa_user_sgpr_kernarg_segment_ptr 1
		.amdhsa_user_sgpr_dispatch_id 0
		.amdhsa_user_sgpr_flat_scratch_init 0
		.amdhsa_user_sgpr_kernarg_preload_length 0
		.amdhsa_user_sgpr_kernarg_preload_offset 0
		.amdhsa_user_sgpr_private_segment_size 0
		.amdhsa_uses_dynamic_stack 0
		.amdhsa_system_sgpr_private_segment_wavefront_offset 0
		.amdhsa_system_sgpr_workgroup_id_x 1
		.amdhsa_system_sgpr_workgroup_id_y 0
		.amdhsa_system_sgpr_workgroup_id_z 0
		.amdhsa_system_sgpr_workgroup_info 0
		.amdhsa_system_vgpr_workitem_id 0
		.amdhsa_next_free_vgpr 133
		.amdhsa_next_free_sgpr 96
		.amdhsa_accum_offset 136
		.amdhsa_reserve_vcc 1
		.amdhsa_reserve_flat_scratch 0
		.amdhsa_float_round_mode_32 0
		.amdhsa_float_round_mode_16_64 0
		.amdhsa_float_denorm_mode_32 3
		.amdhsa_float_denorm_mode_16_64 3
		.amdhsa_dx10_clamp 1
		.amdhsa_ieee_mode 1
		.amdhsa_fp16_overflow 0
		.amdhsa_tg_split 0
		.amdhsa_exception_fp_ieee_invalid_op 0
		.amdhsa_exception_fp_denorm_src 0
		.amdhsa_exception_fp_ieee_div_zero 0
		.amdhsa_exception_fp_ieee_overflow 0
		.amdhsa_exception_fp_ieee_underflow 0
		.amdhsa_exception_fp_ieee_inexact 0
		.amdhsa_exception_int_div_zero 0
	.end_amdhsa_kernel
	.section	.text._ZN2at4cuda12_GLOBAL__N_121kernelPointwiseApply2IZN12_GLOBAL__N_119poisson_cuda_kernelIN3c108BFloat16EEEvRKNS_10TensorBaseES9_NS_15PhiloxCudaStateEEUlRS6_RKS6_E_S6_S6_jLi1ELi1ELi1ELi512ELi2EEEvNS0_6detail10TensorInfoIT0_T2_EENSG_IT1_SI_EESI_T_,"axG",@progbits,_ZN2at4cuda12_GLOBAL__N_121kernelPointwiseApply2IZN12_GLOBAL__N_119poisson_cuda_kernelIN3c108BFloat16EEEvRKNS_10TensorBaseES9_NS_15PhiloxCudaStateEEUlRS6_RKS6_E_S6_S6_jLi1ELi1ELi1ELi512ELi2EEEvNS0_6detail10TensorInfoIT0_T2_EENSG_IT1_SI_EESI_T_,comdat
.Lfunc_end90:
	.size	_ZN2at4cuda12_GLOBAL__N_121kernelPointwiseApply2IZN12_GLOBAL__N_119poisson_cuda_kernelIN3c108BFloat16EEEvRKNS_10TensorBaseES9_NS_15PhiloxCudaStateEEUlRS6_RKS6_E_S6_S6_jLi1ELi1ELi1ELi512ELi2EEEvNS0_6detail10TensorInfoIT0_T2_EENSG_IT1_SI_EESI_T_, .Lfunc_end90-_ZN2at4cuda12_GLOBAL__N_121kernelPointwiseApply2IZN12_GLOBAL__N_119poisson_cuda_kernelIN3c108BFloat16EEEvRKNS_10TensorBaseES9_NS_15PhiloxCudaStateEEUlRS6_RKS6_E_S6_S6_jLi1ELi1ELi1ELi512ELi2EEEvNS0_6detail10TensorInfoIT0_T2_EENSG_IT1_SI_EESI_T_
                                        ; -- End function
	.section	.AMDGPU.csdata,"",@progbits
; Kernel info:
; codeLenInByte = 13336
; NumSgprs: 100
; NumVgprs: 133
; NumAgprs: 0
; TotalNumVgprs: 133
; ScratchSize: 0
; MemoryBound: 0
; FloatMode: 240
; IeeeMode: 1
; LDSByteSize: 0 bytes/workgroup (compile time only)
; SGPRBlocks: 12
; VGPRBlocks: 16
; NumSGPRsForWavesPerEU: 100
; NumVGPRsForWavesPerEU: 133
; AccumOffset: 136
; Occupancy: 3
; WaveLimiterHint : 1
; COMPUTE_PGM_RSRC2:SCRATCH_EN: 0
; COMPUTE_PGM_RSRC2:USER_SGPR: 6
; COMPUTE_PGM_RSRC2:TRAP_HANDLER: 0
; COMPUTE_PGM_RSRC2:TGID_X_EN: 1
; COMPUTE_PGM_RSRC2:TGID_Y_EN: 0
; COMPUTE_PGM_RSRC2:TGID_Z_EN: 0
; COMPUTE_PGM_RSRC2:TIDIG_COMP_CNT: 0
; COMPUTE_PGM_RSRC3_GFX90A:ACCUM_OFFSET: 33
; COMPUTE_PGM_RSRC3_GFX90A:TG_SPLIT: 0
	.section	.text._ZN2at4cuda12_GLOBAL__N_121kernelPointwiseApply2IZN12_GLOBAL__N_119poisson_cuda_kernelIN3c108BFloat16EEEvRKNS_10TensorBaseES9_NS_15PhiloxCudaStateEEUlRS6_RKS6_E_S6_S6_jLi1ELi2ELi1ELi512ELi2EEEvNS0_6detail10TensorInfoIT0_T2_EENSG_IT1_SI_EESI_T_,"axG",@progbits,_ZN2at4cuda12_GLOBAL__N_121kernelPointwiseApply2IZN12_GLOBAL__N_119poisson_cuda_kernelIN3c108BFloat16EEEvRKNS_10TensorBaseES9_NS_15PhiloxCudaStateEEUlRS6_RKS6_E_S6_S6_jLi1ELi2ELi1ELi512ELi2EEEvNS0_6detail10TensorInfoIT0_T2_EENSG_IT1_SI_EESI_T_,comdat
	.globl	_ZN2at4cuda12_GLOBAL__N_121kernelPointwiseApply2IZN12_GLOBAL__N_119poisson_cuda_kernelIN3c108BFloat16EEEvRKNS_10TensorBaseES9_NS_15PhiloxCudaStateEEUlRS6_RKS6_E_S6_S6_jLi1ELi2ELi1ELi512ELi2EEEvNS0_6detail10TensorInfoIT0_T2_EENSG_IT1_SI_EESI_T_ ; -- Begin function _ZN2at4cuda12_GLOBAL__N_121kernelPointwiseApply2IZN12_GLOBAL__N_119poisson_cuda_kernelIN3c108BFloat16EEEvRKNS_10TensorBaseES9_NS_15PhiloxCudaStateEEUlRS6_RKS6_E_S6_S6_jLi1ELi2ELi1ELi512ELi2EEEvNS0_6detail10TensorInfoIT0_T2_EENSG_IT1_SI_EESI_T_
	.p2align	8
	.type	_ZN2at4cuda12_GLOBAL__N_121kernelPointwiseApply2IZN12_GLOBAL__N_119poisson_cuda_kernelIN3c108BFloat16EEEvRKNS_10TensorBaseES9_NS_15PhiloxCudaStateEEUlRS6_RKS6_E_S6_S6_jLi1ELi2ELi1ELi512ELi2EEEvNS0_6detail10TensorInfoIT0_T2_EENSG_IT1_SI_EESI_T_,@function
_ZN2at4cuda12_GLOBAL__N_121kernelPointwiseApply2IZN12_GLOBAL__N_119poisson_cuda_kernelIN3c108BFloat16EEEvRKNS_10TensorBaseES9_NS_15PhiloxCudaStateEEUlRS6_RKS6_E_S6_S6_jLi1ELi2ELi1ELi512ELi2EEEvNS0_6detail10TensorInfoIT0_T2_EENSG_IT1_SI_EESI_T_: ; @_ZN2at4cuda12_GLOBAL__N_121kernelPointwiseApply2IZN12_GLOBAL__N_119poisson_cuda_kernelIN3c108BFloat16EEEvRKNS_10TensorBaseES9_NS_15PhiloxCudaStateEEUlRS6_RKS6_E_S6_S6_jLi1ELi2ELi1ELi512ELi2EEEvNS0_6detail10TensorInfoIT0_T2_EENSG_IT1_SI_EESI_T_
; %bb.0:
	s_load_dword s2, s[4:5], 0x1e4
	s_load_dword s33, s[4:5], 0x1b0
	s_add_u32 s0, s4, 0x1d8
	s_addc_u32 s1, s5, 0
	s_waitcnt lgkmcnt(0)
	s_and_b32 s2, s2, 0xffff
	s_mul_i32 s6, s6, s2
	v_add_u32_e32 v17, s6, v0
	v_cmp_gt_u32_e32 vcc, s33, v17
	s_and_saveexec_b64 s[6:7], vcc
	s_cbranch_execz .LBB91_47
; %bb.1:
	s_load_dwordx2 s[6:7], s[4:5], 0x0
	s_load_dwordx4 s[16:19], s[4:5], 0x1b8
                                        ; implicit-def: $vgpr134 : SGPR spill to VGPR lane
                                        ; kill: killed $sgpr0 killed $sgpr1
	s_mov_b32 s9, 0xcd9e8d57
	s_mov_b32 s22, 0
	;; [unrolled: 1-line block ×3, first 2 shown]
	s_waitcnt lgkmcnt(0)
	v_writelane_b32 v134, s6, 0
	v_writelane_b32 v134, s7, 1
	s_load_dword s45, s[4:5], 0x6c
	s_load_dwordx2 s[12:13], s[4:5], 0xd8
	s_load_dword s8, s[4:5], 0xe4
	s_load_dwordx2 s[6:7], s[4:5], 0x144
	s_mov_b32 s30, 0x6b47b09a
	s_mov_b32 s34, 0xbf559e2b
	;; [unrolled: 1-line block ×3, first 2 shown]
	s_waitcnt lgkmcnt(0)
	v_cvt_f32_u32_e32 v0, s8
	v_writelane_b32 v134, s6, 2
	v_writelane_b32 v134, s7, 3
	s_load_dword s3, s[0:1], 0x0
	s_load_dwordx2 s[6:7], s[4:5], 0x1c8
	v_writelane_b32 v134, s16, 4
	v_writelane_b32 v134, s17, 5
	;; [unrolled: 1-line block ×4, first 2 shown]
	v_rcp_iflag_f32_e32 v0, v0
	s_waitcnt lgkmcnt(0)
	v_writelane_b32 v134, s6, 8
	v_writelane_b32 v134, s7, 9
	s_load_dword s6, s[4:5], 0x1d0
	v_mul_f32_e32 v0, 0x4f7ffffe, v0
	s_getpc_b64 s[0:1]
	s_add_u32 s0, s0, .str@rel32@lo+4
	s_addc_u32 s1, s1, .str@rel32@hi+12
	v_cvt_u32_f32_e32 v0, v0
	s_cmp_eq_u64 s[0:1], 0
	s_cselect_b64 s[0:1], -1, 0
	s_waitcnt lgkmcnt(0)
	s_bitcmp1_b32 s6, 0
	v_mad_u64_u32 v[12:13], s[6:7], v17, s9, 0
	s_mul_i32 s2, s3, s2
	v_writelane_b32 v134, s2, 10
	s_cselect_b64 s[2:3], -1, 0
	s_sub_i32 s6, 0, s8
	v_mul_lo_u32 v1, s6, v0
	v_mul_hi_u32 v1, v0, v1
	v_mov_b32_e32 v16, v13
	v_add_u32_e32 v13, v0, v1
	v_cndmask_b32_e64 v0, 0, 1, s[2:3]
	s_xor_b64 s[62:63], s[0:1], -1
	v_cmp_ne_u32_e64 s[0:1], 1, v0
	v_writelane_b32 v134, s0, 11
	s_mov_b32 s38, 0x16291751
	s_mov_b32 s40, 0x9b27acf1
	s_mov_b32 s42, 0x998ef7b6
	s_mov_b32 s46, 0xfefa39ef
	s_mov_b32 s48, 0x3b39803f
	s_mov_b32 s52, 0x652b82fe
	s_mov_b32 s58, 0x6a5dcb37
	s_mov_b32 s60, 0
	v_writelane_b32 v134, s1, 12
	s_mov_b32 s64, 0
	s_mov_b32 s66, 0
	;; [unrolled: 1-line block ×13, first 2 shown]
	s_movk_i32 s90, 0xf950
	s_mov_b32 s92, 0xc864beb5
	s_mov_b32 s94, 0
	;; [unrolled: 1-line block ×4, first 2 shown]
                                        ; kill: killed $sgpr4 killed $sgpr5
	s_mov_b64 s[4:5], 0
	v_mov_b32_e32 v14, 0
	s_mov_b32 s11, 0xd2511f53
	s_mov_b32 s23, 0x40080000
	;; [unrolled: 1-line block ×12, first 2 shown]
	s_movk_i32 s10, 0x204
	s_mov_b32 s53, 0x3ff71547
	s_mov_b32 s55, 0xbfe62e42
	;; [unrolled: 1-line block ×5, first 2 shown]
	v_mov_b32_e32 v18, 0x6b47b09a
	v_mov_b32_e32 v20, 0xd7f4df2e
	;; [unrolled: 1-line block ×60, first 2 shown]
	s_mov_b32 s65, 0xc090cc00
	s_mov_b32 s67, 0x40200000
	;; [unrolled: 1-line block ×18, first 2 shown]
	v_writelane_b32 v134, s0, 13
                                        ; implicit-def: $sgpr18_sgpr19
                                        ; implicit-def: $sgpr16_sgpr17
	v_writelane_b32 v134, s1, 14
	s_branch .LBB91_5
.LBB91_2:                               ;   in Loop: Header=BB91_5 Depth=1
	s_or_b64 exec, exec, s[2:3]
	v_readlane_b32 s12, v134, 13
	v_readlane_b32 s13, v134, 14
.LBB91_3:                               ;   in Loop: Header=BB91_5 Depth=1
	s_or_b64 exec, exec, s[0:1]
	v_cvt_f32_u32_e32 v3, v75
	v_readlane_b32 s0, v134, 0
	v_lshlrev_b64 v[0:1], 1, v[70:71]
	v_readlane_b32 s1, v134, 1
	v_mov_b32_e32 v2, s1
	v_add_co_u32_e32 v0, vcc, s0, v0
	v_addc_co_u32_e32 v1, vcc, v2, v1, vcc
	v_bfe_u32 v2, v3, 16, 1
	s_movk_i32 s0, 0x7fff
	v_add3_u32 v2, v3, v2, s0
	v_readlane_b32 s0, v134, 10
	v_add_u32_e32 v95, s0, v95
	v_cmp_le_u32_e32 vcc, s33, v95
	s_andn2_b64 s[16:17], s[16:17], exec
	s_orn2_b64 s[0:1], vcc, exec
	global_store_short_d16_hi v[0:1], v2, off
.LBB91_4:                               ;   in Loop: Header=BB91_5 Depth=1
	s_or_b64 exec, exec, s[26:27]
	s_and_b64 s[0:1], exec, s[0:1]
	s_or_b64 s[4:5], s[0:1], s[4:5]
	s_andn2_b64 s[0:1], s[18:19], exec
	s_and_b64 s[2:3], s[16:17], exec
	s_or_b64 s[18:19], s[0:1], s[2:3]
	s_andn2_b64 exec, exec, s[4:5]
	s_cbranch_execz .LBB91_46
.LBB91_5:                               ; =>This Loop Header: Depth=1
                                        ;     Child Loop BB91_13 Depth 2
                                        ;     Child Loop BB91_42 Depth 2
	v_sub_u32_e32 v0, s33, v95
	v_pk_mov_b32 v[70:71], 0, 0
	v_cmp_lt_i32_e32 vcc, 0, v0
	v_pk_mov_b32 v[0:1], v[70:71], v[70:71] op_sel:[0,1]
	s_and_saveexec_b64 s[0:1], vcc
	s_cbranch_execz .LBB91_7
; %bb.6:                                ;   in Loop: Header=BB91_5 Depth=1
	v_mul_hi_u32 v0, v95, v13
	v_mul_lo_u32 v1, v0, s8
	v_sub_u32_e32 v1, v95, v1
	v_add_u32_e32 v2, 1, v0
	v_cmp_le_u32_e32 vcc, s8, v1
	v_cndmask_b32_e32 v0, v0, v2, vcc
	v_subrev_u32_e32 v2, s8, v1
	v_cndmask_b32_e32 v1, v1, v2, vcc
	v_add_u32_e32 v2, 1, v0
	v_cmp_le_u32_e32 vcc, s8, v1
	v_cndmask_b32_e32 v1, v0, v2, vcc
	v_mul_lo_u32 v0, v1, s8
	v_readlane_b32 s2, v134, 2
	v_sub_u32_e32 v0, v95, v0
	v_readlane_b32 s3, v134, 3
	v_mul_lo_u32 v0, v0, s3
	v_mad_u64_u32 v[0:1], s[2:3], v1, s2, v[0:1]
	v_mul_lo_u32 v70, v95, s45
	v_mov_b32_e32 v71, v14
	v_mov_b32_e32 v1, v14
.LBB91_7:                               ;   in Loop: Header=BB91_5 Depth=1
	s_or_b64 exec, exec, s[0:1]
	v_lshlrev_b64 v[0:1], 1, v[0:1]
	v_add_co_u32_e32 v0, vcc, s12, v0
	v_addc_co_u32_e32 v1, vcc, v88, v1, vcc
	global_load_ushort v0, v[0:1], off
	s_mov_b64 s[0:1], -1
	s_or_b64 s[16:17], s[16:17], exec
	s_waitcnt vmcnt(0)
	v_lshlrev_b32_e32 v6, 16, v0
	v_cmp_le_f32_e32 vcc, 0, v6
	s_and_b64 s[2:3], s[62:63], vcc
	s_and_saveexec_b64 s[26:27], s[2:3]
	s_cbranch_execz .LBB91_4
; %bb.8:                                ;   in Loop: Header=BB91_5 Depth=1
	v_readlane_b32 s0, v134, 11
	v_readlane_b32 s1, v134, 12
	s_and_b64 vcc, exec, s[0:1]
	v_readlane_b32 s0, v134, 4
	v_readlane_b32 s1, v134, 5
	;; [unrolled: 1-line block ×4, first 2 shown]
	v_pk_mov_b32 v[0:1], s[2:3], s[2:3] op_sel:[0,1]
	v_pk_mov_b32 v[72:73], s[0:1], s[0:1] op_sel:[0,1]
	s_cbranch_vccnz .LBB91_10
; %bb.9:                                ;   in Loop: Header=BB91_5 Depth=1
	v_readlane_b32 s0, v134, 4
	v_readlane_b32 s2, v134, 6
	v_readlane_b32 s3, v134, 7
	v_pk_mov_b32 v[0:1], s[2:3], s[2:3] op_sel:[0,1]
	v_readlane_b32 s1, v134, 5
	flat_load_dwordx2 v[0:1], v[0:1]
	v_pk_mov_b32 v[2:3], s[0:1], s[0:1] op_sel:[0,1]
	flat_load_dwordx2 v[72:73], v[2:3]
	v_readlane_b32 s0, v134, 8
	v_readlane_b32 s1, v134, 9
	v_mov_b32_e32 v2, s1
	s_waitcnt vmcnt(0) lgkmcnt(0)
	v_add_co_u32_e32 v0, vcc, s0, v0
	v_addc_co_u32_e32 v1, vcc, v1, v2, vcc
.LBB91_10:                              ;   in Loop: Header=BB91_5 Depth=1
	v_alignbit_b32 v97, v1, v0, 2
	v_and_b32_e32 v15, 3, v0
	v_lshrrev_b32_e32 v98, 2, v1
	v_mad_u64_u32 v[0:1], s[0:1], v97, s11, 0
	v_xor_b32_e32 v3, v16, v72
	v_mov_b32_e32 v2, v73
	v_xor_b32_e32 v1, v1, v73
	s_mov_b32 s0, 0xbb67ae85
	v_xor_b32_e32 v3, v3, v98
	v_add_co_u32_e32 v100, vcc, s0, v2
	v_mad_u64_u32 v[4:5], s[0:1], v3, s11, 0
	v_mad_u64_u32 v[8:9], s[0:1], v1, s9, 0
	v_add_co_u32_e32 v99, vcc, 0x9e3779b9, v72
	v_xor_b32_e32 v1, v12, v9
	v_xor_b32_e32 v3, v100, v5
	s_mov_b32 s0, 0x3c6ef372
	v_xor_b32_e32 v1, v1, v99
	v_xor_b32_e32 v3, v3, v0
	v_add_co_u32_e32 v101, vcc, s0, v72
	s_mov_b32 s0, 0x76cf5d0a
	v_add_co_u32_e32 v102, vcc, s0, v2
	v_mad_u64_u32 v[0:1], s[0:1], v1, s11, 0
	v_mad_u64_u32 v[10:11], s[0:1], v3, s9, 0
	v_xor_b32_e32 v3, v101, v11
	v_xor_b32_e32 v1, v102, v1
	s_mov_b32 s0, 0xdaa66d2b
	v_xor_b32_e32 v3, v3, v8
	v_xor_b32_e32 v1, v1, v4
	v_add_co_u32_e32 v104, vcc, s0, v72
	s_mov_b32 s0, 0x32370b8f
	v_add_co_u32_e32 v105, vcc, s0, v2
	v_mad_u64_u32 v[4:5], s[0:1], v3, s11, 0
	v_mad_u64_u32 v[8:9], s[0:1], v1, s9, 0
	;; [unrolled: 10-line block ×7, first 2 shown]
	v_xor_b32_e32 v1, v103, v1
	v_xor_b32_e32 v3, v115, v3
	;; [unrolled: 1-line block ×4, first 2 shown]
	v_mad_u64_u32 v[4:5], s[0:1], v1, s11, 0
	v_mad_u64_u32 v[8:9], s[0:1], v7, s9, 0
	v_add_u32_e32 v106, 0x8ff34781, v72
	v_add_u32_e32 v96, 0x96a522ad, v73
	v_xor_b32_e32 v0, v9, v0
	v_xor_b32_e32 v2, v5, v2
	s_mov_b32 s0, 0x42800000
	v_mov_b32_e32 v3, v4
	v_mov_b32_e32 v1, v8
	v_xor_b32_e32 v0, v106, v0
	v_xor_b32_e32 v2, v96, v2
	v_cvt_f64_f32_e32 v[4:5], v6
	v_cmp_ngt_f32_e32 vcc, s0, v6
                                        ; implicit-def: $vgpr75
	s_and_saveexec_b64 s[0:1], vcc
	s_xor_b64 s[50:51], exec, s[0:1]
	s_cbranch_execz .LBB91_39
; %bb.11:                               ;   in Loop: Header=BB91_5 Depth=1
	s_mov_b32 s0, 0x457a0000
	v_cmp_ge_f32_e32 vcc, s0, v6
                                        ; implicit-def: $vgpr75
	s_and_saveexec_b64 s[0:1], vcc
	s_xor_b64 s[6:7], exec, s[0:1]
	s_cbranch_execz .LBB91_26
; %bb.12:                               ;   in Loop: Header=BB91_5 Depth=1
	s_mov_b32 s12, 0xae147ae1
	s_mov_b32 s13, 0xc00ae147
	v_div_scale_f64 v[6:7], s[0:1], v[4:5], v[4:5], s[12:13]
	v_rcp_f64_e32 v[8:9], v[6:7]
	s_mov_b32 s0, 0
	v_mul_f64 v[76:77], v[4:5], s[22:23]
	s_brev_b32 s1, 8
	v_cmp_gt_f64_e64 s[2:3], s[0:1], v[76:77]
	v_cndmask_b32_e64 v78, 0, 1, s[2:3]
	v_fma_f64 v[74:75], -v[6:7], v[8:9], 1.0
	v_lshlrev_b32_e32 v78, 8, v78
	v_fmac_f64_e32 v[8:9], v[8:9], v[74:75]
	v_ldexp_f64 v[76:77], v[76:77], v78
	v_fma_f64 v[74:75], -v[6:7], v[8:9], 1.0
	v_rsq_f64_e32 v[78:79], v[76:77]
	v_div_scale_f64 v[10:11], vcc, s[12:13], v[4:5], s[12:13]
	v_fmac_f64_e32 v[8:9], v[8:9], v[74:75]
	v_mul_f64 v[74:75], v[10:11], v[8:9]
	v_fma_f64 v[6:7], -v[6:7], v[74:75], v[10:11]
	s_nop 0
	v_div_fmas_f64 v[6:7], v[6:7], v[8:9], v[74:75]
	v_mul_f64 v[8:9], v[76:77], v[78:79]
	v_mul_f64 v[10:11], v[78:79], 0.5
	v_fma_f64 v[74:75], -v[10:11], v[8:9], 0.5
	v_fmac_f64_e32 v[8:9], v[8:9], v[74:75]
	v_fma_f64 v[78:79], -v[8:9], v[8:9], v[76:77]
	v_fmac_f64_e32 v[10:11], v[10:11], v[74:75]
	v_fmac_f64_e32 v[8:9], v[78:79], v[10:11]
	v_fma_f64 v[74:75], -v[8:9], v[8:9], v[76:77]
	v_fmac_f64_e32 v[8:9], v[74:75], v[10:11]
	v_cndmask_b32_e64 v10, 0, v90, s[2:3]
	v_ldexp_f64 v[8:9], v[8:9], v10
	v_cmp_class_f64_e32 vcc, v[76:77], v89
	s_mov_b32 s2, 0x54442d18
	v_cndmask_b32_e32 v9, v9, v77, vcc
	v_cndmask_b32_e32 v8, v8, v76, vcc
	s_mov_b32 s3, 0x400921fb
	v_div_scale_f64 v[10:11], s[0:1], v[8:9], v[8:9], s[2:3]
	v_rcp_f64_e32 v[76:77], v[10:11]
	s_mov_b32 s0, 0x95810625
	v_div_fixup_f64 v[6:7], v[6:7], v[4:5], s[12:13]
	s_mov_b32 s1, 0x3fe88b43
	v_fma_f64 v[78:79], -v[10:11], v[76:77], 1.0
	v_fmac_f64_e32 v[76:77], v[76:77], v[78:79]
	v_fma_f64 v[78:79], -v[10:11], v[76:77], 1.0
	v_fmac_f64_e32 v[76:77], v[76:77], v[78:79]
	v_div_scale_f64 v[78:79], vcc, s[2:3], v[8:9], s[2:3]
	v_mul_f64 v[80:81], v[78:79], v[76:77]
	v_fma_f64 v[10:11], -v[10:11], v[80:81], v[78:79]
	v_add_f64 v[6:7], v[6:7], s[0:1]
	s_nop 0
	v_div_fmas_f64 v[10:11], v[10:11], v[76:77], v[80:81]
	v_div_fixup_f64 v[76:77], v[10:11], v[8:9], s[2:3]
	v_frexp_mant_f64_e32 v[8:9], v[6:7]
	v_cmp_gt_f64_e32 vcc, s[28:29], v[8:9]
	v_mov_b32_e32 v74, 0
	v_cndmask_b32_e64 v75, v91, 2.0, vcc
	v_frexp_exp_i32_f64_e32 v10, v[6:7]
	v_mul_f64 v[8:9], v[8:9], v[74:75]
	v_subbrev_co_u32_e32 v75, vcc, 0, v10, vcc
	v_add_f64 v[10:11], v[8:9], 1.0
	v_rcp_f64_e32 v[80:81], v[10:11]
	v_add_f64 v[84:85], v[10:11], -1.0
	v_add_f64 v[82:83], v[8:9], -1.0
	v_add_f64 v[8:9], v[8:9], -v[84:85]
	v_fma_f64 v[84:85], -v[10:11], v[80:81], 1.0
	v_fmac_f64_e32 v[80:81], v[84:85], v[80:81]
	v_fma_f64 v[84:85], -v[10:11], v[80:81], 1.0
	v_fmac_f64_e32 v[80:81], v[84:85], v[80:81]
	v_mul_f64 v[84:85], v[82:83], v[80:81]
	v_mul_f64 v[86:87], v[10:11], v[84:85]
	v_fma_f64 v[10:11], v[84:85], v[10:11], -v[86:87]
	v_fmac_f64_e32 v[10:11], v[84:85], v[8:9]
	v_add_f64 v[8:9], v[86:87], v[10:11]
	v_add_f64 v[116:117], v[82:83], -v[8:9]
	v_add_f64 v[86:87], v[8:9], -v[86:87]
	v_add_f64 v[82:83], v[82:83], -v[116:117]
	v_add_f64 v[8:9], v[82:83], -v[8:9]
	v_add_f64 v[10:11], v[86:87], -v[10:11]
	v_add_f64 v[8:9], v[10:11], v[8:9]
	v_add_f64 v[8:9], v[116:117], v[8:9]
	v_mul_f64 v[8:9], v[80:81], v[8:9]
	v_add_f64 v[10:11], v[84:85], v[8:9]
	v_add_f64 v[80:81], v[10:11], -v[84:85]
	v_add_f64 v[8:9], v[8:9], -v[80:81]
	v_mul_f64 v[80:81], v[10:11], v[10:11]
	v_pk_mov_b32 v[82:83], s[30:31], s[30:31] op_sel:[0,1]
	v_fma_f64 v[84:85], s[34:35], v[80:81], v[82:83]
	v_fma_f64 v[84:85], v[80:81], v[84:85], s[36:37]
	v_fma_f64 v[84:85], v[80:81], v[84:85], s[38:39]
	v_fma_f64 v[84:85], v[80:81], v[84:85], s[40:41]
	s_mov_b32 s24, s45
	v_fma_f64 v[84:85], v[80:81], v[84:85], s[42:43]
	s_mov_b32 s45, s29
	v_fma_f64 v[84:85], v[80:81], v[84:85], s[44:45]
	v_ldexp_f64 v[86:87], v[10:11], 1
	v_mul_f64 v[10:11], v[10:11], v[80:81]
	v_mul_f64 v[10:11], v[10:11], v[84:85]
	v_add_f64 v[80:81], v[86:87], v[10:11]
	v_add_f64 v[84:85], v[80:81], -v[86:87]
	v_ldexp_f64 v[8:9], v[8:9], 1
	v_add_f64 v[10:11], v[10:11], -v[84:85]
	v_add_f64 v[8:9], v[8:9], v[10:11]
	v_add_f64 v[10:11], v[80:81], v[8:9]
	v_add_f64 v[80:81], v[10:11], -v[80:81]
	v_add_f64 v[8:9], v[8:9], -v[80:81]
	v_cvt_f64_i32_e32 v[80:81], v75
	v_mul_f64 v[84:85], v[80:81], s[46:47]
	v_fma_f64 v[86:87], v[80:81], s[46:47], -v[84:85]
	v_fmac_f64_e32 v[86:87], s[48:49], v[80:81]
	v_add_f64 v[80:81], v[84:85], v[86:87]
	v_add_f64 v[84:85], v[80:81], -v[84:85]
	v_add_f64 v[84:85], v[86:87], -v[84:85]
	v_add_f64 v[86:87], v[80:81], v[10:11]
	v_add_f64 v[116:117], v[86:87], -v[80:81]
	v_add_f64 v[118:119], v[86:87], -v[116:117]
	;; [unrolled: 1-line block ×4, first 2 shown]
	v_add_f64 v[10:11], v[10:11], v[80:81]
	v_add_f64 v[80:81], v[84:85], v[8:9]
	v_add_f64 v[116:117], v[80:81], -v[84:85]
	v_add_f64 v[118:119], v[80:81], -v[116:117]
	v_add_f64 v[10:11], v[80:81], v[10:11]
	v_add_f64 v[84:85], v[84:85], -v[118:119]
	v_add_f64 v[8:9], v[8:9], -v[116:117]
	v_add_f64 v[80:81], v[86:87], v[10:11]
	v_add_f64 v[8:9], v[8:9], v[84:85]
	v_add_f64 v[84:85], v[80:81], -v[86:87]
	v_add_f64 v[10:11], v[10:11], -v[84:85]
	v_add_f64 v[8:9], v[8:9], v[10:11]
	v_add_f64 v[8:9], v[80:81], v[8:9]
	v_cmp_class_f64_e64 vcc, v[6:7], s10
	v_cndmask_b32_e32 v8, v8, v6, vcc
	v_cndmask_b32_e32 v9, v9, v7, vcc
	v_cmp_ngt_f64_e32 vcc, 0, v[6:7]
	v_cndmask_b32_e32 v9, v92, v9, vcc
	v_cmp_nge_f64_e32 vcc, 0, v[6:7]
	v_cndmask_b32_e32 v8, 0, v8, vcc
	v_cmp_neq_f64_e32 vcc, 0, v[6:7]
	v_cndmask_b32_e32 v9, v93, v9, vcc
	v_add_f64 v[6:7], v[8:9], -v[4:5]
	v_frexp_mant_f64_e32 v[8:9], v[76:77]
	v_cmp_gt_f64_e32 vcc, s[28:29], v[8:9]
	v_cndmask_b32_e64 v75, v91, 2.0, vcc
	v_frexp_exp_i32_f64_e32 v10, v[76:77]
	v_mul_f64 v[8:9], v[8:9], v[74:75]
	v_subbrev_co_u32_e32 v75, vcc, 0, v10, vcc
	v_add_f64 v[10:11], v[8:9], 1.0
	v_rcp_f64_e32 v[80:81], v[10:11]
	v_add_f64 v[86:87], v[10:11], -1.0
	v_add_f64 v[84:85], v[8:9], -1.0
	v_add_f64 v[8:9], v[8:9], -v[86:87]
	v_fma_f64 v[86:87], -v[10:11], v[80:81], 1.0
	v_fmac_f64_e32 v[80:81], v[86:87], v[80:81]
	v_fma_f64 v[86:87], -v[10:11], v[80:81], 1.0
	v_fmac_f64_e32 v[80:81], v[86:87], v[80:81]
	v_mul_f64 v[86:87], v[84:85], v[80:81]
	v_mul_f64 v[116:117], v[10:11], v[86:87]
	v_fma_f64 v[10:11], v[86:87], v[10:11], -v[116:117]
	v_fmac_f64_e32 v[10:11], v[86:87], v[8:9]
	v_add_f64 v[8:9], v[116:117], v[10:11]
	v_add_f64 v[118:119], v[84:85], -v[8:9]
	v_add_f64 v[116:117], v[8:9], -v[116:117]
	;; [unrolled: 1-line block ×5, first 2 shown]
	v_add_f64 v[8:9], v[10:11], v[8:9]
	v_add_f64 v[8:9], v[118:119], v[8:9]
	v_mul_f64 v[8:9], v[80:81], v[8:9]
	v_add_f64 v[10:11], v[86:87], v[8:9]
	v_add_f64 v[80:81], v[10:11], -v[86:87]
	v_add_f64 v[8:9], v[8:9], -v[80:81]
	v_mul_f64 v[80:81], v[10:11], v[10:11]
	v_fma_f64 v[84:85], s[34:35], v[80:81], v[82:83]
	v_fma_f64 v[84:85], v[80:81], v[84:85], s[36:37]
	;; [unrolled: 1-line block ×6, first 2 shown]
	v_ldexp_f64 v[86:87], v[10:11], 1
	v_mul_f64 v[10:11], v[10:11], v[80:81]
	v_mul_f64 v[10:11], v[10:11], v[84:85]
	v_add_f64 v[80:81], v[86:87], v[10:11]
	v_add_f64 v[84:85], v[80:81], -v[86:87]
	v_ldexp_f64 v[8:9], v[8:9], 1
	v_add_f64 v[10:11], v[10:11], -v[84:85]
	v_add_f64 v[8:9], v[8:9], v[10:11]
	v_add_f64 v[10:11], v[80:81], v[8:9]
	v_add_f64 v[80:81], v[10:11], -v[80:81]
	v_add_f64 v[8:9], v[8:9], -v[80:81]
	v_cvt_f64_i32_e32 v[80:81], v75
	v_mul_f64 v[84:85], v[80:81], s[46:47]
	v_fma_f64 v[86:87], v[80:81], s[46:47], -v[84:85]
	v_fmac_f64_e32 v[86:87], s[48:49], v[80:81]
	v_add_f64 v[80:81], v[84:85], v[86:87]
	v_add_f64 v[84:85], v[80:81], -v[84:85]
	v_add_f64 v[84:85], v[86:87], -v[84:85]
	v_add_f64 v[86:87], v[80:81], v[10:11]
	v_add_f64 v[116:117], v[86:87], -v[80:81]
	v_add_f64 v[118:119], v[86:87], -v[116:117]
	;; [unrolled: 1-line block ×4, first 2 shown]
	v_add_f64 v[10:11], v[10:11], v[80:81]
	v_add_f64 v[80:81], v[84:85], v[8:9]
	v_add_f64 v[116:117], v[80:81], -v[84:85]
	v_add_f64 v[118:119], v[80:81], -v[116:117]
	v_add_f64 v[10:11], v[80:81], v[10:11]
	v_add_f64 v[84:85], v[84:85], -v[118:119]
	v_add_f64 v[8:9], v[8:9], -v[116:117]
	v_add_f64 v[80:81], v[86:87], v[10:11]
	v_add_f64 v[8:9], v[8:9], v[84:85]
	v_add_f64 v[84:85], v[80:81], -v[86:87]
	v_add_f64 v[10:11], v[10:11], -v[84:85]
	s_mov_b32 s0, 0
	v_add_f64 v[8:9], v[8:9], v[10:11]
	s_mov_b32 s1, 0x7ff00000
	v_add_f64 v[8:9], v[80:81], v[8:9]
	v_cmp_eq_f64_e32 vcc, s[0:1], v[76:77]
	v_cndmask_b32_e32 v8, v8, v76, vcc
	v_cndmask_b32_e32 v9, v9, v77, vcc
	v_cmp_neq_f64_e32 vcc, 0, v[76:77]
	v_cndmask_b32_e32 v9, v93, v9, vcc
	v_cndmask_b32_e32 v8, 0, v8, vcc
	v_mul_f64 v[78:79], v[76:77], v[4:5]
	v_add_f64 v[80:81], v[6:7], -v[8:9]
	v_frexp_exp_i32_f64_e32 v6, v[4:5]
	v_frexp_mant_f64_e32 v[4:5], v[4:5]
	v_cmp_gt_f64_e32 vcc, s[28:29], v[4:5]
	v_cndmask_b32_e64 v75, v91, 2.0, vcc
	v_mul_f64 v[4:5], v[4:5], v[74:75]
	v_subbrev_co_u32_e32 v75, vcc, 0, v6, vcc
	v_add_f64 v[6:7], v[4:5], 1.0
	v_rcp_f64_e32 v[8:9], v[6:7]
	v_add_f64 v[84:85], v[6:7], -1.0
	v_add_f64 v[10:11], v[4:5], -1.0
	v_add_f64 v[4:5], v[4:5], -v[84:85]
	v_fma_f64 v[84:85], -v[6:7], v[8:9], 1.0
	v_fmac_f64_e32 v[8:9], v[84:85], v[8:9]
	v_fma_f64 v[84:85], -v[6:7], v[8:9], 1.0
	v_fmac_f64_e32 v[8:9], v[84:85], v[8:9]
	v_mul_f64 v[84:85], v[10:11], v[8:9]
	v_mul_f64 v[86:87], v[6:7], v[84:85]
	v_fma_f64 v[6:7], v[84:85], v[6:7], -v[86:87]
	v_fmac_f64_e32 v[6:7], v[84:85], v[4:5]
	v_add_f64 v[4:5], v[86:87], v[6:7]
	v_add_f64 v[116:117], v[10:11], -v[4:5]
	v_add_f64 v[86:87], v[4:5], -v[86:87]
	;; [unrolled: 1-line block ×5, first 2 shown]
	v_add_f64 v[4:5], v[6:7], v[4:5]
	v_add_f64 v[4:5], v[116:117], v[4:5]
	v_mul_f64 v[4:5], v[8:9], v[4:5]
	v_add_f64 v[6:7], v[84:85], v[4:5]
	v_add_f64 v[8:9], v[6:7], -v[84:85]
	v_add_f64 v[4:5], v[4:5], -v[8:9]
	v_mul_f64 v[8:9], v[6:7], v[6:7]
	v_fmac_f64_e32 v[82:83], s[34:35], v[8:9]
	v_fma_f64 v[10:11], v[8:9], v[82:83], s[36:37]
	v_fma_f64 v[10:11], v[8:9], v[10:11], s[38:39]
	;; [unrolled: 1-line block ×5, first 2 shown]
	v_ldexp_f64 v[82:83], v[6:7], 1
	v_mul_f64 v[6:7], v[6:7], v[8:9]
	v_mul_f64 v[6:7], v[6:7], v[10:11]
	v_add_f64 v[8:9], v[82:83], v[6:7]
	v_add_f64 v[10:11], v[8:9], -v[82:83]
	v_ldexp_f64 v[4:5], v[4:5], 1
	v_add_f64 v[6:7], v[6:7], -v[10:11]
	v_add_f64 v[4:5], v[4:5], v[6:7]
	v_add_f64 v[6:7], v[8:9], v[4:5]
	v_add_f64 v[8:9], v[6:7], -v[8:9]
	v_add_f64 v[4:5], v[4:5], -v[8:9]
	v_cvt_f64_i32_e32 v[8:9], v75
	v_mul_f64 v[10:11], v[8:9], s[46:47]
	v_fma_f64 v[82:83], v[8:9], s[46:47], -v[10:11]
	v_fmac_f64_e32 v[82:83], s[48:49], v[8:9]
	v_add_f64 v[8:9], v[10:11], v[82:83]
	v_add_f64 v[10:11], v[8:9], -v[10:11]
	v_add_f64 v[10:11], v[82:83], -v[10:11]
	v_add_f64 v[82:83], v[8:9], v[6:7]
	v_add_f64 v[84:85], v[82:83], -v[8:9]
	v_add_f64 v[86:87], v[82:83], -v[84:85]
	v_add_f64 v[8:9], v[8:9], -v[86:87]
	v_add_f64 v[6:7], v[6:7], -v[84:85]
	v_add_f64 v[6:7], v[6:7], v[8:9]
	v_add_f64 v[8:9], v[10:11], v[4:5]
	v_add_f64 v[84:85], v[8:9], -v[10:11]
	v_add_f64 v[86:87], v[8:9], -v[84:85]
	v_add_f64 v[6:7], v[8:9], v[6:7]
	v_add_f64 v[10:11], v[10:11], -v[86:87]
	v_add_f64 v[4:5], v[4:5], -v[84:85]
	v_add_f64 v[8:9], v[82:83], v[6:7]
	v_add_f64 v[4:5], v[4:5], v[10:11]
	v_add_f64 v[10:11], v[8:9], -v[82:83]
	v_add_f64 v[6:7], v[6:7], -v[10:11]
	v_add_f64 v[4:5], v[4:5], v[6:7]
	v_add_f64 v[82:83], v[8:9], v[4:5]
	s_mov_b64 s[14:15], 0
	s_mov_b64 s[12:13], 0
	v_mov_b32_e32 v116, v17
                                        ; implicit-def: $vgpr75
.LBB91_13:                              ;   Parent Loop BB91_5 Depth=1
                                        ; =>  This Inner Loop Header: Depth=2
	v_add_u32_e32 v117, 1, v15
	v_pk_mov_b32 v[10:11], v[2:3], v[2:3] op_sel:[0,1]
	v_cmp_eq_u32_e32 vcc, 4, v117
	v_pk_mov_b32 v[8:9], v[0:1], v[0:1] op_sel:[0,1]
	v_mov_b32_e32 v87, v0
	v_mov_b32_e32 v86, v1
	;; [unrolled: 1-line block ×4, first 2 shown]
	s_and_saveexec_b64 s[0:1], vcc
	s_cbranch_execz .LBB91_15
; %bb.14:                               ;   in Loop: Header=BB91_13 Depth=2
	v_add_co_u32_e32 v97, vcc, 1, v97
	v_cndmask_b32_e64 v4, 0, 1, vcc
	v_addc_co_u32_e32 v98, vcc, 0, v98, vcc
	v_cmp_eq_u32_e32 vcc, 0, v98
	v_cndmask_b32_e32 v4, 0, v4, vcc
	v_add_u32_e32 v116, v4, v116
	v_cmp_eq_u32_e32 vcc, 0, v116
	v_cndmask_b32_e32 v4, 0, v4, vcc
	v_add_u32_e32 v74, v4, v74
	v_mad_u64_u32 v[4:5], s[2:3], v97, s11, 0
	v_mad_u64_u32 v[6:7], s[2:3], v116, s9, 0
	v_xor_b32_e32 v5, v5, v73
	v_xor_b32_e32 v7, v7, v72
	v_xor_b32_e32 v5, v74, v5
	v_xor_b32_e32 v7, v98, v7
	v_mad_u64_u32 v[10:11], s[2:3], v5, s9, 0
	v_mad_u64_u32 v[8:9], s[2:3], v7, s11, 0
	v_xor_b32_e32 v5, v99, v11
	v_xor_b32_e32 v5, v5, v6
	v_xor_b32_e32 v6, v100, v9
	v_xor_b32_e32 v6, v6, v4
	;; [unrolled: 6-line block ×10, first 2 shown]
	v_mov_b32_e32 v117, 0
	v_mov_b32_e32 v9, v86
	v_mov_b32_e32 v11, v84
	v_mov_b32_e32 v87, v8
	v_mov_b32_e32 v85, v10
.LBB91_15:                              ;   in Loop: Header=BB91_13 Depth=2
	s_or_b64 exec, exec, s[0:1]
	v_add_u32_e32 v118, 1, v117
	v_pk_mov_b32 v[4:5], v[8:9], v[8:9] op_sel:[0,1]
	v_cmp_eq_u32_e32 vcc, 4, v118
	v_pk_mov_b32 v[6:7], v[10:11], v[10:11] op_sel:[0,1]
	s_and_saveexec_b64 s[0:1], vcc
	s_cbranch_execz .LBB91_17
; %bb.16:                               ;   in Loop: Header=BB91_13 Depth=2
	v_add_co_u32_e32 v97, vcc, 1, v97
	v_cndmask_b32_e64 v4, 0, 1, vcc
	v_addc_co_u32_e32 v98, vcc, 0, v98, vcc
	v_cmp_eq_u32_e32 vcc, 0, v98
	v_cndmask_b32_e32 v4, 0, v4, vcc
	v_add_u32_e32 v116, v4, v116
	v_cmp_eq_u32_e32 vcc, 0, v116
	v_cndmask_b32_e32 v4, 0, v4, vcc
	v_add_u32_e32 v74, v4, v74
	v_mad_u64_u32 v[4:5], s[2:3], v97, s11, 0
	v_mad_u64_u32 v[6:7], s[2:3], v116, s9, 0
	v_xor_b32_e32 v5, v5, v73
	v_xor_b32_e32 v7, v7, v72
	v_xor_b32_e32 v5, v74, v5
	v_xor_b32_e32 v7, v98, v7
	v_mad_u64_u32 v[86:87], s[2:3], v5, s9, 0
	v_mad_u64_u32 v[84:85], s[2:3], v7, s11, 0
	v_xor_b32_e32 v5, v99, v87
	v_xor_b32_e32 v5, v5, v6
	v_xor_b32_e32 v6, v100, v85
	v_xor_b32_e32 v6, v6, v4
	;; [unrolled: 6-line block ×10, first 2 shown]
	v_mov_b32_e32 v118, 0
	v_mov_b32_e32 v5, v86
	;; [unrolled: 1-line block ×5, first 2 shown]
.LBB91_17:                              ;   in Loop: Header=BB91_13 Depth=2
	s_or_b64 exec, exec, s[0:1]
	v_cmp_eq_u32_e32 vcc, 1, v15
	v_cndmask_b32_e32 v0, v0, v1, vcc
	v_cmp_eq_u32_e32 vcc, 2, v15
	v_cndmask_b32_e32 v0, v0, v2, vcc
	;; [unrolled: 2-line block ×6, first 2 shown]
	v_lshrrev_b32_e32 v0, 11, v0
	v_cvt_f64_u32_e32 v[0:1], v0
	v_ldexp_f64 v[0:1], v[0:1], 32
	v_cvt_f64_u32_e32 v[2:3], v2
	v_add_f64 v[0:1], v[0:1], v[2:3]
	v_mov_b32_e32 v2, 0
	v_mov_b32_e32 v3, 0x3ca00000
	v_fmac_f64_e32 v[2:3], 0x3ca00000, v[0:1]
	v_add_f64 v[0:1], -v[2:3], 1.0
	v_div_scale_f64 v[8:9], s[0:1], v[2:3], v[2:3], v[0:1]
	v_rcp_f64_e32 v[10:11], v[8:9]
	v_mov_b32_e32 v119, 2
	v_fma_f64 v[120:121], -v[8:9], v[10:11], 1.0
	v_fmac_f64_e32 v[10:11], v[10:11], v[120:121]
	v_fma_f64 v[120:121], -v[8:9], v[10:11], 1.0
	v_fmac_f64_e32 v[10:11], v[10:11], v[120:121]
	v_div_scale_f64 v[120:121], vcc, v[0:1], v[2:3], v[0:1]
	v_mul_f64 v[122:123], v[120:121], v[10:11]
	v_fma_f64 v[8:9], -v[8:9], v[122:123], v[120:121]
	s_nop 1
	v_div_fmas_f64 v[8:9], v[8:9], v[10:11], v[122:123]
	v_div_fixup_f64 v[0:1], v[8:9], v[2:3], v[0:1]
	v_frexp_mant_f64_e32 v[2:3], v[0:1]
	v_cmp_gt_f64_e32 vcc, s[28:29], v[2:3]
	v_cndmask_b32_e64 v15, v91, 2.0, vcc
	v_frexp_exp_i32_f64_e32 v8, v[0:1]
	v_mul_f64 v[2:3], v[2:3], v[14:15]
	v_subbrev_co_u32_e32 v15, vcc, 0, v8, vcc
	v_add_f64 v[8:9], v[2:3], 1.0
	v_rcp_f64_e32 v[10:11], v[8:9]
	v_add_f64 v[122:123], v[8:9], -1.0
	v_add_f64 v[120:121], v[2:3], -1.0
	v_add_f64 v[2:3], v[2:3], -v[122:123]
	v_fma_f64 v[122:123], -v[8:9], v[10:11], 1.0
	v_fmac_f64_e32 v[10:11], v[122:123], v[10:11]
	v_fma_f64 v[122:123], -v[8:9], v[10:11], 1.0
	v_fmac_f64_e32 v[10:11], v[122:123], v[10:11]
	v_mul_f64 v[122:123], v[120:121], v[10:11]
	v_mul_f64 v[124:125], v[8:9], v[122:123]
	v_fma_f64 v[8:9], v[122:123], v[8:9], -v[124:125]
	v_fmac_f64_e32 v[8:9], v[122:123], v[2:3]
	v_add_f64 v[2:3], v[124:125], v[8:9]
	v_add_f64 v[126:127], v[120:121], -v[2:3]
	v_add_f64 v[124:125], v[2:3], -v[124:125]
	;; [unrolled: 1-line block ×5, first 2 shown]
	v_add_f64 v[2:3], v[8:9], v[2:3]
	v_add_f64 v[2:3], v[126:127], v[2:3]
	v_mul_f64 v[2:3], v[10:11], v[2:3]
	v_add_f64 v[8:9], v[122:123], v[2:3]
	v_add_f64 v[10:11], v[8:9], -v[122:123]
	v_add_f64 v[2:3], v[2:3], -v[10:11]
	v_mul_f64 v[10:11], v[8:9], v[8:9]
	v_pk_mov_b32 v[120:121], v[18:19], v[18:19] op_sel:[0,1]
	v_fmac_f64_e32 v[120:121], s[34:35], v[10:11]
	v_pk_mov_b32 v[122:123], v[20:21], v[20:21] op_sel:[0,1]
	v_fmac_f64_e32 v[122:123], v[10:11], v[120:121]
	;; [unrolled: 2-line block ×6, first 2 shown]
	v_ldexp_f64 v[120:121], v[8:9], 1
	v_mul_f64 v[8:9], v[8:9], v[10:11]
	v_mul_f64 v[8:9], v[8:9], v[122:123]
	v_add_f64 v[10:11], v[120:121], v[8:9]
	v_add_f64 v[120:121], v[10:11], -v[120:121]
	v_ldexp_f64 v[2:3], v[2:3], 1
	v_add_f64 v[8:9], v[8:9], -v[120:121]
	v_add_f64 v[2:3], v[2:3], v[8:9]
	v_add_f64 v[8:9], v[10:11], v[2:3]
	v_add_f64 v[10:11], v[8:9], -v[10:11]
	v_add_f64 v[2:3], v[2:3], -v[10:11]
	v_cvt_f64_i32_e32 v[10:11], v15
	v_mul_f64 v[120:121], v[10:11], s[46:47]
	v_fma_f64 v[122:123], v[10:11], s[46:47], -v[120:121]
	v_fmac_f64_e32 v[122:123], s[48:49], v[10:11]
	v_add_f64 v[10:11], v[120:121], v[122:123]
	v_add_f64 v[120:121], v[10:11], -v[120:121]
	v_add_f64 v[120:121], v[122:123], -v[120:121]
	v_add_f64 v[122:123], v[10:11], v[8:9]
	v_add_f64 v[124:125], v[122:123], -v[10:11]
	v_add_f64 v[126:127], v[122:123], -v[124:125]
	;; [unrolled: 1-line block ×4, first 2 shown]
	v_add_f64 v[8:9], v[8:9], v[10:11]
	v_add_f64 v[10:11], v[120:121], v[2:3]
	v_add_f64 v[124:125], v[10:11], -v[120:121]
	v_add_f64 v[126:127], v[10:11], -v[124:125]
	v_add_f64 v[8:9], v[10:11], v[8:9]
	v_add_f64 v[120:121], v[120:121], -v[126:127]
	v_add_f64 v[2:3], v[2:3], -v[124:125]
	v_add_f64 v[10:11], v[122:123], v[8:9]
	v_add_f64 v[2:3], v[2:3], v[120:121]
	v_add_f64 v[120:121], v[10:11], -v[122:123]
	v_add_f64 v[8:9], v[8:9], -v[120:121]
	v_add_f64 v[2:3], v[2:3], v[8:9]
	v_add_f64 v[2:3], v[10:11], v[2:3]
	v_cmp_class_f64_e64 vcc, v[0:1], s10
	v_cndmask_b32_e32 v2, v2, v0, vcc
	v_cndmask_b32_e32 v3, v3, v1, vcc
	v_cmp_ngt_f64_e32 vcc, 0, v[0:1]
	v_cndmask_b32_e32 v3, v92, v3, vcc
	v_cmp_nge_f64_e32 vcc, 0, v[0:1]
	v_cndmask_b32_e32 v2, 0, v2, vcc
	v_cmp_neq_f64_e32 vcc, 0, v[0:1]
	v_cndmask_b32_e32 v3, v93, v3, vcc
	v_add_f64 v[0:1], v[78:79], -v[2:3]
	v_div_scale_f64 v[2:3], s[0:1], v[76:77], v[76:77], v[0:1]
	v_rcp_f64_e32 v[8:9], v[2:3]
	v_fma_f64 v[10:11], -v[2:3], v[8:9], 1.0
	v_fmac_f64_e32 v[8:9], v[8:9], v[10:11]
	v_fma_f64 v[10:11], -v[2:3], v[8:9], 1.0
	v_fmac_f64_e32 v[8:9], v[8:9], v[10:11]
	v_div_scale_f64 v[10:11], vcc, v[0:1], v[76:77], v[0:1]
	v_mul_f64 v[120:121], v[10:11], v[8:9]
	v_fma_f64 v[2:3], -v[2:3], v[120:121], v[10:11]
	s_nop 1
	v_div_fmas_f64 v[2:3], v[2:3], v[8:9], v[120:121]
	v_div_fixup_f64 v[10:11], v[2:3], v[76:77], v[0:1]
	v_add_f64 v[0:1], v[10:11], 0.5
	v_floor_f64_e32 v[8:9], v[0:1]
	v_cmp_ngt_f64_e32 vcc, 0, v[8:9]
	s_and_saveexec_b64 s[0:1], vcc
	s_cbranch_execz .LBB91_23
; %bb.18:                               ;   in Loop: Header=BB91_13 Depth=2
	v_add_u32_e32 v15, 1, v118
	v_pk_mov_b32 v[0:1], v[4:5], v[4:5] op_sel:[0,1]
	v_cmp_eq_u32_e32 vcc, 4, v15
	v_pk_mov_b32 v[2:3], v[6:7], v[6:7] op_sel:[0,1]
	s_and_saveexec_b64 s[2:3], vcc
	s_cbranch_execz .LBB91_20
; %bb.19:                               ;   in Loop: Header=BB91_13 Depth=2
	v_add_co_u32_e32 v97, vcc, 1, v97
	v_cndmask_b32_e64 v0, 0, 1, vcc
	v_addc_co_u32_e32 v98, vcc, 0, v98, vcc
	v_cmp_eq_u32_e32 vcc, 0, v98
	v_cndmask_b32_e32 v0, 0, v0, vcc
	v_add_u32_e32 v116, v0, v116
	v_cmp_eq_u32_e32 vcc, 0, v116
	v_cndmask_b32_e32 v0, 0, v0, vcc
	v_add_u32_e32 v74, v0, v74
	v_mad_u64_u32 v[0:1], vcc, v97, s11, 0
	v_mad_u64_u32 v[2:3], vcc, v116, s9, 0
	v_xor_b32_e32 v1, v1, v73
	v_xor_b32_e32 v3, v3, v72
	v_xor_b32_e32 v1, v74, v1
	v_xor_b32_e32 v3, v98, v3
	v_mad_u64_u32 v[86:87], vcc, v1, s9, 0
	v_mad_u64_u32 v[84:85], vcc, v3, s11, 0
	v_xor_b32_e32 v1, v99, v87
	v_xor_b32_e32 v1, v1, v2
	v_xor_b32_e32 v2, v100, v85
	v_xor_b32_e32 v2, v2, v0
	v_mad_u64_u32 v[0:1], vcc, v1, s11, 0
	v_mad_u64_u32 v[2:3], vcc, v2, s9, 0
	v_xor_b32_e32 v1, v102, v1
	v_xor_b32_e32 v3, v101, v3
	v_xor_b32_e32 v1, v1, v84
	v_xor_b32_e32 v3, v3, v86
	v_mad_u64_u32 v[86:87], vcc, v1, s9, 0
	v_mad_u64_u32 v[84:85], vcc, v3, s11, 0
	v_xor_b32_e32 v1, v104, v87
	v_xor_b32_e32 v1, v1, v2
	v_xor_b32_e32 v2, v105, v85
	v_xor_b32_e32 v2, v2, v0
	v_mad_u64_u32 v[0:1], vcc, v1, s11, 0
	v_mad_u64_u32 v[2:3], vcc, v2, s9, 0
	v_xor_b32_e32 v1, v108, v1
	v_xor_b32_e32 v3, v107, v3
	v_xor_b32_e32 v1, v1, v84
	v_xor_b32_e32 v3, v3, v86
	v_mad_u64_u32 v[86:87], vcc, v1, s9, 0
	v_mad_u64_u32 v[84:85], vcc, v3, s11, 0
	v_xor_b32_e32 v1, v109, v87
	v_xor_b32_e32 v1, v1, v2
	v_xor_b32_e32 v2, v110, v85
	v_xor_b32_e32 v2, v2, v0
	v_mad_u64_u32 v[0:1], vcc, v1, s11, 0
	v_mad_u64_u32 v[2:3], vcc, v2, s9, 0
	v_xor_b32_e32 v1, v112, v1
	v_xor_b32_e32 v3, v111, v3
	v_xor_b32_e32 v1, v1, v84
	v_xor_b32_e32 v3, v3, v86
	v_mad_u64_u32 v[86:87], vcc, v1, s9, 0
	v_mad_u64_u32 v[84:85], vcc, v3, s11, 0
	v_xor_b32_e32 v1, v113, v87
	v_xor_b32_e32 v1, v1, v2
	v_xor_b32_e32 v2, v114, v85
	v_xor_b32_e32 v0, v2, v0
	v_mad_u64_u32 v[2:3], vcc, v1, s11, 0
	v_mad_u64_u32 v[0:1], vcc, v0, s9, 0
	v_xor_b32_e32 v1, v103, v1
	v_xor_b32_e32 v3, v115, v3
	v_xor_b32_e32 v1, v1, v86
	v_xor_b32_e32 v3, v3, v84
	v_mad_u64_u32 v[84:85], vcc, v1, s11, 0
	v_mad_u64_u32 v[86:87], vcc, v3, s9, 0
	v_xor_b32_e32 v0, v87, v0
	v_xor_b32_e32 v1, v85, v2
	v_xor_b32_e32 v0, v106, v0
	v_xor_b32_e32 v2, v96, v1
	v_mov_b32_e32 v15, 0
	v_mov_b32_e32 v1, v86
	v_mov_b32_e32 v3, v84
	v_mov_b32_e32 v87, v0
	v_mov_b32_e32 v85, v2
.LBB91_20:                              ;   in Loop: Header=BB91_13 Depth=2
	s_or_b64 exec, exec, s[2:3]
	v_add_u32_e32 v117, 1, v15
	v_cmp_eq_u32_e32 vcc, 4, v117
	s_and_saveexec_b64 s[2:3], vcc
	s_cbranch_execz .LBB91_22
; %bb.21:                               ;   in Loop: Header=BB91_13 Depth=2
	v_add_co_u32_e32 v97, vcc, 1, v97
	v_cndmask_b32_e64 v84, 0, 1, vcc
	v_addc_co_u32_e32 v98, vcc, 0, v98, vcc
	v_cmp_eq_u32_e32 vcc, 0, v98
	v_cndmask_b32_e32 v84, 0, v84, vcc
	v_add_u32_e32 v116, v84, v116
	v_cmp_eq_u32_e32 vcc, 0, v116
	v_cndmask_b32_e32 v84, 0, v84, vcc
	v_add_u32_e32 v74, v84, v74
	v_mad_u64_u32 v[84:85], vcc, v97, s11, 0
	v_mad_u64_u32 v[86:87], vcc, v116, s9, 0
	v_xor_b32_e32 v85, v85, v73
	v_xor_b32_e32 v87, v87, v72
	v_xor_b32_e32 v85, v74, v85
	v_xor_b32_e32 v87, v98, v87
	v_mad_u64_u32 v[122:123], vcc, v85, s9, 0
	v_mad_u64_u32 v[120:121], vcc, v87, s11, 0
	v_xor_b32_e32 v85, v99, v123
	v_xor_b32_e32 v85, v85, v86
	v_xor_b32_e32 v86, v100, v121
	v_xor_b32_e32 v86, v86, v84
	;; [unrolled: 6-line block ×9, first 2 shown]
	v_mad_u64_u32 v[84:85], vcc, v84, s11, 0
	v_mad_u64_u32 v[86:87], vcc, v86, s9, 0
	v_xor_b32_e32 v87, v87, v126
	v_xor_b32_e32 v85, v85, v124
	v_mov_b32_e32 v117, 0
	v_xor_b32_e32 v87, v106, v87
	v_xor_b32_e32 v85, v96, v85
.LBB91_22:                              ;   in Loop: Header=BB91_13 Depth=2
	s_or_b64 exec, exec, s[2:3]
	v_cmp_eq_u32_e32 vcc, 1, v118
	v_cndmask_b32_e32 v4, v4, v5, vcc
	v_cmp_eq_u32_e32 vcc, 2, v118
	v_cndmask_b32_e32 v4, v4, v6, vcc
	;; [unrolled: 2-line block ×6, first 2 shown]
	v_lshrrev_b32_e32 v0, 11, v0
	v_cvt_f64_u32_e32 v[0:1], v0
	v_ldexp_f64 v[0:1], v[0:1], 32
	v_cvt_f64_u32_e32 v[2:3], v4
	v_add_f64 v[0:1], v[0:1], v[2:3]
	v_mov_b32_e32 v2, 0
	v_mov_b32_e32 v3, 0x3ca00000
	v_fma_f64 v[4:5], -v[76:77], v[10:11], v[78:79]
	v_fmac_f64_e32 v[2:3], 0x3ca00000, v[0:1]
	v_mul_f64 v[0:1], v[4:5], s[52:53]
	v_rndne_f64_e32 v[0:1], v[0:1]
	s_mov_b32 s54, s46
	v_fma_f64 v[6:7], s[54:55], v[0:1], v[4:5]
	s_mov_b32 s56, s48
	v_fmac_f64_e32 v[6:7], s[56:57], v[0:1]
	v_pk_mov_b32 v[10:11], v[30:31], v[30:31] op_sel:[0,1]
	v_fmac_f64_e32 v[10:11], s[58:59], v[6:7]
	v_pk_mov_b32 v[118:119], v[32:33], v[32:33] op_sel:[0,1]
	;; [unrolled: 2-line block ×9, first 2 shown]
	v_fmac_f64_e32 v[10:11], v[6:7], v[118:119]
	v_fma_f64 v[10:11], v[6:7], v[10:11], 1.0
	v_fma_f64 v[6:7], v[6:7], v[10:11], 1.0
	v_cvt_i32_f64_e32 v0, v[0:1]
	v_ldexp_f64 v[0:1], v[6:7], v0
	v_add_f64 v[0:1], v[0:1], 1.0
	v_cmp_nlt_f64_e32 vcc, s[60:61], v[4:5]
	v_cmp_ngt_f64_e64 s[2:3], s[64:65], v[4:5]
	v_cndmask_b32_e32 v1, v94, v1, vcc
	s_and_b64 vcc, s[2:3], vcc
	v_cndmask_b32_e64 v1, v91, v1, s[2:3]
	v_cndmask_b32_e32 v0, 0, v0, vcc
	v_mul_f64 v[0:1], v[0:1], v[0:1]
	v_div_scale_f64 v[6:7], s[2:3], v[0:1], v[0:1], v[2:3]
	v_rcp_f64_e32 v[10:11], v[6:7]
	s_mov_b32 s45, s29
	v_fma_f64 v[118:119], -v[6:7], v[10:11], 1.0
	v_fmac_f64_e32 v[10:11], v[10:11], v[118:119]
	v_fma_f64 v[118:119], -v[6:7], v[10:11], 1.0
	v_fmac_f64_e32 v[10:11], v[10:11], v[118:119]
	v_div_scale_f64 v[118:119], vcc, v[2:3], v[0:1], v[2:3]
	v_mul_f64 v[120:121], v[118:119], v[10:11]
	v_fma_f64 v[6:7], -v[6:7], v[120:121], v[118:119]
	s_nop 1
	v_div_fmas_f64 v[6:7], v[6:7], v[10:11], v[120:121]
	v_div_fixup_f64 v[2:3], v[6:7], v[0:1], v[2:3]
	v_frexp_mant_f64_e32 v[0:1], v[2:3]
	v_cmp_gt_f64_e32 vcc, s[28:29], v[0:1]
	v_cndmask_b32_e64 v15, v91, 2.0, vcc
	v_frexp_exp_i32_f64_e32 v6, v[2:3]
	v_mul_f64 v[0:1], v[0:1], v[14:15]
	v_subbrev_co_u32_e32 v15, vcc, 0, v6, vcc
	v_add_f64 v[6:7], v[0:1], 1.0
	v_rcp_f64_e32 v[10:11], v[6:7]
	v_add_f64 v[120:121], v[6:7], -1.0
	v_add_f64 v[118:119], v[0:1], -1.0
	v_add_f64 v[0:1], v[0:1], -v[120:121]
	v_fma_f64 v[120:121], -v[6:7], v[10:11], 1.0
	v_fmac_f64_e32 v[10:11], v[120:121], v[10:11]
	v_fma_f64 v[120:121], -v[6:7], v[10:11], 1.0
	v_fmac_f64_e32 v[10:11], v[120:121], v[10:11]
	v_mul_f64 v[120:121], v[118:119], v[10:11]
	v_mul_f64 v[122:123], v[6:7], v[120:121]
	v_fma_f64 v[6:7], v[120:121], v[6:7], -v[122:123]
	v_fmac_f64_e32 v[6:7], v[120:121], v[0:1]
	v_add_f64 v[0:1], v[122:123], v[6:7]
	v_add_f64 v[124:125], v[118:119], -v[0:1]
	v_add_f64 v[122:123], v[0:1], -v[122:123]
	;; [unrolled: 1-line block ×5, first 2 shown]
	v_add_f64 v[0:1], v[6:7], v[0:1]
	v_add_f64 v[0:1], v[124:125], v[0:1]
	v_mul_f64 v[0:1], v[10:11], v[0:1]
	v_add_f64 v[6:7], v[120:121], v[0:1]
	v_add_f64 v[10:11], v[6:7], -v[120:121]
	v_add_f64 v[10:11], v[0:1], -v[10:11]
	v_mul_f64 v[118:119], v[6:7], v[6:7]
	v_pk_mov_b32 v[0:1], s[30:31], s[30:31] op_sel:[0,1]
	v_fma_f64 v[120:121], s[34:35], v[118:119], v[0:1]
	v_fma_f64 v[120:121], v[118:119], v[120:121], s[36:37]
	;; [unrolled: 1-line block ×6, first 2 shown]
	v_ldexp_f64 v[122:123], v[6:7], 1
	v_mul_f64 v[6:7], v[6:7], v[118:119]
	v_mul_f64 v[6:7], v[6:7], v[120:121]
	v_add_f64 v[118:119], v[122:123], v[6:7]
	v_add_f64 v[120:121], v[118:119], -v[122:123]
	v_ldexp_f64 v[10:11], v[10:11], 1
	v_add_f64 v[6:7], v[6:7], -v[120:121]
	v_add_f64 v[6:7], v[10:11], v[6:7]
	v_add_f64 v[10:11], v[118:119], v[6:7]
	v_add_f64 v[118:119], v[10:11], -v[118:119]
	v_add_f64 v[6:7], v[6:7], -v[118:119]
	v_cvt_f64_i32_e32 v[118:119], v15
	v_mul_f64 v[120:121], v[118:119], s[46:47]
	v_fma_f64 v[122:123], v[118:119], s[46:47], -v[120:121]
	v_fmac_f64_e32 v[122:123], s[48:49], v[118:119]
	v_add_f64 v[118:119], v[120:121], v[122:123]
	v_add_f64 v[120:121], v[118:119], -v[120:121]
	v_add_f64 v[120:121], v[122:123], -v[120:121]
	v_add_f64 v[122:123], v[118:119], v[10:11]
	v_add_f64 v[124:125], v[122:123], -v[118:119]
	v_add_f64 v[126:127], v[122:123], -v[124:125]
	;; [unrolled: 1-line block ×4, first 2 shown]
	v_add_f64 v[10:11], v[10:11], v[118:119]
	v_add_f64 v[118:119], v[120:121], v[6:7]
	v_add_f64 v[124:125], v[118:119], -v[120:121]
	v_add_f64 v[126:127], v[118:119], -v[124:125]
	v_add_f64 v[10:11], v[118:119], v[10:11]
	v_add_f64 v[120:121], v[120:121], -v[126:127]
	v_add_f64 v[6:7], v[6:7], -v[124:125]
	v_add_f64 v[118:119], v[122:123], v[10:11]
	v_add_f64 v[6:7], v[6:7], v[120:121]
	v_add_f64 v[120:121], v[118:119], -v[122:123]
	v_add_f64 v[10:11], v[10:11], -v[120:121]
	v_add_f64 v[6:7], v[6:7], v[10:11]
	v_add_f64 v[6:7], v[118:119], v[6:7]
	v_cmp_class_f64_e64 vcc, v[2:3], s10
	v_cndmask_b32_e32 v15, v6, v2, vcc
	v_cndmask_b32_e32 v6, v7, v3, vcc
	v_cmp_neq_f64_e32 vcc, 0, v[2:3]
	v_cndmask_b32_e32 v3, v93, v6, vcc
	v_add_f64 v[6:7], v[8:9], 1.0
	v_add_f64 v[6:7], v[6:7], -1.0
	v_add_f64 v[118:119], v[6:7], s[66:67]
	v_div_scale_f64 v[10:11], s[2:3], v[118:119], v[118:119], s[68:69]
	v_rcp_f64_e32 v[120:121], v[10:11]
	v_cndmask_b32_e32 v2, 0, v15, vcc
	v_add_f64 v[2:3], v[4:5], v[2:3]
	v_fma_f64 v[4:5], v[82:83], v[8:9], v[80:81]
	v_fma_f64 v[122:123], -v[10:11], v[120:121], 1.0
	v_fmac_f64_e32 v[120:121], v[120:121], v[122:123]
	v_fma_f64 v[122:123], -v[10:11], v[120:121], 1.0
	v_fmac_f64_e32 v[120:121], v[120:121], v[122:123]
	v_div_scale_f64 v[122:123], vcc, s[68:69], v[118:119], s[68:69]
	v_mul_f64 v[124:125], v[122:123], v[120:121]
	v_fma_f64 v[122:123], -v[10:11], v[124:125], v[122:123]
	v_add_f64 v[10:11], v[6:7], s[70:71]
	v_div_scale_f64 v[126:127], s[2:3], v[10:11], v[10:11], s[72:73]
	v_rcp_f64_e32 v[128:129], v[126:127]
	v_div_fmas_f64 v[120:121], v[122:123], v[120:121], v[124:125]
	v_div_fixup_f64 v[118:119], v[120:121], v[118:119], s[68:69]
	v_add_f64 v[124:125], v[6:7], s[74:75]
	v_fma_f64 v[120:121], -v[126:127], v[128:129], 1.0
	v_fmac_f64_e32 v[128:129], v[128:129], v[120:121]
	v_fma_f64 v[120:121], -v[126:127], v[128:129], 1.0
	v_fmac_f64_e32 v[128:129], v[128:129], v[120:121]
	v_div_scale_f64 v[120:121], vcc, s[72:73], v[10:11], s[72:73]
	v_mul_f64 v[122:123], v[120:121], v[128:129]
	v_fma_f64 v[120:121], -v[126:127], v[122:123], v[120:121]
	v_div_scale_f64 v[126:127], s[2:3], v[124:125], v[124:125], s[76:77]
	v_rcp_f64_e32 v[130:131], v[126:127]
	v_div_fmas_f64 v[120:121], v[120:121], v[128:129], v[122:123]
	v_add_f64 v[118:119], v[118:119], 0
	v_div_fixup_f64 v[120:121], v[120:121], v[10:11], s[72:73]
	v_add_f64 v[118:119], v[120:121], v[118:119]
	v_fma_f64 v[120:121], -v[126:127], v[130:131], 1.0
	v_fmac_f64_e32 v[130:131], v[130:131], v[120:121]
	v_fma_f64 v[120:121], -v[126:127], v[130:131], 1.0
	v_fmac_f64_e32 v[130:131], v[130:131], v[120:121]
	v_div_scale_f64 v[120:121], vcc, s[76:77], v[124:125], s[76:77]
	v_mul_f64 v[122:123], v[120:121], v[130:131]
	v_fma_f64 v[120:121], -v[126:127], v[122:123], v[120:121]
	v_add_f64 v[126:127], v[6:7], s[78:79]
	v_div_scale_f64 v[128:129], s[2:3], v[126:127], v[126:127], s[80:81]
	v_rcp_f64_e32 v[132:133], v[128:129]
	v_div_fmas_f64 v[120:121], v[120:121], v[130:131], v[122:123]
	v_div_fixup_f64 v[120:121], v[120:121], v[124:125], s[76:77]
	v_add_f64 v[118:119], v[118:119], v[120:121]
	v_fma_f64 v[120:121], -v[128:129], v[132:133], 1.0
	v_fmac_f64_e32 v[132:133], v[132:133], v[120:121]
	v_fma_f64 v[120:121], -v[128:129], v[132:133], 1.0
	v_fmac_f64_e32 v[132:133], v[132:133], v[120:121]
	v_div_scale_f64 v[120:121], vcc, s[80:81], v[126:127], s[80:81]
	v_mul_f64 v[122:123], v[120:121], v[132:133]
	v_add_f64 v[124:125], v[6:7], 4.0
	v_fma_f64 v[120:121], -v[128:129], v[122:123], v[120:121]
	v_div_scale_f64 v[128:129], s[2:3], v[124:125], v[124:125], s[82:83]
	v_rcp_f64_e32 v[130:131], v[128:129]
	v_div_fmas_f64 v[120:121], v[120:121], v[132:133], v[122:123]
	v_div_fixup_f64 v[120:121], v[120:121], v[126:127], s[80:81]
	v_add_f64 v[118:119], v[120:121], v[118:119]
	v_fma_f64 v[120:121], -v[128:129], v[130:131], 1.0
	v_fmac_f64_e32 v[130:131], v[130:131], v[120:121]
	v_fma_f64 v[120:121], -v[128:129], v[130:131], 1.0
	v_fmac_f64_e32 v[130:131], v[130:131], v[120:121]
	v_div_scale_f64 v[120:121], vcc, s[82:83], v[124:125], s[82:83]
	v_mul_f64 v[122:123], v[120:121], v[130:131]
	v_add_f64 v[126:127], v[6:7], s[22:23]
	v_fma_f64 v[120:121], -v[128:129], v[122:123], v[120:121]
	v_div_scale_f64 v[128:129], s[2:3], v[126:127], v[126:127], s[84:85]
	v_rcp_f64_e32 v[132:133], v[128:129]
	v_div_fmas_f64 v[120:121], v[120:121], v[130:131], v[122:123]
	v_div_fixup_f64 v[120:121], v[120:121], v[124:125], s[82:83]
	v_add_f64 v[118:119], v[118:119], v[120:121]
	v_fma_f64 v[120:121], -v[128:129], v[132:133], 1.0
	v_fmac_f64_e32 v[132:133], v[132:133], v[120:121]
	v_fma_f64 v[120:121], -v[128:129], v[132:133], 1.0
	v_fmac_f64_e32 v[132:133], v[132:133], v[120:121]
	v_div_scale_f64 v[120:121], vcc, s[84:85], v[126:127], s[84:85]
	v_mul_f64 v[122:123], v[120:121], v[132:133]
	v_add_f64 v[124:125], v[6:7], 2.0
	v_fma_f64 v[120:121], -v[128:129], v[122:123], v[120:121]
	v_div_scale_f64 v[128:129], s[2:3], v[124:125], v[124:125], s[86:87]
	v_rcp_f64_e32 v[130:131], v[128:129]
	v_div_fmas_f64 v[120:121], v[120:121], v[132:133], v[122:123]
	v_div_fixup_f64 v[120:121], v[120:121], v[126:127], s[84:85]
	v_add_f64 v[118:119], v[120:121], v[118:119]
	v_fma_f64 v[120:121], -v[128:129], v[130:131], 1.0
	v_fmac_f64_e32 v[130:131], v[130:131], v[120:121]
	v_fma_f64 v[120:121], -v[128:129], v[130:131], 1.0
	v_fmac_f64_e32 v[130:131], v[130:131], v[120:121]
	v_div_scale_f64 v[120:121], vcc, s[86:87], v[124:125], s[86:87]
	v_mul_f64 v[122:123], v[120:121], v[130:131]
	v_add_f64 v[126:127], v[6:7], 1.0
	v_fma_f64 v[120:121], -v[128:129], v[122:123], v[120:121]
	v_div_scale_f64 v[128:129], s[2:3], v[126:127], v[126:127], s[88:89]
	v_rcp_f64_e32 v[132:133], v[128:129]
	v_div_fmas_f64 v[120:121], v[120:121], v[130:131], v[122:123]
	v_div_fixup_f64 v[120:121], v[120:121], v[124:125], s[86:87]
	v_add_f64 v[118:119], v[118:119], v[120:121]
	v_fma_f64 v[120:121], -v[128:129], v[132:133], 1.0
	v_fmac_f64_e32 v[132:133], v[132:133], v[120:121]
	v_fma_f64 v[120:121], -v[128:129], v[132:133], 1.0
	v_fmac_f64_e32 v[132:133], v[132:133], v[120:121]
	v_div_scale_f64 v[120:121], vcc, s[88:89], v[126:127], s[88:89]
	v_mul_f64 v[122:123], v[120:121], v[132:133]
	v_fma_f64 v[120:121], -v[128:129], v[122:123], v[120:121]
	v_add_f64 v[10:11], v[10:11], 0.5
	s_nop 0
	v_div_fmas_f64 v[120:121], v[120:121], v[132:133], v[122:123]
	v_div_fixup_f64 v[120:121], v[120:121], v[126:127], s[88:89]
	v_add_f64 v[118:119], v[120:121], v[118:119]
	v_add_f64 v[118:119], v[118:119], s[90:91]
	v_frexp_mant_f64_e32 v[120:121], v[118:119]
	v_cmp_gt_f64_e32 vcc, s[28:29], v[120:121]
	v_cndmask_b32_e64 v15, v91, 2.0, vcc
	v_frexp_exp_i32_f64_e32 v122, v[118:119]
	v_mul_f64 v[120:121], v[120:121], v[14:15]
	v_subbrev_co_u32_e32 v15, vcc, 0, v122, vcc
	v_add_f64 v[122:123], v[120:121], 1.0
	v_rcp_f64_e32 v[124:125], v[122:123]
	v_add_f64 v[128:129], v[122:123], -1.0
	v_add_f64 v[126:127], v[120:121], -1.0
	v_add_f64 v[120:121], v[120:121], -v[128:129]
	v_fma_f64 v[128:129], -v[122:123], v[124:125], 1.0
	v_fmac_f64_e32 v[124:125], v[128:129], v[124:125]
	v_fma_f64 v[128:129], -v[122:123], v[124:125], 1.0
	v_fmac_f64_e32 v[124:125], v[128:129], v[124:125]
	v_mul_f64 v[128:129], v[126:127], v[124:125]
	v_mul_f64 v[130:131], v[122:123], v[128:129]
	v_fma_f64 v[122:123], v[128:129], v[122:123], -v[130:131]
	v_fmac_f64_e32 v[122:123], v[128:129], v[120:121]
	v_add_f64 v[120:121], v[130:131], v[122:123]
	v_add_f64 v[132:133], v[126:127], -v[120:121]
	v_add_f64 v[130:131], v[120:121], -v[130:131]
	v_add_f64 v[126:127], v[126:127], -v[132:133]
	v_add_f64 v[120:121], v[126:127], -v[120:121]
	v_add_f64 v[122:123], v[130:131], -v[122:123]
	v_add_f64 v[120:121], v[122:123], v[120:121]
	v_add_f64 v[120:121], v[132:133], v[120:121]
	v_mul_f64 v[120:121], v[124:125], v[120:121]
	v_add_f64 v[122:123], v[128:129], v[120:121]
	v_add_f64 v[124:125], v[122:123], -v[128:129]
	v_add_f64 v[120:121], v[120:121], -v[124:125]
	v_mul_f64 v[124:125], v[122:123], v[122:123]
	v_fma_f64 v[126:127], s[34:35], v[124:125], v[0:1]
	v_fma_f64 v[126:127], v[124:125], v[126:127], s[36:37]
	;; [unrolled: 1-line block ×6, first 2 shown]
	v_ldexp_f64 v[128:129], v[122:123], 1
	v_mul_f64 v[122:123], v[122:123], v[124:125]
	v_mul_f64 v[122:123], v[122:123], v[126:127]
	v_add_f64 v[124:125], v[128:129], v[122:123]
	v_add_f64 v[126:127], v[124:125], -v[128:129]
	v_ldexp_f64 v[120:121], v[120:121], 1
	v_add_f64 v[122:123], v[122:123], -v[126:127]
	v_add_f64 v[120:121], v[120:121], v[122:123]
	v_add_f64 v[122:123], v[124:125], v[120:121]
	v_add_f64 v[124:125], v[122:123], -v[124:125]
	v_add_f64 v[120:121], v[120:121], -v[124:125]
	v_cvt_f64_i32_e32 v[124:125], v15
	v_mul_f64 v[126:127], v[124:125], s[46:47]
	v_fma_f64 v[128:129], v[124:125], s[46:47], -v[126:127]
	v_fmac_f64_e32 v[128:129], s[48:49], v[124:125]
	v_add_f64 v[124:125], v[126:127], v[128:129]
	v_add_f64 v[126:127], v[124:125], -v[126:127]
	v_add_f64 v[126:127], v[128:129], -v[126:127]
	v_add_f64 v[128:129], v[124:125], v[122:123]
	v_add_f64 v[130:131], v[128:129], -v[124:125]
	v_add_f64 v[132:133], v[128:129], -v[130:131]
	;; [unrolled: 1-line block ×4, first 2 shown]
	v_add_f64 v[122:123], v[122:123], v[124:125]
	v_add_f64 v[124:125], v[126:127], v[120:121]
	v_add_f64 v[130:131], v[124:125], -v[126:127]
	v_add_f64 v[132:133], v[124:125], -v[130:131]
	v_add_f64 v[122:123], v[124:125], v[122:123]
	v_add_f64 v[126:127], v[126:127], -v[132:133]
	v_add_f64 v[120:121], v[120:121], -v[130:131]
	v_add_f64 v[124:125], v[128:129], v[122:123]
	v_add_f64 v[120:121], v[120:121], v[126:127]
	v_add_f64 v[126:127], v[124:125], -v[128:129]
	v_add_f64 v[122:123], v[122:123], -v[126:127]
	v_add_f64 v[120:121], v[120:121], v[122:123]
	v_add_f64 v[120:121], v[124:125], v[120:121]
	v_cmp_class_f64_e64 vcc, v[118:119], s10
	v_div_scale_f64 v[122:123], s[2:3], s[20:21], s[20:21], v[10:11]
	v_cndmask_b32_e32 v121, v121, v119, vcc
	v_cndmask_b32_e32 v120, v120, v118, vcc
	v_rcp_f64_e32 v[124:125], v[122:123]
	v_add_f64 v[120:121], v[120:121], s[92:93]
	v_add_f64 v[120:121], v[120:121], s[94:95]
	v_cmp_ngt_f64_e32 vcc, 0, v[118:119]
	v_cndmask_b32_e32 v15, v92, v121, vcc
	v_cmp_nge_f64_e32 vcc, 0, v[118:119]
	v_cndmask_b32_e32 v120, 0, v120, vcc
	v_cmp_neq_f64_e32 vcc, 0, v[118:119]
	v_fma_f64 v[118:119], -v[122:123], v[124:125], 1.0
	v_fmac_f64_e32 v[124:125], v[124:125], v[118:119]
	v_fma_f64 v[118:119], -v[122:123], v[124:125], 1.0
	v_cndmask_b32_e32 v121, v93, v15, vcc
	v_fmac_f64_e32 v[124:125], v[124:125], v[118:119]
	v_div_scale_f64 v[118:119], vcc, v[10:11], s[20:21], v[10:11]
	v_mul_f64 v[126:127], v[118:119], v[124:125]
	v_fma_f64 v[118:119], -v[122:123], v[126:127], v[118:119]
	v_add_f64 v[6:7], v[6:7], 0.5
	s_nop 0
	v_div_fmas_f64 v[118:119], v[118:119], v[124:125], v[126:127]
	v_div_fixup_f64 v[10:11], v[118:119], s[20:21], v[10:11]
	v_frexp_mant_f64_e32 v[118:119], v[10:11]
	v_cmp_gt_f64_e32 vcc, s[28:29], v[118:119]
	v_cndmask_b32_e64 v15, v91, 2.0, vcc
	v_frexp_exp_i32_f64_e32 v122, v[10:11]
	v_mul_f64 v[118:119], v[118:119], v[14:15]
	v_subbrev_co_u32_e32 v15, vcc, 0, v122, vcc
	v_add_f64 v[122:123], v[118:119], 1.0
	v_rcp_f64_e32 v[124:125], v[122:123]
	v_add_f64 v[128:129], v[122:123], -1.0
	v_add_f64 v[126:127], v[118:119], -1.0
	v_add_f64 v[118:119], v[118:119], -v[128:129]
	v_fma_f64 v[128:129], -v[122:123], v[124:125], 1.0
	v_fmac_f64_e32 v[124:125], v[128:129], v[124:125]
	v_fma_f64 v[128:129], -v[122:123], v[124:125], 1.0
	v_fmac_f64_e32 v[124:125], v[128:129], v[124:125]
	v_mul_f64 v[128:129], v[126:127], v[124:125]
	v_mul_f64 v[130:131], v[122:123], v[128:129]
	v_fma_f64 v[122:123], v[128:129], v[122:123], -v[130:131]
	v_fmac_f64_e32 v[122:123], v[128:129], v[118:119]
	v_add_f64 v[118:119], v[130:131], v[122:123]
	v_add_f64 v[132:133], v[126:127], -v[118:119]
	v_add_f64 v[130:131], v[118:119], -v[130:131]
	;; [unrolled: 1-line block ×5, first 2 shown]
	v_add_f64 v[118:119], v[122:123], v[118:119]
	v_add_f64 v[118:119], v[132:133], v[118:119]
	v_mul_f64 v[118:119], v[124:125], v[118:119]
	v_add_f64 v[122:123], v[128:129], v[118:119]
	v_add_f64 v[124:125], v[122:123], -v[128:129]
	v_add_f64 v[118:119], v[118:119], -v[124:125]
	v_mul_f64 v[124:125], v[122:123], v[122:123]
	v_fmac_f64_e32 v[0:1], s[34:35], v[124:125]
	v_fma_f64 v[0:1], v[124:125], v[0:1], s[36:37]
	v_fma_f64 v[0:1], v[124:125], v[0:1], s[38:39]
	v_fma_f64 v[0:1], v[124:125], v[0:1], s[40:41]
	v_fma_f64 v[0:1], v[124:125], v[0:1], s[42:43]
	v_fma_f64 v[0:1], v[124:125], v[0:1], s[44:45]
	v_ldexp_f64 v[126:127], v[122:123], 1
	v_mul_f64 v[122:123], v[122:123], v[124:125]
	v_mul_f64 v[0:1], v[122:123], v[0:1]
	v_add_f64 v[122:123], v[126:127], v[0:1]
	v_add_f64 v[124:125], v[122:123], -v[126:127]
	v_ldexp_f64 v[118:119], v[118:119], 1
	v_add_f64 v[0:1], v[0:1], -v[124:125]
	v_add_f64 v[0:1], v[118:119], v[0:1]
	v_add_f64 v[118:119], v[122:123], v[0:1]
	v_add_f64 v[122:123], v[118:119], -v[122:123]
	v_add_f64 v[0:1], v[0:1], -v[122:123]
	v_cvt_f64_i32_e32 v[122:123], v15
	v_mul_f64 v[124:125], v[122:123], s[46:47]
	v_fma_f64 v[126:127], v[122:123], s[46:47], -v[124:125]
	v_fmac_f64_e32 v[126:127], s[48:49], v[122:123]
	v_add_f64 v[122:123], v[124:125], v[126:127]
	v_add_f64 v[124:125], v[122:123], -v[124:125]
	v_add_f64 v[124:125], v[126:127], -v[124:125]
	v_add_f64 v[126:127], v[122:123], v[118:119]
	v_add_f64 v[128:129], v[126:127], -v[122:123]
	v_add_f64 v[130:131], v[126:127], -v[128:129]
	v_add_f64 v[122:123], v[122:123], -v[130:131]
	v_add_f64 v[118:119], v[118:119], -v[128:129]
	v_add_f64 v[118:119], v[118:119], v[122:123]
	v_add_f64 v[122:123], v[124:125], v[0:1]
	v_add_f64 v[128:129], v[122:123], -v[124:125]
	v_add_f64 v[130:131], v[122:123], -v[128:129]
	v_add_f64 v[118:119], v[122:123], v[118:119]
	v_add_f64 v[124:125], v[124:125], -v[130:131]
	v_add_f64 v[0:1], v[0:1], -v[128:129]
	v_add_f64 v[122:123], v[126:127], v[118:119]
	v_add_f64 v[0:1], v[0:1], v[124:125]
	v_add_f64 v[124:125], v[122:123], -v[126:127]
	v_add_f64 v[118:119], v[118:119], -v[124:125]
	v_add_f64 v[0:1], v[0:1], v[118:119]
	v_add_f64 v[0:1], v[122:123], v[0:1]
	v_cmp_class_f64_e64 vcc, v[10:11], s10
	v_cndmask_b32_e32 v0, v0, v10, vcc
	v_cndmask_b32_e32 v1, v1, v11, vcc
	v_cmp_ngt_f64_e32 vcc, 0, v[10:11]
	v_cndmask_b32_e32 v1, v92, v1, vcc
	v_cmp_nge_f64_e32 vcc, 0, v[10:11]
	v_cndmask_b32_e32 v0, 0, v0, vcc
	v_cmp_neq_f64_e32 vcc, 0, v[10:11]
	v_cndmask_b32_e32 v1, v93, v1, vcc
	v_fmac_f64_e32 v[120:121], v[6:7], v[0:1]
	v_add_f64 v[0:1], v[4:5], -v[120:121]
	v_cvt_u32_f64_e32 v4, v[8:9]
	v_cmp_le_f64_e32 vcc, v[2:3], v[0:1]
	v_cndmask_b32_e64 v119, 0, 1, vcc
	v_cndmask_b32_e32 v75, v75, v4, vcc
	v_mov_b32_e32 v118, v117
.LBB91_23:                              ;   in Loop: Header=BB91_13 Depth=2
	s_or_b64 exec, exec, s[0:1]
	v_cmp_gt_i32_e32 vcc, 2, v119
	s_or_b64 s[12:13], vcc, s[12:13]
	v_mov_b32_e32 v15, v118
	v_mov_b32_e32 v0, v87
	;; [unrolled: 1-line block ×5, first 2 shown]
	s_andn2_b64 exec, exec, s[12:13]
	s_cbranch_execnz .LBB91_13
; %bb.24:                               ;   in Loop: Header=BB91_13 Depth=2
	s_or_b64 exec, exec, s[12:13]
	v_cmp_ne_u32_e32 vcc, 0, v119
	s_or_b64 s[14:15], vcc, s[14:15]
	s_mov_b64 s[12:13], 0
	v_mov_b32_e32 v15, v118
	v_mov_b32_e32 v0, v87
	;; [unrolled: 1-line block ×5, first 2 shown]
	s_andn2_b64 exec, exec, s[14:15]
	s_cbranch_execnz .LBB91_13
; %bb.25:                               ;   in Loop: Header=BB91_5 Depth=1
	s_or_b64 exec, exec, s[14:15]
	s_mov_b32 s45, s24
	v_readlane_b32 s12, v134, 13
                                        ; implicit-def: $vgpr72_vgpr73
                                        ; implicit-def: $vgpr15
                                        ; implicit-def: $vgpr97
                                        ; implicit-def: $vgpr98
                                        ; implicit-def: $vgpr106
                                        ; implicit-def: $vgpr96
                                        ; implicit-def: $vgpr3
                                        ; implicit-def: $vgpr4_vgpr5
                                        ; implicit-def: $vgpr99
                                        ; implicit-def: $vgpr100
                                        ; implicit-def: $vgpr101
                                        ; implicit-def: $vgpr102
                                        ; implicit-def: $vgpr104
                                        ; implicit-def: $vgpr105
                                        ; implicit-def: $vgpr107
                                        ; implicit-def: $vgpr108
                                        ; implicit-def: $vgpr109
                                        ; implicit-def: $vgpr110
                                        ; implicit-def: $vgpr111
                                        ; implicit-def: $vgpr112
                                        ; implicit-def: $vgpr113
                                        ; implicit-def: $vgpr114
                                        ; implicit-def: $vgpr103
                                        ; implicit-def: $vgpr115
	v_readlane_b32 s13, v134, 14
.LBB91_26:                              ;   in Loop: Header=BB91_5 Depth=1
	s_andn2_saveexec_b64 s[0:1], s[6:7]
	s_cbranch_execz .LBB91_38
; %bb.27:                               ;   in Loop: Header=BB91_5 Depth=1
	v_add_co_u32_e32 v6, vcc, 1, v97
	v_cndmask_b32_e64 v7, 0, 1, vcc
	v_addc_co_u32_e32 v10, vcc, 0, v98, vcc
	v_cmp_eq_u32_e32 vcc, 0, v10
	v_cndmask_b32_e32 v7, 0, v7, vcc
	v_add_u32_e32 v8, v7, v17
	v_cmp_eq_u32_e32 vcc, 0, v8
	v_cndmask_b32_e32 v11, 0, v7, vcc
	v_mad_u64_u32 v[6:7], s[2:3], v6, s11, 0
	v_mad_u64_u32 v[8:9], s[2:3], v8, s9, 0
	v_xor_b32_e32 v7, v7, v73
	v_xor_b32_e32 v9, v9, v72
	v_xor_b32_e32 v7, v11, v7
	v_xor_b32_e32 v9, v10, v9
	v_mad_u64_u32 v[72:73], s[2:3], v7, s9, 0
	v_mad_u64_u32 v[10:11], s[2:3], v9, s11, 0
	v_xor_b32_e32 v7, v99, v73
	v_xor_b32_e32 v7, v7, v8
	v_xor_b32_e32 v8, v100, v11
	v_xor_b32_e32 v8, v8, v6
	;; [unrolled: 6-line block ×8, first 2 shown]
	v_mad_u64_u32 v[74:75], s[2:3], v7, s11, 0
	v_mad_u64_u32 v[8:9], s[2:3], v6, s9, 0
	v_xor_b32_e32 v6, v115, v75
	v_xor_b32_e32 v6, v6, v10
	v_mad_u64_u32 v[6:7], s[2:3], v6, s9, 0
	v_xor_b32_e32 v7, v7, v8
	v_xor_b32_e32 v10, v106, v7
	v_cmp_lt_i32_e32 vcc, 1, v15
                                        ; implicit-def: $vgpr8
	s_and_saveexec_b64 s[2:3], vcc
	s_xor_b64 s[2:3], exec, s[2:3]
	s_cbranch_execz .LBB91_33
; %bb.28:                               ;   in Loop: Header=BB91_5 Depth=1
	v_cmp_lt_i32_e32 vcc, 2, v15
                                        ; implicit-def: $vgpr8
	s_and_saveexec_b64 s[6:7], vcc
	s_xor_b64 s[6:7], exec, s[6:7]
; %bb.29:                               ;   in Loop: Header=BB91_5 Depth=1
	v_xor_b32_e32 v0, v103, v9
	v_xor_b32_e32 v0, v0, v72
	v_mul_hi_u32 v0, v0, s11
	v_xor_b32_e32 v0, v0, v74
	v_xor_b32_e32 v8, v96, v0
; %bb.30:                               ;   in Loop: Header=BB91_5 Depth=1
	s_andn2_saveexec_b64 s[6:7], s[6:7]
; %bb.31:                               ;   in Loop: Header=BB91_5 Depth=1
	v_mov_b32_e32 v8, v6
	v_mov_b32_e32 v6, v10
	;; [unrolled: 1-line block ×4, first 2 shown]
; %bb.32:                               ;   in Loop: Header=BB91_5 Depth=1
	s_or_b64 exec, exec, s[6:7]
	v_readlane_b32 s12, v134, 13
                                        ; implicit-def: $vgpr15
	v_readlane_b32 s13, v134, 14
.LBB91_33:                              ;   in Loop: Header=BB91_5 Depth=1
	s_andn2_saveexec_b64 s[2:3], s[2:3]
	s_cbranch_execz .LBB91_37
; %bb.34:                               ;   in Loop: Header=BB91_5 Depth=1
	v_cmp_eq_u32_e32 vcc, 1, v15
	v_mov_b32_e32 v8, v3
	v_mov_b32_e32 v6, v2
	;; [unrolled: 1-line block ×3, first 2 shown]
	s_and_saveexec_b64 s[6:7], vcc
; %bb.35:                               ;   in Loop: Header=BB91_5 Depth=1
	v_mov_b32_e32 v8, v10
	v_mov_b32_e32 v6, v3
	;; [unrolled: 1-line block ×4, first 2 shown]
; %bb.36:                               ;   in Loop: Header=BB91_5 Depth=1
	s_or_b64 exec, exec, s[6:7]
	v_mov_b32_e32 v3, v0
	v_mov_b32_e32 v10, v7
	v_readlane_b32 s12, v134, 13
	v_readlane_b32 s13, v134, 14
.LBB91_37:                              ;   in Loop: Header=BB91_5 Depth=1
	s_or_b64 exec, exec, s[2:3]
	v_mov_b32_e32 v11, v14
	v_lshlrev_b64 v[0:1], 21, v[10:11]
	v_xor_b32_e32 v2, v0, v3
	v_cvt_f64_u32_e32 v[0:1], v1
	v_ldexp_f64 v[0:1], v[0:1], 32
	v_cvt_f64_u32_e32 v[2:3], v2
	v_add_f64 v[0:1], v[0:1], v[2:3]
	v_mov_b32_e32 v2, 0
	v_mov_b32_e32 v3, 0x3ca00000
	v_fmac_f64_e32 v[2:3], 0x3ca00000, v[0:1]
	v_mov_b32_e32 v9, v14
	v_lshlrev_b64 v[0:1], 21, v[8:9]
	v_frexp_mant_f64_e32 v[8:9], v[2:3]
	v_cmp_gt_f64_e32 vcc, s[28:29], v[8:9]
	v_cndmask_b32_e64 v15, v91, 2.0, vcc
	v_frexp_exp_i32_f64_e32 v10, v[2:3]
	v_mul_f64 v[8:9], v[8:9], v[14:15]
	v_subbrev_co_u32_e32 v15, vcc, 0, v10, vcc
	v_add_f64 v[10:11], v[8:9], 1.0
	v_rcp_f64_e32 v[72:73], v[10:11]
	v_add_f64 v[76:77], v[10:11], -1.0
	v_add_f64 v[74:75], v[8:9], -1.0
	v_add_f64 v[8:9], v[8:9], -v[76:77]
	v_fma_f64 v[76:77], -v[10:11], v[72:73], 1.0
	v_fmac_f64_e32 v[72:73], v[76:77], v[72:73]
	v_fma_f64 v[76:77], -v[10:11], v[72:73], 1.0
	v_fmac_f64_e32 v[72:73], v[76:77], v[72:73]
	v_mul_f64 v[76:77], v[74:75], v[72:73]
	v_mul_f64 v[78:79], v[10:11], v[76:77]
	v_fma_f64 v[10:11], v[76:77], v[10:11], -v[78:79]
	v_fmac_f64_e32 v[10:11], v[76:77], v[8:9]
	v_add_f64 v[8:9], v[78:79], v[10:11]
	v_add_f64 v[80:81], v[74:75], -v[8:9]
	v_add_f64 v[78:79], v[8:9], -v[78:79]
	;; [unrolled: 1-line block ×5, first 2 shown]
	v_add_f64 v[8:9], v[10:11], v[8:9]
	v_add_f64 v[8:9], v[80:81], v[8:9]
	v_mul_f64 v[8:9], v[72:73], v[8:9]
	v_add_f64 v[10:11], v[76:77], v[8:9]
	v_add_f64 v[72:73], v[10:11], -v[76:77]
	v_add_f64 v[8:9], v[8:9], -v[72:73]
	v_mul_f64 v[72:73], v[10:11], v[10:11]
	v_pk_mov_b32 v[74:75], v[18:19], v[18:19] op_sel:[0,1]
	v_fmac_f64_e32 v[74:75], s[34:35], v[72:73]
	v_pk_mov_b32 v[76:77], v[20:21], v[20:21] op_sel:[0,1]
	v_fmac_f64_e32 v[76:77], v[72:73], v[74:75]
	;; [unrolled: 2-line block ×6, first 2 shown]
	v_ldexp_f64 v[74:75], v[10:11], 1
	v_mul_f64 v[10:11], v[10:11], v[72:73]
	v_mul_f64 v[10:11], v[10:11], v[76:77]
	v_add_f64 v[72:73], v[74:75], v[10:11]
	v_add_f64 v[74:75], v[72:73], -v[74:75]
	v_ldexp_f64 v[8:9], v[8:9], 1
	v_add_f64 v[10:11], v[10:11], -v[74:75]
	v_add_f64 v[8:9], v[8:9], v[10:11]
	v_add_f64 v[10:11], v[72:73], v[8:9]
	v_add_f64 v[72:73], v[10:11], -v[72:73]
	v_add_f64 v[8:9], v[8:9], -v[72:73]
	v_cvt_f64_i32_e32 v[72:73], v15
	v_mul_f64 v[74:75], v[72:73], s[46:47]
	v_fma_f64 v[76:77], v[72:73], s[46:47], -v[74:75]
	v_fmac_f64_e32 v[76:77], s[48:49], v[72:73]
	v_add_f64 v[72:73], v[74:75], v[76:77]
	v_add_f64 v[74:75], v[72:73], -v[74:75]
	v_add_f64 v[74:75], v[76:77], -v[74:75]
	v_add_f64 v[76:77], v[72:73], v[10:11]
	v_add_f64 v[78:79], v[76:77], -v[72:73]
	v_add_f64 v[80:81], v[76:77], -v[78:79]
	;; [unrolled: 1-line block ×4, first 2 shown]
	v_add_f64 v[10:11], v[10:11], v[72:73]
	v_add_f64 v[72:73], v[74:75], v[8:9]
	v_add_f64 v[78:79], v[72:73], -v[74:75]
	v_add_f64 v[80:81], v[72:73], -v[78:79]
	v_add_f64 v[10:11], v[72:73], v[10:11]
	v_add_f64 v[74:75], v[74:75], -v[80:81]
	v_add_f64 v[8:9], v[8:9], -v[78:79]
	v_add_f64 v[72:73], v[76:77], v[10:11]
	v_add_f64 v[8:9], v[8:9], v[74:75]
	v_add_f64 v[74:75], v[72:73], -v[76:77]
	v_add_f64 v[10:11], v[10:11], -v[74:75]
	s_mov_b32 s14, 0
	v_add_f64 v[8:9], v[8:9], v[10:11]
	s_mov_b32 s15, 0x7ff00000
	v_add_f64 v[8:9], v[72:73], v[8:9]
	v_cmp_eq_f64_e32 vcc, s[14:15], v[2:3]
	v_cndmask_b32_e32 v9, v9, v3, vcc
	v_cndmask_b32_e32 v8, v8, v2, vcc
	v_mul_f64 v[8:9], v[8:9], -2.0
	v_cmp_neq_f64_e32 vcc, 0, v[2:3]
	s_mov_b32 s2, 0
	v_cndmask_b32_e32 v3, v94, v9, vcc
	v_cndmask_b32_e32 v2, 0, v8, vcc
	s_brev_b32 s3, 8
	v_cmp_gt_f64_e32 vcc, s[2:3], v[2:3]
	v_cndmask_b32_e64 v8, 0, 1, vcc
	v_lshlrev_b32_e32 v8, 8, v8
	v_ldexp_f64 v[2:3], v[2:3], v8
	v_xor_b32_e32 v6, v0, v6
	v_cvt_f64_u32_e32 v[0:1], v1
	v_rsq_f64_e32 v[8:9], v[2:3]
	v_ldexp_f64 v[0:1], v[0:1], 32
	v_cvt_f64_u32_e32 v[6:7], v6
	v_add_f64 v[0:1], v[0:1], v[6:7]
	v_mov_b32_e32 v6, 0
	v_mov_b32_e32 v7, 0x3cb00000
	v_fmac_f64_e32 v[6:7], 0x3cb00000, v[0:1]
	v_mul_f64 v[0:1], v[2:3], v[8:9]
	v_mul_f64 v[8:9], v[8:9], 0.5
	v_fma_f64 v[10:11], -v[8:9], v[0:1], 0.5
	v_fmac_f64_e32 v[0:1], v[0:1], v[10:11]
	v_fma_f64 v[72:73], -v[0:1], v[0:1], v[2:3]
	v_fmac_f64_e32 v[8:9], v[8:9], v[10:11]
	v_fmac_f64_e32 v[0:1], v[72:73], v[8:9]
	v_fma_f64 v[10:11], -v[0:1], v[0:1], v[2:3]
	v_fmac_f64_e32 v[0:1], v[10:11], v[8:9]
	v_cndmask_b32_e32 v8, 0, v90, vcc
	v_ldexp_f64 v[0:1], v[0:1], v8
	v_cmp_class_f64_e32 vcc, v[2:3], v89
	v_cndmask_b32_e32 v1, v1, v3, vcc
	v_cndmask_b32_e32 v0, v0, v2, vcc
	v_mul_f64 v[2:3], v[6:7], 0.5
	v_fract_f64_e32 v[8:9], v[2:3]
	v_add_f64 v[8:9], v[8:9], v[8:9]
	v_cmp_neq_f64_e32 vcc, s[14:15], v[2:3]
	v_cndmask_b32_e32 v2, 0, v8, vcc
	v_cndmask_b32_e32 v3, 0, v9, vcc
	v_cmp_lt_f64_e32 vcc, 1.0, v[6:7]
	v_cndmask_b32_e32 v3, v7, v3, vcc
	v_cndmask_b32_e32 v2, v6, v2, vcc
	v_add_f64 v[8:9], v[2:3], v[2:3]
	v_rndne_f64_e32 v[8:9], v[8:9]
	v_fmac_f64_e32 v[2:3], -0.5, v[8:9]
	s_mov_b32 s6, 0xf99eb0bb
	v_cvt_i32_f64_e32 v15, v[8:9]
	v_mul_f64 v[8:9], v[2:3], v[2:3]
	v_pk_mov_b32 v[10:11], v[48:49], v[48:49] op_sel:[0,1]
	s_mov_b32 s7, 0x3f3e357e
	v_fmac_f64_e32 v[10:11], s[6:7], v[8:9]
	v_pk_mov_b32 v[72:73], v[50:51], v[50:51] op_sel:[0,1]
	v_fmac_f64_e32 v[72:73], v[8:9], v[10:11]
	v_pk_mov_b32 v[10:11], v[52:53], v[52:53] op_sel:[0,1]
	;; [unrolled: 2-line block ×4, first 2 shown]
	v_fmac_f64_e32 v[10:11], v[8:9], v[72:73]
	v_mul_f64 v[72:73], v[2:3], v[8:9]
	s_mov_b32 s6, 0x54442d18
	v_mul_f64 v[10:11], v[72:73], v[10:11]
	s_mov_b32 s7, 0x400921fb
	v_fmac_f64_e32 v[10:11], s[6:7], v[2:3]
	s_mov_b32 s6, 0x2e21c33
	v_pk_mov_b32 v[2:3], v[58:59], v[58:59] op_sel:[0,1]
	s_mov_b32 s7, 0xbf1b1673
	v_fmac_f64_e32 v[2:3], s[6:7], v[8:9]
	v_pk_mov_b32 v[72:73], v[60:61], v[60:61] op_sel:[0,1]
	v_fmac_f64_e32 v[72:73], v[8:9], v[2:3]
	v_pk_mov_b32 v[2:3], v[62:63], v[62:63] op_sel:[0,1]
	v_fmac_f64_e32 v[2:3], v[8:9], v[72:73]
	v_pk_mov_b32 v[72:73], v[64:65], v[64:65] op_sel:[0,1]
	v_fmac_f64_e32 v[72:73], v[8:9], v[2:3]
	v_pk_mov_b32 v[2:3], v[66:67], v[66:67] op_sel:[0,1]
	v_fmac_f64_e32 v[2:3], v[8:9], v[72:73]
	v_pk_mov_b32 v[72:73], v[68:69], v[68:69] op_sel:[0,1]
	v_fmac_f64_e32 v[72:73], v[8:9], v[2:3]
	v_fma_f64 v[2:3], v[8:9], v[72:73], 1.0
	v_and_b32_e32 v9, 1, v15
	v_lshlrev_b32_e32 v8, 30, v15
	v_cmp_eq_u32_e32 vcc, 0, v9
	v_cndmask_b32_e32 v10, v2, v10, vcc
	v_cndmask_b32_e32 v2, v3, v11, vcc
	v_xor_b32_e32 v3, v8, v7
	v_and_b32_e32 v3, 0x80000000, v3
	v_cmp_gt_f64_e32 vcc, s[2:3], v[4:5]
	v_xor_b32_e32 v11, v2, v3
	v_cndmask_b32_e64 v2, 0, 1, vcc
	v_lshlrev_b32_e32 v2, 8, v2
	v_ldexp_f64 v[2:3], v[4:5], v2
	v_rsq_f64_e32 v[8:9], v[2:3]
	v_cmp_lg_f64_e64 s[2:3], s[14:15], v[6:7]
	v_cndmask_b32_e64 v6, 0, v10, s[2:3]
	v_cndmask_b32_e64 v7, v92, v11, s[2:3]
	v_mul_f64 v[0:1], v[0:1], v[6:7]
	v_mul_f64 v[6:7], v[2:3], v[8:9]
	v_mul_f64 v[8:9], v[8:9], 0.5
	v_fma_f64 v[10:11], -v[8:9], v[6:7], 0.5
	v_fmac_f64_e32 v[6:7], v[6:7], v[10:11]
	v_fma_f64 v[72:73], -v[6:7], v[6:7], v[2:3]
	v_fmac_f64_e32 v[8:9], v[8:9], v[10:11]
	v_fmac_f64_e32 v[6:7], v[72:73], v[8:9]
	v_fma_f64 v[10:11], -v[6:7], v[6:7], v[2:3]
	v_fmac_f64_e32 v[6:7], v[10:11], v[8:9]
	v_cndmask_b32_e32 v8, 0, v90, vcc
	v_ldexp_f64 v[6:7], v[6:7], v8
	v_cmp_class_f64_e32 vcc, v[2:3], v89
	v_cndmask_b32_e32 v3, v7, v3, vcc
	v_cndmask_b32_e32 v2, v6, v2, vcc
	v_fmac_f64_e32 v[4:5], v[2:3], v[0:1]
	v_trunc_f64_e32 v[0:1], v[4:5]
	v_add_f64 v[2:3], v[4:5], -v[0:1]
	v_cmp_ge_f64_e64 vcc, |v[2:3]|, 0.5
	v_cndmask_b32_e32 v2, 0, v91, vcc
	s_brev_b32 s2, -2
	v_bfi_b32 v15, s2, v2, v5
	v_add_f64 v[0:1], v[0:1], v[14:15]
	v_cvt_u32_f64_e32 v75, v[0:1]
.LBB91_38:                              ;   in Loop: Header=BB91_5 Depth=1
	s_or_b64 exec, exec, s[0:1]
                                        ; implicit-def: $vgpr6
                                        ; implicit-def: $vgpr72_vgpr73
                                        ; implicit-def: $vgpr15
                                        ; implicit-def: $vgpr97
                                        ; implicit-def: $vgpr98
                                        ; implicit-def: $vgpr106
                                        ; implicit-def: $vgpr96
                                        ; implicit-def: $vgpr3
                                        ; implicit-def: $vgpr4_vgpr5
                                        ; implicit-def: $vgpr99
                                        ; implicit-def: $vgpr100
                                        ; implicit-def: $vgpr101
                                        ; implicit-def: $vgpr102
                                        ; implicit-def: $vgpr104
                                        ; implicit-def: $vgpr105
                                        ; implicit-def: $vgpr107
                                        ; implicit-def: $vgpr108
                                        ; implicit-def: $vgpr109
                                        ; implicit-def: $vgpr110
                                        ; implicit-def: $vgpr111
                                        ; implicit-def: $vgpr112
                                        ; implicit-def: $vgpr113
                                        ; implicit-def: $vgpr114
                                        ; implicit-def: $vgpr103
                                        ; implicit-def: $vgpr115
.LBB91_39:                              ;   in Loop: Header=BB91_5 Depth=1
	s_andn2_saveexec_b64 s[0:1], s[50:51]
	s_cbranch_execz .LBB91_3
; %bb.40:                               ;   in Loop: Header=BB91_5 Depth=1
	s_mov_b32 s24, s52
	v_mul_f64 v[8:9], v[4:5], s[24:25]
	v_rndne_f64_e32 v[10:11], v[8:9]
	s_mov_b32 s54, s46
	v_fma_f64 v[4:5], v[10:11], s[54:55], -v[4:5]
	s_mov_b32 s56, s48
	v_fmac_f64_e32 v[4:5], s[56:57], v[10:11]
	v_pk_mov_b32 v[8:9], v[30:31], v[30:31] op_sel:[0,1]
	v_fmac_f64_e32 v[8:9], s[58:59], v[4:5]
	v_pk_mov_b32 v[74:75], v[32:33], v[32:33] op_sel:[0,1]
	;; [unrolled: 2-line block ×9, first 2 shown]
	v_fmac_f64_e32 v[76:77], v[4:5], v[74:75]
	v_fma_f64 v[74:75], v[4:5], v[76:77], 1.0
	s_mov_b32 s2, 0xc4800000
	v_fma_f64 v[4:5], v[4:5], v[74:75], 1.0
	v_cvt_i32_f64_e32 v7, v[10:11]
	v_cmp_ngt_f32_e32 vcc, s2, v6
	s_mov_b32 s2, 0x44866000
	v_ldexp_f64 v[4:5], v[4:5], v7
	v_cmp_nlt_f32_e64 s[2:3], s2, v6
	v_mov_b32_e32 v8, 0
	v_cndmask_b32_e32 v5, v94, v5, vcc
	s_and_b64 vcc, s[2:3], vcc
	v_mov_b32_e32 v9, 0x3ff00000
	v_mov_b32_e32 v78, 0
	v_cndmask_b32_e64 v11, 0, v5, s[2:3]
	v_cndmask_b32_e32 v10, 0, v4, vcc
	s_mov_b32 s12, -1
	s_mov_b64 s[2:3], 0
	v_mov_b32_e32 v79, v17
	s_branch .LBB91_42
.LBB91_41:                              ;   in Loop: Header=BB91_42 Depth=2
	s_or_b64 exec, exec, s[6:7]
	v_cmp_eq_u32_e32 vcc, 1, v15
	v_cndmask_b32_e32 v0, v0, v1, vcc
	v_cmp_eq_u32_e32 vcc, 2, v15
	v_cndmask_b32_e32 v0, v0, v2, vcc
	;; [unrolled: 2-line block ×6, first 2 shown]
	v_lshrrev_b32_e32 v0, 11, v0
	v_cvt_f64_u32_e32 v[0:1], v0
	v_ldexp_f64 v[0:1], v[0:1], 32
	v_cvt_f64_u32_e32 v[2:3], v2
	v_add_f64 v[0:1], v[0:1], v[2:3]
	v_mov_b32_e32 v2, 0
	v_mov_b32_e32 v3, 0x3ca00000
	v_fmac_f64_e32 v[2:3], 0x3ca00000, v[0:1]
	v_mul_f64 v[8:9], v[8:9], v[2:3]
	v_cmp_ngt_f64_e32 vcc, v[8:9], v[10:11]
	s_add_i32 s12, s12, 1
	s_or_b64 s[2:3], vcc, s[2:3]
	v_mov_b32_e32 v75, s12
	v_mov_b32_e32 v15, v81
	;; [unrolled: 1-line block ×6, first 2 shown]
	s_andn2_b64 exec, exec, s[2:3]
	s_cbranch_execz .LBB91_2
.LBB91_42:                              ;   Parent Loop BB91_5 Depth=1
                                        ; =>  This Inner Loop Header: Depth=2
	v_add_u32_e32 v80, 1, v15
	v_pk_mov_b32 v[6:7], v[2:3], v[2:3] op_sel:[0,1]
	v_cmp_eq_u32_e32 vcc, 4, v80
	v_pk_mov_b32 v[4:5], v[0:1], v[0:1] op_sel:[0,1]
	v_mov_b32_e32 v77, v0
	v_mov_b32_e32 v76, v1
	;; [unrolled: 1-line block ×4, first 2 shown]
	s_and_saveexec_b64 s[6:7], vcc
	s_cbranch_execz .LBB91_44
; %bb.43:                               ;   in Loop: Header=BB91_42 Depth=2
	v_add_co_u32_e32 v97, vcc, 1, v97
	v_cndmask_b32_e64 v4, 0, 1, vcc
	v_addc_co_u32_e32 v98, vcc, 0, v98, vcc
	v_cmp_eq_u32_e32 vcc, 0, v98
	v_cndmask_b32_e32 v4, 0, v4, vcc
	v_add_u32_e32 v79, v4, v79
	v_cmp_eq_u32_e32 vcc, 0, v79
	v_cndmask_b32_e32 v4, 0, v4, vcc
	v_add_u32_e32 v78, v4, v78
	v_mad_u64_u32 v[4:5], s[14:15], v97, s11, 0
	v_mad_u64_u32 v[6:7], s[14:15], v79, s9, 0
	v_xor_b32_e32 v5, v5, v73
	v_xor_b32_e32 v7, v7, v72
	v_xor_b32_e32 v5, v78, v5
	v_xor_b32_e32 v7, v98, v7
	v_mad_u64_u32 v[76:77], s[14:15], v5, s9, 0
	v_mad_u64_u32 v[74:75], s[14:15], v7, s11, 0
	v_xor_b32_e32 v5, v99, v77
	v_xor_b32_e32 v5, v5, v6
	v_xor_b32_e32 v6, v100, v75
	v_xor_b32_e32 v6, v6, v4
	;; [unrolled: 6-line block ×10, first 2 shown]
	v_mov_b32_e32 v80, 0
	v_mov_b32_e32 v5, v76
	;; [unrolled: 1-line block ×5, first 2 shown]
.LBB91_44:                              ;   in Loop: Header=BB91_42 Depth=2
	s_or_b64 exec, exec, s[6:7]
	v_add_u32_e32 v81, 1, v80
	v_cmp_eq_u32_e32 vcc, 4, v81
	s_and_saveexec_b64 s[6:7], vcc
	s_cbranch_execz .LBB91_41
; %bb.45:                               ;   in Loop: Header=BB91_42 Depth=2
	v_add_co_u32_e32 v97, vcc, 1, v97
	v_cndmask_b32_e64 v74, 0, 1, vcc
	v_addc_co_u32_e32 v98, vcc, 0, v98, vcc
	v_cmp_eq_u32_e32 vcc, 0, v98
	v_cndmask_b32_e32 v74, 0, v74, vcc
	v_add_u32_e32 v79, v74, v79
	v_cmp_eq_u32_e32 vcc, 0, v79
	v_cndmask_b32_e32 v74, 0, v74, vcc
	v_add_u32_e32 v78, v74, v78
	v_mad_u64_u32 v[74:75], s[14:15], v97, s11, 0
	v_mad_u64_u32 v[76:77], s[14:15], v79, s9, 0
	v_xor_b32_e32 v75, v75, v73
	v_xor_b32_e32 v77, v77, v72
	v_xor_b32_e32 v75, v78, v75
	v_xor_b32_e32 v77, v98, v77
	v_mad_u64_u32 v[84:85], s[14:15], v75, s9, 0
	v_mad_u64_u32 v[82:83], s[14:15], v77, s11, 0
	v_xor_b32_e32 v75, v99, v85
	v_xor_b32_e32 v75, v75, v76
	v_xor_b32_e32 v76, v100, v83
	v_xor_b32_e32 v76, v76, v74
	;; [unrolled: 6-line block ×9, first 2 shown]
	v_mad_u64_u32 v[74:75], s[14:15], v74, s11, 0
	v_mad_u64_u32 v[76:77], s[14:15], v76, s9, 0
	v_xor_b32_e32 v77, v77, v116
	v_xor_b32_e32 v75, v75, v86
	v_mov_b32_e32 v81, 0
	v_xor_b32_e32 v77, v106, v77
	v_xor_b32_e32 v82, v96, v75
	s_branch .LBB91_41
.LBB91_46:
	s_or_b64 exec, exec, s[4:5]
	s_and_saveexec_b64 s[0:1], s[18:19]
	s_xor_b64 s[0:1], exec, s[0:1]
	s_cbranch_execnz .LBB91_48
.LBB91_47:
	s_endpgm
.LBB91_48:
	s_trap 2
	; divergent unreachable
	s_endpgm
	.section	.rodata,"a",@progbits
	.p2align	6, 0x0
	.amdhsa_kernel _ZN2at4cuda12_GLOBAL__N_121kernelPointwiseApply2IZN12_GLOBAL__N_119poisson_cuda_kernelIN3c108BFloat16EEEvRKNS_10TensorBaseES9_NS_15PhiloxCudaStateEEUlRS6_RKS6_E_S6_S6_jLi1ELi2ELi1ELi512ELi2EEEvNS0_6detail10TensorInfoIT0_T2_EENSG_IT1_SI_EESI_T_
		.amdhsa_group_segment_fixed_size 0
		.amdhsa_private_segment_fixed_size 0
		.amdhsa_kernarg_size 728
		.amdhsa_user_sgpr_count 6
		.amdhsa_user_sgpr_private_segment_buffer 1
		.amdhsa_user_sgpr_dispatch_ptr 0
		.amdhsa_user_sgpr_queue_ptr 0
		.amdhsa_user_sgpr_kernarg_segment_ptr 1
		.amdhsa_user_sgpr_dispatch_id 0
		.amdhsa_user_sgpr_flat_scratch_init 0
		.amdhsa_user_sgpr_kernarg_preload_length 0
		.amdhsa_user_sgpr_kernarg_preload_offset 0
		.amdhsa_user_sgpr_private_segment_size 0
		.amdhsa_uses_dynamic_stack 0
		.amdhsa_system_sgpr_private_segment_wavefront_offset 0
		.amdhsa_system_sgpr_workgroup_id_x 1
		.amdhsa_system_sgpr_workgroup_id_y 0
		.amdhsa_system_sgpr_workgroup_id_z 0
		.amdhsa_system_sgpr_workgroup_info 0
		.amdhsa_system_vgpr_workitem_id 0
		.amdhsa_next_free_vgpr 135
		.amdhsa_next_free_sgpr 96
		.amdhsa_accum_offset 136
		.amdhsa_reserve_vcc 1
		.amdhsa_reserve_flat_scratch 0
		.amdhsa_float_round_mode_32 0
		.amdhsa_float_round_mode_16_64 0
		.amdhsa_float_denorm_mode_32 3
		.amdhsa_float_denorm_mode_16_64 3
		.amdhsa_dx10_clamp 1
		.amdhsa_ieee_mode 1
		.amdhsa_fp16_overflow 0
		.amdhsa_tg_split 0
		.amdhsa_exception_fp_ieee_invalid_op 0
		.amdhsa_exception_fp_denorm_src 0
		.amdhsa_exception_fp_ieee_div_zero 0
		.amdhsa_exception_fp_ieee_overflow 0
		.amdhsa_exception_fp_ieee_underflow 0
		.amdhsa_exception_fp_ieee_inexact 0
		.amdhsa_exception_int_div_zero 0
	.end_amdhsa_kernel
	.section	.text._ZN2at4cuda12_GLOBAL__N_121kernelPointwiseApply2IZN12_GLOBAL__N_119poisson_cuda_kernelIN3c108BFloat16EEEvRKNS_10TensorBaseES9_NS_15PhiloxCudaStateEEUlRS6_RKS6_E_S6_S6_jLi1ELi2ELi1ELi512ELi2EEEvNS0_6detail10TensorInfoIT0_T2_EENSG_IT1_SI_EESI_T_,"axG",@progbits,_ZN2at4cuda12_GLOBAL__N_121kernelPointwiseApply2IZN12_GLOBAL__N_119poisson_cuda_kernelIN3c108BFloat16EEEvRKNS_10TensorBaseES9_NS_15PhiloxCudaStateEEUlRS6_RKS6_E_S6_S6_jLi1ELi2ELi1ELi512ELi2EEEvNS0_6detail10TensorInfoIT0_T2_EENSG_IT1_SI_EESI_T_,comdat
.Lfunc_end91:
	.size	_ZN2at4cuda12_GLOBAL__N_121kernelPointwiseApply2IZN12_GLOBAL__N_119poisson_cuda_kernelIN3c108BFloat16EEEvRKNS_10TensorBaseES9_NS_15PhiloxCudaStateEEUlRS6_RKS6_E_S6_S6_jLi1ELi2ELi1ELi512ELi2EEEvNS0_6detail10TensorInfoIT0_T2_EENSG_IT1_SI_EESI_T_, .Lfunc_end91-_ZN2at4cuda12_GLOBAL__N_121kernelPointwiseApply2IZN12_GLOBAL__N_119poisson_cuda_kernelIN3c108BFloat16EEEvRKNS_10TensorBaseES9_NS_15PhiloxCudaStateEEUlRS6_RKS6_E_S6_S6_jLi1ELi2ELi1ELi512ELi2EEEvNS0_6detail10TensorInfoIT0_T2_EENSG_IT1_SI_EESI_T_
                                        ; -- End function
	.section	.AMDGPU.csdata,"",@progbits
; Kernel info:
; codeLenInByte = 13512
; NumSgprs: 100
; NumVgprs: 135
; NumAgprs: 0
; TotalNumVgprs: 135
; ScratchSize: 0
; MemoryBound: 0
; FloatMode: 240
; IeeeMode: 1
; LDSByteSize: 0 bytes/workgroup (compile time only)
; SGPRBlocks: 12
; VGPRBlocks: 16
; NumSGPRsForWavesPerEU: 100
; NumVGPRsForWavesPerEU: 135
; AccumOffset: 136
; Occupancy: 3
; WaveLimiterHint : 1
; COMPUTE_PGM_RSRC2:SCRATCH_EN: 0
; COMPUTE_PGM_RSRC2:USER_SGPR: 6
; COMPUTE_PGM_RSRC2:TRAP_HANDLER: 0
; COMPUTE_PGM_RSRC2:TGID_X_EN: 1
; COMPUTE_PGM_RSRC2:TGID_Y_EN: 0
; COMPUTE_PGM_RSRC2:TGID_Z_EN: 0
; COMPUTE_PGM_RSRC2:TIDIG_COMP_CNT: 0
; COMPUTE_PGM_RSRC3_GFX90A:ACCUM_OFFSET: 33
; COMPUTE_PGM_RSRC3_GFX90A:TG_SPLIT: 0
	.section	.text._ZN2at4cuda12_GLOBAL__N_121kernelPointwiseApply2IZN12_GLOBAL__N_119poisson_cuda_kernelIN3c108BFloat16EEEvRKNS_10TensorBaseES9_NS_15PhiloxCudaStateEEUlRS6_RKS6_E_S6_S6_jLi1ELin1ELi1ELi512ELi2EEEvNS0_6detail10TensorInfoIT0_T2_EENSG_IT1_SI_EESI_T_,"axG",@progbits,_ZN2at4cuda12_GLOBAL__N_121kernelPointwiseApply2IZN12_GLOBAL__N_119poisson_cuda_kernelIN3c108BFloat16EEEvRKNS_10TensorBaseES9_NS_15PhiloxCudaStateEEUlRS6_RKS6_E_S6_S6_jLi1ELin1ELi1ELi512ELi2EEEvNS0_6detail10TensorInfoIT0_T2_EENSG_IT1_SI_EESI_T_,comdat
	.globl	_ZN2at4cuda12_GLOBAL__N_121kernelPointwiseApply2IZN12_GLOBAL__N_119poisson_cuda_kernelIN3c108BFloat16EEEvRKNS_10TensorBaseES9_NS_15PhiloxCudaStateEEUlRS6_RKS6_E_S6_S6_jLi1ELin1ELi1ELi512ELi2EEEvNS0_6detail10TensorInfoIT0_T2_EENSG_IT1_SI_EESI_T_ ; -- Begin function _ZN2at4cuda12_GLOBAL__N_121kernelPointwiseApply2IZN12_GLOBAL__N_119poisson_cuda_kernelIN3c108BFloat16EEEvRKNS_10TensorBaseES9_NS_15PhiloxCudaStateEEUlRS6_RKS6_E_S6_S6_jLi1ELin1ELi1ELi512ELi2EEEvNS0_6detail10TensorInfoIT0_T2_EENSG_IT1_SI_EESI_T_
	.p2align	8
	.type	_ZN2at4cuda12_GLOBAL__N_121kernelPointwiseApply2IZN12_GLOBAL__N_119poisson_cuda_kernelIN3c108BFloat16EEEvRKNS_10TensorBaseES9_NS_15PhiloxCudaStateEEUlRS6_RKS6_E_S6_S6_jLi1ELin1ELi1ELi512ELi2EEEvNS0_6detail10TensorInfoIT0_T2_EENSG_IT1_SI_EESI_T_,@function
_ZN2at4cuda12_GLOBAL__N_121kernelPointwiseApply2IZN12_GLOBAL__N_119poisson_cuda_kernelIN3c108BFloat16EEEvRKNS_10TensorBaseES9_NS_15PhiloxCudaStateEEUlRS6_RKS6_E_S6_S6_jLi1ELin1ELi1ELi512ELi2EEEvNS0_6detail10TensorInfoIT0_T2_EENSG_IT1_SI_EESI_T_: ; @_ZN2at4cuda12_GLOBAL__N_121kernelPointwiseApply2IZN12_GLOBAL__N_119poisson_cuda_kernelIN3c108BFloat16EEEvRKNS_10TensorBaseES9_NS_15PhiloxCudaStateEEUlRS6_RKS6_E_S6_S6_jLi1ELin1ELi1ELi512ELi2EEEvNS0_6detail10TensorInfoIT0_T2_EENSG_IT1_SI_EESI_T_
; %bb.0:
	s_load_dword s2, s[4:5], 0x1e4
	s_load_dword s33, s[4:5], 0x1b0
	s_add_u32 s0, s4, 0x1d8
	s_addc_u32 s1, s5, 0
	s_waitcnt lgkmcnt(0)
	s_and_b32 s2, s2, 0xffff
	s_mul_i32 s6, s6, s2
	v_add_u32_e32 v17, s6, v0
	v_cmp_gt_u32_e32 vcc, s33, v17
	s_and_saveexec_b64 s[6:7], vcc
	s_cbranch_execz .LBB92_50
; %bb.1:
	s_load_dwordx4 s[16:19], s[4:5], 0x1b8
                                        ; implicit-def: $vgpr134 : SGPR spill to VGPR lane
	s_load_dword s8, s[4:5], 0x1d0
                                        ; kill: killed $sgpr0 killed $sgpr1
	s_add_u32 s9, s4, 0xd8
	s_addc_u32 s12, s5, 0
	s_mov_b32 s24, 0
	s_waitcnt lgkmcnt(0)
	v_writelane_b32 v134, s16, 0
	v_writelane_b32 v134, s17, 1
	;; [unrolled: 1-line block ×4, first 2 shown]
	s_load_dword s3, s[4:5], 0x1a8
	s_load_dwordx2 s[16:17], s[4:5], 0x0
	s_load_dword s6, s[4:5], 0x6c
	s_mov_b32 s30, 0x55555555
	s_mov_b32 s34, 0x6b47b09a
	s_waitcnt lgkmcnt(0)
	s_cmp_gt_i32 s3, 1
	s_load_dwordx2 s[14:15], s[4:5], 0xd8
	v_writelane_b32 v134, s6, 4
	s_load_dword s13, s[0:1], 0x0
	s_load_dwordx2 s[6:7], s[4:5], 0x1c8
	s_mov_b32 s36, 0xbf559e2b
	s_load_dword s0, s[4:5], 0x144
	s_mov_b32 s38, 0xd7f4df2e
	s_waitcnt lgkmcnt(0)
	s_mul_i32 s2, s13, s2
	v_writelane_b32 v134, s6, 5
	v_writelane_b32 v134, s7, 6
	;; [unrolled: 1-line block ×3, first 2 shown]
	s_cselect_b64 s[6:7], -1, 0
	s_getpc_b64 s[0:1]
	s_add_u32 s0, s0, .str@rel32@lo+4
	s_addc_u32 s1, s1, .str@rel32@hi+12
	s_cmp_eq_u64 s[0:1], 0
	s_cselect_b64 s[0:1], -1, 0
	s_bitcmp1_b32 s8, 0
	s_cselect_b64 s[10:11], -1, 0
	v_writelane_b32 v134, s10, 8
	s_mov_b32 s8, 0xcd9e8d57
	v_writelane_b32 v134, s11, 9
	v_mad_u64_u32 v[12:13], s[10:11], v17, s8, 0
	v_writelane_b32 v134, s2, 10
	s_add_i32 s10, s3, 1
	s_add_i32 s2, s3, -1
	s_mov_b32 s3, 0
	s_lshl_b64 s[2:3], s[2:3], 2
	s_add_u32 s2, s2, s9
	s_addc_u32 s3, s3, s12
	s_add_u32 s2, s2, 8
	s_addc_u32 s3, s3, 0
	v_writelane_b32 v134, s2, 11
	v_cndmask_b32_e64 v0, 0, 1, s[6:7]
	v_writelane_b32 v134, s3, 12
	v_cmp_ne_u32_e64 s[2:3], 1, v0
	v_writelane_b32 v134, s2, 13
	v_writelane_b32 v134, s3, 14
	s_mov_b32 s2, s14
	v_writelane_b32 v134, s2, 15
	v_writelane_b32 v134, s3, 16
	s_mov_b32 s40, 0x16291751
	s_mov_b32 s42, 0x9b27acf1
	;; [unrolled: 1-line block ×21, first 2 shown]
	s_movk_i32 s92, 0xf950
	s_mov_b32 s94, 0xc864beb5
	s_mov_b32 s22, 0
	;; [unrolled: 1-line block ×3, first 2 shown]
                                        ; kill: killed $sgpr4 killed $sgpr5
	s_mov_b64 s[4:5], 0
	v_mov_b32_e32 v14, 0
	v_mov_b32_e32 v16, v13
	;; [unrolled: 1-line block ×3, first 2 shown]
	s_mov_b32 s11, 0xd2511f53
	s_mov_b32 s25, 0x40080000
	;; [unrolled: 1-line block ×12, first 2 shown]
	s_movk_i32 s9, 0x204
	s_mov_b32 s55, 0x3ff71547
	s_mov_b32 s57, 0xbfe62e42
	s_mov_b32 s59, 0xbc7abc9e
	s_xor_b64 s[60:61], s[0:1], -1
	v_mov_b32_e32 v18, 0x6b47b09a
	v_mov_b32_e32 v20, 0xd7f4df2e
	;; [unrolled: 1-line block ×59, first 2 shown]
	s_mov_b32 s63, 0x3e5ade15
	s_mov_b32 s65, 0x40900000
	;; [unrolled: 1-line block ×20, first 2 shown]
	v_writelane_b32 v134, s16, 17
                                        ; implicit-def: $sgpr26_sgpr27
                                        ; implicit-def: $sgpr28_sgpr29
	v_writelane_b32 v134, s17, 18
	s_branch .LBB92_5
.LBB92_2:                               ;   in Loop: Header=BB92_5 Depth=1
	s_or_b64 exec, exec, s[2:3]
.LBB92_3:                               ;   in Loop: Header=BB92_5 Depth=1
	s_or_b64 exec, exec, s[0:1]
	v_cvt_f32_u32_e32 v3, v75
	v_lshlrev_b64 v[0:1], 1, v[70:71]
	v_mov_b32_e32 v2, s17
	v_add_co_u32_e32 v0, vcc, s16, v0
	v_addc_co_u32_e32 v1, vcc, v2, v1, vcc
	v_bfe_u32 v2, v3, 16, 1
	s_movk_i32 s0, 0x7fff
	v_add3_u32 v2, v3, v2, s0
	v_readlane_b32 s0, v134, 10
	v_add_u32_e32 v94, s0, v94
	v_cmp_le_u32_e32 vcc, s33, v94
	s_andn2_b64 s[28:29], s[28:29], exec
	s_orn2_b64 s[0:1], vcc, exec
	global_store_short_d16_hi v[0:1], v2, off
.LBB92_4:                               ;   in Loop: Header=BB92_5 Depth=1
	s_or_b64 exec, exec, s[52:53]
	s_and_b64 s[0:1], exec, s[0:1]
	s_or_b64 s[4:5], s[0:1], s[4:5]
	s_andn2_b64 s[0:1], s[26:27], exec
	s_and_b64 s[2:3], s[28:29], exec
	s_or_b64 s[26:27], s[0:1], s[2:3]
	s_andn2_b64 exec, exec, s[4:5]
	s_cbranch_execz .LBB92_49
.LBB92_5:                               ; =>This Loop Header: Depth=1
                                        ;     Child Loop BB92_8 Depth 2
                                        ;     Child Loop BB92_16 Depth 2
	;; [unrolled: 1-line block ×3, first 2 shown]
	v_sub_u32_e32 v0, s33, v94
	v_cmp_lt_i32_e32 vcc, 0, v0
	v_pk_mov_b32 v[0:1], 0, 0
	v_pk_mov_b32 v[70:71], v[0:1], v[0:1] op_sel:[0,1]
	s_and_saveexec_b64 s[0:1], vcc
	s_cbranch_execz .LBB92_10
; %bb.6:                                ;   in Loop: Header=BB92_5 Depth=1
	v_readlane_b32 s2, v134, 13
	v_readlane_b32 s3, v134, 14
	s_and_b64 vcc, exec, s[2:3]
	v_mov_b32_e32 v0, 0
	v_mov_b32_e32 v2, v94
	s_cbranch_vccnz .LBB92_9
; %bb.7:                                ;   in Loop: Header=BB92_5 Depth=1
	v_readlane_b32 s2, v134, 11
	v_mov_b32_e32 v0, 0
	v_readlane_b32 s3, v134, 12
	s_mov_b32 s6, s10
	v_mov_b32_e32 v2, v94
.LBB92_8:                               ;   Parent Loop BB92_5 Depth=1
                                        ; =>  This Inner Loop Header: Depth=2
	s_load_dword s7, s[2:3], 0x0
	s_load_dword s12, s[2:3], 0x64
	v_mov_b32_e32 v1, v2
	s_add_i32 s6, s6, -1
	s_waitcnt lgkmcnt(0)
	v_cvt_f32_u32_e32 v2, s7
	s_sub_i32 s14, 0, s7
	s_add_u32 s2, s2, -4
	s_addc_u32 s3, s3, -1
	v_rcp_iflag_f32_e32 v2, v2
	s_cmp_gt_u32 s6, 2
	v_mul_f32_e32 v2, 0x4f7ffffe, v2
	v_cvt_u32_f32_e32 v2, v2
	v_mul_lo_u32 v3, s14, v2
	v_mul_hi_u32 v3, v2, v3
	v_add_u32_e32 v2, v2, v3
	v_mul_hi_u32 v2, v1, v2
	v_mul_lo_u32 v3, v2, s7
	v_sub_u32_e32 v3, v1, v3
	v_add_u32_e32 v4, 1, v2
	v_subrev_u32_e32 v5, s7, v3
	v_cmp_le_u32_e32 vcc, s7, v3
	v_cndmask_b32_e32 v2, v2, v4, vcc
	v_cndmask_b32_e32 v3, v3, v5, vcc
	v_add_u32_e32 v4, 1, v2
	v_cmp_le_u32_e32 vcc, s7, v3
	v_cndmask_b32_e32 v2, v2, v4, vcc
	v_mul_lo_u32 v3, v2, s7
	v_sub_u32_e32 v1, v1, v3
	v_mad_u64_u32 v[0:1], s[14:15], s12, v1, v[0:1]
	s_cbranch_scc1 .LBB92_8
.LBB92_9:                               ;   in Loop: Header=BB92_5 Depth=1
	v_readlane_b32 s2, v134, 4
	v_mul_lo_u32 v70, v94, s2
	v_readlane_b32 s2, v134, 7
	v_mad_u64_u32 v[0:1], s[2:3], s2, v2, v[0:1]
	v_mov_b32_e32 v71, v14
	v_mov_b32_e32 v1, v14
.LBB92_10:                              ;   in Loop: Header=BB92_5 Depth=1
	s_or_b64 exec, exec, s[0:1]
	v_lshlrev_b64 v[0:1], 1, v[0:1]
	v_readlane_b32 s0, v134, 15
	v_add_co_u32_e32 v0, vcc, s0, v0
	v_addc_co_u32_e32 v1, vcc, v13, v1, vcc
	global_load_ushort v0, v[0:1], off
	v_readlane_b32 s1, v134, 16
	s_mov_b64 s[0:1], -1
	s_or_b64 s[28:29], s[28:29], exec
	s_waitcnt vmcnt(0)
	v_lshlrev_b32_e32 v6, 16, v0
	v_cmp_le_f32_e32 vcc, 0, v6
	s_and_b64 s[2:3], s[60:61], vcc
	s_and_saveexec_b64 s[52:53], s[2:3]
	s_cbranch_execz .LBB92_4
; %bb.11:                               ;   in Loop: Header=BB92_5 Depth=1
	v_readlane_b32 s0, v134, 8
	v_readlane_b32 s1, v134, 9
	s_andn2_b64 vcc, exec, s[0:1]
	v_readlane_b32 s0, v134, 0
	v_readlane_b32 s1, v134, 1
	v_readlane_b32 s2, v134, 2
	v_readlane_b32 s3, v134, 3
	v_pk_mov_b32 v[0:1], s[2:3], s[2:3] op_sel:[0,1]
	v_pk_mov_b32 v[72:73], s[0:1], s[0:1] op_sel:[0,1]
	s_cbranch_vccnz .LBB92_13
; %bb.12:                               ;   in Loop: Header=BB92_5 Depth=1
	v_readlane_b32 s0, v134, 0
	v_readlane_b32 s2, v134, 2
	;; [unrolled: 1-line block ×3, first 2 shown]
	v_pk_mov_b32 v[0:1], s[2:3], s[2:3] op_sel:[0,1]
	v_readlane_b32 s1, v134, 1
	flat_load_dwordx2 v[0:1], v[0:1]
	v_pk_mov_b32 v[2:3], s[0:1], s[0:1] op_sel:[0,1]
	flat_load_dwordx2 v[72:73], v[2:3]
	v_readlane_b32 s0, v134, 5
	v_readlane_b32 s1, v134, 6
	v_mov_b32_e32 v2, s1
	s_waitcnt vmcnt(0) lgkmcnt(0)
	v_add_co_u32_e32 v0, vcc, s0, v0
	v_addc_co_u32_e32 v1, vcc, v1, v2, vcc
.LBB92_13:                              ;   in Loop: Header=BB92_5 Depth=1
	v_alignbit_b32 v96, v1, v0, 2
	v_and_b32_e32 v15, 3, v0
	v_lshrrev_b32_e32 v97, 2, v1
	v_mad_u64_u32 v[0:1], s[0:1], v96, s11, 0
	v_xor_b32_e32 v3, v16, v72
	v_mov_b32_e32 v2, v73
	v_xor_b32_e32 v1, v1, v73
	s_mov_b32 s0, 0xbb67ae85
	v_xor_b32_e32 v3, v3, v97
	v_add_co_u32_e32 v99, vcc, s0, v2
	v_mad_u64_u32 v[4:5], s[0:1], v3, s11, 0
	v_mad_u64_u32 v[8:9], s[0:1], v1, s8, 0
	v_add_co_u32_e32 v98, vcc, 0x9e3779b9, v72
	v_xor_b32_e32 v1, v12, v9
	v_xor_b32_e32 v3, v99, v5
	s_mov_b32 s0, 0x3c6ef372
	v_xor_b32_e32 v1, v1, v98
	v_xor_b32_e32 v3, v3, v0
	v_add_co_u32_e32 v100, vcc, s0, v72
	s_mov_b32 s0, 0x76cf5d0a
	v_add_co_u32_e32 v101, vcc, s0, v2
	v_mad_u64_u32 v[0:1], s[0:1], v1, s11, 0
	v_mad_u64_u32 v[10:11], s[0:1], v3, s8, 0
	v_xor_b32_e32 v3, v100, v11
	v_xor_b32_e32 v1, v101, v1
	s_mov_b32 s0, 0xdaa66d2b
	v_xor_b32_e32 v3, v3, v8
	v_xor_b32_e32 v1, v1, v4
	v_add_co_u32_e32 v103, vcc, s0, v72
	s_mov_b32 s0, 0x32370b8f
	v_add_co_u32_e32 v104, vcc, s0, v2
	v_mad_u64_u32 v[4:5], s[0:1], v3, s11, 0
	v_mad_u64_u32 v[8:9], s[0:1], v1, s8, 0
	;; [unrolled: 10-line block ×7, first 2 shown]
	v_xor_b32_e32 v1, v102, v1
	v_xor_b32_e32 v3, v114, v3
	;; [unrolled: 1-line block ×4, first 2 shown]
	v_mad_u64_u32 v[4:5], s[0:1], v1, s11, 0
	v_mad_u64_u32 v[8:9], s[0:1], v7, s8, 0
	v_add_u32_e32 v105, 0x8ff34781, v72
	v_add_u32_e32 v95, 0x96a522ad, v73
	v_xor_b32_e32 v0, v9, v0
	v_xor_b32_e32 v2, v5, v2
	s_mov_b32 s0, 0x42800000
	v_mov_b32_e32 v3, v4
	v_mov_b32_e32 v1, v8
	v_xor_b32_e32 v0, v105, v0
	v_xor_b32_e32 v2, v95, v2
	v_cvt_f64_f32_e32 v[4:5], v6
	v_cmp_ngt_f32_e32 vcc, s0, v6
                                        ; implicit-def: $vgpr75
	s_and_saveexec_b64 s[0:1], vcc
	s_xor_b64 s[18:19], exec, s[0:1]
	s_cbranch_execz .LBB92_42
; %bb.14:                               ;   in Loop: Header=BB92_5 Depth=1
	s_mov_b32 s0, 0x457a0000
	v_cmp_ge_f32_e32 vcc, s0, v6
                                        ; implicit-def: $vgpr75
	s_and_saveexec_b64 s[0:1], vcc
	s_xor_b64 s[6:7], exec, s[0:1]
	s_cbranch_execz .LBB92_29
; %bb.15:                               ;   in Loop: Header=BB92_5 Depth=1
	s_mov_b32 s14, 0xae147ae1
	s_mov_b32 s15, 0xc00ae147
	v_div_scale_f64 v[6:7], s[0:1], v[4:5], v[4:5], s[14:15]
	v_rcp_f64_e32 v[8:9], v[6:7]
	s_mov_b32 s0, 0
	v_mul_f64 v[76:77], v[4:5], s[24:25]
	s_brev_b32 s1, 8
	v_cmp_gt_f64_e64 s[2:3], s[0:1], v[76:77]
	v_cndmask_b32_e64 v78, 0, 1, s[2:3]
	v_fma_f64 v[74:75], -v[6:7], v[8:9], 1.0
	v_lshlrev_b32_e32 v78, 8, v78
	v_fmac_f64_e32 v[8:9], v[8:9], v[74:75]
	v_ldexp_f64 v[76:77], v[76:77], v78
	v_fma_f64 v[74:75], -v[6:7], v[8:9], 1.0
	v_rsq_f64_e32 v[78:79], v[76:77]
	v_div_scale_f64 v[10:11], vcc, s[14:15], v[4:5], s[14:15]
	v_fmac_f64_e32 v[8:9], v[8:9], v[74:75]
	v_mul_f64 v[74:75], v[10:11], v[8:9]
	v_fma_f64 v[6:7], -v[6:7], v[74:75], v[10:11]
	s_nop 0
	v_div_fmas_f64 v[6:7], v[6:7], v[8:9], v[74:75]
	v_mul_f64 v[8:9], v[76:77], v[78:79]
	v_mul_f64 v[10:11], v[78:79], 0.5
	v_fma_f64 v[74:75], -v[10:11], v[8:9], 0.5
	v_fmac_f64_e32 v[8:9], v[8:9], v[74:75]
	v_fma_f64 v[78:79], -v[8:9], v[8:9], v[76:77]
	v_fmac_f64_e32 v[10:11], v[10:11], v[74:75]
	v_fmac_f64_e32 v[8:9], v[78:79], v[10:11]
	v_fma_f64 v[74:75], -v[8:9], v[8:9], v[76:77]
	v_fmac_f64_e32 v[8:9], v[74:75], v[10:11]
	v_cndmask_b32_e64 v10, 0, v89, s[2:3]
	v_ldexp_f64 v[8:9], v[8:9], v10
	v_cmp_class_f64_e32 vcc, v[76:77], v88
	s_mov_b32 s2, 0x54442d18
	v_cndmask_b32_e32 v9, v9, v77, vcc
	v_cndmask_b32_e32 v8, v8, v76, vcc
	s_mov_b32 s3, 0x400921fb
	v_div_scale_f64 v[10:11], s[0:1], v[8:9], v[8:9], s[2:3]
	v_rcp_f64_e32 v[76:77], v[10:11]
	s_mov_b32 s0, 0x95810625
	v_div_fixup_f64 v[6:7], v[6:7], v[4:5], s[14:15]
	s_mov_b32 s1, 0x3fe88b43
	v_fma_f64 v[78:79], -v[10:11], v[76:77], 1.0
	v_fmac_f64_e32 v[76:77], v[76:77], v[78:79]
	v_fma_f64 v[78:79], -v[10:11], v[76:77], 1.0
	v_fmac_f64_e32 v[76:77], v[76:77], v[78:79]
	v_div_scale_f64 v[78:79], vcc, s[2:3], v[8:9], s[2:3]
	v_mul_f64 v[80:81], v[78:79], v[76:77]
	v_fma_f64 v[10:11], -v[10:11], v[80:81], v[78:79]
	v_add_f64 v[6:7], v[6:7], s[0:1]
	s_nop 0
	v_div_fmas_f64 v[10:11], v[10:11], v[76:77], v[80:81]
	v_div_fixup_f64 v[76:77], v[10:11], v[8:9], s[2:3]
	v_frexp_mant_f64_e32 v[8:9], v[6:7]
	v_cmp_gt_f64_e32 vcc, s[30:31], v[8:9]
	v_mov_b32_e32 v74, 0
	v_cndmask_b32_e64 v75, v90, 2.0, vcc
	v_frexp_exp_i32_f64_e32 v10, v[6:7]
	v_mul_f64 v[8:9], v[8:9], v[74:75]
	v_subbrev_co_u32_e32 v75, vcc, 0, v10, vcc
	v_add_f64 v[10:11], v[8:9], 1.0
	v_rcp_f64_e32 v[80:81], v[10:11]
	v_add_f64 v[84:85], v[10:11], -1.0
	v_add_f64 v[82:83], v[8:9], -1.0
	v_add_f64 v[8:9], v[8:9], -v[84:85]
	v_fma_f64 v[84:85], -v[10:11], v[80:81], 1.0
	v_fmac_f64_e32 v[80:81], v[84:85], v[80:81]
	v_fma_f64 v[84:85], -v[10:11], v[80:81], 1.0
	v_fmac_f64_e32 v[80:81], v[84:85], v[80:81]
	v_mul_f64 v[84:85], v[82:83], v[80:81]
	v_mul_f64 v[86:87], v[10:11], v[84:85]
	v_fma_f64 v[10:11], v[84:85], v[10:11], -v[86:87]
	v_fmac_f64_e32 v[10:11], v[84:85], v[8:9]
	v_add_f64 v[8:9], v[86:87], v[10:11]
	v_add_f64 v[116:117], v[82:83], -v[8:9]
	v_add_f64 v[86:87], v[8:9], -v[86:87]
	;; [unrolled: 1-line block ×5, first 2 shown]
	v_add_f64 v[8:9], v[10:11], v[8:9]
	v_add_f64 v[8:9], v[116:117], v[8:9]
	v_mul_f64 v[8:9], v[80:81], v[8:9]
	v_add_f64 v[10:11], v[84:85], v[8:9]
	v_add_f64 v[80:81], v[10:11], -v[84:85]
	v_add_f64 v[8:9], v[8:9], -v[80:81]
	v_mul_f64 v[80:81], v[10:11], v[10:11]
	v_pk_mov_b32 v[82:83], s[34:35], s[34:35] op_sel:[0,1]
	v_fma_f64 v[84:85], s[36:37], v[80:81], v[82:83]
	v_fma_f64 v[84:85], v[80:81], v[84:85], s[38:39]
	;; [unrolled: 1-line block ×5, first 2 shown]
	s_mov_b32 s47, s31
	v_fma_f64 v[84:85], v[80:81], v[84:85], s[46:47]
	v_ldexp_f64 v[86:87], v[10:11], 1
	v_mul_f64 v[10:11], v[10:11], v[80:81]
	v_mul_f64 v[10:11], v[10:11], v[84:85]
	v_add_f64 v[80:81], v[86:87], v[10:11]
	v_add_f64 v[84:85], v[80:81], -v[86:87]
	v_ldexp_f64 v[8:9], v[8:9], 1
	v_add_f64 v[10:11], v[10:11], -v[84:85]
	v_add_f64 v[8:9], v[8:9], v[10:11]
	v_add_f64 v[10:11], v[80:81], v[8:9]
	v_add_f64 v[80:81], v[10:11], -v[80:81]
	v_add_f64 v[8:9], v[8:9], -v[80:81]
	v_cvt_f64_i32_e32 v[80:81], v75
	v_mul_f64 v[84:85], v[80:81], s[48:49]
	v_fma_f64 v[86:87], v[80:81], s[48:49], -v[84:85]
	v_fmac_f64_e32 v[86:87], s[50:51], v[80:81]
	v_add_f64 v[80:81], v[84:85], v[86:87]
	v_add_f64 v[84:85], v[80:81], -v[84:85]
	v_add_f64 v[84:85], v[86:87], -v[84:85]
	v_add_f64 v[86:87], v[80:81], v[10:11]
	v_add_f64 v[116:117], v[86:87], -v[80:81]
	v_add_f64 v[118:119], v[86:87], -v[116:117]
	;; [unrolled: 1-line block ×4, first 2 shown]
	v_add_f64 v[10:11], v[10:11], v[80:81]
	v_add_f64 v[80:81], v[84:85], v[8:9]
	v_add_f64 v[116:117], v[80:81], -v[84:85]
	v_add_f64 v[118:119], v[80:81], -v[116:117]
	v_add_f64 v[10:11], v[80:81], v[10:11]
	v_add_f64 v[84:85], v[84:85], -v[118:119]
	v_add_f64 v[8:9], v[8:9], -v[116:117]
	v_add_f64 v[80:81], v[86:87], v[10:11]
	v_add_f64 v[8:9], v[8:9], v[84:85]
	v_add_f64 v[84:85], v[80:81], -v[86:87]
	v_add_f64 v[10:11], v[10:11], -v[84:85]
	v_add_f64 v[8:9], v[8:9], v[10:11]
	v_add_f64 v[8:9], v[80:81], v[8:9]
	v_cmp_class_f64_e64 vcc, v[6:7], s9
	v_cndmask_b32_e32 v8, v8, v6, vcc
	v_cndmask_b32_e32 v9, v9, v7, vcc
	v_cmp_ngt_f64_e32 vcc, 0, v[6:7]
	v_cndmask_b32_e32 v9, v91, v9, vcc
	v_cmp_nge_f64_e32 vcc, 0, v[6:7]
	v_cndmask_b32_e32 v8, 0, v8, vcc
	v_cmp_neq_f64_e32 vcc, 0, v[6:7]
	v_cndmask_b32_e32 v9, v92, v9, vcc
	v_add_f64 v[6:7], v[8:9], -v[4:5]
	v_frexp_mant_f64_e32 v[8:9], v[76:77]
	v_cmp_gt_f64_e32 vcc, s[30:31], v[8:9]
	v_cndmask_b32_e64 v75, v90, 2.0, vcc
	v_frexp_exp_i32_f64_e32 v10, v[76:77]
	v_mul_f64 v[8:9], v[8:9], v[74:75]
	v_subbrev_co_u32_e32 v75, vcc, 0, v10, vcc
	v_add_f64 v[10:11], v[8:9], 1.0
	v_rcp_f64_e32 v[80:81], v[10:11]
	v_add_f64 v[86:87], v[10:11], -1.0
	v_add_f64 v[84:85], v[8:9], -1.0
	v_add_f64 v[8:9], v[8:9], -v[86:87]
	v_fma_f64 v[86:87], -v[10:11], v[80:81], 1.0
	v_fmac_f64_e32 v[80:81], v[86:87], v[80:81]
	v_fma_f64 v[86:87], -v[10:11], v[80:81], 1.0
	v_fmac_f64_e32 v[80:81], v[86:87], v[80:81]
	v_mul_f64 v[86:87], v[84:85], v[80:81]
	v_mul_f64 v[116:117], v[10:11], v[86:87]
	v_fma_f64 v[10:11], v[86:87], v[10:11], -v[116:117]
	v_fmac_f64_e32 v[10:11], v[86:87], v[8:9]
	v_add_f64 v[8:9], v[116:117], v[10:11]
	v_add_f64 v[118:119], v[84:85], -v[8:9]
	v_add_f64 v[116:117], v[8:9], -v[116:117]
	;; [unrolled: 1-line block ×5, first 2 shown]
	v_add_f64 v[8:9], v[10:11], v[8:9]
	v_add_f64 v[8:9], v[118:119], v[8:9]
	v_mul_f64 v[8:9], v[80:81], v[8:9]
	v_add_f64 v[10:11], v[86:87], v[8:9]
	v_add_f64 v[80:81], v[10:11], -v[86:87]
	v_add_f64 v[8:9], v[8:9], -v[80:81]
	v_mul_f64 v[80:81], v[10:11], v[10:11]
	v_fma_f64 v[84:85], s[36:37], v[80:81], v[82:83]
	v_fma_f64 v[84:85], v[80:81], v[84:85], s[38:39]
	;; [unrolled: 1-line block ×6, first 2 shown]
	v_ldexp_f64 v[86:87], v[10:11], 1
	v_mul_f64 v[10:11], v[10:11], v[80:81]
	v_mul_f64 v[10:11], v[10:11], v[84:85]
	v_add_f64 v[80:81], v[86:87], v[10:11]
	v_add_f64 v[84:85], v[80:81], -v[86:87]
	v_ldexp_f64 v[8:9], v[8:9], 1
	v_add_f64 v[10:11], v[10:11], -v[84:85]
	v_add_f64 v[8:9], v[8:9], v[10:11]
	v_add_f64 v[10:11], v[80:81], v[8:9]
	v_add_f64 v[80:81], v[10:11], -v[80:81]
	v_add_f64 v[8:9], v[8:9], -v[80:81]
	v_cvt_f64_i32_e32 v[80:81], v75
	v_mul_f64 v[84:85], v[80:81], s[48:49]
	v_fma_f64 v[86:87], v[80:81], s[48:49], -v[84:85]
	v_fmac_f64_e32 v[86:87], s[50:51], v[80:81]
	v_add_f64 v[80:81], v[84:85], v[86:87]
	v_add_f64 v[84:85], v[80:81], -v[84:85]
	v_add_f64 v[84:85], v[86:87], -v[84:85]
	v_add_f64 v[86:87], v[80:81], v[10:11]
	v_add_f64 v[116:117], v[86:87], -v[80:81]
	v_add_f64 v[118:119], v[86:87], -v[116:117]
	;; [unrolled: 1-line block ×4, first 2 shown]
	v_add_f64 v[10:11], v[10:11], v[80:81]
	v_add_f64 v[80:81], v[84:85], v[8:9]
	v_add_f64 v[116:117], v[80:81], -v[84:85]
	v_add_f64 v[118:119], v[80:81], -v[116:117]
	v_add_f64 v[10:11], v[80:81], v[10:11]
	v_add_f64 v[84:85], v[84:85], -v[118:119]
	v_add_f64 v[8:9], v[8:9], -v[116:117]
	v_add_f64 v[80:81], v[86:87], v[10:11]
	v_add_f64 v[8:9], v[8:9], v[84:85]
	v_add_f64 v[84:85], v[80:81], -v[86:87]
	v_add_f64 v[10:11], v[10:11], -v[84:85]
	s_mov_b32 s0, 0
	v_add_f64 v[8:9], v[8:9], v[10:11]
	s_mov_b32 s1, 0x7ff00000
	v_add_f64 v[8:9], v[80:81], v[8:9]
	v_cmp_eq_f64_e32 vcc, s[0:1], v[76:77]
	v_cndmask_b32_e32 v8, v8, v76, vcc
	v_cndmask_b32_e32 v9, v9, v77, vcc
	v_cmp_neq_f64_e32 vcc, 0, v[76:77]
	v_cndmask_b32_e32 v9, v92, v9, vcc
	v_cndmask_b32_e32 v8, 0, v8, vcc
	v_mul_f64 v[78:79], v[76:77], v[4:5]
	v_add_f64 v[80:81], v[6:7], -v[8:9]
	v_frexp_exp_i32_f64_e32 v6, v[4:5]
	v_frexp_mant_f64_e32 v[4:5], v[4:5]
	v_cmp_gt_f64_e32 vcc, s[30:31], v[4:5]
	v_cndmask_b32_e64 v75, v90, 2.0, vcc
	v_mul_f64 v[4:5], v[4:5], v[74:75]
	v_subbrev_co_u32_e32 v75, vcc, 0, v6, vcc
	v_add_f64 v[6:7], v[4:5], 1.0
	v_rcp_f64_e32 v[8:9], v[6:7]
	v_add_f64 v[84:85], v[6:7], -1.0
	v_add_f64 v[10:11], v[4:5], -1.0
	v_add_f64 v[4:5], v[4:5], -v[84:85]
	v_fma_f64 v[84:85], -v[6:7], v[8:9], 1.0
	v_fmac_f64_e32 v[8:9], v[84:85], v[8:9]
	v_fma_f64 v[84:85], -v[6:7], v[8:9], 1.0
	v_fmac_f64_e32 v[8:9], v[84:85], v[8:9]
	v_mul_f64 v[84:85], v[10:11], v[8:9]
	v_mul_f64 v[86:87], v[6:7], v[84:85]
	v_fma_f64 v[6:7], v[84:85], v[6:7], -v[86:87]
	v_fmac_f64_e32 v[6:7], v[84:85], v[4:5]
	v_add_f64 v[4:5], v[86:87], v[6:7]
	v_add_f64 v[116:117], v[10:11], -v[4:5]
	v_add_f64 v[86:87], v[4:5], -v[86:87]
	;; [unrolled: 1-line block ×5, first 2 shown]
	v_add_f64 v[4:5], v[6:7], v[4:5]
	v_add_f64 v[4:5], v[116:117], v[4:5]
	v_mul_f64 v[4:5], v[8:9], v[4:5]
	v_add_f64 v[6:7], v[84:85], v[4:5]
	v_add_f64 v[8:9], v[6:7], -v[84:85]
	v_add_f64 v[4:5], v[4:5], -v[8:9]
	v_mul_f64 v[8:9], v[6:7], v[6:7]
	v_fmac_f64_e32 v[82:83], s[36:37], v[8:9]
	v_fma_f64 v[10:11], v[8:9], v[82:83], s[38:39]
	v_fma_f64 v[10:11], v[8:9], v[10:11], s[40:41]
	;; [unrolled: 1-line block ×5, first 2 shown]
	v_ldexp_f64 v[82:83], v[6:7], 1
	v_mul_f64 v[6:7], v[6:7], v[8:9]
	v_mul_f64 v[6:7], v[6:7], v[10:11]
	v_add_f64 v[8:9], v[82:83], v[6:7]
	v_add_f64 v[10:11], v[8:9], -v[82:83]
	v_ldexp_f64 v[4:5], v[4:5], 1
	v_add_f64 v[6:7], v[6:7], -v[10:11]
	v_add_f64 v[4:5], v[4:5], v[6:7]
	v_add_f64 v[6:7], v[8:9], v[4:5]
	v_add_f64 v[8:9], v[6:7], -v[8:9]
	v_add_f64 v[4:5], v[4:5], -v[8:9]
	v_cvt_f64_i32_e32 v[8:9], v75
	v_mul_f64 v[10:11], v[8:9], s[48:49]
	v_fma_f64 v[82:83], v[8:9], s[48:49], -v[10:11]
	v_fmac_f64_e32 v[82:83], s[50:51], v[8:9]
	v_add_f64 v[8:9], v[10:11], v[82:83]
	v_add_f64 v[10:11], v[8:9], -v[10:11]
	v_add_f64 v[10:11], v[82:83], -v[10:11]
	v_add_f64 v[82:83], v[8:9], v[6:7]
	v_add_f64 v[84:85], v[82:83], -v[8:9]
	v_add_f64 v[86:87], v[82:83], -v[84:85]
	;; [unrolled: 1-line block ×4, first 2 shown]
	v_add_f64 v[6:7], v[6:7], v[8:9]
	v_add_f64 v[8:9], v[10:11], v[4:5]
	v_add_f64 v[84:85], v[8:9], -v[10:11]
	v_add_f64 v[86:87], v[8:9], -v[84:85]
	v_add_f64 v[6:7], v[8:9], v[6:7]
	v_add_f64 v[10:11], v[10:11], -v[86:87]
	v_add_f64 v[4:5], v[4:5], -v[84:85]
	v_add_f64 v[8:9], v[82:83], v[6:7]
	v_add_f64 v[4:5], v[4:5], v[10:11]
	v_add_f64 v[10:11], v[8:9], -v[82:83]
	v_add_f64 v[6:7], v[6:7], -v[10:11]
	v_add_f64 v[4:5], v[4:5], v[6:7]
	v_add_f64 v[82:83], v[8:9], v[4:5]
	s_mov_b64 s[14:15], 0
	s_mov_b64 s[16:17], 0
	v_mov_b32_e32 v115, v17
                                        ; implicit-def: $vgpr75
.LBB92_16:                              ;   Parent Loop BB92_5 Depth=1
                                        ; =>  This Inner Loop Header: Depth=2
	v_add_u32_e32 v116, 1, v15
	v_pk_mov_b32 v[10:11], v[2:3], v[2:3] op_sel:[0,1]
	v_cmp_eq_u32_e32 vcc, 4, v116
	v_pk_mov_b32 v[8:9], v[0:1], v[0:1] op_sel:[0,1]
	v_mov_b32_e32 v87, v0
	v_mov_b32_e32 v86, v1
	;; [unrolled: 1-line block ×4, first 2 shown]
	s_and_saveexec_b64 s[0:1], vcc
	s_cbranch_execz .LBB92_18
; %bb.17:                               ;   in Loop: Header=BB92_16 Depth=2
	v_add_co_u32_e32 v96, vcc, 1, v96
	v_cndmask_b32_e64 v4, 0, 1, vcc
	v_addc_co_u32_e32 v97, vcc, 0, v97, vcc
	v_cmp_eq_u32_e32 vcc, 0, v97
	v_cndmask_b32_e32 v4, 0, v4, vcc
	v_add_u32_e32 v115, v4, v115
	v_cmp_eq_u32_e32 vcc, 0, v115
	v_cndmask_b32_e32 v4, 0, v4, vcc
	v_add_u32_e32 v74, v4, v74
	v_mad_u64_u32 v[4:5], s[2:3], v96, s11, 0
	v_mad_u64_u32 v[6:7], s[2:3], v115, s8, 0
	v_xor_b32_e32 v5, v5, v73
	v_xor_b32_e32 v7, v7, v72
	v_xor_b32_e32 v5, v74, v5
	v_xor_b32_e32 v7, v97, v7
	v_mad_u64_u32 v[10:11], s[2:3], v5, s8, 0
	v_mad_u64_u32 v[8:9], s[2:3], v7, s11, 0
	v_xor_b32_e32 v5, v98, v11
	v_xor_b32_e32 v5, v5, v6
	v_xor_b32_e32 v6, v99, v9
	v_xor_b32_e32 v6, v6, v4
	;; [unrolled: 6-line block ×10, first 2 shown]
	v_mov_b32_e32 v116, 0
	v_mov_b32_e32 v9, v86
	;; [unrolled: 1-line block ×5, first 2 shown]
.LBB92_18:                              ;   in Loop: Header=BB92_16 Depth=2
	s_or_b64 exec, exec, s[0:1]
	v_add_u32_e32 v117, 1, v116
	v_pk_mov_b32 v[4:5], v[8:9], v[8:9] op_sel:[0,1]
	v_cmp_eq_u32_e32 vcc, 4, v117
	v_pk_mov_b32 v[6:7], v[10:11], v[10:11] op_sel:[0,1]
	s_and_saveexec_b64 s[0:1], vcc
	s_cbranch_execz .LBB92_20
; %bb.19:                               ;   in Loop: Header=BB92_16 Depth=2
	v_add_co_u32_e32 v96, vcc, 1, v96
	v_cndmask_b32_e64 v4, 0, 1, vcc
	v_addc_co_u32_e32 v97, vcc, 0, v97, vcc
	v_cmp_eq_u32_e32 vcc, 0, v97
	v_cndmask_b32_e32 v4, 0, v4, vcc
	v_add_u32_e32 v115, v4, v115
	v_cmp_eq_u32_e32 vcc, 0, v115
	v_cndmask_b32_e32 v4, 0, v4, vcc
	v_add_u32_e32 v74, v4, v74
	v_mad_u64_u32 v[4:5], s[2:3], v96, s11, 0
	v_mad_u64_u32 v[6:7], s[2:3], v115, s8, 0
	v_xor_b32_e32 v5, v5, v73
	v_xor_b32_e32 v7, v7, v72
	v_xor_b32_e32 v5, v74, v5
	v_xor_b32_e32 v7, v97, v7
	v_mad_u64_u32 v[86:87], s[2:3], v5, s8, 0
	v_mad_u64_u32 v[84:85], s[2:3], v7, s11, 0
	v_xor_b32_e32 v5, v98, v87
	v_xor_b32_e32 v5, v5, v6
	v_xor_b32_e32 v6, v99, v85
	v_xor_b32_e32 v6, v6, v4
	;; [unrolled: 6-line block ×10, first 2 shown]
	v_mov_b32_e32 v117, 0
	v_mov_b32_e32 v5, v86
	;; [unrolled: 1-line block ×5, first 2 shown]
.LBB92_20:                              ;   in Loop: Header=BB92_16 Depth=2
	s_or_b64 exec, exec, s[0:1]
	v_cmp_eq_u32_e32 vcc, 1, v15
	v_cndmask_b32_e32 v0, v0, v1, vcc
	v_cmp_eq_u32_e32 vcc, 2, v15
	v_cndmask_b32_e32 v0, v0, v2, vcc
	;; [unrolled: 2-line block ×6, first 2 shown]
	v_lshrrev_b32_e32 v0, 11, v0
	v_cvt_f64_u32_e32 v[0:1], v0
	v_ldexp_f64 v[0:1], v[0:1], 32
	v_cvt_f64_u32_e32 v[2:3], v2
	v_add_f64 v[0:1], v[0:1], v[2:3]
	v_mov_b32_e32 v2, 0
	v_mov_b32_e32 v3, 0x3ca00000
	v_fmac_f64_e32 v[2:3], 0x3ca00000, v[0:1]
	v_add_f64 v[0:1], -v[2:3], 1.0
	v_div_scale_f64 v[8:9], s[0:1], v[2:3], v[2:3], v[0:1]
	v_rcp_f64_e32 v[10:11], v[8:9]
	v_fma_f64 v[118:119], -v[8:9], v[10:11], 1.0
	v_fmac_f64_e32 v[10:11], v[10:11], v[118:119]
	v_fma_f64 v[118:119], -v[8:9], v[10:11], 1.0
	v_fmac_f64_e32 v[10:11], v[10:11], v[118:119]
	v_div_scale_f64 v[118:119], vcc, v[0:1], v[2:3], v[0:1]
	v_mul_f64 v[120:121], v[118:119], v[10:11]
	v_fma_f64 v[8:9], -v[8:9], v[120:121], v[118:119]
	s_nop 1
	v_div_fmas_f64 v[8:9], v[8:9], v[10:11], v[120:121]
	v_div_fixup_f64 v[0:1], v[8:9], v[2:3], v[0:1]
	v_frexp_mant_f64_e32 v[2:3], v[0:1]
	v_cmp_gt_f64_e32 vcc, s[30:31], v[2:3]
	v_cndmask_b32_e64 v15, v90, 2.0, vcc
	v_frexp_exp_i32_f64_e32 v8, v[0:1]
	v_mul_f64 v[2:3], v[2:3], v[14:15]
	v_subbrev_co_u32_e32 v15, vcc, 0, v8, vcc
	v_add_f64 v[8:9], v[2:3], 1.0
	v_rcp_f64_e32 v[10:11], v[8:9]
	v_add_f64 v[120:121], v[8:9], -1.0
	v_add_f64 v[118:119], v[2:3], -1.0
	v_add_f64 v[2:3], v[2:3], -v[120:121]
	v_fma_f64 v[120:121], -v[8:9], v[10:11], 1.0
	v_fmac_f64_e32 v[10:11], v[120:121], v[10:11]
	v_fma_f64 v[120:121], -v[8:9], v[10:11], 1.0
	v_fmac_f64_e32 v[10:11], v[120:121], v[10:11]
	v_mul_f64 v[120:121], v[118:119], v[10:11]
	v_mul_f64 v[122:123], v[8:9], v[120:121]
	v_fma_f64 v[8:9], v[120:121], v[8:9], -v[122:123]
	v_fmac_f64_e32 v[8:9], v[120:121], v[2:3]
	v_add_f64 v[2:3], v[122:123], v[8:9]
	v_add_f64 v[124:125], v[118:119], -v[2:3]
	v_add_f64 v[122:123], v[2:3], -v[122:123]
	;; [unrolled: 1-line block ×5, first 2 shown]
	v_add_f64 v[2:3], v[8:9], v[2:3]
	v_add_f64 v[2:3], v[124:125], v[2:3]
	v_mul_f64 v[2:3], v[10:11], v[2:3]
	v_add_f64 v[8:9], v[120:121], v[2:3]
	v_add_f64 v[10:11], v[8:9], -v[120:121]
	v_add_f64 v[2:3], v[2:3], -v[10:11]
	v_mul_f64 v[10:11], v[8:9], v[8:9]
	v_pk_mov_b32 v[118:119], v[18:19], v[18:19] op_sel:[0,1]
	v_fmac_f64_e32 v[118:119], s[36:37], v[10:11]
	v_pk_mov_b32 v[120:121], v[20:21], v[20:21] op_sel:[0,1]
	v_fmac_f64_e32 v[120:121], v[10:11], v[118:119]
	;; [unrolled: 2-line block ×6, first 2 shown]
	v_ldexp_f64 v[118:119], v[8:9], 1
	v_mul_f64 v[8:9], v[8:9], v[10:11]
	v_mul_f64 v[8:9], v[8:9], v[120:121]
	v_add_f64 v[10:11], v[118:119], v[8:9]
	v_add_f64 v[118:119], v[10:11], -v[118:119]
	v_ldexp_f64 v[2:3], v[2:3], 1
	v_add_f64 v[8:9], v[8:9], -v[118:119]
	v_add_f64 v[2:3], v[2:3], v[8:9]
	v_add_f64 v[8:9], v[10:11], v[2:3]
	v_add_f64 v[10:11], v[8:9], -v[10:11]
	v_add_f64 v[2:3], v[2:3], -v[10:11]
	v_cvt_f64_i32_e32 v[10:11], v15
	v_mul_f64 v[118:119], v[10:11], s[48:49]
	v_fma_f64 v[120:121], v[10:11], s[48:49], -v[118:119]
	v_fmac_f64_e32 v[120:121], s[50:51], v[10:11]
	v_add_f64 v[10:11], v[118:119], v[120:121]
	v_add_f64 v[118:119], v[10:11], -v[118:119]
	v_add_f64 v[118:119], v[120:121], -v[118:119]
	v_add_f64 v[120:121], v[10:11], v[8:9]
	v_add_f64 v[122:123], v[120:121], -v[10:11]
	v_add_f64 v[124:125], v[120:121], -v[122:123]
	;; [unrolled: 1-line block ×4, first 2 shown]
	v_add_f64 v[8:9], v[8:9], v[10:11]
	v_add_f64 v[10:11], v[118:119], v[2:3]
	v_add_f64 v[122:123], v[10:11], -v[118:119]
	v_add_f64 v[124:125], v[10:11], -v[122:123]
	v_add_f64 v[8:9], v[10:11], v[8:9]
	v_add_f64 v[118:119], v[118:119], -v[124:125]
	v_add_f64 v[2:3], v[2:3], -v[122:123]
	v_add_f64 v[10:11], v[120:121], v[8:9]
	v_add_f64 v[2:3], v[2:3], v[118:119]
	v_add_f64 v[118:119], v[10:11], -v[120:121]
	v_add_f64 v[8:9], v[8:9], -v[118:119]
	v_add_f64 v[2:3], v[2:3], v[8:9]
	v_add_f64 v[2:3], v[10:11], v[2:3]
	v_cmp_class_f64_e64 vcc, v[0:1], s9
	v_cndmask_b32_e32 v2, v2, v0, vcc
	v_cndmask_b32_e32 v3, v3, v1, vcc
	v_cmp_ngt_f64_e32 vcc, 0, v[0:1]
	v_cndmask_b32_e32 v3, v91, v3, vcc
	v_cmp_nge_f64_e32 vcc, 0, v[0:1]
	v_cndmask_b32_e32 v2, 0, v2, vcc
	v_cmp_neq_f64_e32 vcc, 0, v[0:1]
	v_cndmask_b32_e32 v3, v92, v3, vcc
	v_add_f64 v[0:1], v[78:79], -v[2:3]
	v_div_scale_f64 v[2:3], s[0:1], v[76:77], v[76:77], v[0:1]
	v_rcp_f64_e32 v[8:9], v[2:3]
	v_fma_f64 v[10:11], -v[2:3], v[8:9], 1.0
	v_fmac_f64_e32 v[8:9], v[8:9], v[10:11]
	v_fma_f64 v[10:11], -v[2:3], v[8:9], 1.0
	v_fmac_f64_e32 v[8:9], v[8:9], v[10:11]
	v_div_scale_f64 v[10:11], vcc, v[0:1], v[76:77], v[0:1]
	v_mul_f64 v[118:119], v[10:11], v[8:9]
	v_fma_f64 v[2:3], -v[2:3], v[118:119], v[10:11]
	s_nop 1
	v_div_fmas_f64 v[2:3], v[2:3], v[8:9], v[118:119]
	v_div_fixup_f64 v[10:11], v[2:3], v[76:77], v[0:1]
	v_add_f64 v[0:1], v[10:11], 0.5
	v_floor_f64_e32 v[8:9], v[0:1]
	v_cmp_ngt_f64_e32 vcc, 0, v[8:9]
	v_mov_b32_e32 v118, 2
	s_and_saveexec_b64 s[0:1], vcc
	s_cbranch_execz .LBB92_26
; %bb.21:                               ;   in Loop: Header=BB92_16 Depth=2
	v_add_u32_e32 v15, 1, v117
	v_pk_mov_b32 v[0:1], v[4:5], v[4:5] op_sel:[0,1]
	v_cmp_eq_u32_e32 vcc, 4, v15
	v_pk_mov_b32 v[2:3], v[6:7], v[6:7] op_sel:[0,1]
	s_and_saveexec_b64 s[2:3], vcc
	s_cbranch_execz .LBB92_23
; %bb.22:                               ;   in Loop: Header=BB92_16 Depth=2
	v_add_co_u32_e32 v96, vcc, 1, v96
	v_cndmask_b32_e64 v0, 0, 1, vcc
	v_addc_co_u32_e32 v97, vcc, 0, v97, vcc
	v_cmp_eq_u32_e32 vcc, 0, v97
	v_cndmask_b32_e32 v0, 0, v0, vcc
	v_add_u32_e32 v115, v0, v115
	v_cmp_eq_u32_e32 vcc, 0, v115
	v_cndmask_b32_e32 v0, 0, v0, vcc
	v_add_u32_e32 v74, v0, v74
	v_mad_u64_u32 v[0:1], vcc, v96, s11, 0
	v_mad_u64_u32 v[2:3], vcc, v115, s8, 0
	v_xor_b32_e32 v1, v1, v73
	v_xor_b32_e32 v3, v3, v72
	v_xor_b32_e32 v1, v74, v1
	v_xor_b32_e32 v3, v97, v3
	v_mad_u64_u32 v[86:87], vcc, v1, s8, 0
	v_mad_u64_u32 v[84:85], vcc, v3, s11, 0
	v_xor_b32_e32 v1, v98, v87
	v_xor_b32_e32 v1, v1, v2
	v_xor_b32_e32 v2, v99, v85
	v_xor_b32_e32 v2, v2, v0
	v_mad_u64_u32 v[0:1], vcc, v1, s11, 0
	v_mad_u64_u32 v[2:3], vcc, v2, s8, 0
	v_xor_b32_e32 v1, v101, v1
	v_xor_b32_e32 v3, v100, v3
	v_xor_b32_e32 v1, v1, v84
	v_xor_b32_e32 v3, v3, v86
	v_mad_u64_u32 v[86:87], vcc, v1, s8, 0
	v_mad_u64_u32 v[84:85], vcc, v3, s11, 0
	v_xor_b32_e32 v1, v103, v87
	v_xor_b32_e32 v1, v1, v2
	v_xor_b32_e32 v2, v104, v85
	v_xor_b32_e32 v2, v2, v0
	v_mad_u64_u32 v[0:1], vcc, v1, s11, 0
	v_mad_u64_u32 v[2:3], vcc, v2, s8, 0
	v_xor_b32_e32 v1, v107, v1
	v_xor_b32_e32 v3, v106, v3
	v_xor_b32_e32 v1, v1, v84
	v_xor_b32_e32 v3, v3, v86
	v_mad_u64_u32 v[86:87], vcc, v1, s8, 0
	v_mad_u64_u32 v[84:85], vcc, v3, s11, 0
	v_xor_b32_e32 v1, v108, v87
	v_xor_b32_e32 v1, v1, v2
	v_xor_b32_e32 v2, v109, v85
	v_xor_b32_e32 v2, v2, v0
	v_mad_u64_u32 v[0:1], vcc, v1, s11, 0
	v_mad_u64_u32 v[2:3], vcc, v2, s8, 0
	v_xor_b32_e32 v1, v111, v1
	v_xor_b32_e32 v3, v110, v3
	v_xor_b32_e32 v1, v1, v84
	v_xor_b32_e32 v3, v3, v86
	v_mad_u64_u32 v[86:87], vcc, v1, s8, 0
	v_mad_u64_u32 v[84:85], vcc, v3, s11, 0
	v_xor_b32_e32 v1, v112, v87
	v_xor_b32_e32 v1, v1, v2
	v_xor_b32_e32 v2, v113, v85
	v_xor_b32_e32 v0, v2, v0
	v_mad_u64_u32 v[2:3], vcc, v1, s11, 0
	v_mad_u64_u32 v[0:1], vcc, v0, s8, 0
	v_xor_b32_e32 v1, v102, v1
	v_xor_b32_e32 v3, v114, v3
	v_xor_b32_e32 v1, v1, v86
	v_xor_b32_e32 v3, v3, v84
	v_mad_u64_u32 v[84:85], vcc, v1, s11, 0
	v_mad_u64_u32 v[86:87], vcc, v3, s8, 0
	v_xor_b32_e32 v0, v87, v0
	v_xor_b32_e32 v1, v85, v2
	v_xor_b32_e32 v0, v105, v0
	v_xor_b32_e32 v2, v95, v1
	v_mov_b32_e32 v15, 0
	v_mov_b32_e32 v1, v86
	;; [unrolled: 1-line block ×5, first 2 shown]
.LBB92_23:                              ;   in Loop: Header=BB92_16 Depth=2
	s_or_b64 exec, exec, s[2:3]
	v_add_u32_e32 v116, 1, v15
	v_cmp_eq_u32_e32 vcc, 4, v116
	s_and_saveexec_b64 s[2:3], vcc
	s_cbranch_execz .LBB92_25
; %bb.24:                               ;   in Loop: Header=BB92_16 Depth=2
	v_add_co_u32_e32 v96, vcc, 1, v96
	v_cndmask_b32_e64 v84, 0, 1, vcc
	v_addc_co_u32_e32 v97, vcc, 0, v97, vcc
	v_cmp_eq_u32_e32 vcc, 0, v97
	v_cndmask_b32_e32 v84, 0, v84, vcc
	v_add_u32_e32 v115, v84, v115
	v_cmp_eq_u32_e32 vcc, 0, v115
	v_cndmask_b32_e32 v84, 0, v84, vcc
	v_add_u32_e32 v74, v84, v74
	v_mad_u64_u32 v[84:85], vcc, v96, s11, 0
	v_mad_u64_u32 v[86:87], vcc, v115, s8, 0
	v_xor_b32_e32 v85, v85, v73
	v_xor_b32_e32 v87, v87, v72
	v_xor_b32_e32 v85, v74, v85
	v_xor_b32_e32 v87, v97, v87
	v_mad_u64_u32 v[120:121], vcc, v85, s8, 0
	v_mad_u64_u32 v[118:119], vcc, v87, s11, 0
	v_xor_b32_e32 v85, v98, v121
	v_xor_b32_e32 v85, v85, v86
	v_xor_b32_e32 v86, v99, v119
	v_xor_b32_e32 v86, v86, v84
	v_mad_u64_u32 v[84:85], vcc, v85, s11, 0
	v_mad_u64_u32 v[86:87], vcc, v86, s8, 0
	v_xor_b32_e32 v85, v101, v85
	v_xor_b32_e32 v87, v100, v87
	v_xor_b32_e32 v85, v85, v118
	v_xor_b32_e32 v87, v87, v120
	v_mad_u64_u32 v[120:121], vcc, v85, s8, 0
	v_mad_u64_u32 v[118:119], vcc, v87, s11, 0
	v_xor_b32_e32 v85, v103, v121
	v_xor_b32_e32 v85, v85, v86
	v_xor_b32_e32 v86, v104, v119
	v_xor_b32_e32 v86, v86, v84
	v_mad_u64_u32 v[84:85], vcc, v85, s11, 0
	v_mad_u64_u32 v[86:87], vcc, v86, s8, 0
	v_xor_b32_e32 v85, v107, v85
	v_xor_b32_e32 v87, v106, v87
	v_xor_b32_e32 v85, v85, v118
	v_xor_b32_e32 v87, v87, v120
	v_mad_u64_u32 v[120:121], vcc, v85, s8, 0
	v_mad_u64_u32 v[118:119], vcc, v87, s11, 0
	v_xor_b32_e32 v85, v108, v121
	v_xor_b32_e32 v85, v85, v86
	v_xor_b32_e32 v86, v109, v119
	v_xor_b32_e32 v86, v86, v84
	v_mad_u64_u32 v[84:85], vcc, v85, s11, 0
	v_mad_u64_u32 v[86:87], vcc, v86, s8, 0
	v_xor_b32_e32 v85, v111, v85
	v_xor_b32_e32 v87, v110, v87
	v_xor_b32_e32 v85, v85, v118
	v_xor_b32_e32 v87, v87, v120
	v_mad_u64_u32 v[120:121], vcc, v85, s8, 0
	v_mad_u64_u32 v[118:119], vcc, v87, s11, 0
	v_xor_b32_e32 v85, v112, v121
	v_xor_b32_e32 v85, v85, v86
	v_xor_b32_e32 v86, v113, v119
	v_xor_b32_e32 v84, v86, v84
	v_mad_u64_u32 v[122:123], vcc, v85, s11, 0
	v_mad_u64_u32 v[124:125], vcc, v84, s8, 0
	v_xor_b32_e32 v84, v102, v125
	v_xor_b32_e32 v85, v114, v123
	v_xor_b32_e32 v84, v84, v120
	v_xor_b32_e32 v86, v85, v118
	v_mad_u64_u32 v[84:85], vcc, v84, s11, 0
	v_mad_u64_u32 v[86:87], vcc, v86, s8, 0
	v_xor_b32_e32 v87, v87, v124
	v_xor_b32_e32 v85, v85, v122
	v_mov_b32_e32 v116, 0
	v_xor_b32_e32 v87, v105, v87
	v_xor_b32_e32 v85, v95, v85
.LBB92_25:                              ;   in Loop: Header=BB92_16 Depth=2
	s_or_b64 exec, exec, s[2:3]
	v_cmp_eq_u32_e32 vcc, 1, v117
	v_cndmask_b32_e32 v4, v4, v5, vcc
	v_cmp_eq_u32_e32 vcc, 2, v117
	v_cndmask_b32_e32 v4, v4, v6, vcc
	v_cmp_eq_u32_e32 vcc, 3, v117
	v_cndmask_b32_e32 v4, v4, v7, vcc
	v_cmp_eq_u32_e32 vcc, 1, v15
	v_cndmask_b32_e32 v0, v0, v1, vcc
	v_cmp_eq_u32_e32 vcc, 2, v15
	v_cndmask_b32_e32 v0, v0, v2, vcc
	v_cmp_eq_u32_e32 vcc, 3, v15
	v_cndmask_b32_e32 v0, v0, v3, vcc
	v_lshrrev_b32_e32 v0, 11, v0
	v_cvt_f64_u32_e32 v[0:1], v0
	v_ldexp_f64 v[0:1], v[0:1], 32
	v_cvt_f64_u32_e32 v[2:3], v4
	v_add_f64 v[0:1], v[0:1], v[2:3]
	v_mov_b32_e32 v2, 0
	v_mov_b32_e32 v3, 0x3ca00000
	v_fma_f64 v[4:5], -v[76:77], v[10:11], v[78:79]
	v_fmac_f64_e32 v[2:3], 0x3ca00000, v[0:1]
	v_mul_f64 v[0:1], v[4:5], s[54:55]
	v_rndne_f64_e32 v[0:1], v[0:1]
	s_mov_b32 s56, s48
	v_fma_f64 v[6:7], s[56:57], v[0:1], v[4:5]
	s_mov_b32 s58, s50
	v_fmac_f64_e32 v[6:7], s[58:59], v[0:1]
	v_pk_mov_b32 v[10:11], v[30:31], v[30:31] op_sel:[0,1]
	v_fmac_f64_e32 v[10:11], s[62:63], v[6:7]
	v_pk_mov_b32 v[118:119], v[32:33], v[32:33] op_sel:[0,1]
	;; [unrolled: 2-line block ×9, first 2 shown]
	v_fmac_f64_e32 v[10:11], v[6:7], v[118:119]
	v_fma_f64 v[10:11], v[6:7], v[10:11], 1.0
	v_fma_f64 v[6:7], v[6:7], v[10:11], 1.0
	v_cvt_i32_f64_e32 v0, v[0:1]
	v_ldexp_f64 v[0:1], v[6:7], v0
	v_add_f64 v[0:1], v[0:1], 1.0
	v_cmp_nlt_f64_e32 vcc, s[64:65], v[4:5]
	v_cmp_ngt_f64_e64 s[2:3], s[66:67], v[4:5]
	v_cndmask_b32_e32 v1, v93, v1, vcc
	s_and_b64 vcc, s[2:3], vcc
	v_cndmask_b32_e64 v1, v90, v1, s[2:3]
	v_cndmask_b32_e32 v0, 0, v0, vcc
	v_mul_f64 v[0:1], v[0:1], v[0:1]
	v_div_scale_f64 v[6:7], s[2:3], v[0:1], v[0:1], v[2:3]
	v_rcp_f64_e32 v[10:11], v[6:7]
	s_mov_b32 s47, s31
	v_fma_f64 v[118:119], -v[6:7], v[10:11], 1.0
	v_fmac_f64_e32 v[10:11], v[10:11], v[118:119]
	v_fma_f64 v[118:119], -v[6:7], v[10:11], 1.0
	v_fmac_f64_e32 v[10:11], v[10:11], v[118:119]
	v_div_scale_f64 v[118:119], vcc, v[2:3], v[0:1], v[2:3]
	v_mul_f64 v[120:121], v[118:119], v[10:11]
	v_fma_f64 v[6:7], -v[6:7], v[120:121], v[118:119]
	s_nop 1
	v_div_fmas_f64 v[6:7], v[6:7], v[10:11], v[120:121]
	v_div_fixup_f64 v[2:3], v[6:7], v[0:1], v[2:3]
	v_frexp_mant_f64_e32 v[0:1], v[2:3]
	v_cmp_gt_f64_e32 vcc, s[30:31], v[0:1]
	v_cndmask_b32_e64 v15, v90, 2.0, vcc
	v_frexp_exp_i32_f64_e32 v6, v[2:3]
	v_mul_f64 v[0:1], v[0:1], v[14:15]
	v_subbrev_co_u32_e32 v15, vcc, 0, v6, vcc
	v_add_f64 v[6:7], v[0:1], 1.0
	v_rcp_f64_e32 v[10:11], v[6:7]
	v_add_f64 v[120:121], v[6:7], -1.0
	v_add_f64 v[118:119], v[0:1], -1.0
	v_add_f64 v[0:1], v[0:1], -v[120:121]
	v_fma_f64 v[120:121], -v[6:7], v[10:11], 1.0
	v_fmac_f64_e32 v[10:11], v[120:121], v[10:11]
	v_fma_f64 v[120:121], -v[6:7], v[10:11], 1.0
	v_fmac_f64_e32 v[10:11], v[120:121], v[10:11]
	v_mul_f64 v[120:121], v[118:119], v[10:11]
	v_mul_f64 v[122:123], v[6:7], v[120:121]
	v_fma_f64 v[6:7], v[120:121], v[6:7], -v[122:123]
	v_fmac_f64_e32 v[6:7], v[120:121], v[0:1]
	v_add_f64 v[0:1], v[122:123], v[6:7]
	v_add_f64 v[124:125], v[118:119], -v[0:1]
	v_add_f64 v[122:123], v[0:1], -v[122:123]
	;; [unrolled: 1-line block ×5, first 2 shown]
	v_add_f64 v[0:1], v[6:7], v[0:1]
	v_add_f64 v[0:1], v[124:125], v[0:1]
	v_mul_f64 v[0:1], v[10:11], v[0:1]
	v_add_f64 v[6:7], v[120:121], v[0:1]
	v_add_f64 v[10:11], v[6:7], -v[120:121]
	v_add_f64 v[10:11], v[0:1], -v[10:11]
	v_mul_f64 v[118:119], v[6:7], v[6:7]
	v_pk_mov_b32 v[0:1], s[34:35], s[34:35] op_sel:[0,1]
	v_fma_f64 v[120:121], s[36:37], v[118:119], v[0:1]
	v_fma_f64 v[120:121], v[118:119], v[120:121], s[38:39]
	;; [unrolled: 1-line block ×6, first 2 shown]
	v_ldexp_f64 v[122:123], v[6:7], 1
	v_mul_f64 v[6:7], v[6:7], v[118:119]
	v_mul_f64 v[6:7], v[6:7], v[120:121]
	v_add_f64 v[118:119], v[122:123], v[6:7]
	v_add_f64 v[120:121], v[118:119], -v[122:123]
	v_ldexp_f64 v[10:11], v[10:11], 1
	v_add_f64 v[6:7], v[6:7], -v[120:121]
	v_add_f64 v[6:7], v[10:11], v[6:7]
	v_add_f64 v[10:11], v[118:119], v[6:7]
	v_add_f64 v[118:119], v[10:11], -v[118:119]
	v_add_f64 v[6:7], v[6:7], -v[118:119]
	v_cvt_f64_i32_e32 v[118:119], v15
	v_mul_f64 v[120:121], v[118:119], s[48:49]
	v_fma_f64 v[122:123], v[118:119], s[48:49], -v[120:121]
	v_fmac_f64_e32 v[122:123], s[50:51], v[118:119]
	v_add_f64 v[118:119], v[120:121], v[122:123]
	v_add_f64 v[120:121], v[118:119], -v[120:121]
	v_add_f64 v[120:121], v[122:123], -v[120:121]
	v_add_f64 v[122:123], v[118:119], v[10:11]
	v_add_f64 v[124:125], v[122:123], -v[118:119]
	v_add_f64 v[126:127], v[122:123], -v[124:125]
	;; [unrolled: 1-line block ×4, first 2 shown]
	v_add_f64 v[10:11], v[10:11], v[118:119]
	v_add_f64 v[118:119], v[120:121], v[6:7]
	v_add_f64 v[124:125], v[118:119], -v[120:121]
	v_add_f64 v[126:127], v[118:119], -v[124:125]
	v_add_f64 v[10:11], v[118:119], v[10:11]
	v_add_f64 v[120:121], v[120:121], -v[126:127]
	v_add_f64 v[6:7], v[6:7], -v[124:125]
	v_add_f64 v[118:119], v[122:123], v[10:11]
	v_add_f64 v[6:7], v[6:7], v[120:121]
	v_add_f64 v[120:121], v[118:119], -v[122:123]
	v_add_f64 v[10:11], v[10:11], -v[120:121]
	v_add_f64 v[6:7], v[6:7], v[10:11]
	v_add_f64 v[6:7], v[118:119], v[6:7]
	v_cmp_class_f64_e64 vcc, v[2:3], s9
	v_cndmask_b32_e32 v15, v6, v2, vcc
	v_cndmask_b32_e32 v6, v7, v3, vcc
	v_cmp_neq_f64_e32 vcc, 0, v[2:3]
	v_cndmask_b32_e32 v3, v92, v6, vcc
	v_add_f64 v[6:7], v[8:9], 1.0
	v_add_f64 v[6:7], v[6:7], -1.0
	v_add_f64 v[118:119], v[6:7], s[68:69]
	v_div_scale_f64 v[10:11], s[2:3], v[118:119], v[118:119], s[70:71]
	v_rcp_f64_e32 v[120:121], v[10:11]
	v_cndmask_b32_e32 v2, 0, v15, vcc
	v_add_f64 v[2:3], v[4:5], v[2:3]
	v_fma_f64 v[4:5], v[82:83], v[8:9], v[80:81]
	v_fma_f64 v[122:123], -v[10:11], v[120:121], 1.0
	v_fmac_f64_e32 v[120:121], v[120:121], v[122:123]
	v_fma_f64 v[122:123], -v[10:11], v[120:121], 1.0
	v_fmac_f64_e32 v[120:121], v[120:121], v[122:123]
	v_div_scale_f64 v[122:123], vcc, s[70:71], v[118:119], s[70:71]
	v_mul_f64 v[124:125], v[122:123], v[120:121]
	v_fma_f64 v[122:123], -v[10:11], v[124:125], v[122:123]
	v_add_f64 v[10:11], v[6:7], s[72:73]
	v_div_scale_f64 v[126:127], s[2:3], v[10:11], v[10:11], s[74:75]
	v_rcp_f64_e32 v[128:129], v[126:127]
	v_div_fmas_f64 v[120:121], v[122:123], v[120:121], v[124:125]
	v_div_fixup_f64 v[118:119], v[120:121], v[118:119], s[70:71]
	v_add_f64 v[124:125], v[6:7], s[76:77]
	v_fma_f64 v[120:121], -v[126:127], v[128:129], 1.0
	v_fmac_f64_e32 v[128:129], v[128:129], v[120:121]
	v_fma_f64 v[120:121], -v[126:127], v[128:129], 1.0
	v_fmac_f64_e32 v[128:129], v[128:129], v[120:121]
	v_div_scale_f64 v[120:121], vcc, s[74:75], v[10:11], s[74:75]
	v_mul_f64 v[122:123], v[120:121], v[128:129]
	v_fma_f64 v[120:121], -v[126:127], v[122:123], v[120:121]
	v_div_scale_f64 v[126:127], s[2:3], v[124:125], v[124:125], s[78:79]
	v_rcp_f64_e32 v[130:131], v[126:127]
	v_div_fmas_f64 v[120:121], v[120:121], v[128:129], v[122:123]
	v_add_f64 v[118:119], v[118:119], 0
	v_div_fixup_f64 v[120:121], v[120:121], v[10:11], s[74:75]
	v_add_f64 v[118:119], v[120:121], v[118:119]
	v_fma_f64 v[120:121], -v[126:127], v[130:131], 1.0
	v_fmac_f64_e32 v[130:131], v[130:131], v[120:121]
	v_fma_f64 v[120:121], -v[126:127], v[130:131], 1.0
	v_fmac_f64_e32 v[130:131], v[130:131], v[120:121]
	v_div_scale_f64 v[120:121], vcc, s[78:79], v[124:125], s[78:79]
	v_mul_f64 v[122:123], v[120:121], v[130:131]
	v_fma_f64 v[120:121], -v[126:127], v[122:123], v[120:121]
	v_add_f64 v[126:127], v[6:7], s[80:81]
	v_div_scale_f64 v[128:129], s[2:3], v[126:127], v[126:127], s[82:83]
	v_rcp_f64_e32 v[132:133], v[128:129]
	v_div_fmas_f64 v[120:121], v[120:121], v[130:131], v[122:123]
	v_div_fixup_f64 v[120:121], v[120:121], v[124:125], s[78:79]
	v_add_f64 v[118:119], v[118:119], v[120:121]
	v_fma_f64 v[120:121], -v[128:129], v[132:133], 1.0
	v_fmac_f64_e32 v[132:133], v[132:133], v[120:121]
	v_fma_f64 v[120:121], -v[128:129], v[132:133], 1.0
	v_fmac_f64_e32 v[132:133], v[132:133], v[120:121]
	v_div_scale_f64 v[120:121], vcc, s[82:83], v[126:127], s[82:83]
	v_mul_f64 v[122:123], v[120:121], v[132:133]
	v_add_f64 v[124:125], v[6:7], 4.0
	v_fma_f64 v[120:121], -v[128:129], v[122:123], v[120:121]
	v_div_scale_f64 v[128:129], s[2:3], v[124:125], v[124:125], s[84:85]
	v_rcp_f64_e32 v[130:131], v[128:129]
	v_div_fmas_f64 v[120:121], v[120:121], v[132:133], v[122:123]
	v_div_fixup_f64 v[120:121], v[120:121], v[126:127], s[82:83]
	v_add_f64 v[118:119], v[120:121], v[118:119]
	v_fma_f64 v[120:121], -v[128:129], v[130:131], 1.0
	v_fmac_f64_e32 v[130:131], v[130:131], v[120:121]
	v_fma_f64 v[120:121], -v[128:129], v[130:131], 1.0
	v_fmac_f64_e32 v[130:131], v[130:131], v[120:121]
	v_div_scale_f64 v[120:121], vcc, s[84:85], v[124:125], s[84:85]
	v_mul_f64 v[122:123], v[120:121], v[130:131]
	v_add_f64 v[126:127], v[6:7], s[24:25]
	v_fma_f64 v[120:121], -v[128:129], v[122:123], v[120:121]
	v_div_scale_f64 v[128:129], s[2:3], v[126:127], v[126:127], s[86:87]
	v_rcp_f64_e32 v[132:133], v[128:129]
	v_div_fmas_f64 v[120:121], v[120:121], v[130:131], v[122:123]
	v_div_fixup_f64 v[120:121], v[120:121], v[124:125], s[84:85]
	v_add_f64 v[118:119], v[118:119], v[120:121]
	v_fma_f64 v[120:121], -v[128:129], v[132:133], 1.0
	v_fmac_f64_e32 v[132:133], v[132:133], v[120:121]
	v_fma_f64 v[120:121], -v[128:129], v[132:133], 1.0
	v_fmac_f64_e32 v[132:133], v[132:133], v[120:121]
	v_div_scale_f64 v[120:121], vcc, s[86:87], v[126:127], s[86:87]
	v_mul_f64 v[122:123], v[120:121], v[132:133]
	v_add_f64 v[124:125], v[6:7], 2.0
	v_fma_f64 v[120:121], -v[128:129], v[122:123], v[120:121]
	v_div_scale_f64 v[128:129], s[2:3], v[124:125], v[124:125], s[88:89]
	v_rcp_f64_e32 v[130:131], v[128:129]
	v_div_fmas_f64 v[120:121], v[120:121], v[132:133], v[122:123]
	v_div_fixup_f64 v[120:121], v[120:121], v[126:127], s[86:87]
	v_add_f64 v[118:119], v[120:121], v[118:119]
	v_fma_f64 v[120:121], -v[128:129], v[130:131], 1.0
	v_fmac_f64_e32 v[130:131], v[130:131], v[120:121]
	v_fma_f64 v[120:121], -v[128:129], v[130:131], 1.0
	v_fmac_f64_e32 v[130:131], v[130:131], v[120:121]
	v_div_scale_f64 v[120:121], vcc, s[88:89], v[124:125], s[88:89]
	v_mul_f64 v[122:123], v[120:121], v[130:131]
	v_add_f64 v[126:127], v[6:7], 1.0
	v_fma_f64 v[120:121], -v[128:129], v[122:123], v[120:121]
	v_div_scale_f64 v[128:129], s[2:3], v[126:127], v[126:127], s[90:91]
	v_rcp_f64_e32 v[132:133], v[128:129]
	v_div_fmas_f64 v[120:121], v[120:121], v[130:131], v[122:123]
	v_div_fixup_f64 v[120:121], v[120:121], v[124:125], s[88:89]
	v_add_f64 v[118:119], v[118:119], v[120:121]
	v_fma_f64 v[120:121], -v[128:129], v[132:133], 1.0
	v_fmac_f64_e32 v[132:133], v[132:133], v[120:121]
	v_fma_f64 v[120:121], -v[128:129], v[132:133], 1.0
	v_fmac_f64_e32 v[132:133], v[132:133], v[120:121]
	v_div_scale_f64 v[120:121], vcc, s[90:91], v[126:127], s[90:91]
	v_mul_f64 v[122:123], v[120:121], v[132:133]
	v_fma_f64 v[120:121], -v[128:129], v[122:123], v[120:121]
	v_add_f64 v[10:11], v[10:11], 0.5
	s_nop 0
	v_div_fmas_f64 v[120:121], v[120:121], v[132:133], v[122:123]
	v_div_fixup_f64 v[120:121], v[120:121], v[126:127], s[90:91]
	v_add_f64 v[118:119], v[120:121], v[118:119]
	v_add_f64 v[118:119], v[118:119], s[92:93]
	v_frexp_mant_f64_e32 v[120:121], v[118:119]
	v_cmp_gt_f64_e32 vcc, s[30:31], v[120:121]
	v_cndmask_b32_e64 v15, v90, 2.0, vcc
	v_mul_f64 v[120:121], v[120:121], v[14:15]
	v_add_f64 v[122:123], v[120:121], 1.0
	v_rcp_f64_e32 v[124:125], v[122:123]
	v_add_f64 v[128:129], v[122:123], -1.0
	v_add_f64 v[126:127], v[120:121], -1.0
	v_add_f64 v[120:121], v[120:121], -v[128:129]
	v_fma_f64 v[128:129], -v[122:123], v[124:125], 1.0
	v_fmac_f64_e32 v[124:125], v[128:129], v[124:125]
	v_fma_f64 v[128:129], -v[122:123], v[124:125], 1.0
	v_fmac_f64_e32 v[124:125], v[128:129], v[124:125]
	v_mul_f64 v[128:129], v[126:127], v[124:125]
	v_mul_f64 v[130:131], v[122:123], v[128:129]
	v_fma_f64 v[122:123], v[128:129], v[122:123], -v[130:131]
	v_fmac_f64_e32 v[122:123], v[128:129], v[120:121]
	v_add_f64 v[120:121], v[130:131], v[122:123]
	v_add_f64 v[132:133], v[126:127], -v[120:121]
	v_add_f64 v[130:131], v[120:121], -v[130:131]
	;; [unrolled: 1-line block ×5, first 2 shown]
	v_add_f64 v[120:121], v[122:123], v[120:121]
	v_add_f64 v[120:121], v[132:133], v[120:121]
	v_mul_f64 v[120:121], v[124:125], v[120:121]
	v_add_f64 v[122:123], v[128:129], v[120:121]
	v_add_f64 v[124:125], v[122:123], -v[128:129]
	v_add_f64 v[120:121], v[120:121], -v[124:125]
	v_mul_f64 v[124:125], v[122:123], v[122:123]
	v_fma_f64 v[126:127], s[36:37], v[124:125], v[0:1]
	v_fma_f64 v[126:127], v[124:125], v[126:127], s[38:39]
	;; [unrolled: 1-line block ×6, first 2 shown]
	v_ldexp_f64 v[128:129], v[122:123], 1
	v_mul_f64 v[122:123], v[122:123], v[124:125]
	v_mul_f64 v[122:123], v[122:123], v[126:127]
	v_add_f64 v[124:125], v[128:129], v[122:123]
	v_add_f64 v[126:127], v[124:125], -v[128:129]
	v_ldexp_f64 v[120:121], v[120:121], 1
	v_add_f64 v[122:123], v[122:123], -v[126:127]
	v_add_f64 v[120:121], v[120:121], v[122:123]
	v_frexp_exp_i32_f64_e32 v117, v[118:119]
	v_add_f64 v[122:123], v[124:125], v[120:121]
	v_subbrev_co_u32_e32 v15, vcc, 0, v117, vcc
	v_add_f64 v[124:125], v[122:123], -v[124:125]
	v_add_f64 v[120:121], v[120:121], -v[124:125]
	v_cvt_f64_i32_e32 v[124:125], v15
	v_mul_f64 v[126:127], v[124:125], s[48:49]
	v_fma_f64 v[128:129], v[124:125], s[48:49], -v[126:127]
	v_fmac_f64_e32 v[128:129], s[50:51], v[124:125]
	v_add_f64 v[124:125], v[126:127], v[128:129]
	v_add_f64 v[126:127], v[124:125], -v[126:127]
	v_add_f64 v[126:127], v[128:129], -v[126:127]
	v_add_f64 v[128:129], v[124:125], v[122:123]
	v_add_f64 v[130:131], v[128:129], -v[124:125]
	v_add_f64 v[132:133], v[128:129], -v[130:131]
	;; [unrolled: 1-line block ×4, first 2 shown]
	v_add_f64 v[122:123], v[122:123], v[124:125]
	v_add_f64 v[124:125], v[126:127], v[120:121]
	v_add_f64 v[130:131], v[124:125], -v[126:127]
	v_add_f64 v[132:133], v[124:125], -v[130:131]
	v_add_f64 v[122:123], v[124:125], v[122:123]
	v_add_f64 v[126:127], v[126:127], -v[132:133]
	v_add_f64 v[120:121], v[120:121], -v[130:131]
	v_add_f64 v[124:125], v[128:129], v[122:123]
	v_add_f64 v[120:121], v[120:121], v[126:127]
	v_add_f64 v[126:127], v[124:125], -v[128:129]
	v_add_f64 v[122:123], v[122:123], -v[126:127]
	v_add_f64 v[120:121], v[120:121], v[122:123]
	v_add_f64 v[120:121], v[124:125], v[120:121]
	v_cmp_class_f64_e64 vcc, v[118:119], s9
	v_div_scale_f64 v[122:123], s[2:3], s[20:21], s[20:21], v[10:11]
	v_cndmask_b32_e32 v121, v121, v119, vcc
	v_cndmask_b32_e32 v120, v120, v118, vcc
	v_rcp_f64_e32 v[124:125], v[122:123]
	v_add_f64 v[120:121], v[120:121], s[94:95]
	v_add_f64 v[120:121], v[120:121], s[22:23]
	v_cmp_ngt_f64_e32 vcc, 0, v[118:119]
	v_cndmask_b32_e32 v15, v91, v121, vcc
	v_cmp_nge_f64_e32 vcc, 0, v[118:119]
	v_cndmask_b32_e32 v120, 0, v120, vcc
	v_cmp_neq_f64_e32 vcc, 0, v[118:119]
	v_fma_f64 v[118:119], -v[122:123], v[124:125], 1.0
	v_fmac_f64_e32 v[124:125], v[124:125], v[118:119]
	v_fma_f64 v[118:119], -v[122:123], v[124:125], 1.0
	v_cndmask_b32_e32 v121, v92, v15, vcc
	v_fmac_f64_e32 v[124:125], v[124:125], v[118:119]
	v_div_scale_f64 v[118:119], vcc, v[10:11], s[20:21], v[10:11]
	v_mul_f64 v[126:127], v[118:119], v[124:125]
	v_fma_f64 v[118:119], -v[122:123], v[126:127], v[118:119]
	v_add_f64 v[6:7], v[6:7], 0.5
	s_nop 0
	v_div_fmas_f64 v[118:119], v[118:119], v[124:125], v[126:127]
	v_div_fixup_f64 v[10:11], v[118:119], s[20:21], v[10:11]
	v_frexp_mant_f64_e32 v[118:119], v[10:11]
	v_cmp_gt_f64_e32 vcc, s[30:31], v[118:119]
	v_cndmask_b32_e64 v15, v90, 2.0, vcc
	v_mul_f64 v[118:119], v[118:119], v[14:15]
	v_add_f64 v[122:123], v[118:119], 1.0
	v_rcp_f64_e32 v[124:125], v[122:123]
	v_add_f64 v[128:129], v[122:123], -1.0
	v_add_f64 v[126:127], v[118:119], -1.0
	v_add_f64 v[118:119], v[118:119], -v[128:129]
	v_fma_f64 v[128:129], -v[122:123], v[124:125], 1.0
	v_fmac_f64_e32 v[124:125], v[128:129], v[124:125]
	v_fma_f64 v[128:129], -v[122:123], v[124:125], 1.0
	v_fmac_f64_e32 v[124:125], v[128:129], v[124:125]
	v_mul_f64 v[128:129], v[126:127], v[124:125]
	v_mul_f64 v[130:131], v[122:123], v[128:129]
	v_fma_f64 v[122:123], v[128:129], v[122:123], -v[130:131]
	v_fmac_f64_e32 v[122:123], v[128:129], v[118:119]
	v_add_f64 v[118:119], v[130:131], v[122:123]
	v_add_f64 v[132:133], v[126:127], -v[118:119]
	v_add_f64 v[130:131], v[118:119], -v[130:131]
	;; [unrolled: 1-line block ×5, first 2 shown]
	v_add_f64 v[118:119], v[122:123], v[118:119]
	v_add_f64 v[118:119], v[132:133], v[118:119]
	v_mul_f64 v[118:119], v[124:125], v[118:119]
	v_add_f64 v[122:123], v[128:129], v[118:119]
	v_add_f64 v[124:125], v[122:123], -v[128:129]
	v_add_f64 v[118:119], v[118:119], -v[124:125]
	v_mul_f64 v[124:125], v[122:123], v[122:123]
	v_fmac_f64_e32 v[0:1], s[36:37], v[124:125]
	v_fma_f64 v[0:1], v[124:125], v[0:1], s[38:39]
	v_fma_f64 v[0:1], v[124:125], v[0:1], s[40:41]
	;; [unrolled: 1-line block ×5, first 2 shown]
	v_ldexp_f64 v[126:127], v[122:123], 1
	v_mul_f64 v[122:123], v[122:123], v[124:125]
	v_mul_f64 v[0:1], v[122:123], v[0:1]
	v_add_f64 v[122:123], v[126:127], v[0:1]
	v_add_f64 v[124:125], v[122:123], -v[126:127]
	v_ldexp_f64 v[118:119], v[118:119], 1
	v_add_f64 v[0:1], v[0:1], -v[124:125]
	v_add_f64 v[0:1], v[118:119], v[0:1]
	v_frexp_exp_i32_f64_e32 v117, v[10:11]
	v_add_f64 v[118:119], v[122:123], v[0:1]
	v_subbrev_co_u32_e32 v15, vcc, 0, v117, vcc
	v_add_f64 v[122:123], v[118:119], -v[122:123]
	v_add_f64 v[0:1], v[0:1], -v[122:123]
	v_cvt_f64_i32_e32 v[122:123], v15
	v_mul_f64 v[124:125], v[122:123], s[48:49]
	v_fma_f64 v[126:127], v[122:123], s[48:49], -v[124:125]
	v_fmac_f64_e32 v[126:127], s[50:51], v[122:123]
	v_add_f64 v[122:123], v[124:125], v[126:127]
	v_add_f64 v[124:125], v[122:123], -v[124:125]
	v_add_f64 v[124:125], v[126:127], -v[124:125]
	v_add_f64 v[126:127], v[122:123], v[118:119]
	v_add_f64 v[128:129], v[126:127], -v[122:123]
	v_add_f64 v[130:131], v[126:127], -v[128:129]
	;; [unrolled: 1-line block ×4, first 2 shown]
	v_add_f64 v[118:119], v[118:119], v[122:123]
	v_add_f64 v[122:123], v[124:125], v[0:1]
	v_add_f64 v[128:129], v[122:123], -v[124:125]
	v_add_f64 v[130:131], v[122:123], -v[128:129]
	v_add_f64 v[118:119], v[122:123], v[118:119]
	v_add_f64 v[124:125], v[124:125], -v[130:131]
	v_add_f64 v[0:1], v[0:1], -v[128:129]
	v_add_f64 v[122:123], v[126:127], v[118:119]
	v_add_f64 v[0:1], v[0:1], v[124:125]
	v_add_f64 v[124:125], v[122:123], -v[126:127]
	v_add_f64 v[118:119], v[118:119], -v[124:125]
	v_add_f64 v[0:1], v[0:1], v[118:119]
	v_add_f64 v[0:1], v[122:123], v[0:1]
	v_cmp_class_f64_e64 vcc, v[10:11], s9
	v_cndmask_b32_e32 v0, v0, v10, vcc
	v_cndmask_b32_e32 v1, v1, v11, vcc
	v_cmp_ngt_f64_e32 vcc, 0, v[10:11]
	v_cndmask_b32_e32 v1, v91, v1, vcc
	v_cmp_nge_f64_e32 vcc, 0, v[10:11]
	v_cndmask_b32_e32 v0, 0, v0, vcc
	v_cmp_neq_f64_e32 vcc, 0, v[10:11]
	v_cndmask_b32_e32 v1, v92, v1, vcc
	v_fmac_f64_e32 v[120:121], v[6:7], v[0:1]
	v_add_f64 v[0:1], v[4:5], -v[120:121]
	v_cvt_u32_f64_e32 v4, v[8:9]
	v_cmp_le_f64_e32 vcc, v[2:3], v[0:1]
	v_cndmask_b32_e64 v118, 0, 1, vcc
	v_cndmask_b32_e32 v75, v75, v4, vcc
	v_mov_b32_e32 v117, v116
.LBB92_26:                              ;   in Loop: Header=BB92_16 Depth=2
	s_or_b64 exec, exec, s[0:1]
	v_cmp_gt_i32_e32 vcc, 2, v118
	s_or_b64 s[16:17], vcc, s[16:17]
	v_mov_b32_e32 v15, v117
	v_mov_b32_e32 v0, v87
	;; [unrolled: 1-line block ×5, first 2 shown]
	s_andn2_b64 exec, exec, s[16:17]
	s_cbranch_execnz .LBB92_16
; %bb.27:                               ;   in Loop: Header=BB92_16 Depth=2
	s_or_b64 exec, exec, s[16:17]
	v_cmp_ne_u32_e32 vcc, 0, v118
	s_or_b64 s[14:15], vcc, s[14:15]
	s_mov_b64 s[16:17], 0
	v_mov_b32_e32 v15, v117
	v_mov_b32_e32 v0, v87
	;; [unrolled: 1-line block ×5, first 2 shown]
	s_andn2_b64 exec, exec, s[14:15]
	s_cbranch_execnz .LBB92_16
; %bb.28:                               ;   in Loop: Header=BB92_5 Depth=1
	s_or_b64 exec, exec, s[14:15]
	v_readlane_b32 s16, v134, 17
	v_readlane_b32 s17, v134, 18
                                        ; implicit-def: $vgpr72_vgpr73
                                        ; implicit-def: $vgpr15
                                        ; implicit-def: $vgpr96
                                        ; implicit-def: $vgpr97
                                        ; implicit-def: $vgpr105
                                        ; implicit-def: $vgpr95
                                        ; implicit-def: $vgpr3
                                        ; implicit-def: $vgpr4_vgpr5
                                        ; implicit-def: $vgpr98
                                        ; implicit-def: $vgpr99
                                        ; implicit-def: $vgpr100
                                        ; implicit-def: $vgpr101
                                        ; implicit-def: $vgpr103
                                        ; implicit-def: $vgpr104
                                        ; implicit-def: $vgpr106
                                        ; implicit-def: $vgpr107
                                        ; implicit-def: $vgpr108
                                        ; implicit-def: $vgpr109
                                        ; implicit-def: $vgpr110
                                        ; implicit-def: $vgpr111
                                        ; implicit-def: $vgpr112
                                        ; implicit-def: $vgpr113
                                        ; implicit-def: $vgpr102
                                        ; implicit-def: $vgpr114
.LBB92_29:                              ;   in Loop: Header=BB92_5 Depth=1
	s_andn2_saveexec_b64 s[0:1], s[6:7]
	s_cbranch_execz .LBB92_41
; %bb.30:                               ;   in Loop: Header=BB92_5 Depth=1
	v_add_co_u32_e32 v6, vcc, 1, v96
	v_cndmask_b32_e64 v7, 0, 1, vcc
	v_addc_co_u32_e32 v10, vcc, 0, v97, vcc
	v_cmp_eq_u32_e32 vcc, 0, v10
	v_cndmask_b32_e32 v7, 0, v7, vcc
	v_add_u32_e32 v8, v7, v17
	v_cmp_eq_u32_e32 vcc, 0, v8
	v_cndmask_b32_e32 v11, 0, v7, vcc
	v_mad_u64_u32 v[6:7], s[2:3], v6, s11, 0
	v_mad_u64_u32 v[8:9], s[2:3], v8, s8, 0
	v_xor_b32_e32 v7, v7, v73
	v_xor_b32_e32 v9, v9, v72
	v_xor_b32_e32 v7, v11, v7
	v_xor_b32_e32 v9, v10, v9
	v_mad_u64_u32 v[72:73], s[2:3], v7, s8, 0
	v_mad_u64_u32 v[10:11], s[2:3], v9, s11, 0
	v_xor_b32_e32 v7, v98, v73
	v_xor_b32_e32 v7, v7, v8
	v_xor_b32_e32 v8, v99, v11
	v_xor_b32_e32 v8, v8, v6
	;; [unrolled: 6-line block ×8, first 2 shown]
	v_mad_u64_u32 v[74:75], s[2:3], v7, s11, 0
	v_mad_u64_u32 v[8:9], s[2:3], v6, s8, 0
	v_xor_b32_e32 v6, v114, v75
	v_xor_b32_e32 v6, v6, v10
	v_mad_u64_u32 v[6:7], s[2:3], v6, s8, 0
	v_xor_b32_e32 v7, v7, v8
	v_xor_b32_e32 v10, v105, v7
	v_cmp_lt_i32_e32 vcc, 1, v15
                                        ; implicit-def: $vgpr8
	s_and_saveexec_b64 s[2:3], vcc
	s_xor_b64 s[2:3], exec, s[2:3]
	s_cbranch_execz .LBB92_36
; %bb.31:                               ;   in Loop: Header=BB92_5 Depth=1
	v_cmp_lt_i32_e32 vcc, 2, v15
                                        ; implicit-def: $vgpr8
	s_and_saveexec_b64 s[6:7], vcc
	s_xor_b64 s[6:7], exec, s[6:7]
; %bb.32:                               ;   in Loop: Header=BB92_5 Depth=1
	v_xor_b32_e32 v0, v102, v9
	v_xor_b32_e32 v0, v0, v72
	v_mul_hi_u32 v0, v0, s11
	v_xor_b32_e32 v0, v0, v74
	v_xor_b32_e32 v8, v95, v0
; %bb.33:                               ;   in Loop: Header=BB92_5 Depth=1
	s_andn2_saveexec_b64 s[6:7], s[6:7]
; %bb.34:                               ;   in Loop: Header=BB92_5 Depth=1
	v_mov_b32_e32 v8, v6
	v_mov_b32_e32 v6, v10
	;; [unrolled: 1-line block ×4, first 2 shown]
; %bb.35:                               ;   in Loop: Header=BB92_5 Depth=1
	s_or_b64 exec, exec, s[6:7]
                                        ; implicit-def: $vgpr15
.LBB92_36:                              ;   in Loop: Header=BB92_5 Depth=1
	s_andn2_saveexec_b64 s[2:3], s[2:3]
	s_cbranch_execz .LBB92_40
; %bb.37:                               ;   in Loop: Header=BB92_5 Depth=1
	v_cmp_eq_u32_e32 vcc, 1, v15
	v_mov_b32_e32 v8, v3
	v_mov_b32_e32 v6, v2
	;; [unrolled: 1-line block ×3, first 2 shown]
	s_and_saveexec_b64 s[6:7], vcc
; %bb.38:                               ;   in Loop: Header=BB92_5 Depth=1
	v_mov_b32_e32 v8, v10
	v_mov_b32_e32 v6, v3
	;; [unrolled: 1-line block ×4, first 2 shown]
; %bb.39:                               ;   in Loop: Header=BB92_5 Depth=1
	s_or_b64 exec, exec, s[6:7]
	v_mov_b32_e32 v3, v0
	v_mov_b32_e32 v10, v7
.LBB92_40:                              ;   in Loop: Header=BB92_5 Depth=1
	s_or_b64 exec, exec, s[2:3]
	v_mov_b32_e32 v11, v14
	v_lshlrev_b64 v[0:1], 21, v[10:11]
	v_xor_b32_e32 v2, v0, v3
	v_cvt_f64_u32_e32 v[0:1], v1
	v_ldexp_f64 v[0:1], v[0:1], 32
	v_cvt_f64_u32_e32 v[2:3], v2
	v_add_f64 v[0:1], v[0:1], v[2:3]
	v_mov_b32_e32 v2, 0
	v_mov_b32_e32 v3, 0x3ca00000
	v_fmac_f64_e32 v[2:3], 0x3ca00000, v[0:1]
	v_mov_b32_e32 v9, v14
	v_lshlrev_b64 v[0:1], 21, v[8:9]
	v_frexp_mant_f64_e32 v[8:9], v[2:3]
	v_cmp_gt_f64_e32 vcc, s[30:31], v[8:9]
	v_cndmask_b32_e64 v15, v90, 2.0, vcc
	v_frexp_exp_i32_f64_e32 v10, v[2:3]
	v_mul_f64 v[8:9], v[8:9], v[14:15]
	v_subbrev_co_u32_e32 v15, vcc, 0, v10, vcc
	v_add_f64 v[10:11], v[8:9], 1.0
	v_rcp_f64_e32 v[72:73], v[10:11]
	v_add_f64 v[76:77], v[10:11], -1.0
	v_add_f64 v[74:75], v[8:9], -1.0
	v_add_f64 v[8:9], v[8:9], -v[76:77]
	v_fma_f64 v[76:77], -v[10:11], v[72:73], 1.0
	v_fmac_f64_e32 v[72:73], v[76:77], v[72:73]
	v_fma_f64 v[76:77], -v[10:11], v[72:73], 1.0
	v_fmac_f64_e32 v[72:73], v[76:77], v[72:73]
	v_mul_f64 v[76:77], v[74:75], v[72:73]
	v_mul_f64 v[78:79], v[10:11], v[76:77]
	v_fma_f64 v[10:11], v[76:77], v[10:11], -v[78:79]
	v_fmac_f64_e32 v[10:11], v[76:77], v[8:9]
	v_add_f64 v[8:9], v[78:79], v[10:11]
	v_add_f64 v[80:81], v[74:75], -v[8:9]
	v_add_f64 v[78:79], v[8:9], -v[78:79]
	;; [unrolled: 1-line block ×5, first 2 shown]
	v_add_f64 v[8:9], v[10:11], v[8:9]
	v_add_f64 v[8:9], v[80:81], v[8:9]
	v_mul_f64 v[8:9], v[72:73], v[8:9]
	v_add_f64 v[10:11], v[76:77], v[8:9]
	v_add_f64 v[72:73], v[10:11], -v[76:77]
	v_add_f64 v[8:9], v[8:9], -v[72:73]
	v_mul_f64 v[72:73], v[10:11], v[10:11]
	v_pk_mov_b32 v[74:75], v[18:19], v[18:19] op_sel:[0,1]
	v_fmac_f64_e32 v[74:75], s[36:37], v[72:73]
	v_pk_mov_b32 v[76:77], v[20:21], v[20:21] op_sel:[0,1]
	v_fmac_f64_e32 v[76:77], v[72:73], v[74:75]
	;; [unrolled: 2-line block ×6, first 2 shown]
	v_ldexp_f64 v[74:75], v[10:11], 1
	v_mul_f64 v[10:11], v[10:11], v[72:73]
	v_mul_f64 v[10:11], v[10:11], v[76:77]
	v_add_f64 v[72:73], v[74:75], v[10:11]
	v_add_f64 v[74:75], v[72:73], -v[74:75]
	v_ldexp_f64 v[8:9], v[8:9], 1
	v_add_f64 v[10:11], v[10:11], -v[74:75]
	v_add_f64 v[8:9], v[8:9], v[10:11]
	v_add_f64 v[10:11], v[72:73], v[8:9]
	v_add_f64 v[72:73], v[10:11], -v[72:73]
	v_add_f64 v[8:9], v[8:9], -v[72:73]
	v_cvt_f64_i32_e32 v[72:73], v15
	v_mul_f64 v[74:75], v[72:73], s[48:49]
	v_fma_f64 v[76:77], v[72:73], s[48:49], -v[74:75]
	v_fmac_f64_e32 v[76:77], s[50:51], v[72:73]
	v_add_f64 v[72:73], v[74:75], v[76:77]
	v_add_f64 v[74:75], v[72:73], -v[74:75]
	v_add_f64 v[74:75], v[76:77], -v[74:75]
	v_add_f64 v[76:77], v[72:73], v[10:11]
	v_add_f64 v[78:79], v[76:77], -v[72:73]
	v_add_f64 v[80:81], v[76:77], -v[78:79]
	;; [unrolled: 1-line block ×4, first 2 shown]
	v_add_f64 v[10:11], v[10:11], v[72:73]
	v_add_f64 v[72:73], v[74:75], v[8:9]
	v_add_f64 v[78:79], v[72:73], -v[74:75]
	v_add_f64 v[80:81], v[72:73], -v[78:79]
	v_add_f64 v[10:11], v[72:73], v[10:11]
	v_add_f64 v[74:75], v[74:75], -v[80:81]
	v_add_f64 v[8:9], v[8:9], -v[78:79]
	v_add_f64 v[72:73], v[76:77], v[10:11]
	v_add_f64 v[8:9], v[8:9], v[74:75]
	v_add_f64 v[74:75], v[72:73], -v[76:77]
	v_add_f64 v[10:11], v[10:11], -v[74:75]
	s_mov_b32 s14, 0
	v_add_f64 v[8:9], v[8:9], v[10:11]
	s_mov_b32 s15, 0x7ff00000
	v_add_f64 v[8:9], v[72:73], v[8:9]
	v_cmp_eq_f64_e32 vcc, s[14:15], v[2:3]
	v_cndmask_b32_e32 v9, v9, v3, vcc
	v_cndmask_b32_e32 v8, v8, v2, vcc
	v_mul_f64 v[8:9], v[8:9], -2.0
	v_cmp_neq_f64_e32 vcc, 0, v[2:3]
	s_mov_b32 s2, 0
	v_cndmask_b32_e32 v3, v93, v9, vcc
	v_cndmask_b32_e32 v2, 0, v8, vcc
	s_brev_b32 s3, 8
	v_cmp_gt_f64_e32 vcc, s[2:3], v[2:3]
	v_cndmask_b32_e64 v8, 0, 1, vcc
	v_lshlrev_b32_e32 v8, 8, v8
	v_ldexp_f64 v[2:3], v[2:3], v8
	v_xor_b32_e32 v6, v0, v6
	v_cvt_f64_u32_e32 v[0:1], v1
	v_rsq_f64_e32 v[8:9], v[2:3]
	v_ldexp_f64 v[0:1], v[0:1], 32
	v_cvt_f64_u32_e32 v[6:7], v6
	v_add_f64 v[0:1], v[0:1], v[6:7]
	v_mov_b32_e32 v6, 0
	v_mov_b32_e32 v7, 0x3cb00000
	v_fmac_f64_e32 v[6:7], 0x3cb00000, v[0:1]
	v_mul_f64 v[0:1], v[2:3], v[8:9]
	v_mul_f64 v[8:9], v[8:9], 0.5
	v_fma_f64 v[10:11], -v[8:9], v[0:1], 0.5
	v_fmac_f64_e32 v[0:1], v[0:1], v[10:11]
	v_fma_f64 v[72:73], -v[0:1], v[0:1], v[2:3]
	v_fmac_f64_e32 v[8:9], v[8:9], v[10:11]
	v_fmac_f64_e32 v[0:1], v[72:73], v[8:9]
	v_fma_f64 v[10:11], -v[0:1], v[0:1], v[2:3]
	v_fmac_f64_e32 v[0:1], v[10:11], v[8:9]
	v_cndmask_b32_e32 v8, 0, v89, vcc
	v_ldexp_f64 v[0:1], v[0:1], v8
	v_cmp_class_f64_e32 vcc, v[2:3], v88
	v_cndmask_b32_e32 v1, v1, v3, vcc
	v_cndmask_b32_e32 v0, v0, v2, vcc
	v_mul_f64 v[2:3], v[6:7], 0.5
	v_fract_f64_e32 v[8:9], v[2:3]
	v_add_f64 v[8:9], v[8:9], v[8:9]
	v_cmp_neq_f64_e32 vcc, s[14:15], v[2:3]
	v_cndmask_b32_e32 v2, 0, v8, vcc
	v_cndmask_b32_e32 v3, 0, v9, vcc
	v_cmp_lt_f64_e32 vcc, 1.0, v[6:7]
	v_cndmask_b32_e32 v3, v7, v3, vcc
	v_cndmask_b32_e32 v2, v6, v2, vcc
	v_add_f64 v[8:9], v[2:3], v[2:3]
	v_rndne_f64_e32 v[8:9], v[8:9]
	v_fmac_f64_e32 v[2:3], -0.5, v[8:9]
	s_mov_b32 s6, 0xf99eb0bb
	v_cvt_i32_f64_e32 v15, v[8:9]
	v_mul_f64 v[8:9], v[2:3], v[2:3]
	v_pk_mov_b32 v[10:11], v[48:49], v[48:49] op_sel:[0,1]
	s_mov_b32 s7, 0x3f3e357e
	v_fmac_f64_e32 v[10:11], s[6:7], v[8:9]
	v_pk_mov_b32 v[72:73], v[50:51], v[50:51] op_sel:[0,1]
	v_fmac_f64_e32 v[72:73], v[8:9], v[10:11]
	v_pk_mov_b32 v[10:11], v[52:53], v[52:53] op_sel:[0,1]
	;; [unrolled: 2-line block ×4, first 2 shown]
	v_fmac_f64_e32 v[10:11], v[8:9], v[72:73]
	v_mul_f64 v[72:73], v[2:3], v[8:9]
	s_mov_b32 s6, 0x54442d18
	v_mul_f64 v[10:11], v[72:73], v[10:11]
	s_mov_b32 s7, 0x400921fb
	v_fmac_f64_e32 v[10:11], s[6:7], v[2:3]
	s_mov_b32 s6, 0x2e21c33
	v_pk_mov_b32 v[2:3], v[58:59], v[58:59] op_sel:[0,1]
	s_mov_b32 s7, 0xbf1b1673
	v_fmac_f64_e32 v[2:3], s[6:7], v[8:9]
	v_pk_mov_b32 v[72:73], v[60:61], v[60:61] op_sel:[0,1]
	v_fmac_f64_e32 v[72:73], v[8:9], v[2:3]
	v_pk_mov_b32 v[2:3], v[62:63], v[62:63] op_sel:[0,1]
	;; [unrolled: 2-line block ×5, first 2 shown]
	v_fmac_f64_e32 v[72:73], v[8:9], v[2:3]
	v_fma_f64 v[2:3], v[8:9], v[72:73], 1.0
	v_and_b32_e32 v9, 1, v15
	v_lshlrev_b32_e32 v8, 30, v15
	v_cmp_eq_u32_e32 vcc, 0, v9
	v_cndmask_b32_e32 v10, v2, v10, vcc
	v_cndmask_b32_e32 v2, v3, v11, vcc
	v_xor_b32_e32 v3, v8, v7
	v_and_b32_e32 v3, 0x80000000, v3
	v_cmp_gt_f64_e32 vcc, s[2:3], v[4:5]
	v_xor_b32_e32 v11, v2, v3
	v_cndmask_b32_e64 v2, 0, 1, vcc
	v_lshlrev_b32_e32 v2, 8, v2
	v_ldexp_f64 v[2:3], v[4:5], v2
	v_rsq_f64_e32 v[8:9], v[2:3]
	v_cmp_lg_f64_e64 s[2:3], s[14:15], v[6:7]
	v_cndmask_b32_e64 v6, 0, v10, s[2:3]
	v_cndmask_b32_e64 v7, v91, v11, s[2:3]
	v_mul_f64 v[0:1], v[0:1], v[6:7]
	v_mul_f64 v[6:7], v[2:3], v[8:9]
	v_mul_f64 v[8:9], v[8:9], 0.5
	v_fma_f64 v[10:11], -v[8:9], v[6:7], 0.5
	v_fmac_f64_e32 v[6:7], v[6:7], v[10:11]
	v_fma_f64 v[72:73], -v[6:7], v[6:7], v[2:3]
	v_fmac_f64_e32 v[8:9], v[8:9], v[10:11]
	v_fmac_f64_e32 v[6:7], v[72:73], v[8:9]
	v_fma_f64 v[10:11], -v[6:7], v[6:7], v[2:3]
	v_fmac_f64_e32 v[6:7], v[10:11], v[8:9]
	v_cndmask_b32_e32 v8, 0, v89, vcc
	v_ldexp_f64 v[6:7], v[6:7], v8
	v_cmp_class_f64_e32 vcc, v[2:3], v88
	v_cndmask_b32_e32 v3, v7, v3, vcc
	v_cndmask_b32_e32 v2, v6, v2, vcc
	v_fmac_f64_e32 v[4:5], v[2:3], v[0:1]
	v_trunc_f64_e32 v[0:1], v[4:5]
	v_add_f64 v[2:3], v[4:5], -v[0:1]
	v_cmp_ge_f64_e64 vcc, |v[2:3]|, 0.5
	v_cndmask_b32_e32 v2, 0, v90, vcc
	s_brev_b32 s2, -2
	v_bfi_b32 v15, s2, v2, v5
	v_add_f64 v[0:1], v[0:1], v[14:15]
	v_cvt_u32_f64_e32 v75, v[0:1]
.LBB92_41:                              ;   in Loop: Header=BB92_5 Depth=1
	s_or_b64 exec, exec, s[0:1]
                                        ; implicit-def: $vgpr6
                                        ; implicit-def: $vgpr72_vgpr73
                                        ; implicit-def: $vgpr15
                                        ; implicit-def: $vgpr96
                                        ; implicit-def: $vgpr97
                                        ; implicit-def: $vgpr105
                                        ; implicit-def: $vgpr95
                                        ; implicit-def: $vgpr3
                                        ; implicit-def: $vgpr4_vgpr5
                                        ; implicit-def: $vgpr98
                                        ; implicit-def: $vgpr99
                                        ; implicit-def: $vgpr100
                                        ; implicit-def: $vgpr101
                                        ; implicit-def: $vgpr103
                                        ; implicit-def: $vgpr104
                                        ; implicit-def: $vgpr106
                                        ; implicit-def: $vgpr107
                                        ; implicit-def: $vgpr108
                                        ; implicit-def: $vgpr109
                                        ; implicit-def: $vgpr110
                                        ; implicit-def: $vgpr111
                                        ; implicit-def: $vgpr112
                                        ; implicit-def: $vgpr113
                                        ; implicit-def: $vgpr102
                                        ; implicit-def: $vgpr114
.LBB92_42:                              ;   in Loop: Header=BB92_5 Depth=1
	s_andn2_saveexec_b64 s[0:1], s[18:19]
	s_cbranch_execz .LBB92_3
; %bb.43:                               ;   in Loop: Header=BB92_5 Depth=1
	s_mov_b32 s12, s54
	v_mul_f64 v[8:9], v[4:5], s[12:13]
	v_rndne_f64_e32 v[10:11], v[8:9]
	s_mov_b32 s56, s48
	v_fma_f64 v[4:5], v[10:11], s[56:57], -v[4:5]
	s_mov_b32 s58, s50
	v_fmac_f64_e32 v[4:5], s[58:59], v[10:11]
	v_pk_mov_b32 v[8:9], v[30:31], v[30:31] op_sel:[0,1]
	v_fmac_f64_e32 v[8:9], s[62:63], v[4:5]
	v_pk_mov_b32 v[74:75], v[32:33], v[32:33] op_sel:[0,1]
	v_fmac_f64_e32 v[74:75], v[4:5], v[8:9]
	v_pk_mov_b32 v[8:9], v[34:35], v[34:35] op_sel:[0,1]
	v_fmac_f64_e32 v[8:9], v[4:5], v[74:75]
	v_pk_mov_b32 v[74:75], v[36:37], v[36:37] op_sel:[0,1]
	v_fmac_f64_e32 v[74:75], v[4:5], v[8:9]
	v_pk_mov_b32 v[8:9], v[38:39], v[38:39] op_sel:[0,1]
	v_fmac_f64_e32 v[8:9], v[4:5], v[74:75]
	v_pk_mov_b32 v[74:75], v[40:41], v[40:41] op_sel:[0,1]
	v_fmac_f64_e32 v[74:75], v[4:5], v[8:9]
	v_pk_mov_b32 v[8:9], v[42:43], v[42:43] op_sel:[0,1]
	v_fmac_f64_e32 v[8:9], v[4:5], v[74:75]
	v_pk_mov_b32 v[74:75], v[44:45], v[44:45] op_sel:[0,1]
	v_fmac_f64_e32 v[74:75], v[4:5], v[8:9]
	v_pk_mov_b32 v[76:77], v[46:47], v[46:47] op_sel:[0,1]
	v_fmac_f64_e32 v[76:77], v[4:5], v[74:75]
	v_fma_f64 v[74:75], v[4:5], v[76:77], 1.0
	s_mov_b32 s2, 0xc4800000
	v_fma_f64 v[4:5], v[4:5], v[74:75], 1.0
	v_cvt_i32_f64_e32 v7, v[10:11]
	v_cmp_ngt_f32_e32 vcc, s2, v6
	s_mov_b32 s2, 0x44866000
	v_ldexp_f64 v[4:5], v[4:5], v7
	v_cmp_nlt_f32_e64 s[2:3], s2, v6
	v_mov_b32_e32 v8, 0
	v_cndmask_b32_e32 v5, v93, v5, vcc
	s_and_b64 vcc, s[2:3], vcc
	v_mov_b32_e32 v9, 0x3ff00000
	v_mov_b32_e32 v78, 0
	v_cndmask_b32_e64 v11, 0, v5, s[2:3]
	v_cndmask_b32_e32 v10, 0, v4, vcc
	s_mov_b32 s12, -1
	s_mov_b64 s[2:3], 0
	v_mov_b32_e32 v79, v17
	s_branch .LBB92_45
.LBB92_44:                              ;   in Loop: Header=BB92_45 Depth=2
	s_or_b64 exec, exec, s[6:7]
	v_cmp_eq_u32_e32 vcc, 1, v15
	v_cndmask_b32_e32 v0, v0, v1, vcc
	v_cmp_eq_u32_e32 vcc, 2, v15
	v_cndmask_b32_e32 v0, v0, v2, vcc
	;; [unrolled: 2-line block ×6, first 2 shown]
	v_lshrrev_b32_e32 v0, 11, v0
	v_cvt_f64_u32_e32 v[0:1], v0
	v_ldexp_f64 v[0:1], v[0:1], 32
	v_cvt_f64_u32_e32 v[2:3], v2
	v_add_f64 v[0:1], v[0:1], v[2:3]
	v_mov_b32_e32 v2, 0
	v_mov_b32_e32 v3, 0x3ca00000
	v_fmac_f64_e32 v[2:3], 0x3ca00000, v[0:1]
	v_mul_f64 v[8:9], v[8:9], v[2:3]
	v_cmp_ngt_f64_e32 vcc, v[8:9], v[10:11]
	s_add_i32 s12, s12, 1
	s_or_b64 s[2:3], vcc, s[2:3]
	v_mov_b32_e32 v75, s12
	v_mov_b32_e32 v15, v81
	;; [unrolled: 1-line block ×6, first 2 shown]
	s_andn2_b64 exec, exec, s[2:3]
	s_cbranch_execz .LBB92_2
.LBB92_45:                              ;   Parent Loop BB92_5 Depth=1
                                        ; =>  This Inner Loop Header: Depth=2
	v_add_u32_e32 v80, 1, v15
	v_pk_mov_b32 v[6:7], v[2:3], v[2:3] op_sel:[0,1]
	v_cmp_eq_u32_e32 vcc, 4, v80
	v_pk_mov_b32 v[4:5], v[0:1], v[0:1] op_sel:[0,1]
	v_mov_b32_e32 v77, v0
	v_mov_b32_e32 v76, v1
	;; [unrolled: 1-line block ×4, first 2 shown]
	s_and_saveexec_b64 s[6:7], vcc
	s_cbranch_execz .LBB92_47
; %bb.46:                               ;   in Loop: Header=BB92_45 Depth=2
	v_add_co_u32_e32 v96, vcc, 1, v96
	v_cndmask_b32_e64 v4, 0, 1, vcc
	v_addc_co_u32_e32 v97, vcc, 0, v97, vcc
	v_cmp_eq_u32_e32 vcc, 0, v97
	v_cndmask_b32_e32 v4, 0, v4, vcc
	v_add_u32_e32 v79, v4, v79
	v_cmp_eq_u32_e32 vcc, 0, v79
	v_cndmask_b32_e32 v4, 0, v4, vcc
	v_add_u32_e32 v78, v4, v78
	v_mad_u64_u32 v[4:5], s[14:15], v96, s11, 0
	v_mad_u64_u32 v[6:7], s[14:15], v79, s8, 0
	v_xor_b32_e32 v5, v5, v73
	v_xor_b32_e32 v7, v7, v72
	v_xor_b32_e32 v5, v78, v5
	v_xor_b32_e32 v7, v97, v7
	v_mad_u64_u32 v[76:77], s[14:15], v5, s8, 0
	v_mad_u64_u32 v[74:75], s[14:15], v7, s11, 0
	v_xor_b32_e32 v5, v98, v77
	v_xor_b32_e32 v5, v5, v6
	v_xor_b32_e32 v6, v99, v75
	v_xor_b32_e32 v6, v6, v4
	;; [unrolled: 6-line block ×10, first 2 shown]
	v_mov_b32_e32 v80, 0
	v_mov_b32_e32 v5, v76
	;; [unrolled: 1-line block ×5, first 2 shown]
.LBB92_47:                              ;   in Loop: Header=BB92_45 Depth=2
	s_or_b64 exec, exec, s[6:7]
	v_add_u32_e32 v81, 1, v80
	v_cmp_eq_u32_e32 vcc, 4, v81
	s_and_saveexec_b64 s[6:7], vcc
	s_cbranch_execz .LBB92_44
; %bb.48:                               ;   in Loop: Header=BB92_45 Depth=2
	v_add_co_u32_e32 v96, vcc, 1, v96
	v_cndmask_b32_e64 v74, 0, 1, vcc
	v_addc_co_u32_e32 v97, vcc, 0, v97, vcc
	v_cmp_eq_u32_e32 vcc, 0, v97
	v_cndmask_b32_e32 v74, 0, v74, vcc
	v_add_u32_e32 v79, v74, v79
	v_cmp_eq_u32_e32 vcc, 0, v79
	v_cndmask_b32_e32 v74, 0, v74, vcc
	v_add_u32_e32 v78, v74, v78
	v_mad_u64_u32 v[74:75], s[14:15], v96, s11, 0
	v_mad_u64_u32 v[76:77], s[14:15], v79, s8, 0
	v_xor_b32_e32 v75, v75, v73
	v_xor_b32_e32 v77, v77, v72
	v_xor_b32_e32 v75, v78, v75
	v_xor_b32_e32 v77, v97, v77
	v_mad_u64_u32 v[84:85], s[14:15], v75, s8, 0
	v_mad_u64_u32 v[82:83], s[14:15], v77, s11, 0
	v_xor_b32_e32 v75, v98, v85
	v_xor_b32_e32 v75, v75, v76
	v_xor_b32_e32 v76, v99, v83
	v_xor_b32_e32 v76, v76, v74
	;; [unrolled: 6-line block ×9, first 2 shown]
	v_mad_u64_u32 v[74:75], s[14:15], v74, s11, 0
	v_mad_u64_u32 v[76:77], s[14:15], v76, s8, 0
	v_xor_b32_e32 v77, v77, v116
	v_xor_b32_e32 v75, v75, v86
	v_mov_b32_e32 v81, 0
	v_xor_b32_e32 v77, v105, v77
	v_xor_b32_e32 v82, v95, v75
	s_branch .LBB92_44
.LBB92_49:
	s_or_b64 exec, exec, s[4:5]
	s_and_saveexec_b64 s[0:1], s[26:27]
	s_xor_b64 s[0:1], exec, s[0:1]
	s_cbranch_execnz .LBB92_51
.LBB92_50:
	s_endpgm
.LBB92_51:
	s_trap 2
	; divergent unreachable
	s_endpgm
	.section	.rodata,"a",@progbits
	.p2align	6, 0x0
	.amdhsa_kernel _ZN2at4cuda12_GLOBAL__N_121kernelPointwiseApply2IZN12_GLOBAL__N_119poisson_cuda_kernelIN3c108BFloat16EEEvRKNS_10TensorBaseES9_NS_15PhiloxCudaStateEEUlRS6_RKS6_E_S6_S6_jLi1ELin1ELi1ELi512ELi2EEEvNS0_6detail10TensorInfoIT0_T2_EENSG_IT1_SI_EESI_T_
		.amdhsa_group_segment_fixed_size 0
		.amdhsa_private_segment_fixed_size 0
		.amdhsa_kernarg_size 728
		.amdhsa_user_sgpr_count 6
		.amdhsa_user_sgpr_private_segment_buffer 1
		.amdhsa_user_sgpr_dispatch_ptr 0
		.amdhsa_user_sgpr_queue_ptr 0
		.amdhsa_user_sgpr_kernarg_segment_ptr 1
		.amdhsa_user_sgpr_dispatch_id 0
		.amdhsa_user_sgpr_flat_scratch_init 0
		.amdhsa_user_sgpr_kernarg_preload_length 0
		.amdhsa_user_sgpr_kernarg_preload_offset 0
		.amdhsa_user_sgpr_private_segment_size 0
		.amdhsa_uses_dynamic_stack 0
		.amdhsa_system_sgpr_private_segment_wavefront_offset 0
		.amdhsa_system_sgpr_workgroup_id_x 1
		.amdhsa_system_sgpr_workgroup_id_y 0
		.amdhsa_system_sgpr_workgroup_id_z 0
		.amdhsa_system_sgpr_workgroup_info 0
		.amdhsa_system_vgpr_workitem_id 0
		.amdhsa_next_free_vgpr 135
		.amdhsa_next_free_sgpr 96
		.amdhsa_accum_offset 136
		.amdhsa_reserve_vcc 1
		.amdhsa_reserve_flat_scratch 0
		.amdhsa_float_round_mode_32 0
		.amdhsa_float_round_mode_16_64 0
		.amdhsa_float_denorm_mode_32 3
		.amdhsa_float_denorm_mode_16_64 3
		.amdhsa_dx10_clamp 1
		.amdhsa_ieee_mode 1
		.amdhsa_fp16_overflow 0
		.amdhsa_tg_split 0
		.amdhsa_exception_fp_ieee_invalid_op 0
		.amdhsa_exception_fp_denorm_src 0
		.amdhsa_exception_fp_ieee_div_zero 0
		.amdhsa_exception_fp_ieee_overflow 0
		.amdhsa_exception_fp_ieee_underflow 0
		.amdhsa_exception_fp_ieee_inexact 0
		.amdhsa_exception_int_div_zero 0
	.end_amdhsa_kernel
	.section	.text._ZN2at4cuda12_GLOBAL__N_121kernelPointwiseApply2IZN12_GLOBAL__N_119poisson_cuda_kernelIN3c108BFloat16EEEvRKNS_10TensorBaseES9_NS_15PhiloxCudaStateEEUlRS6_RKS6_E_S6_S6_jLi1ELin1ELi1ELi512ELi2EEEvNS0_6detail10TensorInfoIT0_T2_EENSG_IT1_SI_EESI_T_,"axG",@progbits,_ZN2at4cuda12_GLOBAL__N_121kernelPointwiseApply2IZN12_GLOBAL__N_119poisson_cuda_kernelIN3c108BFloat16EEEvRKNS_10TensorBaseES9_NS_15PhiloxCudaStateEEUlRS6_RKS6_E_S6_S6_jLi1ELin1ELi1ELi512ELi2EEEvNS0_6detail10TensorInfoIT0_T2_EENSG_IT1_SI_EESI_T_,comdat
.Lfunc_end92:
	.size	_ZN2at4cuda12_GLOBAL__N_121kernelPointwiseApply2IZN12_GLOBAL__N_119poisson_cuda_kernelIN3c108BFloat16EEEvRKNS_10TensorBaseES9_NS_15PhiloxCudaStateEEUlRS6_RKS6_E_S6_S6_jLi1ELin1ELi1ELi512ELi2EEEvNS0_6detail10TensorInfoIT0_T2_EENSG_IT1_SI_EESI_T_, .Lfunc_end92-_ZN2at4cuda12_GLOBAL__N_121kernelPointwiseApply2IZN12_GLOBAL__N_119poisson_cuda_kernelIN3c108BFloat16EEEvRKNS_10TensorBaseES9_NS_15PhiloxCudaStateEEUlRS6_RKS6_E_S6_S6_jLi1ELin1ELi1ELi512ELi2EEEvNS0_6detail10TensorInfoIT0_T2_EENSG_IT1_SI_EESI_T_
                                        ; -- End function
	.section	.AMDGPU.csdata,"",@progbits
; Kernel info:
; codeLenInByte = 13640
; NumSgprs: 100
; NumVgprs: 135
; NumAgprs: 0
; TotalNumVgprs: 135
; ScratchSize: 0
; MemoryBound: 0
; FloatMode: 240
; IeeeMode: 1
; LDSByteSize: 0 bytes/workgroup (compile time only)
; SGPRBlocks: 12
; VGPRBlocks: 16
; NumSGPRsForWavesPerEU: 100
; NumVGPRsForWavesPerEU: 135
; AccumOffset: 136
; Occupancy: 3
; WaveLimiterHint : 1
; COMPUTE_PGM_RSRC2:SCRATCH_EN: 0
; COMPUTE_PGM_RSRC2:USER_SGPR: 6
; COMPUTE_PGM_RSRC2:TRAP_HANDLER: 0
; COMPUTE_PGM_RSRC2:TGID_X_EN: 1
; COMPUTE_PGM_RSRC2:TGID_Y_EN: 0
; COMPUTE_PGM_RSRC2:TGID_Z_EN: 0
; COMPUTE_PGM_RSRC2:TIDIG_COMP_CNT: 0
; COMPUTE_PGM_RSRC3_GFX90A:ACCUM_OFFSET: 33
; COMPUTE_PGM_RSRC3_GFX90A:TG_SPLIT: 0
	.section	.text._ZN2at4cuda12_GLOBAL__N_121kernelPointwiseApply2IZN12_GLOBAL__N_119poisson_cuda_kernelIN3c108BFloat16EEEvRKNS_10TensorBaseES9_NS_15PhiloxCudaStateEEUlRS6_RKS6_E_S6_S6_jLi2ELi1ELi1ELi512ELi2EEEvNS0_6detail10TensorInfoIT0_T2_EENSG_IT1_SI_EESI_T_,"axG",@progbits,_ZN2at4cuda12_GLOBAL__N_121kernelPointwiseApply2IZN12_GLOBAL__N_119poisson_cuda_kernelIN3c108BFloat16EEEvRKNS_10TensorBaseES9_NS_15PhiloxCudaStateEEUlRS6_RKS6_E_S6_S6_jLi2ELi1ELi1ELi512ELi2EEEvNS0_6detail10TensorInfoIT0_T2_EENSG_IT1_SI_EESI_T_,comdat
	.globl	_ZN2at4cuda12_GLOBAL__N_121kernelPointwiseApply2IZN12_GLOBAL__N_119poisson_cuda_kernelIN3c108BFloat16EEEvRKNS_10TensorBaseES9_NS_15PhiloxCudaStateEEUlRS6_RKS6_E_S6_S6_jLi2ELi1ELi1ELi512ELi2EEEvNS0_6detail10TensorInfoIT0_T2_EENSG_IT1_SI_EESI_T_ ; -- Begin function _ZN2at4cuda12_GLOBAL__N_121kernelPointwiseApply2IZN12_GLOBAL__N_119poisson_cuda_kernelIN3c108BFloat16EEEvRKNS_10TensorBaseES9_NS_15PhiloxCudaStateEEUlRS6_RKS6_E_S6_S6_jLi2ELi1ELi1ELi512ELi2EEEvNS0_6detail10TensorInfoIT0_T2_EENSG_IT1_SI_EESI_T_
	.p2align	8
	.type	_ZN2at4cuda12_GLOBAL__N_121kernelPointwiseApply2IZN12_GLOBAL__N_119poisson_cuda_kernelIN3c108BFloat16EEEvRKNS_10TensorBaseES9_NS_15PhiloxCudaStateEEUlRS6_RKS6_E_S6_S6_jLi2ELi1ELi1ELi512ELi2EEEvNS0_6detail10TensorInfoIT0_T2_EENSG_IT1_SI_EESI_T_,@function
_ZN2at4cuda12_GLOBAL__N_121kernelPointwiseApply2IZN12_GLOBAL__N_119poisson_cuda_kernelIN3c108BFloat16EEEvRKNS_10TensorBaseES9_NS_15PhiloxCudaStateEEUlRS6_RKS6_E_S6_S6_jLi2ELi1ELi1ELi512ELi2EEEvNS0_6detail10TensorInfoIT0_T2_EENSG_IT1_SI_EESI_T_: ; @_ZN2at4cuda12_GLOBAL__N_121kernelPointwiseApply2IZN12_GLOBAL__N_119poisson_cuda_kernelIN3c108BFloat16EEEvRKNS_10TensorBaseES9_NS_15PhiloxCudaStateEEUlRS6_RKS6_E_S6_S6_jLi2ELi1ELi1ELi512ELi2EEEvNS0_6detail10TensorInfoIT0_T2_EENSG_IT1_SI_EESI_T_
; %bb.0:
	s_load_dword s2, s[4:5], 0x1e4
	s_load_dword s33, s[4:5], 0x1b0
	s_add_u32 s0, s4, 0x1d8
	s_addc_u32 s1, s5, 0
	s_waitcnt lgkmcnt(0)
	s_and_b32 s2, s2, 0xffff
	s_mul_i32 s6, s6, s2
	v_add_u32_e32 v17, s6, v0
	v_cmp_gt_u32_e32 vcc, s33, v17
	s_and_saveexec_b64 s[6:7], vcc
	s_cbranch_execz .LBB93_47
; %bb.1:
	s_load_dwordx2 s[6:7], s[4:5], 0x0
                                        ; implicit-def: $vgpr134 : SGPR spill to VGPR lane
                                        ; kill: killed $sgpr0 killed $sgpr1
	s_mov_b32 s10, 0xcd9e8d57
	s_mov_b32 s22, 0
	;; [unrolled: 1-line block ×4, first 2 shown]
	s_waitcnt lgkmcnt(0)
	v_writelane_b32 v134, s6, 0
	v_writelane_b32 v134, s7, 1
	s_load_dword s8, s[4:5], 0xc
	s_load_dwordx2 s[6:7], s[4:5], 0x6c
	s_load_dwordx2 s[24:25], s[4:5], 0xd8
	s_load_dword s12, s[4:5], 0x144
	s_load_dwordx4 s[16:19], s[4:5], 0x1b8
	s_mov_b32 s34, 0xbf559e2b
	s_mov_b32 s36, 0xd7f4df2e
	s_waitcnt lgkmcnt(0)
	v_cvt_f32_u32_e32 v0, s8
	v_writelane_b32 v134, s6, 2
	v_writelane_b32 v134, s7, 3
	s_load_dword s3, s[0:1], 0x0
	s_load_dwordx2 s[6:7], s[4:5], 0x1c8
	v_writelane_b32 v134, s16, 4
	v_writelane_b32 v134, s17, 5
	;; [unrolled: 1-line block ×4, first 2 shown]
	v_rcp_iflag_f32_e32 v0, v0
	s_waitcnt lgkmcnt(0)
	v_writelane_b32 v134, s6, 8
	v_writelane_b32 v134, s7, 9
	s_load_dword s6, s[4:5], 0x1d0
	v_mul_f32_e32 v0, 0x4f7ffffe, v0
	s_getpc_b64 s[0:1]
	s_add_u32 s0, s0, .str@rel32@lo+4
	s_addc_u32 s1, s1, .str@rel32@hi+12
	v_cvt_u32_f32_e32 v0, v0
	s_cmp_eq_u64 s[0:1], 0
	s_cselect_b64 s[0:1], -1, 0
	s_waitcnt lgkmcnt(0)
	s_bitcmp1_b32 s6, 0
	v_mad_u64_u32 v[12:13], s[6:7], v17, s10, 0
	s_mul_i32 s45, s3, s2
	s_cselect_b64 s[2:3], -1, 0
	s_sub_i32 s6, 0, s8
	v_mul_lo_u32 v1, s6, v0
	v_mul_hi_u32 v1, v0, v1
	v_mov_b32_e32 v16, v13
	v_add_u32_e32 v13, v0, v1
	v_cndmask_b32_e64 v0, 0, 1, s[2:3]
	s_xor_b64 s[62:63], s[0:1], -1
	v_cmp_ne_u32_e64 s[0:1], 1, v0
	v_writelane_b32 v134, s0, 10
	v_writelane_b32 v134, s1, 11
	s_mov_b32 s1, 0xbff71547
	s_mov_b32 s38, 0x16291751
	;; [unrolled: 1-line block ×22, first 2 shown]
	s_movk_i32 s90, 0xf950
	s_mov_b32 s92, 0xc864beb5
	s_mov_b32 s94, 0
	;; [unrolled: 1-line block ×3, first 2 shown]
	v_writelane_b32 v134, s0, 12
                                        ; kill: killed $sgpr4 killed $sgpr5
	s_mov_b64 s[4:5], 0
	v_mov_b32_e32 v14, 0
	s_mov_b32 s11, 0xd2511f53
	s_mov_b32 s23, 0x40080000
	s_mov_b32 s29, 0x3fe55555
	s_mov_b32 s31, 0x3fc38538
	s_mov_b32 s35, 0x3fc3ab76
	s_mov_b32 s37, 0x3fc7474d
	s_mov_b32 s39, 0x3fcc71c0
	s_mov_b32 s41, 0x3fd24924
	s_mov_b32 s43, 0x3fd99999
	s_mov_b32 s44, 0x55555780
	s_mov_b32 s47, 0x3fe62e42
	s_mov_b32 s49, 0x3c7abc9e
	s_movk_i32 s9, 0x204
	s_mov_b32 s53, 0x3ff71547
	s_mov_b32 s55, 0xbfe62e42
	;; [unrolled: 1-line block ×5, first 2 shown]
	v_mov_b32_e32 v18, 0x6b47b09a
	v_mov_b32_e32 v20, 0xd7f4df2e
	;; [unrolled: 1-line block ×27, first 2 shown]
	s_mov_b32 s25, s12
	v_mov_b32_e32 v89, 0x260
	v_mov_b32_e32 v90, 0xffffff80
	;; [unrolled: 1-line block ×33, first 2 shown]
	s_mov_b32 s65, 0xc090cc00
	s_mov_b32 s67, 0x40200000
	;; [unrolled: 1-line block ×17, first 2 shown]
	v_writelane_b32 v134, s1, 13
                                        ; implicit-def: $sgpr18_sgpr19
                                        ; implicit-def: $sgpr16_sgpr17
	v_writelane_b32 v134, s45, 14
	s_branch .LBB93_5
.LBB93_2:                               ;   in Loop: Header=BB93_5 Depth=1
	s_or_b64 exec, exec, s[2:3]
.LBB93_3:                               ;   in Loop: Header=BB93_5 Depth=1
	s_or_b64 exec, exec, s[0:1]
	v_readlane_b32 s0, v134, 0
	v_cvt_f32_u32_e32 v3, v75
	v_lshlrev_b64 v[0:1], 1, v[70:71]
	v_readlane_b32 s1, v134, 1
	v_mov_b32_e32 v2, s1
	v_add_co_u32_e32 v0, vcc, s0, v0
	v_addc_co_u32_e32 v1, vcc, v2, v1, vcc
	v_add_u32_e32 v95, s45, v95
	v_bfe_u32 v2, v3, 16, 1
	s_movk_i32 s0, 0x7fff
	v_cmp_le_u32_e32 vcc, s33, v95
	v_add3_u32 v2, v3, v2, s0
	s_andn2_b64 s[16:17], s[16:17], exec
	s_orn2_b64 s[0:1], vcc, exec
	global_store_short_d16_hi v[0:1], v2, off
.LBB93_4:                               ;   in Loop: Header=BB93_5 Depth=1
	s_or_b64 exec, exec, s[26:27]
	s_and_b64 s[0:1], exec, s[0:1]
	s_or_b64 s[4:5], s[0:1], s[4:5]
	s_andn2_b64 s[0:1], s[18:19], exec
	s_and_b64 s[2:3], s[16:17], exec
	s_or_b64 s[18:19], s[0:1], s[2:3]
	s_andn2_b64 exec, exec, s[4:5]
	s_cbranch_execz .LBB93_46
.LBB93_5:                               ; =>This Loop Header: Depth=1
                                        ;     Child Loop BB93_13 Depth 2
                                        ;     Child Loop BB93_42 Depth 2
	v_sub_u32_e32 v0, s33, v95
	v_cmp_lt_i32_e32 vcc, 0, v0
	v_pk_mov_b32 v[70:71], 0, 0
	s_and_saveexec_b64 s[0:1], vcc
	s_cbranch_execz .LBB93_7
; %bb.6:                                ;   in Loop: Header=BB93_5 Depth=1
	v_mul_hi_u32 v0, v95, v13
	v_mul_lo_u32 v1, v0, s8
	v_sub_u32_e32 v1, v95, v1
	v_add_u32_e32 v2, 1, v0
	v_cmp_le_u32_e64 s[2:3], s8, v1
	v_cndmask_b32_e64 v0, v0, v2, s[2:3]
	v_subrev_u32_e32 v2, s8, v1
	v_cndmask_b32_e64 v1, v1, v2, s[2:3]
	v_add_u32_e32 v2, 1, v0
	v_cmp_le_u32_e64 s[2:3], s8, v1
	v_cndmask_b32_e64 v1, v0, v2, s[2:3]
	v_mul_lo_u32 v0, v1, s8
	v_readlane_b32 s2, v134, 2
	v_sub_u32_e32 v0, v95, v0
	v_readlane_b32 s3, v134, 3
	v_mul_lo_u32 v0, v0, s3
	v_mad_u64_u32 v[70:71], s[2:3], v1, s2, v[0:1]
	v_mov_b32_e32 v71, v14
.LBB93_7:                               ;   in Loop: Header=BB93_5 Depth=1
	s_or_b64 exec, exec, s[0:1]
	v_mul_lo_u32 v0, v95, s25
	v_cndmask_b32_e32 v0, 0, v0, vcc
	v_mov_b32_e32 v1, v14
	v_lshlrev_b64 v[0:1], 1, v[0:1]
	v_add_co_u32_e32 v0, vcc, s24, v0
	v_addc_co_u32_e32 v1, vcc, v88, v1, vcc
	global_load_ushort v0, v[0:1], off
	s_mov_b64 s[0:1], -1
	s_or_b64 s[16:17], s[16:17], exec
	s_waitcnt vmcnt(0)
	v_lshlrev_b32_e32 v6, 16, v0
	v_cmp_le_f32_e32 vcc, 0, v6
	s_and_b64 s[2:3], s[62:63], vcc
	s_and_saveexec_b64 s[26:27], s[2:3]
	s_cbranch_execz .LBB93_4
; %bb.8:                                ;   in Loop: Header=BB93_5 Depth=1
	v_readlane_b32 s0, v134, 10
	v_readlane_b32 s1, v134, 11
	s_and_b64 vcc, exec, s[0:1]
	v_readlane_b32 s0, v134, 4
	v_readlane_b32 s1, v134, 5
	;; [unrolled: 1-line block ×4, first 2 shown]
	v_pk_mov_b32 v[0:1], s[2:3], s[2:3] op_sel:[0,1]
	v_pk_mov_b32 v[72:73], s[0:1], s[0:1] op_sel:[0,1]
	s_cbranch_vccnz .LBB93_10
; %bb.9:                                ;   in Loop: Header=BB93_5 Depth=1
	v_readlane_b32 s0, v134, 4
	v_readlane_b32 s2, v134, 6
	;; [unrolled: 1-line block ×3, first 2 shown]
	v_pk_mov_b32 v[0:1], s[2:3], s[2:3] op_sel:[0,1]
	v_readlane_b32 s1, v134, 5
	flat_load_dwordx2 v[0:1], v[0:1]
	v_pk_mov_b32 v[2:3], s[0:1], s[0:1] op_sel:[0,1]
	flat_load_dwordx2 v[72:73], v[2:3]
	v_readlane_b32 s0, v134, 8
	v_readlane_b32 s1, v134, 9
	v_mov_b32_e32 v2, s1
	s_waitcnt vmcnt(0) lgkmcnt(0)
	v_add_co_u32_e32 v0, vcc, s0, v0
	v_addc_co_u32_e32 v1, vcc, v1, v2, vcc
.LBB93_10:                              ;   in Loop: Header=BB93_5 Depth=1
	v_alignbit_b32 v97, v1, v0, 2
	v_and_b32_e32 v15, 3, v0
	v_lshrrev_b32_e32 v98, 2, v1
	v_mad_u64_u32 v[0:1], s[0:1], v97, s11, 0
	v_xor_b32_e32 v3, v16, v72
	v_mov_b32_e32 v2, v73
	v_xor_b32_e32 v1, v1, v73
	s_mov_b32 s0, 0xbb67ae85
	v_xor_b32_e32 v3, v3, v98
	v_add_co_u32_e32 v100, vcc, s0, v2
	v_mad_u64_u32 v[4:5], s[0:1], v3, s11, 0
	v_mad_u64_u32 v[8:9], s[0:1], v1, s10, 0
	v_add_co_u32_e32 v99, vcc, 0x9e3779b9, v72
	v_xor_b32_e32 v1, v12, v9
	v_xor_b32_e32 v3, v100, v5
	s_mov_b32 s0, 0x3c6ef372
	v_xor_b32_e32 v1, v1, v99
	v_xor_b32_e32 v3, v3, v0
	v_add_co_u32_e32 v101, vcc, s0, v72
	s_mov_b32 s0, 0x76cf5d0a
	v_add_co_u32_e32 v102, vcc, s0, v2
	v_mad_u64_u32 v[0:1], s[0:1], v1, s11, 0
	v_mad_u64_u32 v[10:11], s[0:1], v3, s10, 0
	v_xor_b32_e32 v3, v101, v11
	v_xor_b32_e32 v1, v102, v1
	s_mov_b32 s0, 0xdaa66d2b
	v_xor_b32_e32 v3, v3, v8
	v_xor_b32_e32 v1, v1, v4
	v_add_co_u32_e32 v104, vcc, s0, v72
	s_mov_b32 s0, 0x32370b8f
	v_add_co_u32_e32 v105, vcc, s0, v2
	v_mad_u64_u32 v[4:5], s[0:1], v3, s11, 0
	v_mad_u64_u32 v[8:9], s[0:1], v1, s10, 0
	;; [unrolled: 10-line block ×7, first 2 shown]
	v_xor_b32_e32 v1, v103, v1
	v_xor_b32_e32 v3, v115, v3
	;; [unrolled: 1-line block ×4, first 2 shown]
	v_mad_u64_u32 v[4:5], s[0:1], v1, s11, 0
	v_mad_u64_u32 v[8:9], s[0:1], v7, s10, 0
	v_add_u32_e32 v106, 0x8ff34781, v72
	v_add_u32_e32 v96, 0x96a522ad, v73
	v_xor_b32_e32 v0, v9, v0
	v_xor_b32_e32 v2, v5, v2
	s_mov_b32 s0, 0x42800000
	v_mov_b32_e32 v3, v4
	v_mov_b32_e32 v1, v8
	v_xor_b32_e32 v0, v106, v0
	v_xor_b32_e32 v2, v96, v2
	v_cvt_f64_f32_e32 v[4:5], v6
	v_cmp_ngt_f32_e32 vcc, s0, v6
                                        ; implicit-def: $vgpr75
	s_and_saveexec_b64 s[0:1], vcc
	s_xor_b64 s[50:51], exec, s[0:1]
	s_cbranch_execz .LBB93_39
; %bb.11:                               ;   in Loop: Header=BB93_5 Depth=1
	s_mov_b32 s0, 0x457a0000
	v_cmp_ge_f32_e32 vcc, s0, v6
                                        ; implicit-def: $vgpr75
	s_and_saveexec_b64 s[0:1], vcc
	s_xor_b64 s[6:7], exec, s[0:1]
	s_cbranch_execz .LBB93_26
; %bb.12:                               ;   in Loop: Header=BB93_5 Depth=1
	s_mov_b32 s12, 0xae147ae1
	s_mov_b32 s13, 0xc00ae147
	v_div_scale_f64 v[6:7], s[0:1], v[4:5], v[4:5], s[12:13]
	v_rcp_f64_e32 v[8:9], v[6:7]
	s_mov_b32 s0, 0
	v_mul_f64 v[76:77], v[4:5], s[22:23]
	s_brev_b32 s1, 8
	v_cmp_gt_f64_e64 s[2:3], s[0:1], v[76:77]
	v_cndmask_b32_e64 v78, 0, 1, s[2:3]
	v_fma_f64 v[74:75], -v[6:7], v[8:9], 1.0
	v_lshlrev_b32_e32 v78, 8, v78
	v_fmac_f64_e32 v[8:9], v[8:9], v[74:75]
	v_ldexp_f64 v[76:77], v[76:77], v78
	v_fma_f64 v[74:75], -v[6:7], v[8:9], 1.0
	v_rsq_f64_e32 v[78:79], v[76:77]
	v_div_scale_f64 v[10:11], vcc, s[12:13], v[4:5], s[12:13]
	v_fmac_f64_e32 v[8:9], v[8:9], v[74:75]
	v_mul_f64 v[74:75], v[10:11], v[8:9]
	v_fma_f64 v[6:7], -v[6:7], v[74:75], v[10:11]
	s_nop 0
	v_div_fmas_f64 v[6:7], v[6:7], v[8:9], v[74:75]
	v_mul_f64 v[8:9], v[76:77], v[78:79]
	v_mul_f64 v[10:11], v[78:79], 0.5
	v_fma_f64 v[74:75], -v[10:11], v[8:9], 0.5
	v_fmac_f64_e32 v[8:9], v[8:9], v[74:75]
	v_fma_f64 v[78:79], -v[8:9], v[8:9], v[76:77]
	v_fmac_f64_e32 v[10:11], v[10:11], v[74:75]
	v_fmac_f64_e32 v[8:9], v[78:79], v[10:11]
	v_fma_f64 v[74:75], -v[8:9], v[8:9], v[76:77]
	v_fmac_f64_e32 v[8:9], v[74:75], v[10:11]
	v_cndmask_b32_e64 v10, 0, v90, s[2:3]
	v_ldexp_f64 v[8:9], v[8:9], v10
	v_cmp_class_f64_e32 vcc, v[76:77], v89
	s_mov_b32 s2, 0x54442d18
	v_cndmask_b32_e32 v9, v9, v77, vcc
	v_cndmask_b32_e32 v8, v8, v76, vcc
	s_mov_b32 s3, 0x400921fb
	v_div_scale_f64 v[10:11], s[0:1], v[8:9], v[8:9], s[2:3]
	v_rcp_f64_e32 v[76:77], v[10:11]
	s_mov_b32 s0, 0x95810625
	v_div_fixup_f64 v[6:7], v[6:7], v[4:5], s[12:13]
	s_mov_b32 s1, 0x3fe88b43
	v_fma_f64 v[78:79], -v[10:11], v[76:77], 1.0
	v_fmac_f64_e32 v[76:77], v[76:77], v[78:79]
	v_fma_f64 v[78:79], -v[10:11], v[76:77], 1.0
	v_fmac_f64_e32 v[76:77], v[76:77], v[78:79]
	v_div_scale_f64 v[78:79], vcc, s[2:3], v[8:9], s[2:3]
	v_mul_f64 v[80:81], v[78:79], v[76:77]
	v_fma_f64 v[10:11], -v[10:11], v[80:81], v[78:79]
	v_add_f64 v[6:7], v[6:7], s[0:1]
	s_nop 0
	v_div_fmas_f64 v[10:11], v[10:11], v[76:77], v[80:81]
	v_div_fixup_f64 v[76:77], v[10:11], v[8:9], s[2:3]
	v_frexp_mant_f64_e32 v[8:9], v[6:7]
	v_cmp_gt_f64_e32 vcc, s[28:29], v[8:9]
	v_mov_b32_e32 v74, 0
	v_cndmask_b32_e64 v75, v91, 2.0, vcc
	v_frexp_exp_i32_f64_e32 v10, v[6:7]
	v_mul_f64 v[8:9], v[8:9], v[74:75]
	v_subbrev_co_u32_e32 v75, vcc, 0, v10, vcc
	v_add_f64 v[10:11], v[8:9], 1.0
	v_rcp_f64_e32 v[80:81], v[10:11]
	v_add_f64 v[84:85], v[10:11], -1.0
	v_add_f64 v[82:83], v[8:9], -1.0
	v_add_f64 v[8:9], v[8:9], -v[84:85]
	v_fma_f64 v[84:85], -v[10:11], v[80:81], 1.0
	v_fmac_f64_e32 v[80:81], v[84:85], v[80:81]
	v_fma_f64 v[84:85], -v[10:11], v[80:81], 1.0
	v_fmac_f64_e32 v[80:81], v[84:85], v[80:81]
	v_mul_f64 v[84:85], v[82:83], v[80:81]
	v_mul_f64 v[86:87], v[10:11], v[84:85]
	v_fma_f64 v[10:11], v[84:85], v[10:11], -v[86:87]
	v_fmac_f64_e32 v[10:11], v[84:85], v[8:9]
	v_add_f64 v[8:9], v[86:87], v[10:11]
	v_add_f64 v[116:117], v[82:83], -v[8:9]
	v_add_f64 v[86:87], v[8:9], -v[86:87]
	;; [unrolled: 1-line block ×5, first 2 shown]
	v_add_f64 v[8:9], v[10:11], v[8:9]
	v_add_f64 v[8:9], v[116:117], v[8:9]
	v_mul_f64 v[8:9], v[80:81], v[8:9]
	v_add_f64 v[10:11], v[84:85], v[8:9]
	v_add_f64 v[80:81], v[10:11], -v[84:85]
	v_add_f64 v[8:9], v[8:9], -v[80:81]
	v_mul_f64 v[80:81], v[10:11], v[10:11]
	v_pk_mov_b32 v[82:83], s[30:31], s[30:31] op_sel:[0,1]
	v_fma_f64 v[84:85], s[34:35], v[80:81], v[82:83]
	v_fma_f64 v[84:85], v[80:81], v[84:85], s[36:37]
	;; [unrolled: 1-line block ×5, first 2 shown]
	s_mov_b32 s45, s29
	v_fma_f64 v[84:85], v[80:81], v[84:85], s[44:45]
	v_ldexp_f64 v[86:87], v[10:11], 1
	v_mul_f64 v[10:11], v[10:11], v[80:81]
	v_mul_f64 v[10:11], v[10:11], v[84:85]
	v_add_f64 v[80:81], v[86:87], v[10:11]
	v_add_f64 v[84:85], v[80:81], -v[86:87]
	v_ldexp_f64 v[8:9], v[8:9], 1
	v_add_f64 v[10:11], v[10:11], -v[84:85]
	v_add_f64 v[8:9], v[8:9], v[10:11]
	v_add_f64 v[10:11], v[80:81], v[8:9]
	v_add_f64 v[80:81], v[10:11], -v[80:81]
	v_add_f64 v[8:9], v[8:9], -v[80:81]
	v_cvt_f64_i32_e32 v[80:81], v75
	v_mul_f64 v[84:85], v[80:81], s[46:47]
	v_fma_f64 v[86:87], v[80:81], s[46:47], -v[84:85]
	v_fmac_f64_e32 v[86:87], s[48:49], v[80:81]
	v_add_f64 v[80:81], v[84:85], v[86:87]
	v_add_f64 v[84:85], v[80:81], -v[84:85]
	v_add_f64 v[84:85], v[86:87], -v[84:85]
	v_add_f64 v[86:87], v[80:81], v[10:11]
	v_add_f64 v[116:117], v[86:87], -v[80:81]
	v_add_f64 v[118:119], v[86:87], -v[116:117]
	;; [unrolled: 1-line block ×4, first 2 shown]
	v_add_f64 v[10:11], v[10:11], v[80:81]
	v_add_f64 v[80:81], v[84:85], v[8:9]
	v_add_f64 v[116:117], v[80:81], -v[84:85]
	v_add_f64 v[118:119], v[80:81], -v[116:117]
	v_add_f64 v[10:11], v[80:81], v[10:11]
	v_add_f64 v[84:85], v[84:85], -v[118:119]
	v_add_f64 v[8:9], v[8:9], -v[116:117]
	v_add_f64 v[80:81], v[86:87], v[10:11]
	v_add_f64 v[8:9], v[8:9], v[84:85]
	v_add_f64 v[84:85], v[80:81], -v[86:87]
	v_add_f64 v[10:11], v[10:11], -v[84:85]
	v_add_f64 v[8:9], v[8:9], v[10:11]
	v_add_f64 v[8:9], v[80:81], v[8:9]
	v_cmp_class_f64_e64 vcc, v[6:7], s9
	v_cndmask_b32_e32 v8, v8, v6, vcc
	v_cndmask_b32_e32 v9, v9, v7, vcc
	v_cmp_ngt_f64_e32 vcc, 0, v[6:7]
	v_cndmask_b32_e32 v9, v92, v9, vcc
	v_cmp_nge_f64_e32 vcc, 0, v[6:7]
	v_cndmask_b32_e32 v8, 0, v8, vcc
	v_cmp_neq_f64_e32 vcc, 0, v[6:7]
	v_cndmask_b32_e32 v9, v93, v9, vcc
	v_add_f64 v[6:7], v[8:9], -v[4:5]
	v_frexp_mant_f64_e32 v[8:9], v[76:77]
	v_cmp_gt_f64_e32 vcc, s[28:29], v[8:9]
	v_cndmask_b32_e64 v75, v91, 2.0, vcc
	v_frexp_exp_i32_f64_e32 v10, v[76:77]
	v_mul_f64 v[8:9], v[8:9], v[74:75]
	v_subbrev_co_u32_e32 v75, vcc, 0, v10, vcc
	v_add_f64 v[10:11], v[8:9], 1.0
	v_rcp_f64_e32 v[80:81], v[10:11]
	v_add_f64 v[86:87], v[10:11], -1.0
	v_add_f64 v[84:85], v[8:9], -1.0
	v_add_f64 v[8:9], v[8:9], -v[86:87]
	v_fma_f64 v[86:87], -v[10:11], v[80:81], 1.0
	v_fmac_f64_e32 v[80:81], v[86:87], v[80:81]
	v_fma_f64 v[86:87], -v[10:11], v[80:81], 1.0
	v_fmac_f64_e32 v[80:81], v[86:87], v[80:81]
	v_mul_f64 v[86:87], v[84:85], v[80:81]
	v_mul_f64 v[116:117], v[10:11], v[86:87]
	v_fma_f64 v[10:11], v[86:87], v[10:11], -v[116:117]
	v_fmac_f64_e32 v[10:11], v[86:87], v[8:9]
	v_add_f64 v[8:9], v[116:117], v[10:11]
	v_add_f64 v[118:119], v[84:85], -v[8:9]
	v_add_f64 v[116:117], v[8:9], -v[116:117]
	v_add_f64 v[84:85], v[84:85], -v[118:119]
	v_add_f64 v[8:9], v[84:85], -v[8:9]
	v_add_f64 v[10:11], v[116:117], -v[10:11]
	v_add_f64 v[8:9], v[10:11], v[8:9]
	v_add_f64 v[8:9], v[118:119], v[8:9]
	v_mul_f64 v[8:9], v[80:81], v[8:9]
	v_add_f64 v[10:11], v[86:87], v[8:9]
	v_add_f64 v[80:81], v[10:11], -v[86:87]
	v_add_f64 v[8:9], v[8:9], -v[80:81]
	v_mul_f64 v[80:81], v[10:11], v[10:11]
	v_fma_f64 v[84:85], s[34:35], v[80:81], v[82:83]
	v_fma_f64 v[84:85], v[80:81], v[84:85], s[36:37]
	;; [unrolled: 1-line block ×6, first 2 shown]
	v_ldexp_f64 v[86:87], v[10:11], 1
	v_mul_f64 v[10:11], v[10:11], v[80:81]
	v_mul_f64 v[10:11], v[10:11], v[84:85]
	v_add_f64 v[80:81], v[86:87], v[10:11]
	v_add_f64 v[84:85], v[80:81], -v[86:87]
	v_ldexp_f64 v[8:9], v[8:9], 1
	v_add_f64 v[10:11], v[10:11], -v[84:85]
	v_add_f64 v[8:9], v[8:9], v[10:11]
	v_add_f64 v[10:11], v[80:81], v[8:9]
	v_add_f64 v[80:81], v[10:11], -v[80:81]
	v_add_f64 v[8:9], v[8:9], -v[80:81]
	v_cvt_f64_i32_e32 v[80:81], v75
	v_mul_f64 v[84:85], v[80:81], s[46:47]
	v_fma_f64 v[86:87], v[80:81], s[46:47], -v[84:85]
	v_fmac_f64_e32 v[86:87], s[48:49], v[80:81]
	v_add_f64 v[80:81], v[84:85], v[86:87]
	v_add_f64 v[84:85], v[80:81], -v[84:85]
	v_add_f64 v[84:85], v[86:87], -v[84:85]
	v_add_f64 v[86:87], v[80:81], v[10:11]
	v_add_f64 v[116:117], v[86:87], -v[80:81]
	v_add_f64 v[118:119], v[86:87], -v[116:117]
	;; [unrolled: 1-line block ×4, first 2 shown]
	v_add_f64 v[10:11], v[10:11], v[80:81]
	v_add_f64 v[80:81], v[84:85], v[8:9]
	v_add_f64 v[116:117], v[80:81], -v[84:85]
	v_add_f64 v[118:119], v[80:81], -v[116:117]
	v_add_f64 v[10:11], v[80:81], v[10:11]
	v_add_f64 v[84:85], v[84:85], -v[118:119]
	v_add_f64 v[8:9], v[8:9], -v[116:117]
	v_add_f64 v[80:81], v[86:87], v[10:11]
	v_add_f64 v[8:9], v[8:9], v[84:85]
	v_add_f64 v[84:85], v[80:81], -v[86:87]
	v_add_f64 v[10:11], v[10:11], -v[84:85]
	s_mov_b32 s0, 0
	v_add_f64 v[8:9], v[8:9], v[10:11]
	s_mov_b32 s1, 0x7ff00000
	v_add_f64 v[8:9], v[80:81], v[8:9]
	v_cmp_eq_f64_e32 vcc, s[0:1], v[76:77]
	v_cndmask_b32_e32 v8, v8, v76, vcc
	v_cndmask_b32_e32 v9, v9, v77, vcc
	v_cmp_neq_f64_e32 vcc, 0, v[76:77]
	v_cndmask_b32_e32 v9, v93, v9, vcc
	v_cndmask_b32_e32 v8, 0, v8, vcc
	v_mul_f64 v[78:79], v[76:77], v[4:5]
	v_add_f64 v[80:81], v[6:7], -v[8:9]
	v_frexp_exp_i32_f64_e32 v6, v[4:5]
	v_frexp_mant_f64_e32 v[4:5], v[4:5]
	v_cmp_gt_f64_e32 vcc, s[28:29], v[4:5]
	v_cndmask_b32_e64 v75, v91, 2.0, vcc
	v_mul_f64 v[4:5], v[4:5], v[74:75]
	v_subbrev_co_u32_e32 v75, vcc, 0, v6, vcc
	v_add_f64 v[6:7], v[4:5], 1.0
	v_rcp_f64_e32 v[8:9], v[6:7]
	v_add_f64 v[84:85], v[6:7], -1.0
	v_add_f64 v[10:11], v[4:5], -1.0
	v_add_f64 v[4:5], v[4:5], -v[84:85]
	v_fma_f64 v[84:85], -v[6:7], v[8:9], 1.0
	v_fmac_f64_e32 v[8:9], v[84:85], v[8:9]
	v_fma_f64 v[84:85], -v[6:7], v[8:9], 1.0
	v_fmac_f64_e32 v[8:9], v[84:85], v[8:9]
	v_mul_f64 v[84:85], v[10:11], v[8:9]
	v_mul_f64 v[86:87], v[6:7], v[84:85]
	v_fma_f64 v[6:7], v[84:85], v[6:7], -v[86:87]
	v_fmac_f64_e32 v[6:7], v[84:85], v[4:5]
	v_add_f64 v[4:5], v[86:87], v[6:7]
	v_add_f64 v[116:117], v[10:11], -v[4:5]
	v_add_f64 v[86:87], v[4:5], -v[86:87]
	;; [unrolled: 1-line block ×5, first 2 shown]
	v_add_f64 v[4:5], v[6:7], v[4:5]
	v_add_f64 v[4:5], v[116:117], v[4:5]
	v_mul_f64 v[4:5], v[8:9], v[4:5]
	v_add_f64 v[6:7], v[84:85], v[4:5]
	v_add_f64 v[8:9], v[6:7], -v[84:85]
	v_add_f64 v[4:5], v[4:5], -v[8:9]
	v_mul_f64 v[8:9], v[6:7], v[6:7]
	v_fmac_f64_e32 v[82:83], s[34:35], v[8:9]
	v_fma_f64 v[10:11], v[8:9], v[82:83], s[36:37]
	v_fma_f64 v[10:11], v[8:9], v[10:11], s[38:39]
	v_fma_f64 v[10:11], v[8:9], v[10:11], s[40:41]
	v_fma_f64 v[10:11], v[8:9], v[10:11], s[42:43]
	v_fma_f64 v[10:11], v[8:9], v[10:11], s[44:45]
	v_ldexp_f64 v[82:83], v[6:7], 1
	v_mul_f64 v[6:7], v[6:7], v[8:9]
	v_mul_f64 v[6:7], v[6:7], v[10:11]
	v_add_f64 v[8:9], v[82:83], v[6:7]
	v_add_f64 v[10:11], v[8:9], -v[82:83]
	v_ldexp_f64 v[4:5], v[4:5], 1
	v_add_f64 v[6:7], v[6:7], -v[10:11]
	v_add_f64 v[4:5], v[4:5], v[6:7]
	v_add_f64 v[6:7], v[8:9], v[4:5]
	v_add_f64 v[8:9], v[6:7], -v[8:9]
	v_add_f64 v[4:5], v[4:5], -v[8:9]
	v_cvt_f64_i32_e32 v[8:9], v75
	v_mul_f64 v[10:11], v[8:9], s[46:47]
	v_fma_f64 v[82:83], v[8:9], s[46:47], -v[10:11]
	v_fmac_f64_e32 v[82:83], s[48:49], v[8:9]
	v_add_f64 v[8:9], v[10:11], v[82:83]
	v_add_f64 v[10:11], v[8:9], -v[10:11]
	v_add_f64 v[10:11], v[82:83], -v[10:11]
	v_add_f64 v[82:83], v[8:9], v[6:7]
	v_add_f64 v[84:85], v[82:83], -v[8:9]
	v_add_f64 v[86:87], v[82:83], -v[84:85]
	;; [unrolled: 1-line block ×4, first 2 shown]
	v_add_f64 v[6:7], v[6:7], v[8:9]
	v_add_f64 v[8:9], v[10:11], v[4:5]
	v_add_f64 v[84:85], v[8:9], -v[10:11]
	v_add_f64 v[86:87], v[8:9], -v[84:85]
	v_add_f64 v[6:7], v[8:9], v[6:7]
	v_add_f64 v[10:11], v[10:11], -v[86:87]
	v_add_f64 v[4:5], v[4:5], -v[84:85]
	v_add_f64 v[8:9], v[82:83], v[6:7]
	v_add_f64 v[4:5], v[4:5], v[10:11]
	v_add_f64 v[10:11], v[8:9], -v[82:83]
	v_add_f64 v[6:7], v[6:7], -v[10:11]
	v_add_f64 v[4:5], v[4:5], v[6:7]
	v_add_f64 v[82:83], v[8:9], v[4:5]
	s_mov_b64 s[12:13], 0
	s_mov_b64 s[14:15], 0
	v_mov_b32_e32 v116, v17
                                        ; implicit-def: $vgpr75
.LBB93_13:                              ;   Parent Loop BB93_5 Depth=1
                                        ; =>  This Inner Loop Header: Depth=2
	v_add_u32_e32 v117, 1, v15
	v_pk_mov_b32 v[10:11], v[2:3], v[2:3] op_sel:[0,1]
	v_cmp_eq_u32_e32 vcc, 4, v117
	v_pk_mov_b32 v[8:9], v[0:1], v[0:1] op_sel:[0,1]
	v_mov_b32_e32 v87, v0
	v_mov_b32_e32 v86, v1
	;; [unrolled: 1-line block ×4, first 2 shown]
	s_and_saveexec_b64 s[0:1], vcc
	s_cbranch_execz .LBB93_15
; %bb.14:                               ;   in Loop: Header=BB93_13 Depth=2
	v_add_co_u32_e32 v97, vcc, 1, v97
	v_cndmask_b32_e64 v4, 0, 1, vcc
	v_addc_co_u32_e32 v98, vcc, 0, v98, vcc
	v_cmp_eq_u32_e32 vcc, 0, v98
	v_cndmask_b32_e32 v4, 0, v4, vcc
	v_add_u32_e32 v116, v4, v116
	v_cmp_eq_u32_e32 vcc, 0, v116
	v_cndmask_b32_e32 v4, 0, v4, vcc
	v_add_u32_e32 v74, v4, v74
	v_mad_u64_u32 v[4:5], s[2:3], v97, s11, 0
	v_mad_u64_u32 v[6:7], s[2:3], v116, s10, 0
	v_xor_b32_e32 v5, v5, v73
	v_xor_b32_e32 v7, v7, v72
	v_xor_b32_e32 v5, v74, v5
	v_xor_b32_e32 v7, v98, v7
	v_mad_u64_u32 v[10:11], s[2:3], v5, s10, 0
	v_mad_u64_u32 v[8:9], s[2:3], v7, s11, 0
	v_xor_b32_e32 v5, v99, v11
	v_xor_b32_e32 v5, v5, v6
	v_xor_b32_e32 v6, v100, v9
	v_xor_b32_e32 v6, v6, v4
	;; [unrolled: 6-line block ×10, first 2 shown]
	v_mov_b32_e32 v117, 0
	v_mov_b32_e32 v9, v86
	;; [unrolled: 1-line block ×5, first 2 shown]
.LBB93_15:                              ;   in Loop: Header=BB93_13 Depth=2
	s_or_b64 exec, exec, s[0:1]
	v_add_u32_e32 v118, 1, v117
	v_pk_mov_b32 v[4:5], v[8:9], v[8:9] op_sel:[0,1]
	v_cmp_eq_u32_e32 vcc, 4, v118
	v_pk_mov_b32 v[6:7], v[10:11], v[10:11] op_sel:[0,1]
	s_and_saveexec_b64 s[0:1], vcc
	s_cbranch_execz .LBB93_17
; %bb.16:                               ;   in Loop: Header=BB93_13 Depth=2
	v_add_co_u32_e32 v97, vcc, 1, v97
	v_cndmask_b32_e64 v4, 0, 1, vcc
	v_addc_co_u32_e32 v98, vcc, 0, v98, vcc
	v_cmp_eq_u32_e32 vcc, 0, v98
	v_cndmask_b32_e32 v4, 0, v4, vcc
	v_add_u32_e32 v116, v4, v116
	v_cmp_eq_u32_e32 vcc, 0, v116
	v_cndmask_b32_e32 v4, 0, v4, vcc
	v_add_u32_e32 v74, v4, v74
	v_mad_u64_u32 v[4:5], s[2:3], v97, s11, 0
	v_mad_u64_u32 v[6:7], s[2:3], v116, s10, 0
	v_xor_b32_e32 v5, v5, v73
	v_xor_b32_e32 v7, v7, v72
	v_xor_b32_e32 v5, v74, v5
	v_xor_b32_e32 v7, v98, v7
	v_mad_u64_u32 v[86:87], s[2:3], v5, s10, 0
	v_mad_u64_u32 v[84:85], s[2:3], v7, s11, 0
	v_xor_b32_e32 v5, v99, v87
	v_xor_b32_e32 v5, v5, v6
	v_xor_b32_e32 v6, v100, v85
	v_xor_b32_e32 v6, v6, v4
	;; [unrolled: 6-line block ×10, first 2 shown]
	v_mov_b32_e32 v118, 0
	v_mov_b32_e32 v5, v86
	;; [unrolled: 1-line block ×5, first 2 shown]
.LBB93_17:                              ;   in Loop: Header=BB93_13 Depth=2
	s_or_b64 exec, exec, s[0:1]
	v_cmp_eq_u32_e32 vcc, 1, v15
	v_cndmask_b32_e32 v0, v0, v1, vcc
	v_cmp_eq_u32_e32 vcc, 2, v15
	v_cndmask_b32_e32 v0, v0, v2, vcc
	;; [unrolled: 2-line block ×6, first 2 shown]
	v_lshrrev_b32_e32 v0, 11, v0
	v_cvt_f64_u32_e32 v[0:1], v0
	v_ldexp_f64 v[0:1], v[0:1], 32
	v_cvt_f64_u32_e32 v[2:3], v2
	v_add_f64 v[0:1], v[0:1], v[2:3]
	v_mov_b32_e32 v2, 0
	v_mov_b32_e32 v3, 0x3ca00000
	v_fmac_f64_e32 v[2:3], 0x3ca00000, v[0:1]
	v_add_f64 v[0:1], -v[2:3], 1.0
	v_div_scale_f64 v[8:9], s[0:1], v[2:3], v[2:3], v[0:1]
	v_rcp_f64_e32 v[10:11], v[8:9]
	v_mov_b32_e32 v119, 2
	v_fma_f64 v[120:121], -v[8:9], v[10:11], 1.0
	v_fmac_f64_e32 v[10:11], v[10:11], v[120:121]
	v_fma_f64 v[120:121], -v[8:9], v[10:11], 1.0
	v_fmac_f64_e32 v[10:11], v[10:11], v[120:121]
	v_div_scale_f64 v[120:121], vcc, v[0:1], v[2:3], v[0:1]
	v_mul_f64 v[122:123], v[120:121], v[10:11]
	v_fma_f64 v[8:9], -v[8:9], v[122:123], v[120:121]
	s_nop 1
	v_div_fmas_f64 v[8:9], v[8:9], v[10:11], v[122:123]
	v_div_fixup_f64 v[0:1], v[8:9], v[2:3], v[0:1]
	v_frexp_mant_f64_e32 v[2:3], v[0:1]
	v_cmp_gt_f64_e32 vcc, s[28:29], v[2:3]
	v_cndmask_b32_e64 v15, v91, 2.0, vcc
	v_frexp_exp_i32_f64_e32 v8, v[0:1]
	v_mul_f64 v[2:3], v[2:3], v[14:15]
	v_subbrev_co_u32_e32 v15, vcc, 0, v8, vcc
	v_add_f64 v[8:9], v[2:3], 1.0
	v_rcp_f64_e32 v[10:11], v[8:9]
	v_add_f64 v[122:123], v[8:9], -1.0
	v_add_f64 v[120:121], v[2:3], -1.0
	v_add_f64 v[2:3], v[2:3], -v[122:123]
	v_fma_f64 v[122:123], -v[8:9], v[10:11], 1.0
	v_fmac_f64_e32 v[10:11], v[122:123], v[10:11]
	v_fma_f64 v[122:123], -v[8:9], v[10:11], 1.0
	v_fmac_f64_e32 v[10:11], v[122:123], v[10:11]
	v_mul_f64 v[122:123], v[120:121], v[10:11]
	v_mul_f64 v[124:125], v[8:9], v[122:123]
	v_fma_f64 v[8:9], v[122:123], v[8:9], -v[124:125]
	v_fmac_f64_e32 v[8:9], v[122:123], v[2:3]
	v_add_f64 v[2:3], v[124:125], v[8:9]
	v_add_f64 v[126:127], v[120:121], -v[2:3]
	v_add_f64 v[124:125], v[2:3], -v[124:125]
	;; [unrolled: 1-line block ×5, first 2 shown]
	v_add_f64 v[2:3], v[8:9], v[2:3]
	v_add_f64 v[2:3], v[126:127], v[2:3]
	v_mul_f64 v[2:3], v[10:11], v[2:3]
	v_add_f64 v[8:9], v[122:123], v[2:3]
	v_add_f64 v[10:11], v[8:9], -v[122:123]
	v_add_f64 v[2:3], v[2:3], -v[10:11]
	v_mul_f64 v[10:11], v[8:9], v[8:9]
	v_pk_mov_b32 v[120:121], v[18:19], v[18:19] op_sel:[0,1]
	v_fmac_f64_e32 v[120:121], s[34:35], v[10:11]
	v_pk_mov_b32 v[122:123], v[20:21], v[20:21] op_sel:[0,1]
	v_fmac_f64_e32 v[122:123], v[10:11], v[120:121]
	;; [unrolled: 2-line block ×6, first 2 shown]
	v_ldexp_f64 v[120:121], v[8:9], 1
	v_mul_f64 v[8:9], v[8:9], v[10:11]
	v_mul_f64 v[8:9], v[8:9], v[122:123]
	v_add_f64 v[10:11], v[120:121], v[8:9]
	v_add_f64 v[120:121], v[10:11], -v[120:121]
	v_ldexp_f64 v[2:3], v[2:3], 1
	v_add_f64 v[8:9], v[8:9], -v[120:121]
	v_add_f64 v[2:3], v[2:3], v[8:9]
	v_add_f64 v[8:9], v[10:11], v[2:3]
	v_add_f64 v[10:11], v[8:9], -v[10:11]
	v_add_f64 v[2:3], v[2:3], -v[10:11]
	v_cvt_f64_i32_e32 v[10:11], v15
	v_mul_f64 v[120:121], v[10:11], s[46:47]
	v_fma_f64 v[122:123], v[10:11], s[46:47], -v[120:121]
	v_fmac_f64_e32 v[122:123], s[48:49], v[10:11]
	v_add_f64 v[10:11], v[120:121], v[122:123]
	v_add_f64 v[120:121], v[10:11], -v[120:121]
	v_add_f64 v[120:121], v[122:123], -v[120:121]
	v_add_f64 v[122:123], v[10:11], v[8:9]
	v_add_f64 v[124:125], v[122:123], -v[10:11]
	v_add_f64 v[126:127], v[122:123], -v[124:125]
	;; [unrolled: 1-line block ×4, first 2 shown]
	v_add_f64 v[8:9], v[8:9], v[10:11]
	v_add_f64 v[10:11], v[120:121], v[2:3]
	v_add_f64 v[124:125], v[10:11], -v[120:121]
	v_add_f64 v[126:127], v[10:11], -v[124:125]
	v_add_f64 v[8:9], v[10:11], v[8:9]
	v_add_f64 v[120:121], v[120:121], -v[126:127]
	v_add_f64 v[2:3], v[2:3], -v[124:125]
	v_add_f64 v[10:11], v[122:123], v[8:9]
	v_add_f64 v[2:3], v[2:3], v[120:121]
	v_add_f64 v[120:121], v[10:11], -v[122:123]
	v_add_f64 v[8:9], v[8:9], -v[120:121]
	v_add_f64 v[2:3], v[2:3], v[8:9]
	v_add_f64 v[2:3], v[10:11], v[2:3]
	v_cmp_class_f64_e64 vcc, v[0:1], s9
	v_cndmask_b32_e32 v2, v2, v0, vcc
	v_cndmask_b32_e32 v3, v3, v1, vcc
	v_cmp_ngt_f64_e32 vcc, 0, v[0:1]
	v_cndmask_b32_e32 v3, v92, v3, vcc
	v_cmp_nge_f64_e32 vcc, 0, v[0:1]
	v_cndmask_b32_e32 v2, 0, v2, vcc
	v_cmp_neq_f64_e32 vcc, 0, v[0:1]
	v_cndmask_b32_e32 v3, v93, v3, vcc
	v_add_f64 v[0:1], v[78:79], -v[2:3]
	v_div_scale_f64 v[2:3], s[0:1], v[76:77], v[76:77], v[0:1]
	v_rcp_f64_e32 v[8:9], v[2:3]
	v_fma_f64 v[10:11], -v[2:3], v[8:9], 1.0
	v_fmac_f64_e32 v[8:9], v[8:9], v[10:11]
	v_fma_f64 v[10:11], -v[2:3], v[8:9], 1.0
	v_fmac_f64_e32 v[8:9], v[8:9], v[10:11]
	v_div_scale_f64 v[10:11], vcc, v[0:1], v[76:77], v[0:1]
	v_mul_f64 v[120:121], v[10:11], v[8:9]
	v_fma_f64 v[2:3], -v[2:3], v[120:121], v[10:11]
	s_nop 1
	v_div_fmas_f64 v[2:3], v[2:3], v[8:9], v[120:121]
	v_div_fixup_f64 v[10:11], v[2:3], v[76:77], v[0:1]
	v_add_f64 v[0:1], v[10:11], 0.5
	v_floor_f64_e32 v[8:9], v[0:1]
	v_cmp_ngt_f64_e32 vcc, 0, v[8:9]
	s_and_saveexec_b64 s[0:1], vcc
	s_cbranch_execz .LBB93_23
; %bb.18:                               ;   in Loop: Header=BB93_13 Depth=2
	v_add_u32_e32 v15, 1, v118
	v_pk_mov_b32 v[0:1], v[4:5], v[4:5] op_sel:[0,1]
	v_cmp_eq_u32_e32 vcc, 4, v15
	v_pk_mov_b32 v[2:3], v[6:7], v[6:7] op_sel:[0,1]
	s_and_saveexec_b64 s[2:3], vcc
	s_cbranch_execz .LBB93_20
; %bb.19:                               ;   in Loop: Header=BB93_13 Depth=2
	v_add_co_u32_e32 v97, vcc, 1, v97
	v_cndmask_b32_e64 v0, 0, 1, vcc
	v_addc_co_u32_e32 v98, vcc, 0, v98, vcc
	v_cmp_eq_u32_e32 vcc, 0, v98
	v_cndmask_b32_e32 v0, 0, v0, vcc
	v_add_u32_e32 v116, v0, v116
	v_cmp_eq_u32_e32 vcc, 0, v116
	v_cndmask_b32_e32 v0, 0, v0, vcc
	v_add_u32_e32 v74, v0, v74
	v_mad_u64_u32 v[0:1], vcc, v97, s11, 0
	v_mad_u64_u32 v[2:3], vcc, v116, s10, 0
	v_xor_b32_e32 v1, v1, v73
	v_xor_b32_e32 v3, v3, v72
	v_xor_b32_e32 v1, v74, v1
	v_xor_b32_e32 v3, v98, v3
	v_mad_u64_u32 v[86:87], vcc, v1, s10, 0
	v_mad_u64_u32 v[84:85], vcc, v3, s11, 0
	v_xor_b32_e32 v1, v99, v87
	v_xor_b32_e32 v1, v1, v2
	v_xor_b32_e32 v2, v100, v85
	v_xor_b32_e32 v2, v2, v0
	;; [unrolled: 6-line block ×10, first 2 shown]
	v_mov_b32_e32 v15, 0
	v_mov_b32_e32 v1, v86
	;; [unrolled: 1-line block ×5, first 2 shown]
.LBB93_20:                              ;   in Loop: Header=BB93_13 Depth=2
	s_or_b64 exec, exec, s[2:3]
	v_add_u32_e32 v117, 1, v15
	v_cmp_eq_u32_e32 vcc, 4, v117
	s_and_saveexec_b64 s[2:3], vcc
	s_cbranch_execz .LBB93_22
; %bb.21:                               ;   in Loop: Header=BB93_13 Depth=2
	v_add_co_u32_e32 v97, vcc, 1, v97
	v_cndmask_b32_e64 v84, 0, 1, vcc
	v_addc_co_u32_e32 v98, vcc, 0, v98, vcc
	v_cmp_eq_u32_e32 vcc, 0, v98
	v_cndmask_b32_e32 v84, 0, v84, vcc
	v_add_u32_e32 v116, v84, v116
	v_cmp_eq_u32_e32 vcc, 0, v116
	v_cndmask_b32_e32 v84, 0, v84, vcc
	v_add_u32_e32 v74, v84, v74
	v_mad_u64_u32 v[84:85], vcc, v97, s11, 0
	v_mad_u64_u32 v[86:87], vcc, v116, s10, 0
	v_xor_b32_e32 v85, v85, v73
	v_xor_b32_e32 v87, v87, v72
	v_xor_b32_e32 v85, v74, v85
	v_xor_b32_e32 v87, v98, v87
	v_mad_u64_u32 v[122:123], vcc, v85, s10, 0
	v_mad_u64_u32 v[120:121], vcc, v87, s11, 0
	v_xor_b32_e32 v85, v99, v123
	v_xor_b32_e32 v85, v85, v86
	v_xor_b32_e32 v86, v100, v121
	v_xor_b32_e32 v86, v86, v84
	;; [unrolled: 6-line block ×9, first 2 shown]
	v_mad_u64_u32 v[84:85], vcc, v84, s11, 0
	v_mad_u64_u32 v[86:87], vcc, v86, s10, 0
	v_xor_b32_e32 v87, v87, v126
	v_xor_b32_e32 v85, v85, v124
	v_mov_b32_e32 v117, 0
	v_xor_b32_e32 v87, v106, v87
	v_xor_b32_e32 v85, v96, v85
.LBB93_22:                              ;   in Loop: Header=BB93_13 Depth=2
	s_or_b64 exec, exec, s[2:3]
	v_cmp_eq_u32_e32 vcc, 1, v118
	v_cndmask_b32_e32 v4, v4, v5, vcc
	v_cmp_eq_u32_e32 vcc, 2, v118
	v_cndmask_b32_e32 v4, v4, v6, vcc
	v_cmp_eq_u32_e32 vcc, 3, v118
	v_cndmask_b32_e32 v4, v4, v7, vcc
	v_cmp_eq_u32_e32 vcc, 1, v15
	v_cndmask_b32_e32 v0, v0, v1, vcc
	v_cmp_eq_u32_e32 vcc, 2, v15
	v_cndmask_b32_e32 v0, v0, v2, vcc
	v_cmp_eq_u32_e32 vcc, 3, v15
	v_cndmask_b32_e32 v0, v0, v3, vcc
	v_lshrrev_b32_e32 v0, 11, v0
	v_cvt_f64_u32_e32 v[0:1], v0
	v_ldexp_f64 v[0:1], v[0:1], 32
	v_cvt_f64_u32_e32 v[2:3], v4
	v_add_f64 v[0:1], v[0:1], v[2:3]
	v_mov_b32_e32 v2, 0
	v_mov_b32_e32 v3, 0x3ca00000
	v_fma_f64 v[4:5], -v[76:77], v[10:11], v[78:79]
	v_fmac_f64_e32 v[2:3], 0x3ca00000, v[0:1]
	v_mul_f64 v[0:1], v[4:5], s[52:53]
	v_rndne_f64_e32 v[0:1], v[0:1]
	s_mov_b32 s54, s46
	v_fma_f64 v[6:7], s[54:55], v[0:1], v[4:5]
	s_mov_b32 s56, s48
	v_fmac_f64_e32 v[6:7], s[56:57], v[0:1]
	v_pk_mov_b32 v[10:11], v[30:31], v[30:31] op_sel:[0,1]
	v_fmac_f64_e32 v[10:11], s[58:59], v[6:7]
	v_pk_mov_b32 v[118:119], v[32:33], v[32:33] op_sel:[0,1]
	v_fmac_f64_e32 v[118:119], v[6:7], v[10:11]
	v_pk_mov_b32 v[10:11], v[34:35], v[34:35] op_sel:[0,1]
	v_fmac_f64_e32 v[10:11], v[6:7], v[118:119]
	v_pk_mov_b32 v[118:119], v[36:37], v[36:37] op_sel:[0,1]
	v_fmac_f64_e32 v[118:119], v[6:7], v[10:11]
	v_pk_mov_b32 v[10:11], v[38:39], v[38:39] op_sel:[0,1]
	v_fmac_f64_e32 v[10:11], v[6:7], v[118:119]
	v_pk_mov_b32 v[118:119], v[40:41], v[40:41] op_sel:[0,1]
	v_fmac_f64_e32 v[118:119], v[6:7], v[10:11]
	v_pk_mov_b32 v[10:11], v[42:43], v[42:43] op_sel:[0,1]
	v_fmac_f64_e32 v[10:11], v[6:7], v[118:119]
	v_pk_mov_b32 v[118:119], v[44:45], v[44:45] op_sel:[0,1]
	v_fmac_f64_e32 v[118:119], v[6:7], v[10:11]
	v_pk_mov_b32 v[10:11], v[46:47], v[46:47] op_sel:[0,1]
	v_fmac_f64_e32 v[10:11], v[6:7], v[118:119]
	v_fma_f64 v[10:11], v[6:7], v[10:11], 1.0
	v_fma_f64 v[6:7], v[6:7], v[10:11], 1.0
	v_cvt_i32_f64_e32 v0, v[0:1]
	v_ldexp_f64 v[0:1], v[6:7], v0
	v_add_f64 v[0:1], v[0:1], 1.0
	v_cmp_nlt_f64_e32 vcc, s[60:61], v[4:5]
	v_cmp_ngt_f64_e64 s[2:3], s[64:65], v[4:5]
	v_cndmask_b32_e32 v1, v94, v1, vcc
	s_and_b64 vcc, s[2:3], vcc
	v_cndmask_b32_e64 v1, v91, v1, s[2:3]
	v_cndmask_b32_e32 v0, 0, v0, vcc
	v_mul_f64 v[0:1], v[0:1], v[0:1]
	v_div_scale_f64 v[6:7], s[2:3], v[0:1], v[0:1], v[2:3]
	v_rcp_f64_e32 v[10:11], v[6:7]
	s_mov_b32 s45, s29
	v_fma_f64 v[118:119], -v[6:7], v[10:11], 1.0
	v_fmac_f64_e32 v[10:11], v[10:11], v[118:119]
	v_fma_f64 v[118:119], -v[6:7], v[10:11], 1.0
	v_fmac_f64_e32 v[10:11], v[10:11], v[118:119]
	v_div_scale_f64 v[118:119], vcc, v[2:3], v[0:1], v[2:3]
	v_mul_f64 v[120:121], v[118:119], v[10:11]
	v_fma_f64 v[6:7], -v[6:7], v[120:121], v[118:119]
	s_nop 1
	v_div_fmas_f64 v[6:7], v[6:7], v[10:11], v[120:121]
	v_div_fixup_f64 v[2:3], v[6:7], v[0:1], v[2:3]
	v_frexp_mant_f64_e32 v[0:1], v[2:3]
	v_cmp_gt_f64_e32 vcc, s[28:29], v[0:1]
	v_cndmask_b32_e64 v15, v91, 2.0, vcc
	v_frexp_exp_i32_f64_e32 v6, v[2:3]
	v_mul_f64 v[0:1], v[0:1], v[14:15]
	v_subbrev_co_u32_e32 v15, vcc, 0, v6, vcc
	v_add_f64 v[6:7], v[0:1], 1.0
	v_rcp_f64_e32 v[10:11], v[6:7]
	v_add_f64 v[120:121], v[6:7], -1.0
	v_add_f64 v[118:119], v[0:1], -1.0
	v_add_f64 v[0:1], v[0:1], -v[120:121]
	v_fma_f64 v[120:121], -v[6:7], v[10:11], 1.0
	v_fmac_f64_e32 v[10:11], v[120:121], v[10:11]
	v_fma_f64 v[120:121], -v[6:7], v[10:11], 1.0
	v_fmac_f64_e32 v[10:11], v[120:121], v[10:11]
	v_mul_f64 v[120:121], v[118:119], v[10:11]
	v_mul_f64 v[122:123], v[6:7], v[120:121]
	v_fma_f64 v[6:7], v[120:121], v[6:7], -v[122:123]
	v_fmac_f64_e32 v[6:7], v[120:121], v[0:1]
	v_add_f64 v[0:1], v[122:123], v[6:7]
	v_add_f64 v[124:125], v[118:119], -v[0:1]
	v_add_f64 v[122:123], v[0:1], -v[122:123]
	;; [unrolled: 1-line block ×5, first 2 shown]
	v_add_f64 v[0:1], v[6:7], v[0:1]
	v_add_f64 v[0:1], v[124:125], v[0:1]
	v_mul_f64 v[0:1], v[10:11], v[0:1]
	v_add_f64 v[6:7], v[120:121], v[0:1]
	v_add_f64 v[10:11], v[6:7], -v[120:121]
	v_add_f64 v[10:11], v[0:1], -v[10:11]
	v_mul_f64 v[118:119], v[6:7], v[6:7]
	v_pk_mov_b32 v[0:1], s[30:31], s[30:31] op_sel:[0,1]
	v_fma_f64 v[120:121], s[34:35], v[118:119], v[0:1]
	v_fma_f64 v[120:121], v[118:119], v[120:121], s[36:37]
	;; [unrolled: 1-line block ×6, first 2 shown]
	v_ldexp_f64 v[122:123], v[6:7], 1
	v_mul_f64 v[6:7], v[6:7], v[118:119]
	v_mul_f64 v[6:7], v[6:7], v[120:121]
	v_add_f64 v[118:119], v[122:123], v[6:7]
	v_add_f64 v[120:121], v[118:119], -v[122:123]
	v_ldexp_f64 v[10:11], v[10:11], 1
	v_add_f64 v[6:7], v[6:7], -v[120:121]
	v_add_f64 v[6:7], v[10:11], v[6:7]
	v_add_f64 v[10:11], v[118:119], v[6:7]
	v_add_f64 v[118:119], v[10:11], -v[118:119]
	v_add_f64 v[6:7], v[6:7], -v[118:119]
	v_cvt_f64_i32_e32 v[118:119], v15
	v_mul_f64 v[120:121], v[118:119], s[46:47]
	v_fma_f64 v[122:123], v[118:119], s[46:47], -v[120:121]
	v_fmac_f64_e32 v[122:123], s[48:49], v[118:119]
	v_add_f64 v[118:119], v[120:121], v[122:123]
	v_add_f64 v[120:121], v[118:119], -v[120:121]
	v_add_f64 v[120:121], v[122:123], -v[120:121]
	v_add_f64 v[122:123], v[118:119], v[10:11]
	v_add_f64 v[124:125], v[122:123], -v[118:119]
	v_add_f64 v[126:127], v[122:123], -v[124:125]
	;; [unrolled: 1-line block ×4, first 2 shown]
	v_add_f64 v[10:11], v[10:11], v[118:119]
	v_add_f64 v[118:119], v[120:121], v[6:7]
	v_add_f64 v[124:125], v[118:119], -v[120:121]
	v_add_f64 v[126:127], v[118:119], -v[124:125]
	v_add_f64 v[10:11], v[118:119], v[10:11]
	v_add_f64 v[120:121], v[120:121], -v[126:127]
	v_add_f64 v[6:7], v[6:7], -v[124:125]
	v_add_f64 v[118:119], v[122:123], v[10:11]
	v_add_f64 v[6:7], v[6:7], v[120:121]
	v_add_f64 v[120:121], v[118:119], -v[122:123]
	v_add_f64 v[10:11], v[10:11], -v[120:121]
	v_add_f64 v[6:7], v[6:7], v[10:11]
	v_add_f64 v[6:7], v[118:119], v[6:7]
	v_cmp_class_f64_e64 vcc, v[2:3], s9
	v_cndmask_b32_e32 v15, v6, v2, vcc
	v_cndmask_b32_e32 v6, v7, v3, vcc
	v_cmp_neq_f64_e32 vcc, 0, v[2:3]
	v_cndmask_b32_e32 v3, v93, v6, vcc
	v_add_f64 v[6:7], v[8:9], 1.0
	v_add_f64 v[6:7], v[6:7], -1.0
	v_add_f64 v[118:119], v[6:7], s[66:67]
	v_div_scale_f64 v[10:11], s[2:3], v[118:119], v[118:119], s[68:69]
	v_rcp_f64_e32 v[120:121], v[10:11]
	v_cndmask_b32_e32 v2, 0, v15, vcc
	v_add_f64 v[2:3], v[4:5], v[2:3]
	v_fma_f64 v[4:5], v[82:83], v[8:9], v[80:81]
	v_fma_f64 v[122:123], -v[10:11], v[120:121], 1.0
	v_fmac_f64_e32 v[120:121], v[120:121], v[122:123]
	v_fma_f64 v[122:123], -v[10:11], v[120:121], 1.0
	v_fmac_f64_e32 v[120:121], v[120:121], v[122:123]
	v_div_scale_f64 v[122:123], vcc, s[68:69], v[118:119], s[68:69]
	v_mul_f64 v[124:125], v[122:123], v[120:121]
	v_fma_f64 v[122:123], -v[10:11], v[124:125], v[122:123]
	v_add_f64 v[10:11], v[6:7], s[70:71]
	v_div_scale_f64 v[126:127], s[2:3], v[10:11], v[10:11], s[72:73]
	v_rcp_f64_e32 v[128:129], v[126:127]
	v_div_fmas_f64 v[120:121], v[122:123], v[120:121], v[124:125]
	v_div_fixup_f64 v[118:119], v[120:121], v[118:119], s[68:69]
	v_add_f64 v[124:125], v[6:7], s[74:75]
	v_fma_f64 v[120:121], -v[126:127], v[128:129], 1.0
	v_fmac_f64_e32 v[128:129], v[128:129], v[120:121]
	v_fma_f64 v[120:121], -v[126:127], v[128:129], 1.0
	v_fmac_f64_e32 v[128:129], v[128:129], v[120:121]
	v_div_scale_f64 v[120:121], vcc, s[72:73], v[10:11], s[72:73]
	v_mul_f64 v[122:123], v[120:121], v[128:129]
	v_fma_f64 v[120:121], -v[126:127], v[122:123], v[120:121]
	v_div_scale_f64 v[126:127], s[2:3], v[124:125], v[124:125], s[76:77]
	v_rcp_f64_e32 v[130:131], v[126:127]
	v_div_fmas_f64 v[120:121], v[120:121], v[128:129], v[122:123]
	v_add_f64 v[118:119], v[118:119], 0
	v_div_fixup_f64 v[120:121], v[120:121], v[10:11], s[72:73]
	v_add_f64 v[118:119], v[120:121], v[118:119]
	v_fma_f64 v[120:121], -v[126:127], v[130:131], 1.0
	v_fmac_f64_e32 v[130:131], v[130:131], v[120:121]
	v_fma_f64 v[120:121], -v[126:127], v[130:131], 1.0
	v_fmac_f64_e32 v[130:131], v[130:131], v[120:121]
	v_div_scale_f64 v[120:121], vcc, s[76:77], v[124:125], s[76:77]
	v_mul_f64 v[122:123], v[120:121], v[130:131]
	v_fma_f64 v[120:121], -v[126:127], v[122:123], v[120:121]
	v_add_f64 v[126:127], v[6:7], s[78:79]
	v_div_scale_f64 v[128:129], s[2:3], v[126:127], v[126:127], s[80:81]
	v_rcp_f64_e32 v[132:133], v[128:129]
	v_div_fmas_f64 v[120:121], v[120:121], v[130:131], v[122:123]
	v_div_fixup_f64 v[120:121], v[120:121], v[124:125], s[76:77]
	v_add_f64 v[118:119], v[118:119], v[120:121]
	v_fma_f64 v[120:121], -v[128:129], v[132:133], 1.0
	v_fmac_f64_e32 v[132:133], v[132:133], v[120:121]
	v_fma_f64 v[120:121], -v[128:129], v[132:133], 1.0
	v_fmac_f64_e32 v[132:133], v[132:133], v[120:121]
	v_div_scale_f64 v[120:121], vcc, s[80:81], v[126:127], s[80:81]
	v_mul_f64 v[122:123], v[120:121], v[132:133]
	v_add_f64 v[124:125], v[6:7], 4.0
	v_fma_f64 v[120:121], -v[128:129], v[122:123], v[120:121]
	v_div_scale_f64 v[128:129], s[2:3], v[124:125], v[124:125], s[82:83]
	v_rcp_f64_e32 v[130:131], v[128:129]
	v_div_fmas_f64 v[120:121], v[120:121], v[132:133], v[122:123]
	v_div_fixup_f64 v[120:121], v[120:121], v[126:127], s[80:81]
	v_add_f64 v[118:119], v[120:121], v[118:119]
	v_fma_f64 v[120:121], -v[128:129], v[130:131], 1.0
	v_fmac_f64_e32 v[130:131], v[130:131], v[120:121]
	v_fma_f64 v[120:121], -v[128:129], v[130:131], 1.0
	v_fmac_f64_e32 v[130:131], v[130:131], v[120:121]
	v_div_scale_f64 v[120:121], vcc, s[82:83], v[124:125], s[82:83]
	v_mul_f64 v[122:123], v[120:121], v[130:131]
	v_add_f64 v[126:127], v[6:7], s[22:23]
	v_fma_f64 v[120:121], -v[128:129], v[122:123], v[120:121]
	v_div_scale_f64 v[128:129], s[2:3], v[126:127], v[126:127], s[84:85]
	v_rcp_f64_e32 v[132:133], v[128:129]
	v_div_fmas_f64 v[120:121], v[120:121], v[130:131], v[122:123]
	v_div_fixup_f64 v[120:121], v[120:121], v[124:125], s[82:83]
	v_add_f64 v[118:119], v[118:119], v[120:121]
	v_fma_f64 v[120:121], -v[128:129], v[132:133], 1.0
	v_fmac_f64_e32 v[132:133], v[132:133], v[120:121]
	v_fma_f64 v[120:121], -v[128:129], v[132:133], 1.0
	v_fmac_f64_e32 v[132:133], v[132:133], v[120:121]
	v_div_scale_f64 v[120:121], vcc, s[84:85], v[126:127], s[84:85]
	v_mul_f64 v[122:123], v[120:121], v[132:133]
	v_add_f64 v[124:125], v[6:7], 2.0
	v_fma_f64 v[120:121], -v[128:129], v[122:123], v[120:121]
	v_div_scale_f64 v[128:129], s[2:3], v[124:125], v[124:125], s[86:87]
	v_rcp_f64_e32 v[130:131], v[128:129]
	v_div_fmas_f64 v[120:121], v[120:121], v[132:133], v[122:123]
	v_div_fixup_f64 v[120:121], v[120:121], v[126:127], s[84:85]
	v_add_f64 v[118:119], v[120:121], v[118:119]
	v_fma_f64 v[120:121], -v[128:129], v[130:131], 1.0
	v_fmac_f64_e32 v[130:131], v[130:131], v[120:121]
	v_fma_f64 v[120:121], -v[128:129], v[130:131], 1.0
	v_fmac_f64_e32 v[130:131], v[130:131], v[120:121]
	v_div_scale_f64 v[120:121], vcc, s[86:87], v[124:125], s[86:87]
	v_mul_f64 v[122:123], v[120:121], v[130:131]
	v_add_f64 v[126:127], v[6:7], 1.0
	v_fma_f64 v[120:121], -v[128:129], v[122:123], v[120:121]
	v_div_scale_f64 v[128:129], s[2:3], v[126:127], v[126:127], s[88:89]
	v_rcp_f64_e32 v[132:133], v[128:129]
	v_div_fmas_f64 v[120:121], v[120:121], v[130:131], v[122:123]
	v_div_fixup_f64 v[120:121], v[120:121], v[124:125], s[86:87]
	v_add_f64 v[118:119], v[118:119], v[120:121]
	v_fma_f64 v[120:121], -v[128:129], v[132:133], 1.0
	v_fmac_f64_e32 v[132:133], v[132:133], v[120:121]
	v_fma_f64 v[120:121], -v[128:129], v[132:133], 1.0
	v_fmac_f64_e32 v[132:133], v[132:133], v[120:121]
	v_div_scale_f64 v[120:121], vcc, s[88:89], v[126:127], s[88:89]
	v_mul_f64 v[122:123], v[120:121], v[132:133]
	v_fma_f64 v[120:121], -v[128:129], v[122:123], v[120:121]
	v_add_f64 v[10:11], v[10:11], 0.5
	s_nop 0
	v_div_fmas_f64 v[120:121], v[120:121], v[132:133], v[122:123]
	v_div_fixup_f64 v[120:121], v[120:121], v[126:127], s[88:89]
	v_add_f64 v[118:119], v[120:121], v[118:119]
	v_add_f64 v[118:119], v[118:119], s[90:91]
	v_frexp_mant_f64_e32 v[120:121], v[118:119]
	v_cmp_gt_f64_e32 vcc, s[28:29], v[120:121]
	v_cndmask_b32_e64 v15, v91, 2.0, vcc
	v_frexp_exp_i32_f64_e32 v122, v[118:119]
	v_mul_f64 v[120:121], v[120:121], v[14:15]
	v_subbrev_co_u32_e32 v15, vcc, 0, v122, vcc
	v_add_f64 v[122:123], v[120:121], 1.0
	v_rcp_f64_e32 v[124:125], v[122:123]
	v_add_f64 v[128:129], v[122:123], -1.0
	v_add_f64 v[126:127], v[120:121], -1.0
	v_add_f64 v[120:121], v[120:121], -v[128:129]
	v_fma_f64 v[128:129], -v[122:123], v[124:125], 1.0
	v_fmac_f64_e32 v[124:125], v[128:129], v[124:125]
	v_fma_f64 v[128:129], -v[122:123], v[124:125], 1.0
	v_fmac_f64_e32 v[124:125], v[128:129], v[124:125]
	v_mul_f64 v[128:129], v[126:127], v[124:125]
	v_mul_f64 v[130:131], v[122:123], v[128:129]
	v_fma_f64 v[122:123], v[128:129], v[122:123], -v[130:131]
	v_fmac_f64_e32 v[122:123], v[128:129], v[120:121]
	v_add_f64 v[120:121], v[130:131], v[122:123]
	v_add_f64 v[132:133], v[126:127], -v[120:121]
	v_add_f64 v[130:131], v[120:121], -v[130:131]
	;; [unrolled: 1-line block ×5, first 2 shown]
	v_add_f64 v[120:121], v[122:123], v[120:121]
	v_add_f64 v[120:121], v[132:133], v[120:121]
	v_mul_f64 v[120:121], v[124:125], v[120:121]
	v_add_f64 v[122:123], v[128:129], v[120:121]
	v_add_f64 v[124:125], v[122:123], -v[128:129]
	v_add_f64 v[120:121], v[120:121], -v[124:125]
	v_mul_f64 v[124:125], v[122:123], v[122:123]
	v_fma_f64 v[126:127], s[34:35], v[124:125], v[0:1]
	v_fma_f64 v[126:127], v[124:125], v[126:127], s[36:37]
	;; [unrolled: 1-line block ×6, first 2 shown]
	v_ldexp_f64 v[128:129], v[122:123], 1
	v_mul_f64 v[122:123], v[122:123], v[124:125]
	v_mul_f64 v[122:123], v[122:123], v[126:127]
	v_add_f64 v[124:125], v[128:129], v[122:123]
	v_add_f64 v[126:127], v[124:125], -v[128:129]
	v_ldexp_f64 v[120:121], v[120:121], 1
	v_add_f64 v[122:123], v[122:123], -v[126:127]
	v_add_f64 v[120:121], v[120:121], v[122:123]
	v_add_f64 v[122:123], v[124:125], v[120:121]
	v_add_f64 v[124:125], v[122:123], -v[124:125]
	v_add_f64 v[120:121], v[120:121], -v[124:125]
	v_cvt_f64_i32_e32 v[124:125], v15
	v_mul_f64 v[126:127], v[124:125], s[46:47]
	v_fma_f64 v[128:129], v[124:125], s[46:47], -v[126:127]
	v_fmac_f64_e32 v[128:129], s[48:49], v[124:125]
	v_add_f64 v[124:125], v[126:127], v[128:129]
	v_add_f64 v[126:127], v[124:125], -v[126:127]
	v_add_f64 v[126:127], v[128:129], -v[126:127]
	v_add_f64 v[128:129], v[124:125], v[122:123]
	v_add_f64 v[130:131], v[128:129], -v[124:125]
	v_add_f64 v[132:133], v[128:129], -v[130:131]
	;; [unrolled: 1-line block ×4, first 2 shown]
	v_add_f64 v[122:123], v[122:123], v[124:125]
	v_add_f64 v[124:125], v[126:127], v[120:121]
	v_add_f64 v[130:131], v[124:125], -v[126:127]
	v_add_f64 v[132:133], v[124:125], -v[130:131]
	v_add_f64 v[122:123], v[124:125], v[122:123]
	v_add_f64 v[126:127], v[126:127], -v[132:133]
	v_add_f64 v[120:121], v[120:121], -v[130:131]
	v_add_f64 v[124:125], v[128:129], v[122:123]
	v_add_f64 v[120:121], v[120:121], v[126:127]
	v_add_f64 v[126:127], v[124:125], -v[128:129]
	v_add_f64 v[122:123], v[122:123], -v[126:127]
	v_add_f64 v[120:121], v[120:121], v[122:123]
	v_add_f64 v[120:121], v[124:125], v[120:121]
	v_cmp_class_f64_e64 vcc, v[118:119], s9
	v_div_scale_f64 v[122:123], s[2:3], s[20:21], s[20:21], v[10:11]
	v_cndmask_b32_e32 v121, v121, v119, vcc
	v_cndmask_b32_e32 v120, v120, v118, vcc
	v_rcp_f64_e32 v[124:125], v[122:123]
	v_add_f64 v[120:121], v[120:121], s[92:93]
	v_add_f64 v[120:121], v[120:121], s[94:95]
	v_cmp_ngt_f64_e32 vcc, 0, v[118:119]
	v_cndmask_b32_e32 v15, v92, v121, vcc
	v_cmp_nge_f64_e32 vcc, 0, v[118:119]
	v_cndmask_b32_e32 v120, 0, v120, vcc
	v_cmp_neq_f64_e32 vcc, 0, v[118:119]
	v_fma_f64 v[118:119], -v[122:123], v[124:125], 1.0
	v_fmac_f64_e32 v[124:125], v[124:125], v[118:119]
	v_fma_f64 v[118:119], -v[122:123], v[124:125], 1.0
	v_cndmask_b32_e32 v121, v93, v15, vcc
	v_fmac_f64_e32 v[124:125], v[124:125], v[118:119]
	v_div_scale_f64 v[118:119], vcc, v[10:11], s[20:21], v[10:11]
	v_mul_f64 v[126:127], v[118:119], v[124:125]
	v_fma_f64 v[118:119], -v[122:123], v[126:127], v[118:119]
	v_add_f64 v[6:7], v[6:7], 0.5
	s_nop 0
	v_div_fmas_f64 v[118:119], v[118:119], v[124:125], v[126:127]
	v_div_fixup_f64 v[10:11], v[118:119], s[20:21], v[10:11]
	v_frexp_mant_f64_e32 v[118:119], v[10:11]
	v_cmp_gt_f64_e32 vcc, s[28:29], v[118:119]
	v_cndmask_b32_e64 v15, v91, 2.0, vcc
	v_frexp_exp_i32_f64_e32 v122, v[10:11]
	v_mul_f64 v[118:119], v[118:119], v[14:15]
	v_subbrev_co_u32_e32 v15, vcc, 0, v122, vcc
	v_add_f64 v[122:123], v[118:119], 1.0
	v_rcp_f64_e32 v[124:125], v[122:123]
	v_add_f64 v[128:129], v[122:123], -1.0
	v_add_f64 v[126:127], v[118:119], -1.0
	v_add_f64 v[118:119], v[118:119], -v[128:129]
	v_fma_f64 v[128:129], -v[122:123], v[124:125], 1.0
	v_fmac_f64_e32 v[124:125], v[128:129], v[124:125]
	v_fma_f64 v[128:129], -v[122:123], v[124:125], 1.0
	v_fmac_f64_e32 v[124:125], v[128:129], v[124:125]
	v_mul_f64 v[128:129], v[126:127], v[124:125]
	v_mul_f64 v[130:131], v[122:123], v[128:129]
	v_fma_f64 v[122:123], v[128:129], v[122:123], -v[130:131]
	v_fmac_f64_e32 v[122:123], v[128:129], v[118:119]
	v_add_f64 v[118:119], v[130:131], v[122:123]
	v_add_f64 v[132:133], v[126:127], -v[118:119]
	v_add_f64 v[130:131], v[118:119], -v[130:131]
	;; [unrolled: 1-line block ×5, first 2 shown]
	v_add_f64 v[118:119], v[122:123], v[118:119]
	v_add_f64 v[118:119], v[132:133], v[118:119]
	v_mul_f64 v[118:119], v[124:125], v[118:119]
	v_add_f64 v[122:123], v[128:129], v[118:119]
	v_add_f64 v[124:125], v[122:123], -v[128:129]
	v_add_f64 v[118:119], v[118:119], -v[124:125]
	v_mul_f64 v[124:125], v[122:123], v[122:123]
	v_fmac_f64_e32 v[0:1], s[34:35], v[124:125]
	v_fma_f64 v[0:1], v[124:125], v[0:1], s[36:37]
	v_fma_f64 v[0:1], v[124:125], v[0:1], s[38:39]
	;; [unrolled: 1-line block ×5, first 2 shown]
	v_ldexp_f64 v[126:127], v[122:123], 1
	v_mul_f64 v[122:123], v[122:123], v[124:125]
	v_mul_f64 v[0:1], v[122:123], v[0:1]
	v_add_f64 v[122:123], v[126:127], v[0:1]
	v_add_f64 v[124:125], v[122:123], -v[126:127]
	v_ldexp_f64 v[118:119], v[118:119], 1
	v_add_f64 v[0:1], v[0:1], -v[124:125]
	v_add_f64 v[0:1], v[118:119], v[0:1]
	v_add_f64 v[118:119], v[122:123], v[0:1]
	v_add_f64 v[122:123], v[118:119], -v[122:123]
	v_add_f64 v[0:1], v[0:1], -v[122:123]
	v_cvt_f64_i32_e32 v[122:123], v15
	v_mul_f64 v[124:125], v[122:123], s[46:47]
	v_fma_f64 v[126:127], v[122:123], s[46:47], -v[124:125]
	v_fmac_f64_e32 v[126:127], s[48:49], v[122:123]
	v_add_f64 v[122:123], v[124:125], v[126:127]
	v_add_f64 v[124:125], v[122:123], -v[124:125]
	v_add_f64 v[124:125], v[126:127], -v[124:125]
	v_add_f64 v[126:127], v[122:123], v[118:119]
	v_add_f64 v[128:129], v[126:127], -v[122:123]
	v_add_f64 v[130:131], v[126:127], -v[128:129]
	;; [unrolled: 1-line block ×4, first 2 shown]
	v_add_f64 v[118:119], v[118:119], v[122:123]
	v_add_f64 v[122:123], v[124:125], v[0:1]
	v_add_f64 v[128:129], v[122:123], -v[124:125]
	v_add_f64 v[130:131], v[122:123], -v[128:129]
	v_add_f64 v[118:119], v[122:123], v[118:119]
	v_add_f64 v[124:125], v[124:125], -v[130:131]
	v_add_f64 v[0:1], v[0:1], -v[128:129]
	v_add_f64 v[122:123], v[126:127], v[118:119]
	v_add_f64 v[0:1], v[0:1], v[124:125]
	v_add_f64 v[124:125], v[122:123], -v[126:127]
	v_add_f64 v[118:119], v[118:119], -v[124:125]
	v_add_f64 v[0:1], v[0:1], v[118:119]
	v_add_f64 v[0:1], v[122:123], v[0:1]
	v_cmp_class_f64_e64 vcc, v[10:11], s9
	v_cndmask_b32_e32 v0, v0, v10, vcc
	v_cndmask_b32_e32 v1, v1, v11, vcc
	v_cmp_ngt_f64_e32 vcc, 0, v[10:11]
	v_cndmask_b32_e32 v1, v92, v1, vcc
	v_cmp_nge_f64_e32 vcc, 0, v[10:11]
	v_cndmask_b32_e32 v0, 0, v0, vcc
	v_cmp_neq_f64_e32 vcc, 0, v[10:11]
	v_cndmask_b32_e32 v1, v93, v1, vcc
	v_fmac_f64_e32 v[120:121], v[6:7], v[0:1]
	v_add_f64 v[0:1], v[4:5], -v[120:121]
	v_cvt_u32_f64_e32 v4, v[8:9]
	v_cmp_le_f64_e32 vcc, v[2:3], v[0:1]
	v_cndmask_b32_e64 v119, 0, 1, vcc
	v_cndmask_b32_e32 v75, v75, v4, vcc
	v_mov_b32_e32 v118, v117
.LBB93_23:                              ;   in Loop: Header=BB93_13 Depth=2
	s_or_b64 exec, exec, s[0:1]
	v_cmp_gt_i32_e32 vcc, 2, v119
	s_or_b64 s[14:15], vcc, s[14:15]
	v_mov_b32_e32 v15, v118
	v_mov_b32_e32 v0, v87
	;; [unrolled: 1-line block ×5, first 2 shown]
	s_andn2_b64 exec, exec, s[14:15]
	s_cbranch_execnz .LBB93_13
; %bb.24:                               ;   in Loop: Header=BB93_13 Depth=2
	s_or_b64 exec, exec, s[14:15]
	v_cmp_ne_u32_e32 vcc, 0, v119
	s_or_b64 s[12:13], vcc, s[12:13]
	s_mov_b64 s[14:15], 0
	v_mov_b32_e32 v15, v118
	v_mov_b32_e32 v0, v87
	;; [unrolled: 1-line block ×5, first 2 shown]
	s_andn2_b64 exec, exec, s[12:13]
	s_cbranch_execnz .LBB93_13
; %bb.25:                               ;   in Loop: Header=BB93_5 Depth=1
	s_or_b64 exec, exec, s[12:13]
	v_readlane_b32 s45, v134, 14
                                        ; implicit-def: $vgpr72_vgpr73
                                        ; implicit-def: $vgpr15
                                        ; implicit-def: $vgpr97
                                        ; implicit-def: $vgpr98
                                        ; implicit-def: $vgpr106
                                        ; implicit-def: $vgpr96
                                        ; implicit-def: $vgpr3
                                        ; implicit-def: $vgpr4_vgpr5
                                        ; implicit-def: $vgpr99
                                        ; implicit-def: $vgpr100
                                        ; implicit-def: $vgpr101
                                        ; implicit-def: $vgpr102
                                        ; implicit-def: $vgpr104
                                        ; implicit-def: $vgpr105
                                        ; implicit-def: $vgpr107
                                        ; implicit-def: $vgpr108
                                        ; implicit-def: $vgpr109
                                        ; implicit-def: $vgpr110
                                        ; implicit-def: $vgpr111
                                        ; implicit-def: $vgpr112
                                        ; implicit-def: $vgpr113
                                        ; implicit-def: $vgpr114
                                        ; implicit-def: $vgpr103
                                        ; implicit-def: $vgpr115
.LBB93_26:                              ;   in Loop: Header=BB93_5 Depth=1
	s_andn2_saveexec_b64 s[0:1], s[6:7]
	s_cbranch_execz .LBB93_38
; %bb.27:                               ;   in Loop: Header=BB93_5 Depth=1
	v_add_co_u32_e32 v6, vcc, 1, v97
	v_cndmask_b32_e64 v7, 0, 1, vcc
	v_addc_co_u32_e32 v10, vcc, 0, v98, vcc
	v_cmp_eq_u32_e32 vcc, 0, v10
	v_cndmask_b32_e32 v7, 0, v7, vcc
	v_add_u32_e32 v8, v7, v17
	v_cmp_eq_u32_e32 vcc, 0, v8
	v_cndmask_b32_e32 v11, 0, v7, vcc
	v_mad_u64_u32 v[6:7], s[2:3], v6, s11, 0
	v_mad_u64_u32 v[8:9], s[2:3], v8, s10, 0
	v_xor_b32_e32 v7, v7, v73
	v_xor_b32_e32 v9, v9, v72
	v_xor_b32_e32 v7, v11, v7
	v_xor_b32_e32 v9, v10, v9
	v_mad_u64_u32 v[72:73], s[2:3], v7, s10, 0
	v_mad_u64_u32 v[10:11], s[2:3], v9, s11, 0
	v_xor_b32_e32 v7, v99, v73
	v_xor_b32_e32 v7, v7, v8
	v_xor_b32_e32 v8, v100, v11
	v_xor_b32_e32 v8, v8, v6
	v_mad_u64_u32 v[6:7], s[2:3], v7, s11, 0
	v_mad_u64_u32 v[8:9], s[2:3], v8, s10, 0
	v_xor_b32_e32 v7, v102, v7
	v_xor_b32_e32 v9, v101, v9
	v_xor_b32_e32 v7, v7, v10
	v_xor_b32_e32 v9, v9, v72
	v_mad_u64_u32 v[72:73], s[2:3], v7, s10, 0
	v_mad_u64_u32 v[10:11], s[2:3], v9, s11, 0
	v_xor_b32_e32 v7, v104, v73
	v_xor_b32_e32 v7, v7, v8
	v_xor_b32_e32 v8, v105, v11
	v_xor_b32_e32 v8, v8, v6
	v_mad_u64_u32 v[6:7], s[2:3], v7, s11, 0
	v_mad_u64_u32 v[8:9], s[2:3], v8, s10, 0
	v_xor_b32_e32 v7, v108, v7
	v_xor_b32_e32 v9, v107, v9
	v_xor_b32_e32 v7, v7, v10
	v_xor_b32_e32 v9, v9, v72
	v_mad_u64_u32 v[72:73], s[2:3], v7, s10, 0
	v_mad_u64_u32 v[10:11], s[2:3], v9, s11, 0
	v_xor_b32_e32 v7, v109, v73
	v_xor_b32_e32 v7, v7, v8
	v_xor_b32_e32 v8, v110, v11
	v_xor_b32_e32 v8, v8, v6
	v_mad_u64_u32 v[6:7], s[2:3], v7, s11, 0
	v_mad_u64_u32 v[8:9], s[2:3], v8, s10, 0
	v_xor_b32_e32 v7, v112, v7
	v_xor_b32_e32 v9, v111, v9
	v_xor_b32_e32 v7, v7, v10
	v_xor_b32_e32 v9, v9, v72
	v_mad_u64_u32 v[72:73], s[2:3], v7, s10, 0
	v_mad_u64_u32 v[10:11], s[2:3], v9, s11, 0
	v_xor_b32_e32 v7, v113, v73
	v_xor_b32_e32 v7, v7, v8
	v_xor_b32_e32 v8, v114, v11
	v_xor_b32_e32 v6, v8, v6
	v_mad_u64_u32 v[74:75], s[2:3], v7, s11, 0
	v_mad_u64_u32 v[8:9], s[2:3], v6, s10, 0
	v_xor_b32_e32 v6, v115, v75
	v_xor_b32_e32 v6, v6, v10
	v_mad_u64_u32 v[6:7], s[2:3], v6, s10, 0
	v_xor_b32_e32 v7, v7, v8
	v_xor_b32_e32 v10, v106, v7
	v_cmp_lt_i32_e32 vcc, 1, v15
                                        ; implicit-def: $vgpr8
	s_and_saveexec_b64 s[2:3], vcc
	s_xor_b64 s[2:3], exec, s[2:3]
	s_cbranch_execz .LBB93_33
; %bb.28:                               ;   in Loop: Header=BB93_5 Depth=1
	v_cmp_lt_i32_e32 vcc, 2, v15
                                        ; implicit-def: $vgpr8
	s_and_saveexec_b64 s[6:7], vcc
	s_xor_b64 s[6:7], exec, s[6:7]
; %bb.29:                               ;   in Loop: Header=BB93_5 Depth=1
	v_xor_b32_e32 v0, v103, v9
	v_xor_b32_e32 v0, v0, v72
	v_mul_hi_u32 v0, v0, s11
	v_xor_b32_e32 v0, v0, v74
	v_xor_b32_e32 v8, v96, v0
; %bb.30:                               ;   in Loop: Header=BB93_5 Depth=1
	s_andn2_saveexec_b64 s[6:7], s[6:7]
; %bb.31:                               ;   in Loop: Header=BB93_5 Depth=1
	v_mov_b32_e32 v8, v6
	v_mov_b32_e32 v6, v10
	;; [unrolled: 1-line block ×4, first 2 shown]
; %bb.32:                               ;   in Loop: Header=BB93_5 Depth=1
	s_or_b64 exec, exec, s[6:7]
                                        ; implicit-def: $vgpr15
.LBB93_33:                              ;   in Loop: Header=BB93_5 Depth=1
	s_andn2_saveexec_b64 s[2:3], s[2:3]
	s_cbranch_execz .LBB93_37
; %bb.34:                               ;   in Loop: Header=BB93_5 Depth=1
	v_cmp_eq_u32_e32 vcc, 1, v15
	v_mov_b32_e32 v8, v3
	v_mov_b32_e32 v6, v2
	;; [unrolled: 1-line block ×3, first 2 shown]
	s_and_saveexec_b64 s[6:7], vcc
; %bb.35:                               ;   in Loop: Header=BB93_5 Depth=1
	v_mov_b32_e32 v8, v10
	v_mov_b32_e32 v6, v3
	;; [unrolled: 1-line block ×4, first 2 shown]
; %bb.36:                               ;   in Loop: Header=BB93_5 Depth=1
	s_or_b64 exec, exec, s[6:7]
	v_mov_b32_e32 v3, v0
	v_mov_b32_e32 v10, v7
.LBB93_37:                              ;   in Loop: Header=BB93_5 Depth=1
	s_or_b64 exec, exec, s[2:3]
	v_mov_b32_e32 v11, v14
	v_lshlrev_b64 v[0:1], 21, v[10:11]
	v_xor_b32_e32 v2, v0, v3
	v_cvt_f64_u32_e32 v[0:1], v1
	v_ldexp_f64 v[0:1], v[0:1], 32
	v_cvt_f64_u32_e32 v[2:3], v2
	v_add_f64 v[0:1], v[0:1], v[2:3]
	v_mov_b32_e32 v2, 0
	v_mov_b32_e32 v3, 0x3ca00000
	v_fmac_f64_e32 v[2:3], 0x3ca00000, v[0:1]
	v_mov_b32_e32 v9, v14
	v_lshlrev_b64 v[0:1], 21, v[8:9]
	v_frexp_mant_f64_e32 v[8:9], v[2:3]
	v_cmp_gt_f64_e32 vcc, s[28:29], v[8:9]
	v_cndmask_b32_e64 v15, v91, 2.0, vcc
	v_frexp_exp_i32_f64_e32 v10, v[2:3]
	v_mul_f64 v[8:9], v[8:9], v[14:15]
	v_subbrev_co_u32_e32 v15, vcc, 0, v10, vcc
	v_add_f64 v[10:11], v[8:9], 1.0
	v_rcp_f64_e32 v[72:73], v[10:11]
	v_add_f64 v[76:77], v[10:11], -1.0
	v_add_f64 v[74:75], v[8:9], -1.0
	v_add_f64 v[8:9], v[8:9], -v[76:77]
	v_fma_f64 v[76:77], -v[10:11], v[72:73], 1.0
	v_fmac_f64_e32 v[72:73], v[76:77], v[72:73]
	v_fma_f64 v[76:77], -v[10:11], v[72:73], 1.0
	v_fmac_f64_e32 v[72:73], v[76:77], v[72:73]
	v_mul_f64 v[76:77], v[74:75], v[72:73]
	v_mul_f64 v[78:79], v[10:11], v[76:77]
	v_fma_f64 v[10:11], v[76:77], v[10:11], -v[78:79]
	v_fmac_f64_e32 v[10:11], v[76:77], v[8:9]
	v_add_f64 v[8:9], v[78:79], v[10:11]
	v_add_f64 v[80:81], v[74:75], -v[8:9]
	v_add_f64 v[78:79], v[8:9], -v[78:79]
	;; [unrolled: 1-line block ×5, first 2 shown]
	v_add_f64 v[8:9], v[10:11], v[8:9]
	v_add_f64 v[8:9], v[80:81], v[8:9]
	v_mul_f64 v[8:9], v[72:73], v[8:9]
	v_add_f64 v[10:11], v[76:77], v[8:9]
	v_add_f64 v[72:73], v[10:11], -v[76:77]
	v_add_f64 v[8:9], v[8:9], -v[72:73]
	v_mul_f64 v[72:73], v[10:11], v[10:11]
	v_pk_mov_b32 v[74:75], v[18:19], v[18:19] op_sel:[0,1]
	v_fmac_f64_e32 v[74:75], s[34:35], v[72:73]
	v_pk_mov_b32 v[76:77], v[20:21], v[20:21] op_sel:[0,1]
	v_fmac_f64_e32 v[76:77], v[72:73], v[74:75]
	;; [unrolled: 2-line block ×6, first 2 shown]
	v_ldexp_f64 v[74:75], v[10:11], 1
	v_mul_f64 v[10:11], v[10:11], v[72:73]
	v_mul_f64 v[10:11], v[10:11], v[76:77]
	v_add_f64 v[72:73], v[74:75], v[10:11]
	v_add_f64 v[74:75], v[72:73], -v[74:75]
	v_ldexp_f64 v[8:9], v[8:9], 1
	v_add_f64 v[10:11], v[10:11], -v[74:75]
	v_add_f64 v[8:9], v[8:9], v[10:11]
	v_add_f64 v[10:11], v[72:73], v[8:9]
	v_add_f64 v[72:73], v[10:11], -v[72:73]
	v_add_f64 v[8:9], v[8:9], -v[72:73]
	v_cvt_f64_i32_e32 v[72:73], v15
	v_mul_f64 v[74:75], v[72:73], s[46:47]
	v_fma_f64 v[76:77], v[72:73], s[46:47], -v[74:75]
	v_fmac_f64_e32 v[76:77], s[48:49], v[72:73]
	v_add_f64 v[72:73], v[74:75], v[76:77]
	v_add_f64 v[74:75], v[72:73], -v[74:75]
	v_add_f64 v[74:75], v[76:77], -v[74:75]
	v_add_f64 v[76:77], v[72:73], v[10:11]
	v_add_f64 v[78:79], v[76:77], -v[72:73]
	v_add_f64 v[80:81], v[76:77], -v[78:79]
	;; [unrolled: 1-line block ×4, first 2 shown]
	v_add_f64 v[10:11], v[10:11], v[72:73]
	v_add_f64 v[72:73], v[74:75], v[8:9]
	v_add_f64 v[78:79], v[72:73], -v[74:75]
	v_add_f64 v[80:81], v[72:73], -v[78:79]
	v_add_f64 v[10:11], v[72:73], v[10:11]
	v_add_f64 v[74:75], v[74:75], -v[80:81]
	v_add_f64 v[8:9], v[8:9], -v[78:79]
	v_add_f64 v[72:73], v[76:77], v[10:11]
	v_add_f64 v[8:9], v[8:9], v[74:75]
	v_add_f64 v[74:75], v[72:73], -v[76:77]
	v_add_f64 v[10:11], v[10:11], -v[74:75]
	s_mov_b32 s12, 0
	v_add_f64 v[8:9], v[8:9], v[10:11]
	s_mov_b32 s13, 0x7ff00000
	v_add_f64 v[8:9], v[72:73], v[8:9]
	v_cmp_eq_f64_e32 vcc, s[12:13], v[2:3]
	v_cndmask_b32_e32 v9, v9, v3, vcc
	v_cndmask_b32_e32 v8, v8, v2, vcc
	v_mul_f64 v[8:9], v[8:9], -2.0
	v_cmp_neq_f64_e32 vcc, 0, v[2:3]
	s_mov_b32 s2, 0
	v_cndmask_b32_e32 v3, v94, v9, vcc
	v_cndmask_b32_e32 v2, 0, v8, vcc
	s_brev_b32 s3, 8
	v_cmp_gt_f64_e32 vcc, s[2:3], v[2:3]
	v_cndmask_b32_e64 v8, 0, 1, vcc
	v_lshlrev_b32_e32 v8, 8, v8
	v_ldexp_f64 v[2:3], v[2:3], v8
	v_xor_b32_e32 v6, v0, v6
	v_cvt_f64_u32_e32 v[0:1], v1
	v_rsq_f64_e32 v[8:9], v[2:3]
	v_ldexp_f64 v[0:1], v[0:1], 32
	v_cvt_f64_u32_e32 v[6:7], v6
	v_add_f64 v[0:1], v[0:1], v[6:7]
	v_mov_b32_e32 v6, 0
	v_mov_b32_e32 v7, 0x3cb00000
	v_fmac_f64_e32 v[6:7], 0x3cb00000, v[0:1]
	v_mul_f64 v[0:1], v[2:3], v[8:9]
	v_mul_f64 v[8:9], v[8:9], 0.5
	v_fma_f64 v[10:11], -v[8:9], v[0:1], 0.5
	v_fmac_f64_e32 v[0:1], v[0:1], v[10:11]
	v_fma_f64 v[72:73], -v[0:1], v[0:1], v[2:3]
	v_fmac_f64_e32 v[8:9], v[8:9], v[10:11]
	v_fmac_f64_e32 v[0:1], v[72:73], v[8:9]
	v_fma_f64 v[10:11], -v[0:1], v[0:1], v[2:3]
	v_fmac_f64_e32 v[0:1], v[10:11], v[8:9]
	v_cndmask_b32_e32 v8, 0, v90, vcc
	v_ldexp_f64 v[0:1], v[0:1], v8
	v_cmp_class_f64_e32 vcc, v[2:3], v89
	v_cndmask_b32_e32 v1, v1, v3, vcc
	v_cndmask_b32_e32 v0, v0, v2, vcc
	v_mul_f64 v[2:3], v[6:7], 0.5
	v_fract_f64_e32 v[8:9], v[2:3]
	v_add_f64 v[8:9], v[8:9], v[8:9]
	v_cmp_neq_f64_e32 vcc, s[12:13], v[2:3]
	v_cndmask_b32_e32 v2, 0, v8, vcc
	v_cndmask_b32_e32 v3, 0, v9, vcc
	v_cmp_lt_f64_e32 vcc, 1.0, v[6:7]
	v_cndmask_b32_e32 v3, v7, v3, vcc
	v_cndmask_b32_e32 v2, v6, v2, vcc
	v_add_f64 v[8:9], v[2:3], v[2:3]
	v_rndne_f64_e32 v[8:9], v[8:9]
	v_fmac_f64_e32 v[2:3], -0.5, v[8:9]
	s_mov_b32 s6, 0xf99eb0bb
	v_cvt_i32_f64_e32 v15, v[8:9]
	v_mul_f64 v[8:9], v[2:3], v[2:3]
	v_pk_mov_b32 v[10:11], v[48:49], v[48:49] op_sel:[0,1]
	s_mov_b32 s7, 0x3f3e357e
	v_fmac_f64_e32 v[10:11], s[6:7], v[8:9]
	v_pk_mov_b32 v[72:73], v[50:51], v[50:51] op_sel:[0,1]
	v_fmac_f64_e32 v[72:73], v[8:9], v[10:11]
	v_pk_mov_b32 v[10:11], v[52:53], v[52:53] op_sel:[0,1]
	;; [unrolled: 2-line block ×4, first 2 shown]
	v_fmac_f64_e32 v[10:11], v[8:9], v[72:73]
	v_mul_f64 v[72:73], v[2:3], v[8:9]
	s_mov_b32 s6, 0x54442d18
	v_mul_f64 v[10:11], v[72:73], v[10:11]
	s_mov_b32 s7, 0x400921fb
	v_fmac_f64_e32 v[10:11], s[6:7], v[2:3]
	s_mov_b32 s6, 0x2e21c33
	v_pk_mov_b32 v[2:3], v[58:59], v[58:59] op_sel:[0,1]
	s_mov_b32 s7, 0xbf1b1673
	v_fmac_f64_e32 v[2:3], s[6:7], v[8:9]
	v_pk_mov_b32 v[72:73], v[60:61], v[60:61] op_sel:[0,1]
	v_fmac_f64_e32 v[72:73], v[8:9], v[2:3]
	v_pk_mov_b32 v[2:3], v[62:63], v[62:63] op_sel:[0,1]
	;; [unrolled: 2-line block ×5, first 2 shown]
	v_fmac_f64_e32 v[72:73], v[8:9], v[2:3]
	v_fma_f64 v[2:3], v[8:9], v[72:73], 1.0
	v_and_b32_e32 v9, 1, v15
	v_lshlrev_b32_e32 v8, 30, v15
	v_cmp_eq_u32_e32 vcc, 0, v9
	v_cndmask_b32_e32 v10, v2, v10, vcc
	v_cndmask_b32_e32 v2, v3, v11, vcc
	v_xor_b32_e32 v3, v8, v7
	v_and_b32_e32 v3, 0x80000000, v3
	v_cmp_gt_f64_e32 vcc, s[2:3], v[4:5]
	v_xor_b32_e32 v11, v2, v3
	v_cndmask_b32_e64 v2, 0, 1, vcc
	v_lshlrev_b32_e32 v2, 8, v2
	v_ldexp_f64 v[2:3], v[4:5], v2
	v_rsq_f64_e32 v[8:9], v[2:3]
	v_cmp_lg_f64_e64 s[2:3], s[12:13], v[6:7]
	v_cndmask_b32_e64 v6, 0, v10, s[2:3]
	v_cndmask_b32_e64 v7, v92, v11, s[2:3]
	v_mul_f64 v[0:1], v[0:1], v[6:7]
	v_mul_f64 v[6:7], v[2:3], v[8:9]
	v_mul_f64 v[8:9], v[8:9], 0.5
	v_fma_f64 v[10:11], -v[8:9], v[6:7], 0.5
	v_fmac_f64_e32 v[6:7], v[6:7], v[10:11]
	v_fma_f64 v[72:73], -v[6:7], v[6:7], v[2:3]
	v_fmac_f64_e32 v[8:9], v[8:9], v[10:11]
	v_fmac_f64_e32 v[6:7], v[72:73], v[8:9]
	v_fma_f64 v[10:11], -v[6:7], v[6:7], v[2:3]
	v_fmac_f64_e32 v[6:7], v[10:11], v[8:9]
	v_cndmask_b32_e32 v8, 0, v90, vcc
	v_ldexp_f64 v[6:7], v[6:7], v8
	v_cmp_class_f64_e32 vcc, v[2:3], v89
	v_cndmask_b32_e32 v3, v7, v3, vcc
	v_cndmask_b32_e32 v2, v6, v2, vcc
	v_fmac_f64_e32 v[4:5], v[2:3], v[0:1]
	v_trunc_f64_e32 v[0:1], v[4:5]
	v_add_f64 v[2:3], v[4:5], -v[0:1]
	v_cmp_ge_f64_e64 vcc, |v[2:3]|, 0.5
	v_cndmask_b32_e32 v2, 0, v91, vcc
	s_brev_b32 s2, -2
	v_bfi_b32 v15, s2, v2, v5
	v_add_f64 v[0:1], v[0:1], v[14:15]
	v_cvt_u32_f64_e32 v75, v[0:1]
.LBB93_38:                              ;   in Loop: Header=BB93_5 Depth=1
	s_or_b64 exec, exec, s[0:1]
                                        ; implicit-def: $vgpr6
                                        ; implicit-def: $vgpr72_vgpr73
                                        ; implicit-def: $vgpr15
                                        ; implicit-def: $vgpr97
                                        ; implicit-def: $vgpr98
                                        ; implicit-def: $vgpr106
                                        ; implicit-def: $vgpr96
                                        ; implicit-def: $vgpr3
                                        ; implicit-def: $vgpr4_vgpr5
                                        ; implicit-def: $vgpr99
                                        ; implicit-def: $vgpr100
                                        ; implicit-def: $vgpr101
                                        ; implicit-def: $vgpr102
                                        ; implicit-def: $vgpr104
                                        ; implicit-def: $vgpr105
                                        ; implicit-def: $vgpr107
                                        ; implicit-def: $vgpr108
                                        ; implicit-def: $vgpr109
                                        ; implicit-def: $vgpr110
                                        ; implicit-def: $vgpr111
                                        ; implicit-def: $vgpr112
                                        ; implicit-def: $vgpr113
                                        ; implicit-def: $vgpr114
                                        ; implicit-def: $vgpr103
                                        ; implicit-def: $vgpr115
.LBB93_39:                              ;   in Loop: Header=BB93_5 Depth=1
	s_andn2_saveexec_b64 s[0:1], s[50:51]
	s_cbranch_execz .LBB93_3
; %bb.40:                               ;   in Loop: Header=BB93_5 Depth=1
	v_readlane_b32 s2, v134, 12
	v_readlane_b32 s3, v134, 13
	s_mov_b32 s2, s52
	v_mul_f64 v[8:9], v[4:5], s[2:3]
	v_rndne_f64_e32 v[10:11], v[8:9]
	s_mov_b32 s54, s46
	v_fma_f64 v[4:5], v[10:11], s[54:55], -v[4:5]
	s_mov_b32 s56, s48
	v_fmac_f64_e32 v[4:5], s[56:57], v[10:11]
	v_pk_mov_b32 v[8:9], v[30:31], v[30:31] op_sel:[0,1]
	v_fmac_f64_e32 v[8:9], s[58:59], v[4:5]
	v_pk_mov_b32 v[74:75], v[32:33], v[32:33] op_sel:[0,1]
	v_fmac_f64_e32 v[74:75], v[4:5], v[8:9]
	v_pk_mov_b32 v[8:9], v[34:35], v[34:35] op_sel:[0,1]
	v_fmac_f64_e32 v[8:9], v[4:5], v[74:75]
	v_pk_mov_b32 v[74:75], v[36:37], v[36:37] op_sel:[0,1]
	v_fmac_f64_e32 v[74:75], v[4:5], v[8:9]
	v_pk_mov_b32 v[8:9], v[38:39], v[38:39] op_sel:[0,1]
	v_fmac_f64_e32 v[8:9], v[4:5], v[74:75]
	v_pk_mov_b32 v[74:75], v[40:41], v[40:41] op_sel:[0,1]
	v_fmac_f64_e32 v[74:75], v[4:5], v[8:9]
	v_pk_mov_b32 v[8:9], v[42:43], v[42:43] op_sel:[0,1]
	v_fmac_f64_e32 v[8:9], v[4:5], v[74:75]
	v_pk_mov_b32 v[74:75], v[44:45], v[44:45] op_sel:[0,1]
	v_fmac_f64_e32 v[74:75], v[4:5], v[8:9]
	v_pk_mov_b32 v[76:77], v[46:47], v[46:47] op_sel:[0,1]
	v_fmac_f64_e32 v[76:77], v[4:5], v[74:75]
	v_fma_f64 v[74:75], v[4:5], v[76:77], 1.0
	s_mov_b32 s2, 0xc4800000
	v_fma_f64 v[4:5], v[4:5], v[74:75], 1.0
	v_cvt_i32_f64_e32 v7, v[10:11]
	v_cmp_ngt_f32_e32 vcc, s2, v6
	s_mov_b32 s2, 0x44866000
	s_mov_b32 s7, s3
	v_ldexp_f64 v[4:5], v[4:5], v7
	v_cmp_nlt_f32_e64 s[2:3], s2, v6
	v_mov_b32_e32 v8, 0
	v_cndmask_b32_e32 v5, v94, v5, vcc
	s_and_b64 vcc, s[2:3], vcc
	v_writelane_b32 v134, s6, 12
	v_mov_b32_e32 v9, 0x3ff00000
	v_mov_b32_e32 v78, 0
	v_cndmask_b32_e64 v11, 0, v5, s[2:3]
	v_cndmask_b32_e32 v10, 0, v4, vcc
	s_mov_b32 s12, -1
	s_mov_b64 s[2:3], 0
	v_mov_b32_e32 v79, v17
	v_writelane_b32 v134, s7, 13
	s_branch .LBB93_42
.LBB93_41:                              ;   in Loop: Header=BB93_42 Depth=2
	s_or_b64 exec, exec, s[6:7]
	v_cmp_eq_u32_e32 vcc, 1, v15
	v_cndmask_b32_e32 v0, v0, v1, vcc
	v_cmp_eq_u32_e32 vcc, 2, v15
	v_cndmask_b32_e32 v0, v0, v2, vcc
	;; [unrolled: 2-line block ×6, first 2 shown]
	v_lshrrev_b32_e32 v0, 11, v0
	v_cvt_f64_u32_e32 v[0:1], v0
	v_ldexp_f64 v[0:1], v[0:1], 32
	v_cvt_f64_u32_e32 v[2:3], v2
	v_add_f64 v[0:1], v[0:1], v[2:3]
	v_mov_b32_e32 v2, 0
	v_mov_b32_e32 v3, 0x3ca00000
	v_fmac_f64_e32 v[2:3], 0x3ca00000, v[0:1]
	v_mul_f64 v[8:9], v[8:9], v[2:3]
	v_cmp_ngt_f64_e32 vcc, v[8:9], v[10:11]
	s_add_i32 s12, s12, 1
	s_or_b64 s[2:3], vcc, s[2:3]
	v_mov_b32_e32 v75, s12
	v_mov_b32_e32 v15, v81
	;; [unrolled: 1-line block ×6, first 2 shown]
	s_andn2_b64 exec, exec, s[2:3]
	s_cbranch_execz .LBB93_2
.LBB93_42:                              ;   Parent Loop BB93_5 Depth=1
                                        ; =>  This Inner Loop Header: Depth=2
	v_add_u32_e32 v80, 1, v15
	v_pk_mov_b32 v[6:7], v[2:3], v[2:3] op_sel:[0,1]
	v_cmp_eq_u32_e32 vcc, 4, v80
	v_pk_mov_b32 v[4:5], v[0:1], v[0:1] op_sel:[0,1]
	v_mov_b32_e32 v77, v0
	v_mov_b32_e32 v76, v1
	;; [unrolled: 1-line block ×4, first 2 shown]
	s_and_saveexec_b64 s[6:7], vcc
	s_cbranch_execz .LBB93_44
; %bb.43:                               ;   in Loop: Header=BB93_42 Depth=2
	v_add_co_u32_e32 v97, vcc, 1, v97
	v_cndmask_b32_e64 v4, 0, 1, vcc
	v_addc_co_u32_e32 v98, vcc, 0, v98, vcc
	v_cmp_eq_u32_e32 vcc, 0, v98
	v_cndmask_b32_e32 v4, 0, v4, vcc
	v_add_u32_e32 v79, v4, v79
	v_cmp_eq_u32_e32 vcc, 0, v79
	v_cndmask_b32_e32 v4, 0, v4, vcc
	v_add_u32_e32 v78, v4, v78
	v_mad_u64_u32 v[4:5], s[14:15], v97, s11, 0
	v_mad_u64_u32 v[6:7], s[14:15], v79, s10, 0
	v_xor_b32_e32 v5, v5, v73
	v_xor_b32_e32 v7, v7, v72
	v_xor_b32_e32 v5, v78, v5
	v_xor_b32_e32 v7, v98, v7
	v_mad_u64_u32 v[76:77], s[14:15], v5, s10, 0
	v_mad_u64_u32 v[74:75], s[14:15], v7, s11, 0
	v_xor_b32_e32 v5, v99, v77
	v_xor_b32_e32 v5, v5, v6
	v_xor_b32_e32 v6, v100, v75
	v_xor_b32_e32 v6, v6, v4
	v_mad_u64_u32 v[4:5], s[14:15], v5, s11, 0
	v_mad_u64_u32 v[6:7], s[14:15], v6, s10, 0
	v_xor_b32_e32 v5, v102, v5
	v_xor_b32_e32 v7, v101, v7
	v_xor_b32_e32 v5, v5, v74
	v_xor_b32_e32 v7, v7, v76
	v_mad_u64_u32 v[76:77], s[14:15], v5, s10, 0
	v_mad_u64_u32 v[74:75], s[14:15], v7, s11, 0
	v_xor_b32_e32 v5, v104, v77
	v_xor_b32_e32 v5, v5, v6
	v_xor_b32_e32 v6, v105, v75
	v_xor_b32_e32 v6, v6, v4
	v_mad_u64_u32 v[4:5], s[14:15], v5, s11, 0
	v_mad_u64_u32 v[6:7], s[14:15], v6, s10, 0
	v_xor_b32_e32 v5, v108, v5
	v_xor_b32_e32 v7, v107, v7
	v_xor_b32_e32 v5, v5, v74
	v_xor_b32_e32 v7, v7, v76
	v_mad_u64_u32 v[76:77], s[14:15], v5, s10, 0
	v_mad_u64_u32 v[74:75], s[14:15], v7, s11, 0
	v_xor_b32_e32 v5, v109, v77
	v_xor_b32_e32 v5, v5, v6
	v_xor_b32_e32 v6, v110, v75
	v_xor_b32_e32 v6, v6, v4
	v_mad_u64_u32 v[4:5], s[14:15], v5, s11, 0
	v_mad_u64_u32 v[6:7], s[14:15], v6, s10, 0
	v_xor_b32_e32 v5, v112, v5
	v_xor_b32_e32 v7, v111, v7
	v_xor_b32_e32 v5, v5, v74
	v_xor_b32_e32 v7, v7, v76
	v_mad_u64_u32 v[76:77], s[14:15], v5, s10, 0
	v_mad_u64_u32 v[74:75], s[14:15], v7, s11, 0
	v_xor_b32_e32 v5, v113, v77
	v_xor_b32_e32 v5, v5, v6
	v_xor_b32_e32 v6, v114, v75
	v_xor_b32_e32 v4, v6, v4
	v_mad_u64_u32 v[6:7], s[14:15], v5, s11, 0
	v_mad_u64_u32 v[4:5], s[14:15], v4, s10, 0
	v_xor_b32_e32 v5, v103, v5
	v_xor_b32_e32 v7, v115, v7
	v_xor_b32_e32 v5, v5, v76
	v_xor_b32_e32 v7, v7, v74
	v_mad_u64_u32 v[74:75], s[14:15], v5, s11, 0
	v_mad_u64_u32 v[76:77], s[14:15], v7, s10, 0
	v_xor_b32_e32 v4, v77, v4
	v_xor_b32_e32 v5, v75, v6
	v_xor_b32_e32 v4, v106, v4
	v_xor_b32_e32 v6, v96, v5
	v_mov_b32_e32 v80, 0
	v_mov_b32_e32 v5, v76
	;; [unrolled: 1-line block ×5, first 2 shown]
.LBB93_44:                              ;   in Loop: Header=BB93_42 Depth=2
	s_or_b64 exec, exec, s[6:7]
	v_add_u32_e32 v81, 1, v80
	v_cmp_eq_u32_e32 vcc, 4, v81
	s_and_saveexec_b64 s[6:7], vcc
	s_cbranch_execz .LBB93_41
; %bb.45:                               ;   in Loop: Header=BB93_42 Depth=2
	v_add_co_u32_e32 v97, vcc, 1, v97
	v_cndmask_b32_e64 v74, 0, 1, vcc
	v_addc_co_u32_e32 v98, vcc, 0, v98, vcc
	v_cmp_eq_u32_e32 vcc, 0, v98
	v_cndmask_b32_e32 v74, 0, v74, vcc
	v_add_u32_e32 v79, v74, v79
	v_cmp_eq_u32_e32 vcc, 0, v79
	v_cndmask_b32_e32 v74, 0, v74, vcc
	v_add_u32_e32 v78, v74, v78
	v_mad_u64_u32 v[74:75], s[14:15], v97, s11, 0
	v_mad_u64_u32 v[76:77], s[14:15], v79, s10, 0
	v_xor_b32_e32 v75, v75, v73
	v_xor_b32_e32 v77, v77, v72
	v_xor_b32_e32 v75, v78, v75
	v_xor_b32_e32 v77, v98, v77
	v_mad_u64_u32 v[84:85], s[14:15], v75, s10, 0
	v_mad_u64_u32 v[82:83], s[14:15], v77, s11, 0
	v_xor_b32_e32 v75, v99, v85
	v_xor_b32_e32 v75, v75, v76
	v_xor_b32_e32 v76, v100, v83
	v_xor_b32_e32 v76, v76, v74
	v_mad_u64_u32 v[74:75], s[14:15], v75, s11, 0
	v_mad_u64_u32 v[76:77], s[14:15], v76, s10, 0
	v_xor_b32_e32 v75, v102, v75
	v_xor_b32_e32 v77, v101, v77
	v_xor_b32_e32 v75, v75, v82
	v_xor_b32_e32 v77, v77, v84
	v_mad_u64_u32 v[84:85], s[14:15], v75, s10, 0
	v_mad_u64_u32 v[82:83], s[14:15], v77, s11, 0
	v_xor_b32_e32 v75, v104, v85
	v_xor_b32_e32 v75, v75, v76
	v_xor_b32_e32 v76, v105, v83
	v_xor_b32_e32 v76, v76, v74
	v_mad_u64_u32 v[74:75], s[14:15], v75, s11, 0
	v_mad_u64_u32 v[76:77], s[14:15], v76, s10, 0
	v_xor_b32_e32 v75, v108, v75
	v_xor_b32_e32 v77, v107, v77
	v_xor_b32_e32 v75, v75, v82
	v_xor_b32_e32 v77, v77, v84
	v_mad_u64_u32 v[84:85], s[14:15], v75, s10, 0
	v_mad_u64_u32 v[82:83], s[14:15], v77, s11, 0
	v_xor_b32_e32 v75, v109, v85
	v_xor_b32_e32 v75, v75, v76
	v_xor_b32_e32 v76, v110, v83
	v_xor_b32_e32 v76, v76, v74
	v_mad_u64_u32 v[74:75], s[14:15], v75, s11, 0
	v_mad_u64_u32 v[76:77], s[14:15], v76, s10, 0
	v_xor_b32_e32 v75, v112, v75
	v_xor_b32_e32 v77, v111, v77
	v_xor_b32_e32 v75, v75, v82
	v_xor_b32_e32 v77, v77, v84
	v_mad_u64_u32 v[84:85], s[14:15], v75, s10, 0
	v_mad_u64_u32 v[82:83], s[14:15], v77, s11, 0
	v_xor_b32_e32 v75, v113, v85
	v_xor_b32_e32 v75, v75, v76
	v_xor_b32_e32 v76, v114, v83
	v_xor_b32_e32 v74, v76, v74
	v_mad_u64_u32 v[86:87], s[14:15], v75, s11, 0
	v_mad_u64_u32 v[116:117], s[14:15], v74, s10, 0
	v_xor_b32_e32 v74, v103, v117
	v_xor_b32_e32 v75, v115, v87
	v_xor_b32_e32 v74, v74, v84
	v_xor_b32_e32 v76, v75, v82
	v_mad_u64_u32 v[74:75], s[14:15], v74, s11, 0
	v_mad_u64_u32 v[76:77], s[14:15], v76, s10, 0
	v_xor_b32_e32 v77, v77, v116
	v_xor_b32_e32 v75, v75, v86
	v_mov_b32_e32 v81, 0
	v_xor_b32_e32 v77, v106, v77
	v_xor_b32_e32 v82, v96, v75
	s_branch .LBB93_41
.LBB93_46:
	s_or_b64 exec, exec, s[4:5]
	s_and_saveexec_b64 s[0:1], s[18:19]
	s_xor_b64 s[0:1], exec, s[0:1]
	s_cbranch_execnz .LBB93_48
.LBB93_47:
	s_endpgm
.LBB93_48:
	s_trap 2
	; divergent unreachable
	s_endpgm
	.section	.rodata,"a",@progbits
	.p2align	6, 0x0
	.amdhsa_kernel _ZN2at4cuda12_GLOBAL__N_121kernelPointwiseApply2IZN12_GLOBAL__N_119poisson_cuda_kernelIN3c108BFloat16EEEvRKNS_10TensorBaseES9_NS_15PhiloxCudaStateEEUlRS6_RKS6_E_S6_S6_jLi2ELi1ELi1ELi512ELi2EEEvNS0_6detail10TensorInfoIT0_T2_EENSG_IT1_SI_EESI_T_
		.amdhsa_group_segment_fixed_size 0
		.amdhsa_private_segment_fixed_size 0
		.amdhsa_kernarg_size 728
		.amdhsa_user_sgpr_count 6
		.amdhsa_user_sgpr_private_segment_buffer 1
		.amdhsa_user_sgpr_dispatch_ptr 0
		.amdhsa_user_sgpr_queue_ptr 0
		.amdhsa_user_sgpr_kernarg_segment_ptr 1
		.amdhsa_user_sgpr_dispatch_id 0
		.amdhsa_user_sgpr_flat_scratch_init 0
		.amdhsa_user_sgpr_kernarg_preload_length 0
		.amdhsa_user_sgpr_kernarg_preload_offset 0
		.amdhsa_user_sgpr_private_segment_size 0
		.amdhsa_uses_dynamic_stack 0
		.amdhsa_system_sgpr_private_segment_wavefront_offset 0
		.amdhsa_system_sgpr_workgroup_id_x 1
		.amdhsa_system_sgpr_workgroup_id_y 0
		.amdhsa_system_sgpr_workgroup_id_z 0
		.amdhsa_system_sgpr_workgroup_info 0
		.amdhsa_system_vgpr_workitem_id 0
		.amdhsa_next_free_vgpr 135
		.amdhsa_next_free_sgpr 96
		.amdhsa_accum_offset 136
		.amdhsa_reserve_vcc 1
		.amdhsa_reserve_flat_scratch 0
		.amdhsa_float_round_mode_32 0
		.amdhsa_float_round_mode_16_64 0
		.amdhsa_float_denorm_mode_32 3
		.amdhsa_float_denorm_mode_16_64 3
		.amdhsa_dx10_clamp 1
		.amdhsa_ieee_mode 1
		.amdhsa_fp16_overflow 0
		.amdhsa_tg_split 0
		.amdhsa_exception_fp_ieee_invalid_op 0
		.amdhsa_exception_fp_denorm_src 0
		.amdhsa_exception_fp_ieee_div_zero 0
		.amdhsa_exception_fp_ieee_overflow 0
		.amdhsa_exception_fp_ieee_underflow 0
		.amdhsa_exception_fp_ieee_inexact 0
		.amdhsa_exception_int_div_zero 0
	.end_amdhsa_kernel
	.section	.text._ZN2at4cuda12_GLOBAL__N_121kernelPointwiseApply2IZN12_GLOBAL__N_119poisson_cuda_kernelIN3c108BFloat16EEEvRKNS_10TensorBaseES9_NS_15PhiloxCudaStateEEUlRS6_RKS6_E_S6_S6_jLi2ELi1ELi1ELi512ELi2EEEvNS0_6detail10TensorInfoIT0_T2_EENSG_IT1_SI_EESI_T_,"axG",@progbits,_ZN2at4cuda12_GLOBAL__N_121kernelPointwiseApply2IZN12_GLOBAL__N_119poisson_cuda_kernelIN3c108BFloat16EEEvRKNS_10TensorBaseES9_NS_15PhiloxCudaStateEEUlRS6_RKS6_E_S6_S6_jLi2ELi1ELi1ELi512ELi2EEEvNS0_6detail10TensorInfoIT0_T2_EENSG_IT1_SI_EESI_T_,comdat
.Lfunc_end93:
	.size	_ZN2at4cuda12_GLOBAL__N_121kernelPointwiseApply2IZN12_GLOBAL__N_119poisson_cuda_kernelIN3c108BFloat16EEEvRKNS_10TensorBaseES9_NS_15PhiloxCudaStateEEUlRS6_RKS6_E_S6_S6_jLi2ELi1ELi1ELi512ELi2EEEvNS0_6detail10TensorInfoIT0_T2_EENSG_IT1_SI_EESI_T_, .Lfunc_end93-_ZN2at4cuda12_GLOBAL__N_121kernelPointwiseApply2IZN12_GLOBAL__N_119poisson_cuda_kernelIN3c108BFloat16EEEvRKNS_10TensorBaseES9_NS_15PhiloxCudaStateEEUlRS6_RKS6_E_S6_S6_jLi2ELi1ELi1ELi512ELi2EEEvNS0_6detail10TensorInfoIT0_T2_EENSG_IT1_SI_EESI_T_
                                        ; -- End function
	.section	.AMDGPU.csdata,"",@progbits
; Kernel info:
; codeLenInByte = 13492
; NumSgprs: 100
; NumVgprs: 135
; NumAgprs: 0
; TotalNumVgprs: 135
; ScratchSize: 0
; MemoryBound: 0
; FloatMode: 240
; IeeeMode: 1
; LDSByteSize: 0 bytes/workgroup (compile time only)
; SGPRBlocks: 12
; VGPRBlocks: 16
; NumSGPRsForWavesPerEU: 100
; NumVGPRsForWavesPerEU: 135
; AccumOffset: 136
; Occupancy: 3
; WaveLimiterHint : 1
; COMPUTE_PGM_RSRC2:SCRATCH_EN: 0
; COMPUTE_PGM_RSRC2:USER_SGPR: 6
; COMPUTE_PGM_RSRC2:TRAP_HANDLER: 0
; COMPUTE_PGM_RSRC2:TGID_X_EN: 1
; COMPUTE_PGM_RSRC2:TGID_Y_EN: 0
; COMPUTE_PGM_RSRC2:TGID_Z_EN: 0
; COMPUTE_PGM_RSRC2:TIDIG_COMP_CNT: 0
; COMPUTE_PGM_RSRC3_GFX90A:ACCUM_OFFSET: 33
; COMPUTE_PGM_RSRC3_GFX90A:TG_SPLIT: 0
	.section	.text._ZN2at4cuda12_GLOBAL__N_121kernelPointwiseApply2IZN12_GLOBAL__N_119poisson_cuda_kernelIN3c108BFloat16EEEvRKNS_10TensorBaseES9_NS_15PhiloxCudaStateEEUlRS6_RKS6_E_S6_S6_jLi2ELi2ELi1ELi512ELi2EEEvNS0_6detail10TensorInfoIT0_T2_EENSG_IT1_SI_EESI_T_,"axG",@progbits,_ZN2at4cuda12_GLOBAL__N_121kernelPointwiseApply2IZN12_GLOBAL__N_119poisson_cuda_kernelIN3c108BFloat16EEEvRKNS_10TensorBaseES9_NS_15PhiloxCudaStateEEUlRS6_RKS6_E_S6_S6_jLi2ELi2ELi1ELi512ELi2EEEvNS0_6detail10TensorInfoIT0_T2_EENSG_IT1_SI_EESI_T_,comdat
	.globl	_ZN2at4cuda12_GLOBAL__N_121kernelPointwiseApply2IZN12_GLOBAL__N_119poisson_cuda_kernelIN3c108BFloat16EEEvRKNS_10TensorBaseES9_NS_15PhiloxCudaStateEEUlRS6_RKS6_E_S6_S6_jLi2ELi2ELi1ELi512ELi2EEEvNS0_6detail10TensorInfoIT0_T2_EENSG_IT1_SI_EESI_T_ ; -- Begin function _ZN2at4cuda12_GLOBAL__N_121kernelPointwiseApply2IZN12_GLOBAL__N_119poisson_cuda_kernelIN3c108BFloat16EEEvRKNS_10TensorBaseES9_NS_15PhiloxCudaStateEEUlRS6_RKS6_E_S6_S6_jLi2ELi2ELi1ELi512ELi2EEEvNS0_6detail10TensorInfoIT0_T2_EENSG_IT1_SI_EESI_T_
	.p2align	8
	.type	_ZN2at4cuda12_GLOBAL__N_121kernelPointwiseApply2IZN12_GLOBAL__N_119poisson_cuda_kernelIN3c108BFloat16EEEvRKNS_10TensorBaseES9_NS_15PhiloxCudaStateEEUlRS6_RKS6_E_S6_S6_jLi2ELi2ELi1ELi512ELi2EEEvNS0_6detail10TensorInfoIT0_T2_EENSG_IT1_SI_EESI_T_,@function
_ZN2at4cuda12_GLOBAL__N_121kernelPointwiseApply2IZN12_GLOBAL__N_119poisson_cuda_kernelIN3c108BFloat16EEEvRKNS_10TensorBaseES9_NS_15PhiloxCudaStateEEUlRS6_RKS6_E_S6_S6_jLi2ELi2ELi1ELi512ELi2EEEvNS0_6detail10TensorInfoIT0_T2_EENSG_IT1_SI_EESI_T_: ; @_ZN2at4cuda12_GLOBAL__N_121kernelPointwiseApply2IZN12_GLOBAL__N_119poisson_cuda_kernelIN3c108BFloat16EEEvRKNS_10TensorBaseES9_NS_15PhiloxCudaStateEEUlRS6_RKS6_E_S6_S6_jLi2ELi2ELi1ELi512ELi2EEEvNS0_6detail10TensorInfoIT0_T2_EENSG_IT1_SI_EESI_T_
; %bb.0:
	s_load_dword s2, s[4:5], 0x1e4
	s_load_dword s16, s[4:5], 0x1b0
	s_add_u32 s0, s4, 0x1d8
	s_addc_u32 s1, s5, 0
	s_waitcnt lgkmcnt(0)
	s_and_b32 s2, s2, 0xffff
	s_mul_i32 s6, s6, s2
	v_add_u32_e32 v17, s6, v0
	v_cmp_gt_u32_e32 vcc, s16, v17
	s_and_saveexec_b64 s[6:7], vcc
	s_cbranch_execz .LBB94_49
; %bb.1:
	s_load_dwordx2 s[6:7], s[4:5], 0x0
	s_load_dwordx4 s[12:15], s[4:5], 0x1b8
                                        ; implicit-def: $vgpr136 : SGPR spill to VGPR lane
	s_mov_b32 s10, 0xcd9e8d57
	s_mov_b32 s24, 0
	;; [unrolled: 1-line block ×3, first 2 shown]
	s_waitcnt lgkmcnt(0)
	v_writelane_b32 v136, s6, 0
	v_writelane_b32 v136, s7, 1
	s_load_dword s8, s[4:5], 0xc
	s_load_dwordx2 s[6:7], s[4:5], 0x6c
	s_mov_b32 s34, 0x6b47b09a
	s_mov_b32 s36, 0xbf559e2b
	;; [unrolled: 1-line block ×3, first 2 shown]
	s_waitcnt lgkmcnt(0)
	v_cvt_f32_u32_e32 v0, s8
	v_writelane_b32 v136, s6, 2
	v_writelane_b32 v136, s7, 3
	s_load_dwordx2 s[18:19], s[4:5], 0xd8
	s_load_dword s9, s[4:5], 0xe4
	s_load_dwordx2 s[6:7], s[4:5], 0x144
	v_rcp_iflag_f32_e32 v0, v0
	s_mov_b32 s40, 0x16291751
	s_mov_b32 s42, 0x9b27acf1
	s_waitcnt lgkmcnt(0)
	v_cvt_f32_u32_e32 v1, s9
	v_writelane_b32 v136, s6, 4
	v_writelane_b32 v136, s7, 5
	s_load_dwordx2 s[6:7], s[4:5], 0x1c8
	v_rcp_iflag_f32_e32 v1, v1
	v_mul_f32_e32 v0, 0x4f7ffffe, v0
	v_cvt_u32_f32_e32 v0, v0
	s_mov_b32 s44, 0x998ef7b6
	s_waitcnt lgkmcnt(0)
	v_writelane_b32 v136, s6, 6
	v_writelane_b32 v136, s7, 7
	s_load_dword s3, s[0:1], 0x0
	s_load_dword s6, s[4:5], 0x1d0
	s_getpc_b64 s[0:1]
	s_add_u32 s0, s0, .str@rel32@lo+4
	s_addc_u32 s1, s1, .str@rel32@hi+12
	s_cmp_eq_u64 s[0:1], 0
	v_mul_f32_e32 v1, 0x4f7ffffe, v1
	s_cselect_b64 s[0:1], -1, 0
	s_waitcnt lgkmcnt(0)
	s_bitcmp1_b32 s6, 0
	v_mad_u64_u32 v[12:13], s[6:7], v17, s10, 0
	v_cvt_u32_f32_e32 v1, v1
	s_mul_i32 s17, s3, s2
	s_cselect_b64 s[2:3], -1, 0
	s_sub_i32 s6, 0, s8
	v_mul_lo_u32 v2, s6, v0
	v_mul_hi_u32 v2, v0, v2
	s_sub_i32 s6, 0, s9
	v_writelane_b32 v136, s12, 8
	v_mov_b32_e32 v16, v13
	v_add_u32_e32 v13, v0, v2
	v_mul_lo_u32 v0, s6, v1
	v_writelane_b32 v136, s13, 9
	v_mul_hi_u32 v0, v1, v0
	v_writelane_b32 v136, s14, 10
	v_add_u32_e32 v88, v1, v0
	v_cndmask_b32_e64 v0, 0, 1, s[2:3]
	v_writelane_b32 v136, s15, 11
	v_cmp_ne_u32_e64 s[2:3], 1, v0
	v_writelane_b32 v136, s2, 12
	v_writelane_b32 v136, s3, 13
	s_xor_b64 s[60:61], s[0:1], -1
	s_mov_b32 s1, 0xbff71547
	s_mov_b32 s48, 0xfefa39ef
	;; [unrolled: 1-line block ×19, first 2 shown]
	s_movk_i32 s92, 0xf950
	s_mov_b32 s94, 0xc864beb5
	s_mov_b32 s22, 0
	;; [unrolled: 1-line block ×3, first 2 shown]
	v_writelane_b32 v136, s0, 14
	s_mov_b64 s[4:5], 0
	v_mov_b32_e32 v14, 0
	s_mov_b32 s11, 0xd2511f53
	s_mov_b32 s25, 0x40080000
	;; [unrolled: 1-line block ×12, first 2 shown]
	s_movk_i32 s33, 0x204
	s_mov_b32 s55, 0x3ff71547
	s_mov_b32 s57, 0xbfe62e42
	;; [unrolled: 1-line block ×3, first 2 shown]
	v_mov_b32_e32 v18, 0x6b47b09a
	v_mov_b32_e32 v20, 0xd7f4df2e
	;; [unrolled: 1-line block ×60, first 2 shown]
	s_mov_b32 s63, 0x3e5ade15
	s_mov_b32 s65, 0x40900000
	;; [unrolled: 1-line block ×19, first 2 shown]
	v_writelane_b32 v136, s1, 15
                                        ; implicit-def: $sgpr26_sgpr27
                                        ; implicit-def: $sgpr28_sgpr29
	v_writelane_b32 v136, s17, 16
	s_branch .LBB94_5
.LBB94_2:                               ;   in Loop: Header=BB94_5 Depth=1
	s_or_b64 exec, exec, s[2:3]
.LBB94_3:                               ;   in Loop: Header=BB94_5 Depth=1
	s_or_b64 exec, exec, s[0:1]
	v_readlane_b32 s0, v136, 0
	v_cvt_f32_u32_e32 v3, v75
	v_lshlrev_b64 v[0:1], 1, v[70:71]
	v_readlane_b32 s1, v136, 1
	v_mov_b32_e32 v2, s1
	v_add_co_u32_e32 v0, vcc, s0, v0
	v_addc_co_u32_e32 v1, vcc, v2, v1, vcc
	v_add_u32_e32 v96, s17, v96
	v_bfe_u32 v2, v3, 16, 1
	s_movk_i32 s0, 0x7fff
	v_cmp_le_u32_e32 vcc, s16, v96
	v_add3_u32 v2, v3, v2, s0
	s_andn2_b64 s[28:29], s[28:29], exec
	s_orn2_b64 s[0:1], vcc, exec
	global_store_short_d16_hi v[0:1], v2, off
.LBB94_4:                               ;   in Loop: Header=BB94_5 Depth=1
	s_or_b64 exec, exec, s[52:53]
	s_and_b64 s[0:1], exec, s[0:1]
	s_or_b64 s[4:5], s[0:1], s[4:5]
	s_andn2_b64 s[0:1], s[26:27], exec
	s_and_b64 s[2:3], s[28:29], exec
	s_or_b64 s[26:27], s[0:1], s[2:3]
	s_andn2_b64 exec, exec, s[4:5]
	s_cbranch_execz .LBB94_48
.LBB94_5:                               ; =>This Loop Header: Depth=1
                                        ;     Child Loop BB94_15 Depth 2
                                        ;     Child Loop BB94_44 Depth 2
	v_sub_u32_e32 v0, s16, v96
	v_cmp_lt_i32_e32 vcc, 0, v0
	v_pk_mov_b32 v[0:1], 0, 0
	v_pk_mov_b32 v[70:71], v[0:1], v[0:1] op_sel:[0,1]
	s_and_saveexec_b64 s[0:1], vcc
	s_cbranch_execz .LBB94_7
; %bb.6:                                ;   in Loop: Header=BB94_5 Depth=1
	v_mul_hi_u32 v2, v96, v13
	v_mul_lo_u32 v3, v2, s8
	v_sub_u32_e32 v3, v96, v3
	v_add_u32_e32 v4, 1, v2
	v_cmp_le_u32_e64 s[2:3], s8, v3
	v_cndmask_b32_e64 v2, v2, v4, s[2:3]
	v_subrev_u32_e32 v4, s8, v3
	v_cndmask_b32_e64 v3, v3, v4, s[2:3]
	v_add_u32_e32 v4, 1, v2
	v_cmp_le_u32_e64 s[2:3], s8, v3
	v_cndmask_b32_e64 v3, v2, v4, s[2:3]
	v_mul_lo_u32 v2, v3, s8
	v_readlane_b32 s2, v136, 2
	v_sub_u32_e32 v2, v96, v2
	v_readlane_b32 s3, v136, 3
	v_mul_lo_u32 v2, v2, s3
	v_mad_u64_u32 v[70:71], s[2:3], v3, s2, v[2:3]
	v_mov_b32_e32 v71, v14
.LBB94_7:                               ;   in Loop: Header=BB94_5 Depth=1
	s_or_b64 exec, exec, s[0:1]
	s_and_saveexec_b64 s[0:1], vcc
	s_cbranch_execz .LBB94_9
; %bb.8:                                ;   in Loop: Header=BB94_5 Depth=1
	v_mul_hi_u32 v0, v96, v88
	v_mul_lo_u32 v1, v0, s9
	v_sub_u32_e32 v1, v96, v1
	v_add_u32_e32 v2, 1, v0
	v_cmp_le_u32_e32 vcc, s9, v1
	v_cndmask_b32_e32 v0, v0, v2, vcc
	v_subrev_u32_e32 v2, s9, v1
	v_cndmask_b32_e32 v1, v1, v2, vcc
	v_add_u32_e32 v2, 1, v0
	v_cmp_le_u32_e32 vcc, s9, v1
	v_cndmask_b32_e32 v1, v0, v2, vcc
	v_mul_lo_u32 v0, v1, s9
	v_readlane_b32 s2, v136, 4
	v_sub_u32_e32 v0, v96, v0
	v_readlane_b32 s3, v136, 5
	v_mul_lo_u32 v0, v0, s3
	v_mad_u64_u32 v[0:1], s[2:3], v1, s2, v[0:1]
	v_mov_b32_e32 v1, v14
.LBB94_9:                               ;   in Loop: Header=BB94_5 Depth=1
	s_or_b64 exec, exec, s[0:1]
	v_lshlrev_b64 v[0:1], 1, v[0:1]
	v_add_co_u32_e32 v0, vcc, s18, v0
	v_addc_co_u32_e32 v1, vcc, v89, v1, vcc
	global_load_ushort v0, v[0:1], off
	s_mov_b64 s[0:1], -1
	s_or_b64 s[28:29], s[28:29], exec
	s_waitcnt vmcnt(0)
	v_lshlrev_b32_e32 v6, 16, v0
	v_cmp_le_f32_e32 vcc, 0, v6
	s_and_b64 s[2:3], s[60:61], vcc
	s_and_saveexec_b64 s[52:53], s[2:3]
	s_cbranch_execz .LBB94_4
; %bb.10:                               ;   in Loop: Header=BB94_5 Depth=1
	v_readlane_b32 s0, v136, 12
	v_readlane_b32 s1, v136, 13
	s_and_b64 vcc, exec, s[0:1]
	v_readlane_b32 s0, v136, 8
	v_readlane_b32 s1, v136, 9
	;; [unrolled: 1-line block ×4, first 2 shown]
	v_pk_mov_b32 v[0:1], s[2:3], s[2:3] op_sel:[0,1]
	v_pk_mov_b32 v[72:73], s[0:1], s[0:1] op_sel:[0,1]
	s_cbranch_vccnz .LBB94_12
; %bb.11:                               ;   in Loop: Header=BB94_5 Depth=1
	v_readlane_b32 s0, v136, 8
	v_readlane_b32 s2, v136, 10
	;; [unrolled: 1-line block ×3, first 2 shown]
	v_pk_mov_b32 v[0:1], s[2:3], s[2:3] op_sel:[0,1]
	v_readlane_b32 s1, v136, 9
	flat_load_dwordx2 v[0:1], v[0:1]
	v_pk_mov_b32 v[2:3], s[0:1], s[0:1] op_sel:[0,1]
	flat_load_dwordx2 v[72:73], v[2:3]
	v_readlane_b32 s0, v136, 6
	v_readlane_b32 s1, v136, 7
	v_mov_b32_e32 v2, s1
	s_waitcnt vmcnt(0) lgkmcnt(0)
	v_add_co_u32_e32 v0, vcc, s0, v0
	v_addc_co_u32_e32 v1, vcc, v1, v2, vcc
.LBB94_12:                              ;   in Loop: Header=BB94_5 Depth=1
	v_alignbit_b32 v98, v1, v0, 2
	v_and_b32_e32 v15, 3, v0
	v_lshrrev_b32_e32 v99, 2, v1
	v_mad_u64_u32 v[0:1], s[0:1], v98, s11, 0
	v_xor_b32_e32 v3, v16, v72
	v_mov_b32_e32 v2, v73
	v_xor_b32_e32 v1, v1, v73
	s_mov_b32 s0, 0xbb67ae85
	v_xor_b32_e32 v3, v3, v99
	v_add_co_u32_e32 v101, vcc, s0, v2
	v_mad_u64_u32 v[4:5], s[0:1], v3, s11, 0
	v_mad_u64_u32 v[8:9], s[0:1], v1, s10, 0
	v_add_co_u32_e32 v100, vcc, 0x9e3779b9, v72
	v_xor_b32_e32 v1, v12, v9
	v_xor_b32_e32 v3, v101, v5
	s_mov_b32 s0, 0x3c6ef372
	v_xor_b32_e32 v1, v1, v100
	v_xor_b32_e32 v3, v3, v0
	v_add_co_u32_e32 v102, vcc, s0, v72
	s_mov_b32 s0, 0x76cf5d0a
	v_add_co_u32_e32 v103, vcc, s0, v2
	v_mad_u64_u32 v[0:1], s[0:1], v1, s11, 0
	v_mad_u64_u32 v[10:11], s[0:1], v3, s10, 0
	v_xor_b32_e32 v3, v102, v11
	v_xor_b32_e32 v1, v103, v1
	s_mov_b32 s0, 0xdaa66d2b
	v_xor_b32_e32 v3, v3, v8
	v_xor_b32_e32 v1, v1, v4
	v_add_co_u32_e32 v105, vcc, s0, v72
	s_mov_b32 s0, 0x32370b8f
	v_add_co_u32_e32 v106, vcc, s0, v2
	v_mad_u64_u32 v[4:5], s[0:1], v3, s11, 0
	v_mad_u64_u32 v[8:9], s[0:1], v1, s10, 0
	;; [unrolled: 10-line block ×7, first 2 shown]
	v_xor_b32_e32 v1, v104, v1
	v_xor_b32_e32 v3, v116, v3
	;; [unrolled: 1-line block ×4, first 2 shown]
	v_mad_u64_u32 v[4:5], s[0:1], v1, s11, 0
	v_mad_u64_u32 v[8:9], s[0:1], v7, s10, 0
	v_add_u32_e32 v107, 0x8ff34781, v72
	v_add_u32_e32 v97, 0x96a522ad, v73
	v_xor_b32_e32 v0, v9, v0
	v_xor_b32_e32 v2, v5, v2
	s_mov_b32 s0, 0x42800000
	v_mov_b32_e32 v3, v4
	v_mov_b32_e32 v1, v8
	v_xor_b32_e32 v0, v107, v0
	v_xor_b32_e32 v2, v97, v2
	v_cvt_f64_f32_e32 v[4:5], v6
	v_cmp_ngt_f32_e32 vcc, s0, v6
                                        ; implicit-def: $vgpr75
	s_and_saveexec_b64 s[0:1], vcc
	s_xor_b64 s[6:7], exec, s[0:1]
	s_cbranch_execz .LBB94_41
; %bb.13:                               ;   in Loop: Header=BB94_5 Depth=1
	s_mov_b32 s0, 0x457a0000
	v_cmp_ge_f32_e32 vcc, s0, v6
                                        ; implicit-def: $vgpr75
	s_and_saveexec_b64 s[0:1], vcc
	s_xor_b64 s[12:13], exec, s[0:1]
	s_cbranch_execz .LBB94_28
; %bb.14:                               ;   in Loop: Header=BB94_5 Depth=1
	s_mov_b32 s14, 0xae147ae1
	s_mov_b32 s15, 0xc00ae147
	v_div_scale_f64 v[6:7], s[0:1], v[4:5], v[4:5], s[14:15]
	v_rcp_f64_e32 v[8:9], v[6:7]
	s_mov_b32 s0, 0
	v_mul_f64 v[76:77], v[4:5], s[24:25]
	s_brev_b32 s1, 8
	v_cmp_gt_f64_e64 s[2:3], s[0:1], v[76:77]
	v_cndmask_b32_e64 v78, 0, 1, s[2:3]
	v_fma_f64 v[74:75], -v[6:7], v[8:9], 1.0
	v_lshlrev_b32_e32 v78, 8, v78
	v_fmac_f64_e32 v[8:9], v[8:9], v[74:75]
	v_ldexp_f64 v[76:77], v[76:77], v78
	v_fma_f64 v[74:75], -v[6:7], v[8:9], 1.0
	v_rsq_f64_e32 v[78:79], v[76:77]
	v_div_scale_f64 v[10:11], vcc, s[14:15], v[4:5], s[14:15]
	v_fmac_f64_e32 v[8:9], v[8:9], v[74:75]
	v_mul_f64 v[74:75], v[10:11], v[8:9]
	v_fma_f64 v[6:7], -v[6:7], v[74:75], v[10:11]
	s_nop 0
	v_div_fmas_f64 v[6:7], v[6:7], v[8:9], v[74:75]
	v_mul_f64 v[8:9], v[76:77], v[78:79]
	v_mul_f64 v[10:11], v[78:79], 0.5
	v_fma_f64 v[74:75], -v[10:11], v[8:9], 0.5
	v_fmac_f64_e32 v[8:9], v[8:9], v[74:75]
	v_fma_f64 v[78:79], -v[8:9], v[8:9], v[76:77]
	v_fmac_f64_e32 v[10:11], v[10:11], v[74:75]
	v_fmac_f64_e32 v[8:9], v[78:79], v[10:11]
	v_fma_f64 v[74:75], -v[8:9], v[8:9], v[76:77]
	v_fmac_f64_e32 v[8:9], v[74:75], v[10:11]
	v_cndmask_b32_e64 v10, 0, v91, s[2:3]
	v_ldexp_f64 v[8:9], v[8:9], v10
	v_cmp_class_f64_e32 vcc, v[76:77], v90
	s_mov_b32 s2, 0x54442d18
	v_cndmask_b32_e32 v9, v9, v77, vcc
	v_cndmask_b32_e32 v8, v8, v76, vcc
	s_mov_b32 s3, 0x400921fb
	v_div_scale_f64 v[10:11], s[0:1], v[8:9], v[8:9], s[2:3]
	v_rcp_f64_e32 v[76:77], v[10:11]
	s_mov_b32 s0, 0x95810625
	v_div_fixup_f64 v[6:7], v[6:7], v[4:5], s[14:15]
	s_mov_b32 s1, 0x3fe88b43
	v_fma_f64 v[78:79], -v[10:11], v[76:77], 1.0
	v_fmac_f64_e32 v[76:77], v[76:77], v[78:79]
	v_fma_f64 v[78:79], -v[10:11], v[76:77], 1.0
	v_fmac_f64_e32 v[76:77], v[76:77], v[78:79]
	v_div_scale_f64 v[78:79], vcc, s[2:3], v[8:9], s[2:3]
	v_mul_f64 v[80:81], v[78:79], v[76:77]
	v_fma_f64 v[10:11], -v[10:11], v[80:81], v[78:79]
	v_add_f64 v[6:7], v[6:7], s[0:1]
	s_nop 0
	v_div_fmas_f64 v[10:11], v[10:11], v[76:77], v[80:81]
	v_div_fixup_f64 v[76:77], v[10:11], v[8:9], s[2:3]
	v_frexp_mant_f64_e32 v[8:9], v[6:7]
	v_cmp_gt_f64_e32 vcc, s[30:31], v[8:9]
	v_mov_b32_e32 v74, 0
	v_cndmask_b32_e64 v75, v92, 2.0, vcc
	v_frexp_exp_i32_f64_e32 v10, v[6:7]
	v_mul_f64 v[8:9], v[8:9], v[74:75]
	v_subbrev_co_u32_e32 v75, vcc, 0, v10, vcc
	v_add_f64 v[10:11], v[8:9], 1.0
	v_rcp_f64_e32 v[80:81], v[10:11]
	v_add_f64 v[84:85], v[10:11], -1.0
	v_add_f64 v[82:83], v[8:9], -1.0
	v_add_f64 v[8:9], v[8:9], -v[84:85]
	v_fma_f64 v[84:85], -v[10:11], v[80:81], 1.0
	v_fmac_f64_e32 v[80:81], v[84:85], v[80:81]
	v_fma_f64 v[84:85], -v[10:11], v[80:81], 1.0
	v_fmac_f64_e32 v[80:81], v[84:85], v[80:81]
	v_mul_f64 v[84:85], v[82:83], v[80:81]
	v_mul_f64 v[86:87], v[10:11], v[84:85]
	v_fma_f64 v[10:11], v[84:85], v[10:11], -v[86:87]
	v_fmac_f64_e32 v[10:11], v[84:85], v[8:9]
	v_add_f64 v[8:9], v[86:87], v[10:11]
	v_add_f64 v[118:119], v[82:83], -v[8:9]
	v_add_f64 v[86:87], v[8:9], -v[86:87]
	;; [unrolled: 1-line block ×5, first 2 shown]
	v_add_f64 v[8:9], v[10:11], v[8:9]
	v_add_f64 v[8:9], v[118:119], v[8:9]
	v_mul_f64 v[8:9], v[80:81], v[8:9]
	v_add_f64 v[10:11], v[84:85], v[8:9]
	v_add_f64 v[80:81], v[10:11], -v[84:85]
	v_add_f64 v[8:9], v[8:9], -v[80:81]
	v_mul_f64 v[80:81], v[10:11], v[10:11]
	v_pk_mov_b32 v[82:83], s[34:35], s[34:35] op_sel:[0,1]
	v_fma_f64 v[84:85], s[36:37], v[80:81], v[82:83]
	v_fma_f64 v[84:85], v[80:81], v[84:85], s[38:39]
	;; [unrolled: 1-line block ×5, first 2 shown]
	s_mov_b32 s47, s31
	v_fma_f64 v[84:85], v[80:81], v[84:85], s[46:47]
	v_ldexp_f64 v[86:87], v[10:11], 1
	v_mul_f64 v[10:11], v[10:11], v[80:81]
	v_mul_f64 v[10:11], v[10:11], v[84:85]
	v_add_f64 v[80:81], v[86:87], v[10:11]
	v_add_f64 v[84:85], v[80:81], -v[86:87]
	v_ldexp_f64 v[8:9], v[8:9], 1
	v_add_f64 v[10:11], v[10:11], -v[84:85]
	v_add_f64 v[8:9], v[8:9], v[10:11]
	v_add_f64 v[10:11], v[80:81], v[8:9]
	v_add_f64 v[80:81], v[10:11], -v[80:81]
	v_add_f64 v[8:9], v[8:9], -v[80:81]
	v_cvt_f64_i32_e32 v[80:81], v75
	v_mul_f64 v[84:85], v[80:81], s[48:49]
	v_fma_f64 v[86:87], v[80:81], s[48:49], -v[84:85]
	v_fmac_f64_e32 v[86:87], s[50:51], v[80:81]
	v_add_f64 v[80:81], v[84:85], v[86:87]
	v_add_f64 v[84:85], v[80:81], -v[84:85]
	v_add_f64 v[84:85], v[86:87], -v[84:85]
	v_add_f64 v[86:87], v[80:81], v[10:11]
	v_add_f64 v[118:119], v[86:87], -v[80:81]
	v_add_f64 v[120:121], v[86:87], -v[118:119]
	;; [unrolled: 1-line block ×4, first 2 shown]
	v_add_f64 v[10:11], v[10:11], v[80:81]
	v_add_f64 v[80:81], v[84:85], v[8:9]
	v_add_f64 v[118:119], v[80:81], -v[84:85]
	v_add_f64 v[120:121], v[80:81], -v[118:119]
	v_add_f64 v[10:11], v[80:81], v[10:11]
	v_add_f64 v[84:85], v[84:85], -v[120:121]
	v_add_f64 v[8:9], v[8:9], -v[118:119]
	v_add_f64 v[80:81], v[86:87], v[10:11]
	v_add_f64 v[8:9], v[8:9], v[84:85]
	v_add_f64 v[84:85], v[80:81], -v[86:87]
	v_add_f64 v[10:11], v[10:11], -v[84:85]
	v_add_f64 v[8:9], v[8:9], v[10:11]
	v_add_f64 v[8:9], v[80:81], v[8:9]
	v_cmp_class_f64_e64 vcc, v[6:7], s33
	v_cndmask_b32_e32 v8, v8, v6, vcc
	v_cndmask_b32_e32 v9, v9, v7, vcc
	v_cmp_ngt_f64_e32 vcc, 0, v[6:7]
	v_cndmask_b32_e32 v9, v93, v9, vcc
	v_cmp_nge_f64_e32 vcc, 0, v[6:7]
	v_cndmask_b32_e32 v8, 0, v8, vcc
	v_cmp_neq_f64_e32 vcc, 0, v[6:7]
	v_cndmask_b32_e32 v9, v94, v9, vcc
	v_add_f64 v[6:7], v[8:9], -v[4:5]
	v_frexp_mant_f64_e32 v[8:9], v[76:77]
	v_cmp_gt_f64_e32 vcc, s[30:31], v[8:9]
	v_cndmask_b32_e64 v75, v92, 2.0, vcc
	v_frexp_exp_i32_f64_e32 v10, v[76:77]
	v_mul_f64 v[8:9], v[8:9], v[74:75]
	v_subbrev_co_u32_e32 v75, vcc, 0, v10, vcc
	v_add_f64 v[10:11], v[8:9], 1.0
	v_rcp_f64_e32 v[80:81], v[10:11]
	v_add_f64 v[86:87], v[10:11], -1.0
	v_add_f64 v[84:85], v[8:9], -1.0
	v_add_f64 v[8:9], v[8:9], -v[86:87]
	v_fma_f64 v[86:87], -v[10:11], v[80:81], 1.0
	v_fmac_f64_e32 v[80:81], v[86:87], v[80:81]
	v_fma_f64 v[86:87], -v[10:11], v[80:81], 1.0
	v_fmac_f64_e32 v[80:81], v[86:87], v[80:81]
	v_mul_f64 v[86:87], v[84:85], v[80:81]
	v_mul_f64 v[118:119], v[10:11], v[86:87]
	v_fma_f64 v[10:11], v[86:87], v[10:11], -v[118:119]
	v_fmac_f64_e32 v[10:11], v[86:87], v[8:9]
	v_add_f64 v[8:9], v[118:119], v[10:11]
	v_add_f64 v[120:121], v[84:85], -v[8:9]
	v_add_f64 v[118:119], v[8:9], -v[118:119]
	;; [unrolled: 1-line block ×5, first 2 shown]
	v_add_f64 v[8:9], v[10:11], v[8:9]
	v_add_f64 v[8:9], v[120:121], v[8:9]
	v_mul_f64 v[8:9], v[80:81], v[8:9]
	v_add_f64 v[10:11], v[86:87], v[8:9]
	v_add_f64 v[80:81], v[10:11], -v[86:87]
	v_add_f64 v[8:9], v[8:9], -v[80:81]
	v_mul_f64 v[80:81], v[10:11], v[10:11]
	v_fma_f64 v[84:85], s[36:37], v[80:81], v[82:83]
	v_fma_f64 v[84:85], v[80:81], v[84:85], s[38:39]
	;; [unrolled: 1-line block ×6, first 2 shown]
	v_ldexp_f64 v[86:87], v[10:11], 1
	v_mul_f64 v[10:11], v[10:11], v[80:81]
	v_mul_f64 v[10:11], v[10:11], v[84:85]
	v_add_f64 v[80:81], v[86:87], v[10:11]
	v_add_f64 v[84:85], v[80:81], -v[86:87]
	v_ldexp_f64 v[8:9], v[8:9], 1
	v_add_f64 v[10:11], v[10:11], -v[84:85]
	v_add_f64 v[8:9], v[8:9], v[10:11]
	v_add_f64 v[10:11], v[80:81], v[8:9]
	v_add_f64 v[80:81], v[10:11], -v[80:81]
	v_add_f64 v[8:9], v[8:9], -v[80:81]
	v_cvt_f64_i32_e32 v[80:81], v75
	v_mul_f64 v[84:85], v[80:81], s[48:49]
	v_fma_f64 v[86:87], v[80:81], s[48:49], -v[84:85]
	v_fmac_f64_e32 v[86:87], s[50:51], v[80:81]
	v_add_f64 v[80:81], v[84:85], v[86:87]
	v_add_f64 v[84:85], v[80:81], -v[84:85]
	v_add_f64 v[84:85], v[86:87], -v[84:85]
	v_add_f64 v[86:87], v[80:81], v[10:11]
	v_add_f64 v[118:119], v[86:87], -v[80:81]
	v_add_f64 v[120:121], v[86:87], -v[118:119]
	v_add_f64 v[80:81], v[80:81], -v[120:121]
	v_add_f64 v[10:11], v[10:11], -v[118:119]
	v_add_f64 v[10:11], v[10:11], v[80:81]
	v_add_f64 v[80:81], v[84:85], v[8:9]
	v_add_f64 v[118:119], v[80:81], -v[84:85]
	v_add_f64 v[120:121], v[80:81], -v[118:119]
	v_add_f64 v[10:11], v[80:81], v[10:11]
	v_add_f64 v[84:85], v[84:85], -v[120:121]
	v_add_f64 v[8:9], v[8:9], -v[118:119]
	v_add_f64 v[80:81], v[86:87], v[10:11]
	v_add_f64 v[8:9], v[8:9], v[84:85]
	v_add_f64 v[84:85], v[80:81], -v[86:87]
	v_add_f64 v[10:11], v[10:11], -v[84:85]
	s_mov_b32 s0, 0
	v_add_f64 v[8:9], v[8:9], v[10:11]
	s_mov_b32 s1, 0x7ff00000
	v_add_f64 v[8:9], v[80:81], v[8:9]
	v_cmp_eq_f64_e32 vcc, s[0:1], v[76:77]
	v_cndmask_b32_e32 v8, v8, v76, vcc
	v_cndmask_b32_e32 v9, v9, v77, vcc
	v_cmp_neq_f64_e32 vcc, 0, v[76:77]
	v_cndmask_b32_e32 v9, v94, v9, vcc
	v_cndmask_b32_e32 v8, 0, v8, vcc
	v_mul_f64 v[78:79], v[76:77], v[4:5]
	v_add_f64 v[80:81], v[6:7], -v[8:9]
	v_frexp_exp_i32_f64_e32 v6, v[4:5]
	v_frexp_mant_f64_e32 v[4:5], v[4:5]
	v_cmp_gt_f64_e32 vcc, s[30:31], v[4:5]
	v_cndmask_b32_e64 v75, v92, 2.0, vcc
	v_mul_f64 v[4:5], v[4:5], v[74:75]
	v_subbrev_co_u32_e32 v75, vcc, 0, v6, vcc
	v_add_f64 v[6:7], v[4:5], 1.0
	v_rcp_f64_e32 v[8:9], v[6:7]
	v_add_f64 v[84:85], v[6:7], -1.0
	v_add_f64 v[10:11], v[4:5], -1.0
	v_add_f64 v[4:5], v[4:5], -v[84:85]
	v_fma_f64 v[84:85], -v[6:7], v[8:9], 1.0
	v_fmac_f64_e32 v[8:9], v[84:85], v[8:9]
	v_fma_f64 v[84:85], -v[6:7], v[8:9], 1.0
	v_fmac_f64_e32 v[8:9], v[84:85], v[8:9]
	v_mul_f64 v[84:85], v[10:11], v[8:9]
	v_mul_f64 v[86:87], v[6:7], v[84:85]
	v_fma_f64 v[6:7], v[84:85], v[6:7], -v[86:87]
	v_fmac_f64_e32 v[6:7], v[84:85], v[4:5]
	v_add_f64 v[4:5], v[86:87], v[6:7]
	v_add_f64 v[118:119], v[10:11], -v[4:5]
	v_add_f64 v[86:87], v[4:5], -v[86:87]
	;; [unrolled: 1-line block ×5, first 2 shown]
	v_add_f64 v[4:5], v[6:7], v[4:5]
	v_add_f64 v[4:5], v[118:119], v[4:5]
	v_mul_f64 v[4:5], v[8:9], v[4:5]
	v_add_f64 v[6:7], v[84:85], v[4:5]
	v_add_f64 v[8:9], v[6:7], -v[84:85]
	v_add_f64 v[4:5], v[4:5], -v[8:9]
	v_mul_f64 v[8:9], v[6:7], v[6:7]
	v_fmac_f64_e32 v[82:83], s[36:37], v[8:9]
	v_fma_f64 v[10:11], v[8:9], v[82:83], s[38:39]
	v_fma_f64 v[10:11], v[8:9], v[10:11], s[40:41]
	;; [unrolled: 1-line block ×5, first 2 shown]
	v_ldexp_f64 v[82:83], v[6:7], 1
	v_mul_f64 v[6:7], v[6:7], v[8:9]
	v_mul_f64 v[6:7], v[6:7], v[10:11]
	v_add_f64 v[8:9], v[82:83], v[6:7]
	v_add_f64 v[10:11], v[8:9], -v[82:83]
	v_ldexp_f64 v[4:5], v[4:5], 1
	v_add_f64 v[6:7], v[6:7], -v[10:11]
	v_add_f64 v[4:5], v[4:5], v[6:7]
	v_add_f64 v[6:7], v[8:9], v[4:5]
	v_add_f64 v[8:9], v[6:7], -v[8:9]
	v_add_f64 v[4:5], v[4:5], -v[8:9]
	v_cvt_f64_i32_e32 v[8:9], v75
	v_mul_f64 v[10:11], v[8:9], s[48:49]
	v_fma_f64 v[82:83], v[8:9], s[48:49], -v[10:11]
	v_fmac_f64_e32 v[82:83], s[50:51], v[8:9]
	v_add_f64 v[8:9], v[10:11], v[82:83]
	v_add_f64 v[10:11], v[8:9], -v[10:11]
	v_add_f64 v[10:11], v[82:83], -v[10:11]
	v_add_f64 v[82:83], v[8:9], v[6:7]
	v_add_f64 v[84:85], v[82:83], -v[8:9]
	v_add_f64 v[86:87], v[82:83], -v[84:85]
	;; [unrolled: 1-line block ×4, first 2 shown]
	v_add_f64 v[6:7], v[6:7], v[8:9]
	v_add_f64 v[8:9], v[10:11], v[4:5]
	v_add_f64 v[84:85], v[8:9], -v[10:11]
	v_add_f64 v[86:87], v[8:9], -v[84:85]
	v_add_f64 v[6:7], v[8:9], v[6:7]
	v_add_f64 v[10:11], v[10:11], -v[86:87]
	v_add_f64 v[4:5], v[4:5], -v[84:85]
	v_add_f64 v[8:9], v[82:83], v[6:7]
	v_add_f64 v[4:5], v[4:5], v[10:11]
	v_add_f64 v[10:11], v[8:9], -v[82:83]
	v_add_f64 v[6:7], v[6:7], -v[10:11]
	v_add_f64 v[4:5], v[4:5], v[6:7]
	s_mov_b32 s19, s16
	v_add_f64 v[82:83], v[8:9], v[4:5]
	s_mov_b64 s[16:17], 0
	s_mov_b64 s[14:15], 0
	v_mov_b32_e32 v117, v17
                                        ; implicit-def: $vgpr75
.LBB94_15:                              ;   Parent Loop BB94_5 Depth=1
                                        ; =>  This Inner Loop Header: Depth=2
	v_add_u32_e32 v118, 1, v15
	v_pk_mov_b32 v[10:11], v[2:3], v[2:3] op_sel:[0,1]
	v_cmp_eq_u32_e32 vcc, 4, v118
	v_pk_mov_b32 v[8:9], v[0:1], v[0:1] op_sel:[0,1]
	v_mov_b32_e32 v87, v0
	v_mov_b32_e32 v86, v1
	;; [unrolled: 1-line block ×4, first 2 shown]
	s_and_saveexec_b64 s[0:1], vcc
	s_cbranch_execz .LBB94_17
; %bb.16:                               ;   in Loop: Header=BB94_15 Depth=2
	v_add_co_u32_e32 v98, vcc, 1, v98
	v_cndmask_b32_e64 v4, 0, 1, vcc
	v_addc_co_u32_e32 v99, vcc, 0, v99, vcc
	v_cmp_eq_u32_e32 vcc, 0, v99
	v_cndmask_b32_e32 v4, 0, v4, vcc
	v_add_u32_e32 v117, v4, v117
	v_cmp_eq_u32_e32 vcc, 0, v117
	v_cndmask_b32_e32 v4, 0, v4, vcc
	v_add_u32_e32 v74, v4, v74
	v_mad_u64_u32 v[4:5], s[2:3], v98, s11, 0
	v_mad_u64_u32 v[6:7], s[2:3], v117, s10, 0
	v_xor_b32_e32 v5, v5, v73
	v_xor_b32_e32 v7, v7, v72
	v_xor_b32_e32 v5, v74, v5
	v_xor_b32_e32 v7, v99, v7
	v_mad_u64_u32 v[10:11], s[2:3], v5, s10, 0
	v_mad_u64_u32 v[8:9], s[2:3], v7, s11, 0
	v_xor_b32_e32 v5, v100, v11
	v_xor_b32_e32 v5, v5, v6
	v_xor_b32_e32 v6, v101, v9
	v_xor_b32_e32 v6, v6, v4
	;; [unrolled: 6-line block ×10, first 2 shown]
	v_mov_b32_e32 v118, 0
	v_mov_b32_e32 v9, v86
	;; [unrolled: 1-line block ×5, first 2 shown]
.LBB94_17:                              ;   in Loop: Header=BB94_15 Depth=2
	s_or_b64 exec, exec, s[0:1]
	v_add_u32_e32 v119, 1, v118
	v_pk_mov_b32 v[4:5], v[8:9], v[8:9] op_sel:[0,1]
	v_cmp_eq_u32_e32 vcc, 4, v119
	v_pk_mov_b32 v[6:7], v[10:11], v[10:11] op_sel:[0,1]
	s_and_saveexec_b64 s[0:1], vcc
	s_cbranch_execz .LBB94_19
; %bb.18:                               ;   in Loop: Header=BB94_15 Depth=2
	v_add_co_u32_e32 v98, vcc, 1, v98
	v_cndmask_b32_e64 v4, 0, 1, vcc
	v_addc_co_u32_e32 v99, vcc, 0, v99, vcc
	v_cmp_eq_u32_e32 vcc, 0, v99
	v_cndmask_b32_e32 v4, 0, v4, vcc
	v_add_u32_e32 v117, v4, v117
	v_cmp_eq_u32_e32 vcc, 0, v117
	v_cndmask_b32_e32 v4, 0, v4, vcc
	v_add_u32_e32 v74, v4, v74
	v_mad_u64_u32 v[4:5], s[2:3], v98, s11, 0
	v_mad_u64_u32 v[6:7], s[2:3], v117, s10, 0
	v_xor_b32_e32 v5, v5, v73
	v_xor_b32_e32 v7, v7, v72
	v_xor_b32_e32 v5, v74, v5
	v_xor_b32_e32 v7, v99, v7
	v_mad_u64_u32 v[86:87], s[2:3], v5, s10, 0
	v_mad_u64_u32 v[84:85], s[2:3], v7, s11, 0
	v_xor_b32_e32 v5, v100, v87
	v_xor_b32_e32 v5, v5, v6
	v_xor_b32_e32 v6, v101, v85
	v_xor_b32_e32 v6, v6, v4
	;; [unrolled: 6-line block ×10, first 2 shown]
	v_mov_b32_e32 v119, 0
	v_mov_b32_e32 v5, v86
	;; [unrolled: 1-line block ×5, first 2 shown]
.LBB94_19:                              ;   in Loop: Header=BB94_15 Depth=2
	s_or_b64 exec, exec, s[0:1]
	v_cmp_eq_u32_e32 vcc, 1, v15
	v_cndmask_b32_e32 v0, v0, v1, vcc
	v_cmp_eq_u32_e32 vcc, 2, v15
	v_cndmask_b32_e32 v0, v0, v2, vcc
	v_cmp_eq_u32_e32 vcc, 3, v15
	v_cndmask_b32_e32 v2, v0, v3, vcc
	v_cmp_eq_u32_e32 vcc, 1, v118
	v_cndmask_b32_e32 v0, v8, v9, vcc
	v_cmp_eq_u32_e32 vcc, 2, v118
	v_cndmask_b32_e32 v0, v0, v10, vcc
	v_cmp_eq_u32_e32 vcc, 3, v118
	v_cndmask_b32_e32 v0, v0, v11, vcc
	v_lshrrev_b32_e32 v0, 11, v0
	v_cvt_f64_u32_e32 v[0:1], v0
	v_ldexp_f64 v[0:1], v[0:1], 32
	v_cvt_f64_u32_e32 v[2:3], v2
	v_add_f64 v[0:1], v[0:1], v[2:3]
	v_mov_b32_e32 v2, 0
	v_mov_b32_e32 v3, 0x3ca00000
	v_fmac_f64_e32 v[2:3], 0x3ca00000, v[0:1]
	v_add_f64 v[0:1], -v[2:3], 1.0
	v_div_scale_f64 v[8:9], s[0:1], v[2:3], v[2:3], v[0:1]
	v_rcp_f64_e32 v[10:11], v[8:9]
	v_fma_f64 v[120:121], -v[8:9], v[10:11], 1.0
	v_fmac_f64_e32 v[10:11], v[10:11], v[120:121]
	v_fma_f64 v[120:121], -v[8:9], v[10:11], 1.0
	v_fmac_f64_e32 v[10:11], v[10:11], v[120:121]
	v_div_scale_f64 v[120:121], vcc, v[0:1], v[2:3], v[0:1]
	v_mul_f64 v[122:123], v[120:121], v[10:11]
	v_fma_f64 v[8:9], -v[8:9], v[122:123], v[120:121]
	s_nop 1
	v_div_fmas_f64 v[8:9], v[8:9], v[10:11], v[122:123]
	v_div_fixup_f64 v[0:1], v[8:9], v[2:3], v[0:1]
	v_frexp_mant_f64_e32 v[2:3], v[0:1]
	v_cmp_gt_f64_e32 vcc, s[30:31], v[2:3]
	v_cndmask_b32_e64 v15, v92, 2.0, vcc
	v_frexp_exp_i32_f64_e32 v8, v[0:1]
	v_mul_f64 v[2:3], v[2:3], v[14:15]
	v_subbrev_co_u32_e32 v15, vcc, 0, v8, vcc
	v_add_f64 v[8:9], v[2:3], 1.0
	v_rcp_f64_e32 v[10:11], v[8:9]
	v_add_f64 v[122:123], v[8:9], -1.0
	v_add_f64 v[120:121], v[2:3], -1.0
	v_add_f64 v[2:3], v[2:3], -v[122:123]
	v_fma_f64 v[122:123], -v[8:9], v[10:11], 1.0
	v_fmac_f64_e32 v[10:11], v[122:123], v[10:11]
	v_fma_f64 v[122:123], -v[8:9], v[10:11], 1.0
	v_fmac_f64_e32 v[10:11], v[122:123], v[10:11]
	v_mul_f64 v[122:123], v[120:121], v[10:11]
	v_mul_f64 v[124:125], v[8:9], v[122:123]
	v_fma_f64 v[8:9], v[122:123], v[8:9], -v[124:125]
	v_fmac_f64_e32 v[8:9], v[122:123], v[2:3]
	v_add_f64 v[2:3], v[124:125], v[8:9]
	v_add_f64 v[126:127], v[120:121], -v[2:3]
	v_add_f64 v[124:125], v[2:3], -v[124:125]
	;; [unrolled: 1-line block ×5, first 2 shown]
	v_add_f64 v[2:3], v[8:9], v[2:3]
	v_add_f64 v[2:3], v[126:127], v[2:3]
	v_mul_f64 v[2:3], v[10:11], v[2:3]
	v_add_f64 v[8:9], v[122:123], v[2:3]
	v_add_f64 v[10:11], v[8:9], -v[122:123]
	v_add_f64 v[2:3], v[2:3], -v[10:11]
	v_mul_f64 v[10:11], v[8:9], v[8:9]
	v_pk_mov_b32 v[120:121], v[18:19], v[18:19] op_sel:[0,1]
	v_fmac_f64_e32 v[120:121], s[36:37], v[10:11]
	v_pk_mov_b32 v[122:123], v[20:21], v[20:21] op_sel:[0,1]
	v_fmac_f64_e32 v[122:123], v[10:11], v[120:121]
	;; [unrolled: 2-line block ×6, first 2 shown]
	v_ldexp_f64 v[120:121], v[8:9], 1
	v_mul_f64 v[8:9], v[8:9], v[10:11]
	v_mul_f64 v[8:9], v[8:9], v[122:123]
	v_add_f64 v[10:11], v[120:121], v[8:9]
	v_add_f64 v[120:121], v[10:11], -v[120:121]
	v_ldexp_f64 v[2:3], v[2:3], 1
	v_add_f64 v[8:9], v[8:9], -v[120:121]
	v_add_f64 v[2:3], v[2:3], v[8:9]
	v_add_f64 v[8:9], v[10:11], v[2:3]
	v_add_f64 v[10:11], v[8:9], -v[10:11]
	v_add_f64 v[2:3], v[2:3], -v[10:11]
	v_cvt_f64_i32_e32 v[10:11], v15
	v_mul_f64 v[120:121], v[10:11], s[48:49]
	v_fma_f64 v[122:123], v[10:11], s[48:49], -v[120:121]
	v_fmac_f64_e32 v[122:123], s[50:51], v[10:11]
	v_add_f64 v[10:11], v[120:121], v[122:123]
	v_add_f64 v[120:121], v[10:11], -v[120:121]
	v_add_f64 v[120:121], v[122:123], -v[120:121]
	v_add_f64 v[122:123], v[10:11], v[8:9]
	v_add_f64 v[124:125], v[122:123], -v[10:11]
	v_add_f64 v[126:127], v[122:123], -v[124:125]
	;; [unrolled: 1-line block ×4, first 2 shown]
	v_add_f64 v[8:9], v[8:9], v[10:11]
	v_add_f64 v[10:11], v[120:121], v[2:3]
	v_add_f64 v[124:125], v[10:11], -v[120:121]
	v_add_f64 v[126:127], v[10:11], -v[124:125]
	v_add_f64 v[8:9], v[10:11], v[8:9]
	v_add_f64 v[120:121], v[120:121], -v[126:127]
	v_add_f64 v[2:3], v[2:3], -v[124:125]
	v_add_f64 v[10:11], v[122:123], v[8:9]
	v_add_f64 v[2:3], v[2:3], v[120:121]
	v_add_f64 v[120:121], v[10:11], -v[122:123]
	v_add_f64 v[8:9], v[8:9], -v[120:121]
	v_add_f64 v[2:3], v[2:3], v[8:9]
	v_add_f64 v[2:3], v[10:11], v[2:3]
	v_cmp_class_f64_e64 vcc, v[0:1], s33
	v_cndmask_b32_e32 v2, v2, v0, vcc
	v_cndmask_b32_e32 v3, v3, v1, vcc
	v_cmp_ngt_f64_e32 vcc, 0, v[0:1]
	v_cndmask_b32_e32 v3, v93, v3, vcc
	v_cmp_nge_f64_e32 vcc, 0, v[0:1]
	v_cndmask_b32_e32 v2, 0, v2, vcc
	v_cmp_neq_f64_e32 vcc, 0, v[0:1]
	v_cndmask_b32_e32 v3, v94, v3, vcc
	v_add_f64 v[0:1], v[78:79], -v[2:3]
	v_div_scale_f64 v[2:3], s[0:1], v[76:77], v[76:77], v[0:1]
	v_rcp_f64_e32 v[8:9], v[2:3]
	v_fma_f64 v[10:11], -v[2:3], v[8:9], 1.0
	v_fmac_f64_e32 v[8:9], v[8:9], v[10:11]
	v_fma_f64 v[10:11], -v[2:3], v[8:9], 1.0
	v_fmac_f64_e32 v[8:9], v[8:9], v[10:11]
	v_div_scale_f64 v[10:11], vcc, v[0:1], v[76:77], v[0:1]
	v_mul_f64 v[120:121], v[10:11], v[8:9]
	v_fma_f64 v[2:3], -v[2:3], v[120:121], v[10:11]
	s_nop 1
	v_div_fmas_f64 v[2:3], v[2:3], v[8:9], v[120:121]
	v_div_fixup_f64 v[10:11], v[2:3], v[76:77], v[0:1]
	v_add_f64 v[0:1], v[10:11], 0.5
	v_floor_f64_e32 v[8:9], v[0:1]
	v_cmp_ngt_f64_e32 vcc, 0, v[8:9]
	v_mov_b32_e32 v120, 2
	s_and_saveexec_b64 s[0:1], vcc
	s_cbranch_execz .LBB94_25
; %bb.20:                               ;   in Loop: Header=BB94_15 Depth=2
	v_add_u32_e32 v15, 1, v119
	v_pk_mov_b32 v[0:1], v[4:5], v[4:5] op_sel:[0,1]
	v_cmp_eq_u32_e32 vcc, 4, v15
	v_pk_mov_b32 v[2:3], v[6:7], v[6:7] op_sel:[0,1]
	s_and_saveexec_b64 s[2:3], vcc
	s_cbranch_execz .LBB94_22
; %bb.21:                               ;   in Loop: Header=BB94_15 Depth=2
	v_add_co_u32_e32 v98, vcc, 1, v98
	v_cndmask_b32_e64 v0, 0, 1, vcc
	v_addc_co_u32_e32 v99, vcc, 0, v99, vcc
	v_cmp_eq_u32_e32 vcc, 0, v99
	v_cndmask_b32_e32 v0, 0, v0, vcc
	v_add_u32_e32 v117, v0, v117
	v_cmp_eq_u32_e32 vcc, 0, v117
	v_cndmask_b32_e32 v0, 0, v0, vcc
	v_add_u32_e32 v74, v0, v74
	v_mad_u64_u32 v[0:1], vcc, v98, s11, 0
	v_mad_u64_u32 v[2:3], vcc, v117, s10, 0
	v_xor_b32_e32 v1, v1, v73
	v_xor_b32_e32 v3, v3, v72
	v_xor_b32_e32 v1, v74, v1
	v_xor_b32_e32 v3, v99, v3
	v_mad_u64_u32 v[86:87], vcc, v1, s10, 0
	v_mad_u64_u32 v[84:85], vcc, v3, s11, 0
	v_xor_b32_e32 v1, v100, v87
	v_xor_b32_e32 v1, v1, v2
	v_xor_b32_e32 v2, v101, v85
	v_xor_b32_e32 v2, v2, v0
	v_mad_u64_u32 v[0:1], vcc, v1, s11, 0
	v_mad_u64_u32 v[2:3], vcc, v2, s10, 0
	v_xor_b32_e32 v1, v103, v1
	v_xor_b32_e32 v3, v102, v3
	v_xor_b32_e32 v1, v1, v84
	v_xor_b32_e32 v3, v3, v86
	v_mad_u64_u32 v[86:87], vcc, v1, s10, 0
	v_mad_u64_u32 v[84:85], vcc, v3, s11, 0
	v_xor_b32_e32 v1, v105, v87
	v_xor_b32_e32 v1, v1, v2
	v_xor_b32_e32 v2, v106, v85
	v_xor_b32_e32 v2, v2, v0
	v_mad_u64_u32 v[0:1], vcc, v1, s11, 0
	v_mad_u64_u32 v[2:3], vcc, v2, s10, 0
	v_xor_b32_e32 v1, v109, v1
	v_xor_b32_e32 v3, v108, v3
	v_xor_b32_e32 v1, v1, v84
	v_xor_b32_e32 v3, v3, v86
	v_mad_u64_u32 v[86:87], vcc, v1, s10, 0
	v_mad_u64_u32 v[84:85], vcc, v3, s11, 0
	v_xor_b32_e32 v1, v110, v87
	v_xor_b32_e32 v1, v1, v2
	v_xor_b32_e32 v2, v111, v85
	v_xor_b32_e32 v2, v2, v0
	v_mad_u64_u32 v[0:1], vcc, v1, s11, 0
	v_mad_u64_u32 v[2:3], vcc, v2, s10, 0
	v_xor_b32_e32 v1, v113, v1
	v_xor_b32_e32 v3, v112, v3
	v_xor_b32_e32 v1, v1, v84
	v_xor_b32_e32 v3, v3, v86
	v_mad_u64_u32 v[86:87], vcc, v1, s10, 0
	v_mad_u64_u32 v[84:85], vcc, v3, s11, 0
	v_xor_b32_e32 v1, v114, v87
	v_xor_b32_e32 v1, v1, v2
	v_xor_b32_e32 v2, v115, v85
	v_xor_b32_e32 v0, v2, v0
	v_mad_u64_u32 v[2:3], vcc, v1, s11, 0
	v_mad_u64_u32 v[0:1], vcc, v0, s10, 0
	v_xor_b32_e32 v1, v104, v1
	v_xor_b32_e32 v3, v116, v3
	v_xor_b32_e32 v1, v1, v86
	v_xor_b32_e32 v3, v3, v84
	v_mad_u64_u32 v[84:85], vcc, v1, s11, 0
	v_mad_u64_u32 v[86:87], vcc, v3, s10, 0
	v_xor_b32_e32 v0, v87, v0
	v_xor_b32_e32 v1, v85, v2
	v_xor_b32_e32 v0, v107, v0
	v_xor_b32_e32 v2, v97, v1
	v_mov_b32_e32 v15, 0
	v_mov_b32_e32 v1, v86
	;; [unrolled: 1-line block ×5, first 2 shown]
.LBB94_22:                              ;   in Loop: Header=BB94_15 Depth=2
	s_or_b64 exec, exec, s[2:3]
	v_add_u32_e32 v118, 1, v15
	v_cmp_eq_u32_e32 vcc, 4, v118
	s_and_saveexec_b64 s[2:3], vcc
	s_cbranch_execz .LBB94_24
; %bb.23:                               ;   in Loop: Header=BB94_15 Depth=2
	v_add_co_u32_e32 v98, vcc, 1, v98
	v_cndmask_b32_e64 v84, 0, 1, vcc
	v_addc_co_u32_e32 v99, vcc, 0, v99, vcc
	v_cmp_eq_u32_e32 vcc, 0, v99
	v_cndmask_b32_e32 v84, 0, v84, vcc
	v_add_u32_e32 v117, v84, v117
	v_cmp_eq_u32_e32 vcc, 0, v117
	v_cndmask_b32_e32 v84, 0, v84, vcc
	v_add_u32_e32 v74, v84, v74
	v_mad_u64_u32 v[84:85], vcc, v98, s11, 0
	v_mad_u64_u32 v[86:87], vcc, v117, s10, 0
	v_xor_b32_e32 v85, v85, v73
	v_xor_b32_e32 v87, v87, v72
	v_xor_b32_e32 v85, v74, v85
	v_xor_b32_e32 v87, v99, v87
	v_mad_u64_u32 v[122:123], vcc, v85, s10, 0
	v_mad_u64_u32 v[120:121], vcc, v87, s11, 0
	v_xor_b32_e32 v85, v100, v123
	v_xor_b32_e32 v85, v85, v86
	v_xor_b32_e32 v86, v101, v121
	v_xor_b32_e32 v86, v86, v84
	;; [unrolled: 6-line block ×9, first 2 shown]
	v_mad_u64_u32 v[84:85], vcc, v84, s11, 0
	v_mad_u64_u32 v[86:87], vcc, v86, s10, 0
	v_xor_b32_e32 v87, v87, v126
	v_xor_b32_e32 v85, v85, v124
	v_mov_b32_e32 v118, 0
	v_xor_b32_e32 v87, v107, v87
	v_xor_b32_e32 v85, v97, v85
.LBB94_24:                              ;   in Loop: Header=BB94_15 Depth=2
	s_or_b64 exec, exec, s[2:3]
	v_cmp_eq_u32_e32 vcc, 1, v119
	v_cndmask_b32_e32 v4, v4, v5, vcc
	v_cmp_eq_u32_e32 vcc, 2, v119
	v_cndmask_b32_e32 v4, v4, v6, vcc
	;; [unrolled: 2-line block ×6, first 2 shown]
	v_lshrrev_b32_e32 v0, 11, v0
	v_cvt_f64_u32_e32 v[0:1], v0
	v_ldexp_f64 v[0:1], v[0:1], 32
	v_cvt_f64_u32_e32 v[2:3], v4
	v_add_f64 v[0:1], v[0:1], v[2:3]
	v_mov_b32_e32 v2, 0
	v_mov_b32_e32 v3, 0x3ca00000
	v_fma_f64 v[4:5], -v[76:77], v[10:11], v[78:79]
	v_fmac_f64_e32 v[2:3], 0x3ca00000, v[0:1]
	v_mul_f64 v[0:1], v[4:5], s[54:55]
	v_rndne_f64_e32 v[0:1], v[0:1]
	s_mov_b32 s56, s48
	v_fma_f64 v[6:7], s[56:57], v[0:1], v[4:5]
	s_mov_b32 s58, s50
	v_fmac_f64_e32 v[6:7], s[58:59], v[0:1]
	v_pk_mov_b32 v[10:11], v[30:31], v[30:31] op_sel:[0,1]
	v_fmac_f64_e32 v[10:11], s[62:63], v[6:7]
	v_pk_mov_b32 v[120:121], v[32:33], v[32:33] op_sel:[0,1]
	;; [unrolled: 2-line block ×9, first 2 shown]
	v_fmac_f64_e32 v[10:11], v[6:7], v[120:121]
	v_fma_f64 v[10:11], v[6:7], v[10:11], 1.0
	v_fma_f64 v[6:7], v[6:7], v[10:11], 1.0
	v_cvt_i32_f64_e32 v0, v[0:1]
	v_ldexp_f64 v[0:1], v[6:7], v0
	v_add_f64 v[0:1], v[0:1], 1.0
	v_cmp_nlt_f64_e32 vcc, s[64:65], v[4:5]
	v_cmp_ngt_f64_e64 s[2:3], s[66:67], v[4:5]
	v_cndmask_b32_e32 v1, v95, v1, vcc
	s_and_b64 vcc, s[2:3], vcc
	v_cndmask_b32_e64 v1, v92, v1, s[2:3]
	v_cndmask_b32_e32 v0, 0, v0, vcc
	v_mul_f64 v[0:1], v[0:1], v[0:1]
	v_div_scale_f64 v[6:7], s[2:3], v[0:1], v[0:1], v[2:3]
	v_rcp_f64_e32 v[10:11], v[6:7]
	s_mov_b32 s47, s31
	v_fma_f64 v[120:121], -v[6:7], v[10:11], 1.0
	v_fmac_f64_e32 v[10:11], v[10:11], v[120:121]
	v_fma_f64 v[120:121], -v[6:7], v[10:11], 1.0
	v_fmac_f64_e32 v[10:11], v[10:11], v[120:121]
	v_div_scale_f64 v[120:121], vcc, v[2:3], v[0:1], v[2:3]
	v_mul_f64 v[122:123], v[120:121], v[10:11]
	v_fma_f64 v[6:7], -v[6:7], v[122:123], v[120:121]
	s_nop 1
	v_div_fmas_f64 v[6:7], v[6:7], v[10:11], v[122:123]
	v_div_fixup_f64 v[2:3], v[6:7], v[0:1], v[2:3]
	v_frexp_mant_f64_e32 v[0:1], v[2:3]
	v_cmp_gt_f64_e32 vcc, s[30:31], v[0:1]
	v_cndmask_b32_e64 v15, v92, 2.0, vcc
	v_frexp_exp_i32_f64_e32 v6, v[2:3]
	v_mul_f64 v[0:1], v[0:1], v[14:15]
	v_subbrev_co_u32_e32 v15, vcc, 0, v6, vcc
	v_add_f64 v[6:7], v[0:1], 1.0
	v_rcp_f64_e32 v[10:11], v[6:7]
	v_add_f64 v[122:123], v[6:7], -1.0
	v_add_f64 v[120:121], v[0:1], -1.0
	v_add_f64 v[0:1], v[0:1], -v[122:123]
	v_fma_f64 v[122:123], -v[6:7], v[10:11], 1.0
	v_fmac_f64_e32 v[10:11], v[122:123], v[10:11]
	v_fma_f64 v[122:123], -v[6:7], v[10:11], 1.0
	v_fmac_f64_e32 v[10:11], v[122:123], v[10:11]
	v_mul_f64 v[122:123], v[120:121], v[10:11]
	v_mul_f64 v[124:125], v[6:7], v[122:123]
	v_fma_f64 v[6:7], v[122:123], v[6:7], -v[124:125]
	v_fmac_f64_e32 v[6:7], v[122:123], v[0:1]
	v_add_f64 v[0:1], v[124:125], v[6:7]
	v_add_f64 v[126:127], v[120:121], -v[0:1]
	v_add_f64 v[124:125], v[0:1], -v[124:125]
	;; [unrolled: 1-line block ×5, first 2 shown]
	v_add_f64 v[0:1], v[6:7], v[0:1]
	v_add_f64 v[0:1], v[126:127], v[0:1]
	v_mul_f64 v[0:1], v[10:11], v[0:1]
	v_add_f64 v[6:7], v[122:123], v[0:1]
	v_add_f64 v[10:11], v[6:7], -v[122:123]
	v_add_f64 v[10:11], v[0:1], -v[10:11]
	v_mul_f64 v[120:121], v[6:7], v[6:7]
	v_pk_mov_b32 v[0:1], s[34:35], s[34:35] op_sel:[0,1]
	v_fma_f64 v[122:123], s[36:37], v[120:121], v[0:1]
	v_fma_f64 v[122:123], v[120:121], v[122:123], s[38:39]
	;; [unrolled: 1-line block ×6, first 2 shown]
	v_ldexp_f64 v[124:125], v[6:7], 1
	v_mul_f64 v[6:7], v[6:7], v[120:121]
	v_mul_f64 v[6:7], v[6:7], v[122:123]
	v_add_f64 v[120:121], v[124:125], v[6:7]
	v_add_f64 v[122:123], v[120:121], -v[124:125]
	v_ldexp_f64 v[10:11], v[10:11], 1
	v_add_f64 v[6:7], v[6:7], -v[122:123]
	v_add_f64 v[6:7], v[10:11], v[6:7]
	v_add_f64 v[10:11], v[120:121], v[6:7]
	v_add_f64 v[120:121], v[10:11], -v[120:121]
	v_add_f64 v[6:7], v[6:7], -v[120:121]
	v_cvt_f64_i32_e32 v[120:121], v15
	v_mul_f64 v[122:123], v[120:121], s[48:49]
	v_fma_f64 v[124:125], v[120:121], s[48:49], -v[122:123]
	v_fmac_f64_e32 v[124:125], s[50:51], v[120:121]
	v_add_f64 v[120:121], v[122:123], v[124:125]
	v_add_f64 v[122:123], v[120:121], -v[122:123]
	v_add_f64 v[122:123], v[124:125], -v[122:123]
	v_add_f64 v[124:125], v[120:121], v[10:11]
	v_add_f64 v[126:127], v[124:125], -v[120:121]
	v_add_f64 v[128:129], v[124:125], -v[126:127]
	;; [unrolled: 1-line block ×4, first 2 shown]
	v_add_f64 v[10:11], v[10:11], v[120:121]
	v_add_f64 v[120:121], v[122:123], v[6:7]
	v_add_f64 v[126:127], v[120:121], -v[122:123]
	v_add_f64 v[128:129], v[120:121], -v[126:127]
	v_add_f64 v[10:11], v[120:121], v[10:11]
	v_add_f64 v[122:123], v[122:123], -v[128:129]
	v_add_f64 v[6:7], v[6:7], -v[126:127]
	v_add_f64 v[120:121], v[124:125], v[10:11]
	v_add_f64 v[6:7], v[6:7], v[122:123]
	v_add_f64 v[122:123], v[120:121], -v[124:125]
	v_add_f64 v[10:11], v[10:11], -v[122:123]
	v_add_f64 v[6:7], v[6:7], v[10:11]
	v_add_f64 v[6:7], v[120:121], v[6:7]
	v_cmp_class_f64_e64 vcc, v[2:3], s33
	v_cndmask_b32_e32 v15, v6, v2, vcc
	v_cndmask_b32_e32 v6, v7, v3, vcc
	v_cmp_neq_f64_e32 vcc, 0, v[2:3]
	v_cndmask_b32_e32 v3, v94, v6, vcc
	v_add_f64 v[6:7], v[8:9], 1.0
	v_add_f64 v[6:7], v[6:7], -1.0
	v_add_f64 v[120:121], v[6:7], s[68:69]
	v_div_scale_f64 v[10:11], s[2:3], v[120:121], v[120:121], s[70:71]
	v_rcp_f64_e32 v[122:123], v[10:11]
	v_cndmask_b32_e32 v2, 0, v15, vcc
	v_add_f64 v[2:3], v[4:5], v[2:3]
	v_fma_f64 v[4:5], v[82:83], v[8:9], v[80:81]
	v_fma_f64 v[124:125], -v[10:11], v[122:123], 1.0
	v_fmac_f64_e32 v[122:123], v[122:123], v[124:125]
	v_fma_f64 v[124:125], -v[10:11], v[122:123], 1.0
	v_fmac_f64_e32 v[122:123], v[122:123], v[124:125]
	v_div_scale_f64 v[124:125], vcc, s[70:71], v[120:121], s[70:71]
	v_mul_f64 v[126:127], v[124:125], v[122:123]
	v_fma_f64 v[124:125], -v[10:11], v[126:127], v[124:125]
	v_add_f64 v[10:11], v[6:7], s[72:73]
	v_div_scale_f64 v[128:129], s[2:3], v[10:11], v[10:11], s[74:75]
	v_rcp_f64_e32 v[130:131], v[128:129]
	v_div_fmas_f64 v[122:123], v[124:125], v[122:123], v[126:127]
	v_div_fixup_f64 v[120:121], v[122:123], v[120:121], s[70:71]
	v_add_f64 v[126:127], v[6:7], s[76:77]
	v_fma_f64 v[122:123], -v[128:129], v[130:131], 1.0
	v_fmac_f64_e32 v[130:131], v[130:131], v[122:123]
	v_fma_f64 v[122:123], -v[128:129], v[130:131], 1.0
	v_fmac_f64_e32 v[130:131], v[130:131], v[122:123]
	v_div_scale_f64 v[122:123], vcc, s[74:75], v[10:11], s[74:75]
	v_mul_f64 v[124:125], v[122:123], v[130:131]
	v_fma_f64 v[122:123], -v[128:129], v[124:125], v[122:123]
	v_div_scale_f64 v[128:129], s[2:3], v[126:127], v[126:127], s[78:79]
	v_rcp_f64_e32 v[132:133], v[128:129]
	v_div_fmas_f64 v[122:123], v[122:123], v[130:131], v[124:125]
	v_add_f64 v[120:121], v[120:121], 0
	v_div_fixup_f64 v[122:123], v[122:123], v[10:11], s[74:75]
	v_add_f64 v[120:121], v[122:123], v[120:121]
	v_fma_f64 v[122:123], -v[128:129], v[132:133], 1.0
	v_fmac_f64_e32 v[132:133], v[132:133], v[122:123]
	v_fma_f64 v[122:123], -v[128:129], v[132:133], 1.0
	v_fmac_f64_e32 v[132:133], v[132:133], v[122:123]
	v_div_scale_f64 v[122:123], vcc, s[78:79], v[126:127], s[78:79]
	v_mul_f64 v[124:125], v[122:123], v[132:133]
	v_fma_f64 v[122:123], -v[128:129], v[124:125], v[122:123]
	v_add_f64 v[128:129], v[6:7], s[80:81]
	v_div_scale_f64 v[130:131], s[2:3], v[128:129], v[128:129], s[82:83]
	v_rcp_f64_e32 v[134:135], v[130:131]
	v_div_fmas_f64 v[122:123], v[122:123], v[132:133], v[124:125]
	v_div_fixup_f64 v[122:123], v[122:123], v[126:127], s[78:79]
	v_add_f64 v[120:121], v[120:121], v[122:123]
	v_fma_f64 v[122:123], -v[130:131], v[134:135], 1.0
	v_fmac_f64_e32 v[134:135], v[134:135], v[122:123]
	v_fma_f64 v[122:123], -v[130:131], v[134:135], 1.0
	v_fmac_f64_e32 v[134:135], v[134:135], v[122:123]
	v_div_scale_f64 v[122:123], vcc, s[82:83], v[128:129], s[82:83]
	v_mul_f64 v[124:125], v[122:123], v[134:135]
	v_add_f64 v[126:127], v[6:7], 4.0
	v_fma_f64 v[122:123], -v[130:131], v[124:125], v[122:123]
	v_div_scale_f64 v[130:131], s[2:3], v[126:127], v[126:127], s[84:85]
	v_rcp_f64_e32 v[132:133], v[130:131]
	v_div_fmas_f64 v[122:123], v[122:123], v[134:135], v[124:125]
	v_div_fixup_f64 v[122:123], v[122:123], v[128:129], s[82:83]
	v_add_f64 v[120:121], v[122:123], v[120:121]
	v_fma_f64 v[122:123], -v[130:131], v[132:133], 1.0
	v_fmac_f64_e32 v[132:133], v[132:133], v[122:123]
	v_fma_f64 v[122:123], -v[130:131], v[132:133], 1.0
	v_fmac_f64_e32 v[132:133], v[132:133], v[122:123]
	v_div_scale_f64 v[122:123], vcc, s[84:85], v[126:127], s[84:85]
	v_mul_f64 v[124:125], v[122:123], v[132:133]
	v_add_f64 v[128:129], v[6:7], s[24:25]
	v_fma_f64 v[122:123], -v[130:131], v[124:125], v[122:123]
	v_div_scale_f64 v[130:131], s[2:3], v[128:129], v[128:129], s[86:87]
	v_rcp_f64_e32 v[134:135], v[130:131]
	v_div_fmas_f64 v[122:123], v[122:123], v[132:133], v[124:125]
	v_div_fixup_f64 v[122:123], v[122:123], v[126:127], s[84:85]
	v_add_f64 v[120:121], v[120:121], v[122:123]
	v_fma_f64 v[122:123], -v[130:131], v[134:135], 1.0
	v_fmac_f64_e32 v[134:135], v[134:135], v[122:123]
	v_fma_f64 v[122:123], -v[130:131], v[134:135], 1.0
	v_fmac_f64_e32 v[134:135], v[134:135], v[122:123]
	v_div_scale_f64 v[122:123], vcc, s[86:87], v[128:129], s[86:87]
	v_mul_f64 v[124:125], v[122:123], v[134:135]
	v_add_f64 v[126:127], v[6:7], 2.0
	v_fma_f64 v[122:123], -v[130:131], v[124:125], v[122:123]
	v_div_scale_f64 v[130:131], s[2:3], v[126:127], v[126:127], s[88:89]
	v_rcp_f64_e32 v[132:133], v[130:131]
	v_div_fmas_f64 v[122:123], v[122:123], v[134:135], v[124:125]
	v_div_fixup_f64 v[122:123], v[122:123], v[128:129], s[86:87]
	v_add_f64 v[120:121], v[122:123], v[120:121]
	v_fma_f64 v[122:123], -v[130:131], v[132:133], 1.0
	v_fmac_f64_e32 v[132:133], v[132:133], v[122:123]
	v_fma_f64 v[122:123], -v[130:131], v[132:133], 1.0
	v_fmac_f64_e32 v[132:133], v[132:133], v[122:123]
	v_div_scale_f64 v[122:123], vcc, s[88:89], v[126:127], s[88:89]
	v_mul_f64 v[124:125], v[122:123], v[132:133]
	v_add_f64 v[128:129], v[6:7], 1.0
	v_fma_f64 v[122:123], -v[130:131], v[124:125], v[122:123]
	v_div_scale_f64 v[130:131], s[2:3], v[128:129], v[128:129], s[90:91]
	v_rcp_f64_e32 v[134:135], v[130:131]
	v_div_fmas_f64 v[122:123], v[122:123], v[132:133], v[124:125]
	v_div_fixup_f64 v[122:123], v[122:123], v[126:127], s[88:89]
	v_add_f64 v[120:121], v[120:121], v[122:123]
	v_fma_f64 v[122:123], -v[130:131], v[134:135], 1.0
	v_fmac_f64_e32 v[134:135], v[134:135], v[122:123]
	v_fma_f64 v[122:123], -v[130:131], v[134:135], 1.0
	v_fmac_f64_e32 v[134:135], v[134:135], v[122:123]
	v_div_scale_f64 v[122:123], vcc, s[90:91], v[128:129], s[90:91]
	v_mul_f64 v[124:125], v[122:123], v[134:135]
	v_fma_f64 v[122:123], -v[130:131], v[124:125], v[122:123]
	v_add_f64 v[10:11], v[10:11], 0.5
	s_nop 0
	v_div_fmas_f64 v[122:123], v[122:123], v[134:135], v[124:125]
	v_div_fixup_f64 v[122:123], v[122:123], v[128:129], s[90:91]
	v_add_f64 v[120:121], v[122:123], v[120:121]
	v_add_f64 v[120:121], v[120:121], s[92:93]
	v_frexp_mant_f64_e32 v[122:123], v[120:121]
	v_cmp_gt_f64_e32 vcc, s[30:31], v[122:123]
	v_cndmask_b32_e64 v15, v92, 2.0, vcc
	v_mul_f64 v[122:123], v[122:123], v[14:15]
	v_add_f64 v[124:125], v[122:123], 1.0
	v_rcp_f64_e32 v[126:127], v[124:125]
	v_add_f64 v[130:131], v[124:125], -1.0
	v_add_f64 v[128:129], v[122:123], -1.0
	v_add_f64 v[122:123], v[122:123], -v[130:131]
	v_fma_f64 v[130:131], -v[124:125], v[126:127], 1.0
	v_fmac_f64_e32 v[126:127], v[130:131], v[126:127]
	v_fma_f64 v[130:131], -v[124:125], v[126:127], 1.0
	v_fmac_f64_e32 v[126:127], v[130:131], v[126:127]
	v_mul_f64 v[130:131], v[128:129], v[126:127]
	v_mul_f64 v[132:133], v[124:125], v[130:131]
	v_fma_f64 v[124:125], v[130:131], v[124:125], -v[132:133]
	v_fmac_f64_e32 v[124:125], v[130:131], v[122:123]
	v_add_f64 v[122:123], v[132:133], v[124:125]
	v_add_f64 v[134:135], v[128:129], -v[122:123]
	v_add_f64 v[132:133], v[122:123], -v[132:133]
	;; [unrolled: 1-line block ×5, first 2 shown]
	v_add_f64 v[122:123], v[124:125], v[122:123]
	v_add_f64 v[122:123], v[134:135], v[122:123]
	v_mul_f64 v[122:123], v[126:127], v[122:123]
	v_add_f64 v[124:125], v[130:131], v[122:123]
	v_add_f64 v[126:127], v[124:125], -v[130:131]
	v_add_f64 v[122:123], v[122:123], -v[126:127]
	v_mul_f64 v[126:127], v[124:125], v[124:125]
	v_fma_f64 v[128:129], s[36:37], v[126:127], v[0:1]
	v_fma_f64 v[128:129], v[126:127], v[128:129], s[38:39]
	;; [unrolled: 1-line block ×6, first 2 shown]
	v_ldexp_f64 v[130:131], v[124:125], 1
	v_mul_f64 v[124:125], v[124:125], v[126:127]
	v_mul_f64 v[124:125], v[124:125], v[128:129]
	v_add_f64 v[126:127], v[130:131], v[124:125]
	v_add_f64 v[128:129], v[126:127], -v[130:131]
	v_ldexp_f64 v[122:123], v[122:123], 1
	v_add_f64 v[124:125], v[124:125], -v[128:129]
	v_add_f64 v[122:123], v[122:123], v[124:125]
	v_frexp_exp_i32_f64_e32 v119, v[120:121]
	v_add_f64 v[124:125], v[126:127], v[122:123]
	v_subbrev_co_u32_e32 v15, vcc, 0, v119, vcc
	v_add_f64 v[126:127], v[124:125], -v[126:127]
	v_add_f64 v[122:123], v[122:123], -v[126:127]
	v_cvt_f64_i32_e32 v[126:127], v15
	v_mul_f64 v[128:129], v[126:127], s[48:49]
	v_fma_f64 v[130:131], v[126:127], s[48:49], -v[128:129]
	v_fmac_f64_e32 v[130:131], s[50:51], v[126:127]
	v_add_f64 v[126:127], v[128:129], v[130:131]
	v_add_f64 v[128:129], v[126:127], -v[128:129]
	v_add_f64 v[128:129], v[130:131], -v[128:129]
	v_add_f64 v[130:131], v[126:127], v[124:125]
	v_add_f64 v[132:133], v[130:131], -v[126:127]
	v_add_f64 v[134:135], v[130:131], -v[132:133]
	;; [unrolled: 1-line block ×4, first 2 shown]
	v_add_f64 v[124:125], v[124:125], v[126:127]
	v_add_f64 v[126:127], v[128:129], v[122:123]
	v_add_f64 v[132:133], v[126:127], -v[128:129]
	v_add_f64 v[134:135], v[126:127], -v[132:133]
	v_add_f64 v[124:125], v[126:127], v[124:125]
	v_add_f64 v[128:129], v[128:129], -v[134:135]
	v_add_f64 v[122:123], v[122:123], -v[132:133]
	v_add_f64 v[126:127], v[130:131], v[124:125]
	v_add_f64 v[122:123], v[122:123], v[128:129]
	v_add_f64 v[128:129], v[126:127], -v[130:131]
	v_add_f64 v[124:125], v[124:125], -v[128:129]
	v_add_f64 v[122:123], v[122:123], v[124:125]
	v_add_f64 v[122:123], v[126:127], v[122:123]
	v_cmp_class_f64_e64 vcc, v[120:121], s33
	v_div_scale_f64 v[124:125], s[2:3], s[20:21], s[20:21], v[10:11]
	v_cndmask_b32_e32 v123, v123, v121, vcc
	v_cndmask_b32_e32 v122, v122, v120, vcc
	v_rcp_f64_e32 v[126:127], v[124:125]
	v_add_f64 v[122:123], v[122:123], s[94:95]
	v_add_f64 v[122:123], v[122:123], s[22:23]
	v_cmp_ngt_f64_e32 vcc, 0, v[120:121]
	v_cndmask_b32_e32 v15, v93, v123, vcc
	v_cmp_nge_f64_e32 vcc, 0, v[120:121]
	v_cndmask_b32_e32 v122, 0, v122, vcc
	v_cmp_neq_f64_e32 vcc, 0, v[120:121]
	v_fma_f64 v[120:121], -v[124:125], v[126:127], 1.0
	v_fmac_f64_e32 v[126:127], v[126:127], v[120:121]
	v_fma_f64 v[120:121], -v[124:125], v[126:127], 1.0
	v_cndmask_b32_e32 v123, v94, v15, vcc
	v_fmac_f64_e32 v[126:127], v[126:127], v[120:121]
	v_div_scale_f64 v[120:121], vcc, v[10:11], s[20:21], v[10:11]
	v_mul_f64 v[128:129], v[120:121], v[126:127]
	v_fma_f64 v[120:121], -v[124:125], v[128:129], v[120:121]
	v_add_f64 v[6:7], v[6:7], 0.5
	s_nop 0
	v_div_fmas_f64 v[120:121], v[120:121], v[126:127], v[128:129]
	v_div_fixup_f64 v[10:11], v[120:121], s[20:21], v[10:11]
	v_frexp_mant_f64_e32 v[120:121], v[10:11]
	v_cmp_gt_f64_e32 vcc, s[30:31], v[120:121]
	v_cndmask_b32_e64 v15, v92, 2.0, vcc
	v_mul_f64 v[120:121], v[120:121], v[14:15]
	v_add_f64 v[124:125], v[120:121], 1.0
	v_rcp_f64_e32 v[126:127], v[124:125]
	v_add_f64 v[130:131], v[124:125], -1.0
	v_add_f64 v[128:129], v[120:121], -1.0
	v_add_f64 v[120:121], v[120:121], -v[130:131]
	v_fma_f64 v[130:131], -v[124:125], v[126:127], 1.0
	v_fmac_f64_e32 v[126:127], v[130:131], v[126:127]
	v_fma_f64 v[130:131], -v[124:125], v[126:127], 1.0
	v_fmac_f64_e32 v[126:127], v[130:131], v[126:127]
	v_mul_f64 v[130:131], v[128:129], v[126:127]
	v_mul_f64 v[132:133], v[124:125], v[130:131]
	v_fma_f64 v[124:125], v[130:131], v[124:125], -v[132:133]
	v_fmac_f64_e32 v[124:125], v[130:131], v[120:121]
	v_add_f64 v[120:121], v[132:133], v[124:125]
	v_add_f64 v[134:135], v[128:129], -v[120:121]
	v_add_f64 v[132:133], v[120:121], -v[132:133]
	;; [unrolled: 1-line block ×5, first 2 shown]
	v_add_f64 v[120:121], v[124:125], v[120:121]
	v_add_f64 v[120:121], v[134:135], v[120:121]
	v_mul_f64 v[120:121], v[126:127], v[120:121]
	v_add_f64 v[124:125], v[130:131], v[120:121]
	v_add_f64 v[126:127], v[124:125], -v[130:131]
	v_add_f64 v[120:121], v[120:121], -v[126:127]
	v_mul_f64 v[126:127], v[124:125], v[124:125]
	v_fmac_f64_e32 v[0:1], s[36:37], v[126:127]
	v_fma_f64 v[0:1], v[126:127], v[0:1], s[38:39]
	v_fma_f64 v[0:1], v[126:127], v[0:1], s[40:41]
	;; [unrolled: 1-line block ×5, first 2 shown]
	v_ldexp_f64 v[128:129], v[124:125], 1
	v_mul_f64 v[124:125], v[124:125], v[126:127]
	v_mul_f64 v[0:1], v[124:125], v[0:1]
	v_add_f64 v[124:125], v[128:129], v[0:1]
	v_add_f64 v[126:127], v[124:125], -v[128:129]
	v_ldexp_f64 v[120:121], v[120:121], 1
	v_add_f64 v[0:1], v[0:1], -v[126:127]
	v_add_f64 v[0:1], v[120:121], v[0:1]
	v_frexp_exp_i32_f64_e32 v119, v[10:11]
	v_add_f64 v[120:121], v[124:125], v[0:1]
	v_subbrev_co_u32_e32 v15, vcc, 0, v119, vcc
	v_add_f64 v[124:125], v[120:121], -v[124:125]
	v_add_f64 v[0:1], v[0:1], -v[124:125]
	v_cvt_f64_i32_e32 v[124:125], v15
	v_mul_f64 v[126:127], v[124:125], s[48:49]
	v_fma_f64 v[128:129], v[124:125], s[48:49], -v[126:127]
	v_fmac_f64_e32 v[128:129], s[50:51], v[124:125]
	v_add_f64 v[124:125], v[126:127], v[128:129]
	v_add_f64 v[126:127], v[124:125], -v[126:127]
	v_add_f64 v[126:127], v[128:129], -v[126:127]
	v_add_f64 v[128:129], v[124:125], v[120:121]
	v_add_f64 v[130:131], v[128:129], -v[124:125]
	v_add_f64 v[132:133], v[128:129], -v[130:131]
	v_add_f64 v[124:125], v[124:125], -v[132:133]
	v_add_f64 v[120:121], v[120:121], -v[130:131]
	v_add_f64 v[120:121], v[120:121], v[124:125]
	v_add_f64 v[124:125], v[126:127], v[0:1]
	v_add_f64 v[130:131], v[124:125], -v[126:127]
	v_add_f64 v[132:133], v[124:125], -v[130:131]
	v_add_f64 v[120:121], v[124:125], v[120:121]
	v_add_f64 v[126:127], v[126:127], -v[132:133]
	v_add_f64 v[0:1], v[0:1], -v[130:131]
	v_add_f64 v[124:125], v[128:129], v[120:121]
	v_add_f64 v[0:1], v[0:1], v[126:127]
	v_add_f64 v[126:127], v[124:125], -v[128:129]
	v_add_f64 v[120:121], v[120:121], -v[126:127]
	v_add_f64 v[0:1], v[0:1], v[120:121]
	v_add_f64 v[0:1], v[124:125], v[0:1]
	v_cmp_class_f64_e64 vcc, v[10:11], s33
	v_cndmask_b32_e32 v0, v0, v10, vcc
	v_cndmask_b32_e32 v1, v1, v11, vcc
	v_cmp_ngt_f64_e32 vcc, 0, v[10:11]
	v_cndmask_b32_e32 v1, v93, v1, vcc
	v_cmp_nge_f64_e32 vcc, 0, v[10:11]
	v_cndmask_b32_e32 v0, 0, v0, vcc
	v_cmp_neq_f64_e32 vcc, 0, v[10:11]
	v_cndmask_b32_e32 v1, v94, v1, vcc
	v_fmac_f64_e32 v[122:123], v[6:7], v[0:1]
	v_add_f64 v[0:1], v[4:5], -v[122:123]
	v_cvt_u32_f64_e32 v4, v[8:9]
	v_cmp_le_f64_e32 vcc, v[2:3], v[0:1]
	v_cndmask_b32_e64 v120, 0, 1, vcc
	v_cndmask_b32_e32 v75, v75, v4, vcc
	v_mov_b32_e32 v119, v118
.LBB94_25:                              ;   in Loop: Header=BB94_15 Depth=2
	s_or_b64 exec, exec, s[0:1]
	v_cmp_gt_i32_e32 vcc, 2, v120
	s_or_b64 s[14:15], vcc, s[14:15]
	v_mov_b32_e32 v15, v119
	v_mov_b32_e32 v0, v87
	v_mov_b32_e32 v1, v86
	v_mov_b32_e32 v2, v85
	v_mov_b32_e32 v3, v84
	s_andn2_b64 exec, exec, s[14:15]
	s_cbranch_execnz .LBB94_15
; %bb.26:                               ;   in Loop: Header=BB94_15 Depth=2
	s_or_b64 exec, exec, s[14:15]
	v_cmp_ne_u32_e32 vcc, 0, v120
	s_or_b64 s[16:17], vcc, s[16:17]
	s_mov_b64 s[14:15], 0
	v_mov_b32_e32 v15, v119
	v_mov_b32_e32 v0, v87
	;; [unrolled: 1-line block ×5, first 2 shown]
	s_andn2_b64 exec, exec, s[16:17]
	s_cbranch_execnz .LBB94_15
; %bb.27:                               ;   in Loop: Header=BB94_5 Depth=1
	s_or_b64 exec, exec, s[16:17]
	s_mov_b32 s16, s19
	v_readlane_b32 s17, v136, 16
                                        ; implicit-def: $vgpr72_vgpr73
                                        ; implicit-def: $vgpr15
                                        ; implicit-def: $vgpr98
                                        ; implicit-def: $vgpr99
                                        ; implicit-def: $vgpr107
                                        ; implicit-def: $vgpr97
                                        ; implicit-def: $vgpr3
                                        ; implicit-def: $vgpr4_vgpr5
                                        ; implicit-def: $vgpr100
                                        ; implicit-def: $vgpr101
                                        ; implicit-def: $vgpr102
                                        ; implicit-def: $vgpr103
                                        ; implicit-def: $vgpr105
                                        ; implicit-def: $vgpr106
                                        ; implicit-def: $vgpr108
                                        ; implicit-def: $vgpr109
                                        ; implicit-def: $vgpr110
                                        ; implicit-def: $vgpr111
                                        ; implicit-def: $vgpr112
                                        ; implicit-def: $vgpr113
                                        ; implicit-def: $vgpr114
                                        ; implicit-def: $vgpr115
                                        ; implicit-def: $vgpr104
                                        ; implicit-def: $vgpr116
.LBB94_28:                              ;   in Loop: Header=BB94_5 Depth=1
	s_andn2_saveexec_b64 s[0:1], s[12:13]
	s_cbranch_execz .LBB94_40
; %bb.29:                               ;   in Loop: Header=BB94_5 Depth=1
	v_add_co_u32_e32 v6, vcc, 1, v98
	v_cndmask_b32_e64 v7, 0, 1, vcc
	v_addc_co_u32_e32 v10, vcc, 0, v99, vcc
	v_cmp_eq_u32_e32 vcc, 0, v10
	v_cndmask_b32_e32 v7, 0, v7, vcc
	v_add_u32_e32 v8, v7, v17
	v_cmp_eq_u32_e32 vcc, 0, v8
	v_cndmask_b32_e32 v11, 0, v7, vcc
	v_mad_u64_u32 v[6:7], s[2:3], v6, s11, 0
	v_mad_u64_u32 v[8:9], s[2:3], v8, s10, 0
	v_xor_b32_e32 v7, v7, v73
	v_xor_b32_e32 v9, v9, v72
	v_xor_b32_e32 v7, v11, v7
	v_xor_b32_e32 v9, v10, v9
	v_mad_u64_u32 v[72:73], s[2:3], v7, s10, 0
	v_mad_u64_u32 v[10:11], s[2:3], v9, s11, 0
	v_xor_b32_e32 v7, v100, v73
	v_xor_b32_e32 v7, v7, v8
	v_xor_b32_e32 v8, v101, v11
	v_xor_b32_e32 v8, v8, v6
	;; [unrolled: 6-line block ×8, first 2 shown]
	v_mad_u64_u32 v[74:75], s[2:3], v7, s11, 0
	v_mad_u64_u32 v[8:9], s[2:3], v6, s10, 0
	v_xor_b32_e32 v6, v116, v75
	v_xor_b32_e32 v6, v6, v10
	v_mad_u64_u32 v[6:7], s[2:3], v6, s10, 0
	v_xor_b32_e32 v7, v7, v8
	v_xor_b32_e32 v10, v107, v7
	v_cmp_lt_i32_e32 vcc, 1, v15
                                        ; implicit-def: $vgpr8
	s_and_saveexec_b64 s[2:3], vcc
	s_xor_b64 s[2:3], exec, s[2:3]
	s_cbranch_execz .LBB94_35
; %bb.30:                               ;   in Loop: Header=BB94_5 Depth=1
	v_cmp_lt_i32_e32 vcc, 2, v15
                                        ; implicit-def: $vgpr8
	s_and_saveexec_b64 s[12:13], vcc
	s_xor_b64 s[12:13], exec, s[12:13]
; %bb.31:                               ;   in Loop: Header=BB94_5 Depth=1
	v_xor_b32_e32 v0, v104, v9
	v_xor_b32_e32 v0, v0, v72
	v_mul_hi_u32 v0, v0, s11
	v_xor_b32_e32 v0, v0, v74
	v_xor_b32_e32 v8, v97, v0
; %bb.32:                               ;   in Loop: Header=BB94_5 Depth=1
	s_andn2_saveexec_b64 s[12:13], s[12:13]
; %bb.33:                               ;   in Loop: Header=BB94_5 Depth=1
	v_mov_b32_e32 v8, v6
	v_mov_b32_e32 v6, v10
	;; [unrolled: 1-line block ×4, first 2 shown]
; %bb.34:                               ;   in Loop: Header=BB94_5 Depth=1
	s_or_b64 exec, exec, s[12:13]
                                        ; implicit-def: $vgpr15
.LBB94_35:                              ;   in Loop: Header=BB94_5 Depth=1
	s_andn2_saveexec_b64 s[2:3], s[2:3]
	s_cbranch_execz .LBB94_39
; %bb.36:                               ;   in Loop: Header=BB94_5 Depth=1
	v_cmp_eq_u32_e32 vcc, 1, v15
	v_mov_b32_e32 v8, v3
	v_mov_b32_e32 v6, v2
	;; [unrolled: 1-line block ×3, first 2 shown]
	s_and_saveexec_b64 s[12:13], vcc
; %bb.37:                               ;   in Loop: Header=BB94_5 Depth=1
	v_mov_b32_e32 v8, v10
	v_mov_b32_e32 v6, v3
	;; [unrolled: 1-line block ×4, first 2 shown]
; %bb.38:                               ;   in Loop: Header=BB94_5 Depth=1
	s_or_b64 exec, exec, s[12:13]
	v_mov_b32_e32 v3, v0
	v_mov_b32_e32 v10, v7
.LBB94_39:                              ;   in Loop: Header=BB94_5 Depth=1
	s_or_b64 exec, exec, s[2:3]
	v_mov_b32_e32 v11, v14
	v_lshlrev_b64 v[0:1], 21, v[10:11]
	v_xor_b32_e32 v2, v0, v3
	v_cvt_f64_u32_e32 v[0:1], v1
	v_ldexp_f64 v[0:1], v[0:1], 32
	v_cvt_f64_u32_e32 v[2:3], v2
	v_add_f64 v[0:1], v[0:1], v[2:3]
	v_mov_b32_e32 v2, 0
	v_mov_b32_e32 v3, 0x3ca00000
	v_fmac_f64_e32 v[2:3], 0x3ca00000, v[0:1]
	v_mov_b32_e32 v9, v14
	v_lshlrev_b64 v[0:1], 21, v[8:9]
	v_frexp_mant_f64_e32 v[8:9], v[2:3]
	v_cmp_gt_f64_e32 vcc, s[30:31], v[8:9]
	v_cndmask_b32_e64 v15, v92, 2.0, vcc
	v_frexp_exp_i32_f64_e32 v10, v[2:3]
	v_mul_f64 v[8:9], v[8:9], v[14:15]
	v_subbrev_co_u32_e32 v15, vcc, 0, v10, vcc
	v_add_f64 v[10:11], v[8:9], 1.0
	v_rcp_f64_e32 v[72:73], v[10:11]
	v_add_f64 v[76:77], v[10:11], -1.0
	v_add_f64 v[74:75], v[8:9], -1.0
	v_add_f64 v[8:9], v[8:9], -v[76:77]
	v_fma_f64 v[76:77], -v[10:11], v[72:73], 1.0
	v_fmac_f64_e32 v[72:73], v[76:77], v[72:73]
	v_fma_f64 v[76:77], -v[10:11], v[72:73], 1.0
	v_fmac_f64_e32 v[72:73], v[76:77], v[72:73]
	v_mul_f64 v[76:77], v[74:75], v[72:73]
	v_mul_f64 v[78:79], v[10:11], v[76:77]
	v_fma_f64 v[10:11], v[76:77], v[10:11], -v[78:79]
	v_fmac_f64_e32 v[10:11], v[76:77], v[8:9]
	v_add_f64 v[8:9], v[78:79], v[10:11]
	v_add_f64 v[80:81], v[74:75], -v[8:9]
	v_add_f64 v[78:79], v[8:9], -v[78:79]
	;; [unrolled: 1-line block ×5, first 2 shown]
	v_add_f64 v[8:9], v[10:11], v[8:9]
	v_add_f64 v[8:9], v[80:81], v[8:9]
	v_mul_f64 v[8:9], v[72:73], v[8:9]
	v_add_f64 v[10:11], v[76:77], v[8:9]
	v_add_f64 v[72:73], v[10:11], -v[76:77]
	v_add_f64 v[8:9], v[8:9], -v[72:73]
	v_mul_f64 v[72:73], v[10:11], v[10:11]
	v_pk_mov_b32 v[74:75], v[18:19], v[18:19] op_sel:[0,1]
	v_fmac_f64_e32 v[74:75], s[36:37], v[72:73]
	v_pk_mov_b32 v[76:77], v[20:21], v[20:21] op_sel:[0,1]
	v_fmac_f64_e32 v[76:77], v[72:73], v[74:75]
	;; [unrolled: 2-line block ×6, first 2 shown]
	v_ldexp_f64 v[74:75], v[10:11], 1
	v_mul_f64 v[10:11], v[10:11], v[72:73]
	v_mul_f64 v[10:11], v[10:11], v[76:77]
	v_add_f64 v[72:73], v[74:75], v[10:11]
	v_add_f64 v[74:75], v[72:73], -v[74:75]
	v_ldexp_f64 v[8:9], v[8:9], 1
	v_add_f64 v[10:11], v[10:11], -v[74:75]
	v_add_f64 v[8:9], v[8:9], v[10:11]
	v_add_f64 v[10:11], v[72:73], v[8:9]
	v_add_f64 v[72:73], v[10:11], -v[72:73]
	v_add_f64 v[8:9], v[8:9], -v[72:73]
	v_cvt_f64_i32_e32 v[72:73], v15
	v_mul_f64 v[74:75], v[72:73], s[48:49]
	v_fma_f64 v[76:77], v[72:73], s[48:49], -v[74:75]
	v_fmac_f64_e32 v[76:77], s[50:51], v[72:73]
	v_add_f64 v[72:73], v[74:75], v[76:77]
	v_add_f64 v[74:75], v[72:73], -v[74:75]
	v_add_f64 v[74:75], v[76:77], -v[74:75]
	v_add_f64 v[76:77], v[72:73], v[10:11]
	v_add_f64 v[78:79], v[76:77], -v[72:73]
	v_add_f64 v[80:81], v[76:77], -v[78:79]
	;; [unrolled: 1-line block ×4, first 2 shown]
	v_add_f64 v[10:11], v[10:11], v[72:73]
	v_add_f64 v[72:73], v[74:75], v[8:9]
	v_add_f64 v[78:79], v[72:73], -v[74:75]
	v_add_f64 v[80:81], v[72:73], -v[78:79]
	v_add_f64 v[10:11], v[72:73], v[10:11]
	v_add_f64 v[74:75], v[74:75], -v[80:81]
	v_add_f64 v[8:9], v[8:9], -v[78:79]
	v_add_f64 v[72:73], v[76:77], v[10:11]
	v_add_f64 v[8:9], v[8:9], v[74:75]
	v_add_f64 v[74:75], v[72:73], -v[76:77]
	v_add_f64 v[10:11], v[10:11], -v[74:75]
	s_mov_b32 s14, 0
	v_add_f64 v[8:9], v[8:9], v[10:11]
	s_mov_b32 s15, 0x7ff00000
	v_add_f64 v[8:9], v[72:73], v[8:9]
	v_cmp_eq_f64_e32 vcc, s[14:15], v[2:3]
	v_cndmask_b32_e32 v9, v9, v3, vcc
	v_cndmask_b32_e32 v8, v8, v2, vcc
	v_mul_f64 v[8:9], v[8:9], -2.0
	v_cmp_neq_f64_e32 vcc, 0, v[2:3]
	s_mov_b32 s2, 0
	v_cndmask_b32_e32 v3, v95, v9, vcc
	v_cndmask_b32_e32 v2, 0, v8, vcc
	s_brev_b32 s3, 8
	v_cmp_gt_f64_e32 vcc, s[2:3], v[2:3]
	v_cndmask_b32_e64 v8, 0, 1, vcc
	v_lshlrev_b32_e32 v8, 8, v8
	v_ldexp_f64 v[2:3], v[2:3], v8
	v_xor_b32_e32 v6, v0, v6
	v_cvt_f64_u32_e32 v[0:1], v1
	v_rsq_f64_e32 v[8:9], v[2:3]
	v_ldexp_f64 v[0:1], v[0:1], 32
	v_cvt_f64_u32_e32 v[6:7], v6
	v_add_f64 v[0:1], v[0:1], v[6:7]
	v_mov_b32_e32 v6, 0
	v_mov_b32_e32 v7, 0x3cb00000
	v_fmac_f64_e32 v[6:7], 0x3cb00000, v[0:1]
	v_mul_f64 v[0:1], v[2:3], v[8:9]
	v_mul_f64 v[8:9], v[8:9], 0.5
	v_fma_f64 v[10:11], -v[8:9], v[0:1], 0.5
	v_fmac_f64_e32 v[0:1], v[0:1], v[10:11]
	v_fma_f64 v[72:73], -v[0:1], v[0:1], v[2:3]
	v_fmac_f64_e32 v[8:9], v[8:9], v[10:11]
	v_fmac_f64_e32 v[0:1], v[72:73], v[8:9]
	v_fma_f64 v[10:11], -v[0:1], v[0:1], v[2:3]
	v_fmac_f64_e32 v[0:1], v[10:11], v[8:9]
	v_cndmask_b32_e32 v8, 0, v91, vcc
	v_ldexp_f64 v[0:1], v[0:1], v8
	v_cmp_class_f64_e32 vcc, v[2:3], v90
	v_cndmask_b32_e32 v1, v1, v3, vcc
	v_cndmask_b32_e32 v0, v0, v2, vcc
	v_mul_f64 v[2:3], v[6:7], 0.5
	v_fract_f64_e32 v[8:9], v[2:3]
	v_add_f64 v[8:9], v[8:9], v[8:9]
	v_cmp_neq_f64_e32 vcc, s[14:15], v[2:3]
	v_cndmask_b32_e32 v2, 0, v8, vcc
	v_cndmask_b32_e32 v3, 0, v9, vcc
	v_cmp_lt_f64_e32 vcc, 1.0, v[6:7]
	v_cndmask_b32_e32 v3, v7, v3, vcc
	v_cndmask_b32_e32 v2, v6, v2, vcc
	v_add_f64 v[8:9], v[2:3], v[2:3]
	v_rndne_f64_e32 v[8:9], v[8:9]
	v_fmac_f64_e32 v[2:3], -0.5, v[8:9]
	s_mov_b32 s12, 0xf99eb0bb
	v_cvt_i32_f64_e32 v15, v[8:9]
	v_mul_f64 v[8:9], v[2:3], v[2:3]
	v_pk_mov_b32 v[10:11], v[48:49], v[48:49] op_sel:[0,1]
	s_mov_b32 s13, 0x3f3e357e
	v_fmac_f64_e32 v[10:11], s[12:13], v[8:9]
	v_pk_mov_b32 v[72:73], v[50:51], v[50:51] op_sel:[0,1]
	v_fmac_f64_e32 v[72:73], v[8:9], v[10:11]
	v_pk_mov_b32 v[10:11], v[52:53], v[52:53] op_sel:[0,1]
	;; [unrolled: 2-line block ×4, first 2 shown]
	v_fmac_f64_e32 v[10:11], v[8:9], v[72:73]
	v_mul_f64 v[72:73], v[2:3], v[8:9]
	s_mov_b32 s12, 0x54442d18
	v_mul_f64 v[10:11], v[72:73], v[10:11]
	s_mov_b32 s13, 0x400921fb
	v_fmac_f64_e32 v[10:11], s[12:13], v[2:3]
	s_mov_b32 s12, 0x2e21c33
	v_pk_mov_b32 v[2:3], v[58:59], v[58:59] op_sel:[0,1]
	s_mov_b32 s13, 0xbf1b1673
	v_fmac_f64_e32 v[2:3], s[12:13], v[8:9]
	v_pk_mov_b32 v[72:73], v[60:61], v[60:61] op_sel:[0,1]
	v_fmac_f64_e32 v[72:73], v[8:9], v[2:3]
	v_pk_mov_b32 v[2:3], v[62:63], v[62:63] op_sel:[0,1]
	;; [unrolled: 2-line block ×5, first 2 shown]
	v_fmac_f64_e32 v[72:73], v[8:9], v[2:3]
	v_fma_f64 v[2:3], v[8:9], v[72:73], 1.0
	v_and_b32_e32 v9, 1, v15
	v_lshlrev_b32_e32 v8, 30, v15
	v_cmp_eq_u32_e32 vcc, 0, v9
	v_cndmask_b32_e32 v10, v2, v10, vcc
	v_cndmask_b32_e32 v2, v3, v11, vcc
	v_xor_b32_e32 v3, v8, v7
	v_and_b32_e32 v3, 0x80000000, v3
	v_cmp_gt_f64_e32 vcc, s[2:3], v[4:5]
	v_xor_b32_e32 v11, v2, v3
	v_cndmask_b32_e64 v2, 0, 1, vcc
	v_lshlrev_b32_e32 v2, 8, v2
	v_ldexp_f64 v[2:3], v[4:5], v2
	v_rsq_f64_e32 v[8:9], v[2:3]
	v_cmp_lg_f64_e64 s[2:3], s[14:15], v[6:7]
	v_cndmask_b32_e64 v6, 0, v10, s[2:3]
	v_cndmask_b32_e64 v7, v93, v11, s[2:3]
	v_mul_f64 v[0:1], v[0:1], v[6:7]
	v_mul_f64 v[6:7], v[2:3], v[8:9]
	v_mul_f64 v[8:9], v[8:9], 0.5
	v_fma_f64 v[10:11], -v[8:9], v[6:7], 0.5
	v_fmac_f64_e32 v[6:7], v[6:7], v[10:11]
	v_fma_f64 v[72:73], -v[6:7], v[6:7], v[2:3]
	v_fmac_f64_e32 v[8:9], v[8:9], v[10:11]
	v_fmac_f64_e32 v[6:7], v[72:73], v[8:9]
	v_fma_f64 v[10:11], -v[6:7], v[6:7], v[2:3]
	v_fmac_f64_e32 v[6:7], v[10:11], v[8:9]
	v_cndmask_b32_e32 v8, 0, v91, vcc
	v_ldexp_f64 v[6:7], v[6:7], v8
	v_cmp_class_f64_e32 vcc, v[2:3], v90
	v_cndmask_b32_e32 v3, v7, v3, vcc
	v_cndmask_b32_e32 v2, v6, v2, vcc
	v_fmac_f64_e32 v[4:5], v[2:3], v[0:1]
	v_trunc_f64_e32 v[0:1], v[4:5]
	v_add_f64 v[2:3], v[4:5], -v[0:1]
	v_cmp_ge_f64_e64 vcc, |v[2:3]|, 0.5
	v_cndmask_b32_e32 v2, 0, v92, vcc
	s_brev_b32 s2, -2
	v_bfi_b32 v15, s2, v2, v5
	v_add_f64 v[0:1], v[0:1], v[14:15]
	v_cvt_u32_f64_e32 v75, v[0:1]
.LBB94_40:                              ;   in Loop: Header=BB94_5 Depth=1
	s_or_b64 exec, exec, s[0:1]
                                        ; implicit-def: $vgpr6
                                        ; implicit-def: $vgpr72_vgpr73
                                        ; implicit-def: $vgpr15
                                        ; implicit-def: $vgpr98
                                        ; implicit-def: $vgpr99
                                        ; implicit-def: $vgpr107
                                        ; implicit-def: $vgpr97
                                        ; implicit-def: $vgpr3
                                        ; implicit-def: $vgpr4_vgpr5
                                        ; implicit-def: $vgpr100
                                        ; implicit-def: $vgpr101
                                        ; implicit-def: $vgpr102
                                        ; implicit-def: $vgpr103
                                        ; implicit-def: $vgpr105
                                        ; implicit-def: $vgpr106
                                        ; implicit-def: $vgpr108
                                        ; implicit-def: $vgpr109
                                        ; implicit-def: $vgpr110
                                        ; implicit-def: $vgpr111
                                        ; implicit-def: $vgpr112
                                        ; implicit-def: $vgpr113
                                        ; implicit-def: $vgpr114
                                        ; implicit-def: $vgpr115
                                        ; implicit-def: $vgpr104
                                        ; implicit-def: $vgpr116
.LBB94_41:                              ;   in Loop: Header=BB94_5 Depth=1
	s_andn2_saveexec_b64 s[0:1], s[6:7]
	s_cbranch_execz .LBB94_3
; %bb.42:                               ;   in Loop: Header=BB94_5 Depth=1
	v_readlane_b32 s2, v136, 14
	v_readlane_b32 s3, v136, 15
	s_mov_b32 s2, s54
	v_mul_f64 v[8:9], v[4:5], s[2:3]
	v_rndne_f64_e32 v[10:11], v[8:9]
	s_mov_b32 s56, s48
	v_fma_f64 v[4:5], v[10:11], s[56:57], -v[4:5]
	s_mov_b32 s58, s50
	v_fmac_f64_e32 v[4:5], s[58:59], v[10:11]
	v_pk_mov_b32 v[8:9], v[30:31], v[30:31] op_sel:[0,1]
	v_fmac_f64_e32 v[8:9], s[62:63], v[4:5]
	v_pk_mov_b32 v[74:75], v[32:33], v[32:33] op_sel:[0,1]
	;; [unrolled: 2-line block ×9, first 2 shown]
	v_fmac_f64_e32 v[76:77], v[4:5], v[74:75]
	v_fma_f64 v[74:75], v[4:5], v[76:77], 1.0
	s_mov_b32 s2, 0xc4800000
	v_fma_f64 v[4:5], v[4:5], v[74:75], 1.0
	v_cvt_i32_f64_e32 v7, v[10:11]
	v_cmp_ngt_f32_e32 vcc, s2, v6
	s_mov_b32 s2, 0x44866000
	s_mov_b32 s7, s3
	v_ldexp_f64 v[4:5], v[4:5], v7
	v_cmp_nlt_f32_e64 s[2:3], s2, v6
	v_mov_b32_e32 v8, 0
	v_cndmask_b32_e32 v5, v95, v5, vcc
	s_and_b64 vcc, s[2:3], vcc
	v_writelane_b32 v136, s6, 14
	v_mov_b32_e32 v9, 0x3ff00000
	v_mov_b32_e32 v78, 0
	v_cndmask_b32_e64 v11, 0, v5, s[2:3]
	v_cndmask_b32_e32 v10, 0, v4, vcc
	s_mov_b32 s12, -1
	s_mov_b64 s[2:3], 0
	v_mov_b32_e32 v79, v17
	v_writelane_b32 v136, s7, 15
	s_branch .LBB94_44
.LBB94_43:                              ;   in Loop: Header=BB94_44 Depth=2
	s_or_b64 exec, exec, s[6:7]
	v_cmp_eq_u32_e32 vcc, 1, v15
	v_cndmask_b32_e32 v0, v0, v1, vcc
	v_cmp_eq_u32_e32 vcc, 2, v15
	v_cndmask_b32_e32 v0, v0, v2, vcc
	;; [unrolled: 2-line block ×6, first 2 shown]
	v_lshrrev_b32_e32 v0, 11, v0
	v_cvt_f64_u32_e32 v[0:1], v0
	v_ldexp_f64 v[0:1], v[0:1], 32
	v_cvt_f64_u32_e32 v[2:3], v2
	v_add_f64 v[0:1], v[0:1], v[2:3]
	v_mov_b32_e32 v2, 0
	v_mov_b32_e32 v3, 0x3ca00000
	v_fmac_f64_e32 v[2:3], 0x3ca00000, v[0:1]
	v_mul_f64 v[8:9], v[8:9], v[2:3]
	v_cmp_ngt_f64_e32 vcc, v[8:9], v[10:11]
	s_add_i32 s12, s12, 1
	s_or_b64 s[2:3], vcc, s[2:3]
	v_mov_b32_e32 v75, s12
	v_mov_b32_e32 v15, v81
	;; [unrolled: 1-line block ×6, first 2 shown]
	s_andn2_b64 exec, exec, s[2:3]
	s_cbranch_execz .LBB94_2
.LBB94_44:                              ;   Parent Loop BB94_5 Depth=1
                                        ; =>  This Inner Loop Header: Depth=2
	v_add_u32_e32 v80, 1, v15
	v_pk_mov_b32 v[6:7], v[2:3], v[2:3] op_sel:[0,1]
	v_cmp_eq_u32_e32 vcc, 4, v80
	v_pk_mov_b32 v[4:5], v[0:1], v[0:1] op_sel:[0,1]
	v_mov_b32_e32 v77, v0
	v_mov_b32_e32 v76, v1
	;; [unrolled: 1-line block ×4, first 2 shown]
	s_and_saveexec_b64 s[6:7], vcc
	s_cbranch_execz .LBB94_46
; %bb.45:                               ;   in Loop: Header=BB94_44 Depth=2
	v_add_co_u32_e32 v98, vcc, 1, v98
	v_cndmask_b32_e64 v4, 0, 1, vcc
	v_addc_co_u32_e32 v99, vcc, 0, v99, vcc
	v_cmp_eq_u32_e32 vcc, 0, v99
	v_cndmask_b32_e32 v4, 0, v4, vcc
	v_add_u32_e32 v79, v4, v79
	v_cmp_eq_u32_e32 vcc, 0, v79
	v_cndmask_b32_e32 v4, 0, v4, vcc
	v_add_u32_e32 v78, v4, v78
	v_mad_u64_u32 v[4:5], s[14:15], v98, s11, 0
	v_mad_u64_u32 v[6:7], s[14:15], v79, s10, 0
	v_xor_b32_e32 v5, v5, v73
	v_xor_b32_e32 v7, v7, v72
	v_xor_b32_e32 v5, v78, v5
	v_xor_b32_e32 v7, v99, v7
	v_mad_u64_u32 v[76:77], s[14:15], v5, s10, 0
	v_mad_u64_u32 v[74:75], s[14:15], v7, s11, 0
	v_xor_b32_e32 v5, v100, v77
	v_xor_b32_e32 v5, v5, v6
	v_xor_b32_e32 v6, v101, v75
	v_xor_b32_e32 v6, v6, v4
	;; [unrolled: 6-line block ×10, first 2 shown]
	v_mov_b32_e32 v80, 0
	v_mov_b32_e32 v5, v76
	;; [unrolled: 1-line block ×5, first 2 shown]
.LBB94_46:                              ;   in Loop: Header=BB94_44 Depth=2
	s_or_b64 exec, exec, s[6:7]
	v_add_u32_e32 v81, 1, v80
	v_cmp_eq_u32_e32 vcc, 4, v81
	s_and_saveexec_b64 s[6:7], vcc
	s_cbranch_execz .LBB94_43
; %bb.47:                               ;   in Loop: Header=BB94_44 Depth=2
	v_add_co_u32_e32 v98, vcc, 1, v98
	v_cndmask_b32_e64 v74, 0, 1, vcc
	v_addc_co_u32_e32 v99, vcc, 0, v99, vcc
	v_cmp_eq_u32_e32 vcc, 0, v99
	v_cndmask_b32_e32 v74, 0, v74, vcc
	v_add_u32_e32 v79, v74, v79
	v_cmp_eq_u32_e32 vcc, 0, v79
	v_cndmask_b32_e32 v74, 0, v74, vcc
	v_add_u32_e32 v78, v74, v78
	v_mad_u64_u32 v[74:75], s[14:15], v98, s11, 0
	v_mad_u64_u32 v[76:77], s[14:15], v79, s10, 0
	v_xor_b32_e32 v75, v75, v73
	v_xor_b32_e32 v77, v77, v72
	v_xor_b32_e32 v75, v78, v75
	v_xor_b32_e32 v77, v99, v77
	v_mad_u64_u32 v[84:85], s[14:15], v75, s10, 0
	v_mad_u64_u32 v[82:83], s[14:15], v77, s11, 0
	v_xor_b32_e32 v75, v100, v85
	v_xor_b32_e32 v75, v75, v76
	v_xor_b32_e32 v76, v101, v83
	v_xor_b32_e32 v76, v76, v74
	;; [unrolled: 6-line block ×9, first 2 shown]
	v_mad_u64_u32 v[74:75], s[14:15], v74, s11, 0
	v_mad_u64_u32 v[76:77], s[14:15], v76, s10, 0
	v_xor_b32_e32 v77, v77, v118
	v_xor_b32_e32 v75, v75, v86
	v_mov_b32_e32 v81, 0
	v_xor_b32_e32 v77, v107, v77
	v_xor_b32_e32 v82, v97, v75
	s_branch .LBB94_43
.LBB94_48:
	s_or_b64 exec, exec, s[4:5]
	s_and_saveexec_b64 s[0:1], s[26:27]
	s_xor_b64 s[0:1], exec, s[0:1]
	s_cbranch_execnz .LBB94_50
.LBB94_49:
	s_endpgm
.LBB94_50:
	s_trap 2
	; divergent unreachable
	s_endpgm
	.section	.rodata,"a",@progbits
	.p2align	6, 0x0
	.amdhsa_kernel _ZN2at4cuda12_GLOBAL__N_121kernelPointwiseApply2IZN12_GLOBAL__N_119poisson_cuda_kernelIN3c108BFloat16EEEvRKNS_10TensorBaseES9_NS_15PhiloxCudaStateEEUlRS6_RKS6_E_S6_S6_jLi2ELi2ELi1ELi512ELi2EEEvNS0_6detail10TensorInfoIT0_T2_EENSG_IT1_SI_EESI_T_
		.amdhsa_group_segment_fixed_size 0
		.amdhsa_private_segment_fixed_size 0
		.amdhsa_kernarg_size 728
		.amdhsa_user_sgpr_count 6
		.amdhsa_user_sgpr_private_segment_buffer 1
		.amdhsa_user_sgpr_dispatch_ptr 0
		.amdhsa_user_sgpr_queue_ptr 0
		.amdhsa_user_sgpr_kernarg_segment_ptr 1
		.amdhsa_user_sgpr_dispatch_id 0
		.amdhsa_user_sgpr_flat_scratch_init 0
		.amdhsa_user_sgpr_kernarg_preload_length 0
		.amdhsa_user_sgpr_kernarg_preload_offset 0
		.amdhsa_user_sgpr_private_segment_size 0
		.amdhsa_uses_dynamic_stack 0
		.amdhsa_system_sgpr_private_segment_wavefront_offset 0
		.amdhsa_system_sgpr_workgroup_id_x 1
		.amdhsa_system_sgpr_workgroup_id_y 0
		.amdhsa_system_sgpr_workgroup_id_z 0
		.amdhsa_system_sgpr_workgroup_info 0
		.amdhsa_system_vgpr_workitem_id 0
		.amdhsa_next_free_vgpr 137
		.amdhsa_next_free_sgpr 96
		.amdhsa_accum_offset 140
		.amdhsa_reserve_vcc 1
		.amdhsa_reserve_flat_scratch 0
		.amdhsa_float_round_mode_32 0
		.amdhsa_float_round_mode_16_64 0
		.amdhsa_float_denorm_mode_32 3
		.amdhsa_float_denorm_mode_16_64 3
		.amdhsa_dx10_clamp 1
		.amdhsa_ieee_mode 1
		.amdhsa_fp16_overflow 0
		.amdhsa_tg_split 0
		.amdhsa_exception_fp_ieee_invalid_op 0
		.amdhsa_exception_fp_denorm_src 0
		.amdhsa_exception_fp_ieee_div_zero 0
		.amdhsa_exception_fp_ieee_overflow 0
		.amdhsa_exception_fp_ieee_underflow 0
		.amdhsa_exception_fp_ieee_inexact 0
		.amdhsa_exception_int_div_zero 0
	.end_amdhsa_kernel
	.section	.text._ZN2at4cuda12_GLOBAL__N_121kernelPointwiseApply2IZN12_GLOBAL__N_119poisson_cuda_kernelIN3c108BFloat16EEEvRKNS_10TensorBaseES9_NS_15PhiloxCudaStateEEUlRS6_RKS6_E_S6_S6_jLi2ELi2ELi1ELi512ELi2EEEvNS0_6detail10TensorInfoIT0_T2_EENSG_IT1_SI_EESI_T_,"axG",@progbits,_ZN2at4cuda12_GLOBAL__N_121kernelPointwiseApply2IZN12_GLOBAL__N_119poisson_cuda_kernelIN3c108BFloat16EEEvRKNS_10TensorBaseES9_NS_15PhiloxCudaStateEEUlRS6_RKS6_E_S6_S6_jLi2ELi2ELi1ELi512ELi2EEEvNS0_6detail10TensorInfoIT0_T2_EENSG_IT1_SI_EESI_T_,comdat
.Lfunc_end94:
	.size	_ZN2at4cuda12_GLOBAL__N_121kernelPointwiseApply2IZN12_GLOBAL__N_119poisson_cuda_kernelIN3c108BFloat16EEEvRKNS_10TensorBaseES9_NS_15PhiloxCudaStateEEUlRS6_RKS6_E_S6_S6_jLi2ELi2ELi1ELi512ELi2EEEvNS0_6detail10TensorInfoIT0_T2_EENSG_IT1_SI_EESI_T_, .Lfunc_end94-_ZN2at4cuda12_GLOBAL__N_121kernelPointwiseApply2IZN12_GLOBAL__N_119poisson_cuda_kernelIN3c108BFloat16EEEvRKNS_10TensorBaseES9_NS_15PhiloxCudaStateEEUlRS6_RKS6_E_S6_S6_jLi2ELi2ELi1ELi512ELi2EEEvNS0_6detail10TensorInfoIT0_T2_EENSG_IT1_SI_EESI_T_
                                        ; -- End function
	.section	.AMDGPU.csdata,"",@progbits
; Kernel info:
; codeLenInByte = 13672
; NumSgprs: 100
; NumVgprs: 137
; NumAgprs: 0
; TotalNumVgprs: 137
; ScratchSize: 0
; MemoryBound: 0
; FloatMode: 240
; IeeeMode: 1
; LDSByteSize: 0 bytes/workgroup (compile time only)
; SGPRBlocks: 12
; VGPRBlocks: 17
; NumSGPRsForWavesPerEU: 100
; NumVGPRsForWavesPerEU: 137
; AccumOffset: 140
; Occupancy: 3
; WaveLimiterHint : 1
; COMPUTE_PGM_RSRC2:SCRATCH_EN: 0
; COMPUTE_PGM_RSRC2:USER_SGPR: 6
; COMPUTE_PGM_RSRC2:TRAP_HANDLER: 0
; COMPUTE_PGM_RSRC2:TGID_X_EN: 1
; COMPUTE_PGM_RSRC2:TGID_Y_EN: 0
; COMPUTE_PGM_RSRC2:TGID_Z_EN: 0
; COMPUTE_PGM_RSRC2:TIDIG_COMP_CNT: 0
; COMPUTE_PGM_RSRC3_GFX90A:ACCUM_OFFSET: 34
; COMPUTE_PGM_RSRC3_GFX90A:TG_SPLIT: 0
	.section	.text._ZN2at4cuda12_GLOBAL__N_121kernelPointwiseApply2IZN12_GLOBAL__N_119poisson_cuda_kernelIN3c108BFloat16EEEvRKNS_10TensorBaseES9_NS_15PhiloxCudaStateEEUlRS6_RKS6_E_S6_S6_jLi2ELin1ELi1ELi512ELi2EEEvNS0_6detail10TensorInfoIT0_T2_EENSG_IT1_SI_EESI_T_,"axG",@progbits,_ZN2at4cuda12_GLOBAL__N_121kernelPointwiseApply2IZN12_GLOBAL__N_119poisson_cuda_kernelIN3c108BFloat16EEEvRKNS_10TensorBaseES9_NS_15PhiloxCudaStateEEUlRS6_RKS6_E_S6_S6_jLi2ELin1ELi1ELi512ELi2EEEvNS0_6detail10TensorInfoIT0_T2_EENSG_IT1_SI_EESI_T_,comdat
	.globl	_ZN2at4cuda12_GLOBAL__N_121kernelPointwiseApply2IZN12_GLOBAL__N_119poisson_cuda_kernelIN3c108BFloat16EEEvRKNS_10TensorBaseES9_NS_15PhiloxCudaStateEEUlRS6_RKS6_E_S6_S6_jLi2ELin1ELi1ELi512ELi2EEEvNS0_6detail10TensorInfoIT0_T2_EENSG_IT1_SI_EESI_T_ ; -- Begin function _ZN2at4cuda12_GLOBAL__N_121kernelPointwiseApply2IZN12_GLOBAL__N_119poisson_cuda_kernelIN3c108BFloat16EEEvRKNS_10TensorBaseES9_NS_15PhiloxCudaStateEEUlRS6_RKS6_E_S6_S6_jLi2ELin1ELi1ELi512ELi2EEEvNS0_6detail10TensorInfoIT0_T2_EENSG_IT1_SI_EESI_T_
	.p2align	8
	.type	_ZN2at4cuda12_GLOBAL__N_121kernelPointwiseApply2IZN12_GLOBAL__N_119poisson_cuda_kernelIN3c108BFloat16EEEvRKNS_10TensorBaseES9_NS_15PhiloxCudaStateEEUlRS6_RKS6_E_S6_S6_jLi2ELin1ELi1ELi512ELi2EEEvNS0_6detail10TensorInfoIT0_T2_EENSG_IT1_SI_EESI_T_,@function
_ZN2at4cuda12_GLOBAL__N_121kernelPointwiseApply2IZN12_GLOBAL__N_119poisson_cuda_kernelIN3c108BFloat16EEEvRKNS_10TensorBaseES9_NS_15PhiloxCudaStateEEUlRS6_RKS6_E_S6_S6_jLi2ELin1ELi1ELi512ELi2EEEvNS0_6detail10TensorInfoIT0_T2_EENSG_IT1_SI_EESI_T_: ; @_ZN2at4cuda12_GLOBAL__N_121kernelPointwiseApply2IZN12_GLOBAL__N_119poisson_cuda_kernelIN3c108BFloat16EEEvRKNS_10TensorBaseES9_NS_15PhiloxCudaStateEEUlRS6_RKS6_E_S6_S6_jLi2ELin1ELi1ELi512ELi2EEEvNS0_6detail10TensorInfoIT0_T2_EENSG_IT1_SI_EESI_T_
; %bb.0:
	s_load_dword s2, s[4:5], 0x1e4
	s_load_dword s33, s[4:5], 0x1b0
	s_add_u32 s0, s4, 0x1d8
	s_addc_u32 s1, s5, 0
	s_waitcnt lgkmcnt(0)
	s_and_b32 s2, s2, 0xffff
	s_mul_i32 s6, s6, s2
	v_add_u32_e32 v17, s6, v0
	v_cmp_gt_u32_e32 vcc, s33, v17
	s_and_saveexec_b64 s[6:7], vcc
	s_cbranch_execz .LBB95_52
; %bb.1:
	s_load_dwordx2 s[18:19], s[4:5], 0x1c8
	s_load_dwordx4 s[8:11], s[4:5], 0x1b8
                                        ; implicit-def: $vgpr134 : SGPR spill to VGPR lane
	s_load_dword s7, s[4:5], 0x1a8
	s_load_dwordx2 s[62:63], s[4:5], 0xd8
	s_add_u32 s6, s4, 0xd8
                                        ; kill: killed $sgpr4 killed $sgpr5
	s_mov_b32 s26, 0
	s_waitcnt lgkmcnt(0)
	v_writelane_b32 v134, s8, 0
	v_writelane_b32 v134, s9, 1
	;; [unrolled: 1-line block ×4, first 2 shown]
	s_load_dword s11, s[0:1], 0x0
	s_load_dword s3, s[4:5], 0x1d0
	;; [unrolled: 1-line block ×3, first 2 shown]
	s_addc_u32 s10, s5, 0
	s_load_dwordx2 s[0:1], s[4:5], 0x0
	s_cmp_gt_i32 s7, 1
	s_mov_b32 s9, 0xcd9e8d57
	s_mov_b32 s34, 0x55555555
	;; [unrolled: 1-line block ×3, first 2 shown]
	s_waitcnt lgkmcnt(0)
	v_writelane_b32 v134, s0, 4
	v_writelane_b32 v134, s1, 5
	s_load_dword s8, s[4:5], 0xc
	s_load_dwordx2 s[0:1], s[4:5], 0x6c
	s_mov_b32 s38, 0xbf559e2b
	s_mov_b32 s40, 0xd7f4df2e
	;; [unrolled: 1-line block ×3, first 2 shown]
	s_waitcnt lgkmcnt(0)
	v_cvt_f32_u32_e32 v0, s8
	v_writelane_b32 v134, s0, 6
	v_writelane_b32 v134, s1, 7
	s_cselect_b64 s[0:1], -1, 0
	v_rcp_iflag_f32_e32 v0, v0
	v_writelane_b32 v134, s0, 8
	v_writelane_b32 v134, s1, 9
	s_getpc_b64 s[0:1]
	s_add_u32 s0, s0, .str@rel32@lo+4
	s_addc_u32 s1, s1, .str@rel32@hi+12
	s_cmp_eq_u64 s[0:1], 0
	s_cselect_b64 s[0:1], -1, 0
	s_bitcmp1_b32 s3, 0
	v_mul_f32_e32 v0, 0x4f7ffffe, v0
	s_cselect_b64 s[4:5], -1, 0
	v_cvt_u32_f32_e32 v0, v0
	v_writelane_b32 v134, s4, 10
	v_writelane_b32 v134, s5, 11
	v_mad_u64_u32 v[12:13], s[4:5], v17, s9, 0
	s_mul_i32 s4, s11, s2
	s_sub_i32 s2, 0, s8
	v_mul_lo_u32 v1, s2, v0
	s_add_i32 s2, s7, 1
	s_mov_b32 s3, 0
	v_writelane_b32 v134, s2, 12
	s_add_i32 s2, s7, -1
	s_lshl_b64 s[2:3], s[2:3], 2
	s_add_u32 s2, s2, s6
	s_addc_u32 s3, s3, s10
	s_add_u32 s2, s2, 8
	s_addc_u32 s3, s3, 0
	v_writelane_b32 v134, s2, 13
	v_writelane_b32 v134, s3, 14
	s_xor_b64 s[0:1], s[0:1], -1
	v_writelane_b32 v134, s0, 15
	v_mul_hi_u32 v1, v0, v1
	s_mov_b32 s44, 0x9b27acf1
	s_mov_b32 s46, 0x998ef7b6
	;; [unrolled: 1-line block ×5, first 2 shown]
	v_writelane_b32 v134, s1, 16
	s_mov_b32 s64, 0x6a5dcb37
	s_mov_b32 s66, 0
	;; [unrolled: 1-line block ×15, first 2 shown]
	s_movk_i32 s94, 0xf950
	s_mov_b32 s24, 0xc864beb5
	s_mov_b32 s22, 0
	s_mov_b32 s28, 0x8b145769
	s_mov_b64 s[16:17], 0
	v_mov_b32_e32 v14, 0
	v_mov_b32_e32 v16, v13
	v_add_u32_e32 v13, v0, v1
	s_mov_b32 s10, 0xd2511f53
	s_mov_b32 s27, 0x40080000
	;; [unrolled: 1-line block ×12, first 2 shown]
	s_movk_i32 s11, 0x204
	s_mov_b32 s57, 0x3ff71547
	s_mov_b32 s59, 0xbfe62e42
	;; [unrolled: 1-line block ×3, first 2 shown]
	v_mov_b32_e32 v18, 0x6b47b09a
	v_mov_b32_e32 v20, 0xd7f4df2e
	;; [unrolled: 1-line block ×27, first 2 shown]
	s_mov_b32 s63, s4
	v_mov_b32_e32 v89, 0x260
	v_mov_b32_e32 v90, 0xffffff80
	;; [unrolled: 1-line block ×33, first 2 shown]
	s_mov_b32 s65, 0x3e5ade15
	s_mov_b32 s67, 0x40900000
	;; [unrolled: 1-line block ×20, first 2 shown]
	v_writelane_b32 v134, s18, 17
                                        ; implicit-def: $sgpr2_sgpr3
                                        ; implicit-def: $sgpr54_sgpr55
	v_writelane_b32 v134, s19, 18
	s_branch .LBB95_5
.LBB95_2:                               ;   in Loop: Header=BB95_5 Depth=1
	s_or_b64 exec, exec, s[0:1]
	s_mov_b32 s30, s13
.LBB95_3:                               ;   in Loop: Header=BB95_5 Depth=1
	s_or_b64 exec, exec, s[4:5]
	v_readlane_b32 s0, v134, 4
	v_cvt_f32_u32_e32 v3, v75
	v_lshlrev_b64 v[0:1], 1, v[70:71]
	v_readlane_b32 s1, v134, 5
	v_mov_b32_e32 v2, s1
	v_add_co_u32_e32 v0, vcc, s0, v0
	v_addc_co_u32_e32 v1, vcc, v2, v1, vcc
	v_add_u32_e32 v95, s63, v95
	v_bfe_u32 v2, v3, 16, 1
	s_movk_i32 s0, 0x7fff
	v_cmp_le_u32_e32 vcc, s33, v95
	v_add3_u32 v2, v3, v2, s0
	s_andn2_b64 s[54:55], s[54:55], exec
	s_orn2_b64 s[0:1], vcc, exec
	global_store_short_d16_hi v[0:1], v2, off
.LBB95_4:                               ;   in Loop: Header=BB95_5 Depth=1
	s_or_b64 exec, exec, s[20:21]
	s_and_b64 s[0:1], exec, s[0:1]
	s_or_b64 s[16:17], s[0:1], s[16:17]
	s_andn2_b64 s[0:1], s[2:3], exec
	s_and_b64 s[2:3], s[54:55], exec
	s_or_b64 s[2:3], s[0:1], s[2:3]
	s_andn2_b64 exec, exec, s[16:17]
	s_cbranch_execz .LBB95_51
.LBB95_5:                               ; =>This Loop Header: Depth=1
                                        ;     Child Loop BB95_10 Depth 2
                                        ;     Child Loop BB95_18 Depth 2
	;; [unrolled: 1-line block ×3, first 2 shown]
	v_sub_u32_e32 v0, s33, v95
	v_cmp_lt_i32_e32 vcc, 0, v0
	v_pk_mov_b32 v[0:1], 0, 0
	v_pk_mov_b32 v[70:71], v[0:1], v[0:1] op_sel:[0,1]
	s_and_saveexec_b64 s[4:5], vcc
	s_cbranch_execz .LBB95_7
; %bb.6:                                ;   in Loop: Header=BB95_5 Depth=1
	v_mul_hi_u32 v2, v95, v13
	v_mul_lo_u32 v3, v2, s8
	v_sub_u32_e32 v3, v95, v3
	v_add_u32_e32 v4, 1, v2
	v_cmp_le_u32_e64 s[0:1], s8, v3
	v_cndmask_b32_e64 v2, v2, v4, s[0:1]
	v_subrev_u32_e32 v4, s8, v3
	v_cndmask_b32_e64 v3, v3, v4, s[0:1]
	v_add_u32_e32 v4, 1, v2
	v_cmp_le_u32_e64 s[0:1], s8, v3
	v_cndmask_b32_e64 v3, v2, v4, s[0:1]
	v_mul_lo_u32 v2, v3, s8
	v_readlane_b32 s0, v134, 6
	v_sub_u32_e32 v2, v95, v2
	v_readlane_b32 s1, v134, 7
	v_mul_lo_u32 v2, v2, s1
	v_mad_u64_u32 v[70:71], s[0:1], v3, s0, v[2:3]
	v_mov_b32_e32 v71, v14
.LBB95_7:                               ;   in Loop: Header=BB95_5 Depth=1
	s_or_b64 exec, exec, s[4:5]
	s_and_saveexec_b64 s[0:1], vcc
	s_cbranch_execz .LBB95_12
; %bb.8:                                ;   in Loop: Header=BB95_5 Depth=1
	v_readlane_b32 s4, v134, 8
	v_readlane_b32 s5, v134, 9
	s_andn2_b64 vcc, exec, s[4:5]
	v_mov_b32_e32 v0, 0
	v_mov_b32_e32 v2, v95
	s_cbranch_vccnz .LBB95_11
; %bb.9:                                ;   in Loop: Header=BB95_5 Depth=1
	v_readlane_b32 s4, v134, 13
	v_mov_b32_e32 v0, 0
	v_readlane_b32 s5, v134, 14
	v_readlane_b32 s6, v134, 12
	v_mov_b32_e32 v2, v95
.LBB95_10:                              ;   Parent Loop BB95_5 Depth=1
                                        ; =>  This Inner Loop Header: Depth=2
	s_load_dword s7, s[4:5], 0x0
	s_load_dword s12, s[4:5], 0x64
	v_mov_b32_e32 v1, v2
	s_add_i32 s6, s6, -1
	s_waitcnt lgkmcnt(0)
	v_cvt_f32_u32_e32 v2, s7
	s_sub_i32 s13, 0, s7
	s_add_u32 s4, s4, -4
	s_addc_u32 s5, s5, -1
	v_rcp_iflag_f32_e32 v2, v2
	s_cmp_gt_u32 s6, 2
	v_mul_f32_e32 v2, 0x4f7ffffe, v2
	v_cvt_u32_f32_e32 v2, v2
	v_mul_lo_u32 v3, s13, v2
	v_mul_hi_u32 v3, v2, v3
	v_add_u32_e32 v2, v2, v3
	v_mul_hi_u32 v2, v1, v2
	v_mul_lo_u32 v3, v2, s7
	v_sub_u32_e32 v3, v1, v3
	v_add_u32_e32 v4, 1, v2
	v_subrev_u32_e32 v5, s7, v3
	v_cmp_le_u32_e32 vcc, s7, v3
	v_cndmask_b32_e32 v2, v2, v4, vcc
	v_cndmask_b32_e32 v3, v3, v5, vcc
	v_add_u32_e32 v4, 1, v2
	v_cmp_le_u32_e32 vcc, s7, v3
	v_cndmask_b32_e32 v2, v2, v4, vcc
	v_mul_lo_u32 v3, v2, s7
	v_sub_u32_e32 v1, v1, v3
	v_mad_u64_u32 v[0:1], s[12:13], s12, v1, v[0:1]
	s_cbranch_scc1 .LBB95_10
.LBB95_11:                              ;   in Loop: Header=BB95_5 Depth=1
	v_mad_u64_u32 v[0:1], s[4:5], s30, v2, v[0:1]
	v_mov_b32_e32 v1, v14
.LBB95_12:                              ;   in Loop: Header=BB95_5 Depth=1
	s_or_b64 exec, exec, s[0:1]
	v_lshlrev_b64 v[0:1], 1, v[0:1]
	v_add_co_u32_e32 v0, vcc, s62, v0
	v_addc_co_u32_e32 v1, vcc, v88, v1, vcc
	global_load_ushort v0, v[0:1], off
	v_readlane_b32 s4, v134, 15
	v_readlane_b32 s5, v134, 16
	s_mov_b64 s[0:1], -1
	s_or_b64 s[54:55], s[54:55], exec
	s_waitcnt vmcnt(0)
	v_lshlrev_b32_e32 v6, 16, v0
	v_cmp_le_f32_e32 vcc, 0, v6
	s_and_b64 s[4:5], s[4:5], vcc
	s_and_saveexec_b64 s[20:21], s[4:5]
	s_cbranch_execz .LBB95_4
; %bb.13:                               ;   in Loop: Header=BB95_5 Depth=1
	v_readlane_b32 s0, v134, 10
	v_readlane_b32 s4, v134, 0
	;; [unrolled: 1-line block ×6, first 2 shown]
	s_andn2_b64 vcc, exec, s[0:1]
	v_pk_mov_b32 v[0:1], s[6:7], s[6:7] op_sel:[0,1]
	v_pk_mov_b32 v[72:73], s[4:5], s[4:5] op_sel:[0,1]
	s_cbranch_vccnz .LBB95_15
; %bb.14:                               ;   in Loop: Header=BB95_5 Depth=1
	v_readlane_b32 s4, v134, 0
	v_readlane_b32 s6, v134, 2
	;; [unrolled: 1-line block ×3, first 2 shown]
	v_pk_mov_b32 v[0:1], s[6:7], s[6:7] op_sel:[0,1]
	v_readlane_b32 s5, v134, 1
	flat_load_dwordx2 v[0:1], v[0:1]
	v_pk_mov_b32 v[2:3], s[4:5], s[4:5] op_sel:[0,1]
	flat_load_dwordx2 v[72:73], v[2:3]
	v_mov_b32_e32 v2, s19
	s_waitcnt vmcnt(0) lgkmcnt(0)
	v_add_co_u32_e32 v0, vcc, s18, v0
	v_addc_co_u32_e32 v1, vcc, v1, v2, vcc
.LBB95_15:                              ;   in Loop: Header=BB95_5 Depth=1
	v_alignbit_b32 v97, v1, v0, 2
	v_and_b32_e32 v15, 3, v0
	v_lshrrev_b32_e32 v98, 2, v1
	v_mad_u64_u32 v[0:1], s[0:1], v97, s10, 0
	v_xor_b32_e32 v3, v16, v72
	v_mov_b32_e32 v2, v73
	v_xor_b32_e32 v1, v1, v73
	s_mov_b32 s0, 0xbb67ae85
	v_xor_b32_e32 v3, v3, v98
	v_add_co_u32_e32 v100, vcc, s0, v2
	v_mad_u64_u32 v[4:5], s[0:1], v3, s10, 0
	v_mad_u64_u32 v[8:9], s[0:1], v1, s9, 0
	v_add_co_u32_e32 v99, vcc, 0x9e3779b9, v72
	v_xor_b32_e32 v1, v12, v9
	v_xor_b32_e32 v3, v100, v5
	s_mov_b32 s0, 0x3c6ef372
	v_xor_b32_e32 v1, v1, v99
	v_xor_b32_e32 v3, v3, v0
	v_add_co_u32_e32 v101, vcc, s0, v72
	s_mov_b32 s0, 0x76cf5d0a
	v_add_co_u32_e32 v102, vcc, s0, v2
	v_mad_u64_u32 v[0:1], s[0:1], v1, s10, 0
	v_mad_u64_u32 v[10:11], s[0:1], v3, s9, 0
	v_xor_b32_e32 v3, v101, v11
	v_xor_b32_e32 v1, v102, v1
	s_mov_b32 s0, 0xdaa66d2b
	v_xor_b32_e32 v3, v3, v8
	v_xor_b32_e32 v1, v1, v4
	v_add_co_u32_e32 v104, vcc, s0, v72
	s_mov_b32 s0, 0x32370b8f
	v_add_co_u32_e32 v105, vcc, s0, v2
	v_mad_u64_u32 v[4:5], s[0:1], v3, s10, 0
	v_mad_u64_u32 v[8:9], s[0:1], v1, s9, 0
	;; [unrolled: 10-line block ×7, first 2 shown]
	v_xor_b32_e32 v1, v103, v1
	v_xor_b32_e32 v3, v115, v3
	;; [unrolled: 1-line block ×4, first 2 shown]
	v_mad_u64_u32 v[4:5], s[0:1], v1, s10, 0
	v_mad_u64_u32 v[8:9], s[0:1], v7, s9, 0
	v_add_u32_e32 v106, 0x8ff34781, v72
	v_add_u32_e32 v96, 0x96a522ad, v73
	v_xor_b32_e32 v0, v9, v0
	v_xor_b32_e32 v2, v5, v2
	s_mov_b32 s0, 0x42800000
	v_mov_b32_e32 v3, v4
	v_mov_b32_e32 v1, v8
	v_xor_b32_e32 v0, v106, v0
	v_xor_b32_e32 v2, v96, v2
	v_cvt_f64_f32_e32 v[4:5], v6
	v_cmp_ngt_f32_e32 vcc, s0, v6
                                        ; implicit-def: $vgpr75
	s_and_saveexec_b64 s[0:1], vcc
	s_xor_b64 s[6:7], exec, s[0:1]
	s_cbranch_execz .LBB95_44
; %bb.16:                               ;   in Loop: Header=BB95_5 Depth=1
	s_mov_b32 s0, 0x457a0000
	v_cmp_ge_f32_e32 vcc, s0, v6
                                        ; implicit-def: $vgpr75
	s_and_saveexec_b64 s[0:1], vcc
	s_xor_b64 s[12:13], exec, s[0:1]
	s_cbranch_execz .LBB95_31
; %bb.17:                               ;   in Loop: Header=BB95_5 Depth=1
	s_mov_b32 s4, 0xae147ae1
	s_mov_b32 s5, 0xc00ae147
	v_div_scale_f64 v[6:7], s[0:1], v[4:5], v[4:5], s[4:5]
	v_rcp_f64_e32 v[8:9], v[6:7]
	s_mov_b32 s0, 0
	v_mul_f64 v[76:77], v[4:5], s[26:27]
	s_brev_b32 s1, 8
	v_cmp_gt_f64_e64 s[0:1], s[0:1], v[76:77]
	v_cndmask_b32_e64 v78, 0, 1, s[0:1]
	v_fma_f64 v[74:75], -v[6:7], v[8:9], 1.0
	v_lshlrev_b32_e32 v78, 8, v78
	v_fmac_f64_e32 v[8:9], v[8:9], v[74:75]
	v_ldexp_f64 v[76:77], v[76:77], v78
	v_fma_f64 v[74:75], -v[6:7], v[8:9], 1.0
	v_rsq_f64_e32 v[78:79], v[76:77]
	v_div_scale_f64 v[10:11], vcc, s[4:5], v[4:5], s[4:5]
	v_fmac_f64_e32 v[8:9], v[8:9], v[74:75]
	v_mul_f64 v[74:75], v[10:11], v[8:9]
	v_fma_f64 v[6:7], -v[6:7], v[74:75], v[10:11]
	s_nop 0
	v_div_fmas_f64 v[6:7], v[6:7], v[8:9], v[74:75]
	v_mul_f64 v[8:9], v[76:77], v[78:79]
	v_mul_f64 v[10:11], v[78:79], 0.5
	v_fma_f64 v[74:75], -v[10:11], v[8:9], 0.5
	v_fmac_f64_e32 v[8:9], v[8:9], v[74:75]
	v_fma_f64 v[78:79], -v[8:9], v[8:9], v[76:77]
	v_fmac_f64_e32 v[10:11], v[10:11], v[74:75]
	v_fmac_f64_e32 v[8:9], v[78:79], v[10:11]
	v_fma_f64 v[74:75], -v[8:9], v[8:9], v[76:77]
	v_fmac_f64_e32 v[8:9], v[74:75], v[10:11]
	v_cndmask_b32_e64 v10, 0, v90, s[0:1]
	v_ldexp_f64 v[8:9], v[8:9], v10
	v_cmp_class_f64_e32 vcc, v[76:77], v89
	s_mov_b32 s14, 0x54442d18
	v_cndmask_b32_e32 v9, v9, v77, vcc
	v_cndmask_b32_e32 v8, v8, v76, vcc
	s_mov_b32 s15, 0x400921fb
	v_div_scale_f64 v[10:11], s[0:1], v[8:9], v[8:9], s[14:15]
	v_rcp_f64_e32 v[76:77], v[10:11]
	s_mov_b32 s0, 0x95810625
	v_div_fixup_f64 v[6:7], v[6:7], v[4:5], s[4:5]
	s_mov_b32 s1, 0x3fe88b43
	v_fma_f64 v[78:79], -v[10:11], v[76:77], 1.0
	v_fmac_f64_e32 v[76:77], v[76:77], v[78:79]
	v_fma_f64 v[78:79], -v[10:11], v[76:77], 1.0
	v_fmac_f64_e32 v[76:77], v[76:77], v[78:79]
	v_div_scale_f64 v[78:79], vcc, s[14:15], v[8:9], s[14:15]
	v_mul_f64 v[80:81], v[78:79], v[76:77]
	v_fma_f64 v[10:11], -v[10:11], v[80:81], v[78:79]
	v_add_f64 v[6:7], v[6:7], s[0:1]
	s_nop 0
	v_div_fmas_f64 v[10:11], v[10:11], v[76:77], v[80:81]
	v_div_fixup_f64 v[76:77], v[10:11], v[8:9], s[14:15]
	v_frexp_mant_f64_e32 v[8:9], v[6:7]
	v_cmp_gt_f64_e32 vcc, s[34:35], v[8:9]
	v_mov_b32_e32 v74, 0
	v_cndmask_b32_e64 v75, v91, 2.0, vcc
	v_frexp_exp_i32_f64_e32 v10, v[6:7]
	v_mul_f64 v[8:9], v[8:9], v[74:75]
	v_subbrev_co_u32_e32 v75, vcc, 0, v10, vcc
	v_add_f64 v[10:11], v[8:9], 1.0
	v_rcp_f64_e32 v[80:81], v[10:11]
	v_add_f64 v[84:85], v[10:11], -1.0
	v_add_f64 v[82:83], v[8:9], -1.0
	v_add_f64 v[8:9], v[8:9], -v[84:85]
	v_fma_f64 v[84:85], -v[10:11], v[80:81], 1.0
	v_fmac_f64_e32 v[80:81], v[84:85], v[80:81]
	v_fma_f64 v[84:85], -v[10:11], v[80:81], 1.0
	v_fmac_f64_e32 v[80:81], v[84:85], v[80:81]
	v_mul_f64 v[84:85], v[82:83], v[80:81]
	v_mul_f64 v[86:87], v[10:11], v[84:85]
	v_fma_f64 v[10:11], v[84:85], v[10:11], -v[86:87]
	v_fmac_f64_e32 v[10:11], v[84:85], v[8:9]
	v_add_f64 v[8:9], v[86:87], v[10:11]
	v_add_f64 v[116:117], v[82:83], -v[8:9]
	v_add_f64 v[86:87], v[8:9], -v[86:87]
	;; [unrolled: 1-line block ×5, first 2 shown]
	v_add_f64 v[8:9], v[10:11], v[8:9]
	v_add_f64 v[8:9], v[116:117], v[8:9]
	v_mul_f64 v[8:9], v[80:81], v[8:9]
	v_add_f64 v[10:11], v[84:85], v[8:9]
	v_add_f64 v[80:81], v[10:11], -v[84:85]
	v_add_f64 v[8:9], v[8:9], -v[80:81]
	v_mul_f64 v[80:81], v[10:11], v[10:11]
	v_pk_mov_b32 v[82:83], s[36:37], s[36:37] op_sel:[0,1]
	v_fma_f64 v[84:85], s[38:39], v[80:81], v[82:83]
	v_fma_f64 v[84:85], v[80:81], v[84:85], s[40:41]
	v_fma_f64 v[84:85], v[80:81], v[84:85], s[42:43]
	v_fma_f64 v[84:85], v[80:81], v[84:85], s[44:45]
	v_fma_f64 v[84:85], v[80:81], v[84:85], s[46:47]
	s_mov_b32 s49, s35
	v_fma_f64 v[84:85], v[80:81], v[84:85], s[48:49]
	v_ldexp_f64 v[86:87], v[10:11], 1
	v_mul_f64 v[10:11], v[10:11], v[80:81]
	v_mul_f64 v[10:11], v[10:11], v[84:85]
	v_add_f64 v[80:81], v[86:87], v[10:11]
	v_add_f64 v[84:85], v[80:81], -v[86:87]
	v_ldexp_f64 v[8:9], v[8:9], 1
	v_add_f64 v[10:11], v[10:11], -v[84:85]
	v_add_f64 v[8:9], v[8:9], v[10:11]
	v_add_f64 v[10:11], v[80:81], v[8:9]
	v_add_f64 v[80:81], v[10:11], -v[80:81]
	v_add_f64 v[8:9], v[8:9], -v[80:81]
	v_cvt_f64_i32_e32 v[80:81], v75
	v_mul_f64 v[84:85], v[80:81], s[50:51]
	v_fma_f64 v[86:87], v[80:81], s[50:51], -v[84:85]
	v_fmac_f64_e32 v[86:87], s[52:53], v[80:81]
	v_add_f64 v[80:81], v[84:85], v[86:87]
	v_add_f64 v[84:85], v[80:81], -v[84:85]
	v_add_f64 v[84:85], v[86:87], -v[84:85]
	v_add_f64 v[86:87], v[80:81], v[10:11]
	v_add_f64 v[116:117], v[86:87], -v[80:81]
	v_add_f64 v[118:119], v[86:87], -v[116:117]
	;; [unrolled: 1-line block ×4, first 2 shown]
	v_add_f64 v[10:11], v[10:11], v[80:81]
	v_add_f64 v[80:81], v[84:85], v[8:9]
	v_add_f64 v[116:117], v[80:81], -v[84:85]
	v_add_f64 v[118:119], v[80:81], -v[116:117]
	v_add_f64 v[10:11], v[80:81], v[10:11]
	v_add_f64 v[84:85], v[84:85], -v[118:119]
	v_add_f64 v[8:9], v[8:9], -v[116:117]
	v_add_f64 v[80:81], v[86:87], v[10:11]
	v_add_f64 v[8:9], v[8:9], v[84:85]
	v_add_f64 v[84:85], v[80:81], -v[86:87]
	v_add_f64 v[10:11], v[10:11], -v[84:85]
	v_add_f64 v[8:9], v[8:9], v[10:11]
	v_add_f64 v[8:9], v[80:81], v[8:9]
	v_cmp_class_f64_e64 vcc, v[6:7], s11
	v_cndmask_b32_e32 v8, v8, v6, vcc
	v_cndmask_b32_e32 v9, v9, v7, vcc
	v_cmp_ngt_f64_e32 vcc, 0, v[6:7]
	v_cndmask_b32_e32 v9, v92, v9, vcc
	v_cmp_nge_f64_e32 vcc, 0, v[6:7]
	v_cndmask_b32_e32 v8, 0, v8, vcc
	v_cmp_neq_f64_e32 vcc, 0, v[6:7]
	v_cndmask_b32_e32 v9, v93, v9, vcc
	v_add_f64 v[6:7], v[8:9], -v[4:5]
	v_frexp_mant_f64_e32 v[8:9], v[76:77]
	v_cmp_gt_f64_e32 vcc, s[34:35], v[8:9]
	v_cndmask_b32_e64 v75, v91, 2.0, vcc
	v_frexp_exp_i32_f64_e32 v10, v[76:77]
	v_mul_f64 v[8:9], v[8:9], v[74:75]
	v_subbrev_co_u32_e32 v75, vcc, 0, v10, vcc
	v_add_f64 v[10:11], v[8:9], 1.0
	v_rcp_f64_e32 v[80:81], v[10:11]
	v_add_f64 v[86:87], v[10:11], -1.0
	v_add_f64 v[84:85], v[8:9], -1.0
	v_add_f64 v[8:9], v[8:9], -v[86:87]
	v_fma_f64 v[86:87], -v[10:11], v[80:81], 1.0
	v_fmac_f64_e32 v[80:81], v[86:87], v[80:81]
	v_fma_f64 v[86:87], -v[10:11], v[80:81], 1.0
	v_fmac_f64_e32 v[80:81], v[86:87], v[80:81]
	v_mul_f64 v[86:87], v[84:85], v[80:81]
	v_mul_f64 v[116:117], v[10:11], v[86:87]
	v_fma_f64 v[10:11], v[86:87], v[10:11], -v[116:117]
	v_fmac_f64_e32 v[10:11], v[86:87], v[8:9]
	v_add_f64 v[8:9], v[116:117], v[10:11]
	v_add_f64 v[118:119], v[84:85], -v[8:9]
	v_add_f64 v[116:117], v[8:9], -v[116:117]
	;; [unrolled: 1-line block ×5, first 2 shown]
	v_add_f64 v[8:9], v[10:11], v[8:9]
	v_add_f64 v[8:9], v[118:119], v[8:9]
	v_mul_f64 v[8:9], v[80:81], v[8:9]
	v_add_f64 v[10:11], v[86:87], v[8:9]
	v_add_f64 v[80:81], v[10:11], -v[86:87]
	v_add_f64 v[8:9], v[8:9], -v[80:81]
	v_mul_f64 v[80:81], v[10:11], v[10:11]
	v_fma_f64 v[84:85], s[38:39], v[80:81], v[82:83]
	v_fma_f64 v[84:85], v[80:81], v[84:85], s[40:41]
	;; [unrolled: 1-line block ×6, first 2 shown]
	v_ldexp_f64 v[86:87], v[10:11], 1
	v_mul_f64 v[10:11], v[10:11], v[80:81]
	v_mul_f64 v[10:11], v[10:11], v[84:85]
	v_add_f64 v[80:81], v[86:87], v[10:11]
	v_add_f64 v[84:85], v[80:81], -v[86:87]
	v_ldexp_f64 v[8:9], v[8:9], 1
	v_add_f64 v[10:11], v[10:11], -v[84:85]
	v_add_f64 v[8:9], v[8:9], v[10:11]
	v_add_f64 v[10:11], v[80:81], v[8:9]
	v_add_f64 v[80:81], v[10:11], -v[80:81]
	v_add_f64 v[8:9], v[8:9], -v[80:81]
	v_cvt_f64_i32_e32 v[80:81], v75
	v_mul_f64 v[84:85], v[80:81], s[50:51]
	v_fma_f64 v[86:87], v[80:81], s[50:51], -v[84:85]
	v_fmac_f64_e32 v[86:87], s[52:53], v[80:81]
	v_add_f64 v[80:81], v[84:85], v[86:87]
	v_add_f64 v[84:85], v[80:81], -v[84:85]
	v_add_f64 v[84:85], v[86:87], -v[84:85]
	v_add_f64 v[86:87], v[80:81], v[10:11]
	v_add_f64 v[116:117], v[86:87], -v[80:81]
	v_add_f64 v[118:119], v[86:87], -v[116:117]
	;; [unrolled: 1-line block ×4, first 2 shown]
	v_add_f64 v[10:11], v[10:11], v[80:81]
	v_add_f64 v[80:81], v[84:85], v[8:9]
	v_add_f64 v[116:117], v[80:81], -v[84:85]
	v_add_f64 v[118:119], v[80:81], -v[116:117]
	v_add_f64 v[10:11], v[80:81], v[10:11]
	v_add_f64 v[84:85], v[84:85], -v[118:119]
	v_add_f64 v[8:9], v[8:9], -v[116:117]
	v_add_f64 v[80:81], v[86:87], v[10:11]
	v_add_f64 v[8:9], v[8:9], v[84:85]
	v_add_f64 v[84:85], v[80:81], -v[86:87]
	v_add_f64 v[10:11], v[10:11], -v[84:85]
	s_mov_b32 s0, 0
	v_add_f64 v[8:9], v[8:9], v[10:11]
	s_mov_b32 s1, 0x7ff00000
	v_add_f64 v[8:9], v[80:81], v[8:9]
	v_cmp_eq_f64_e32 vcc, s[0:1], v[76:77]
	v_cndmask_b32_e32 v8, v8, v76, vcc
	v_cndmask_b32_e32 v9, v9, v77, vcc
	v_cmp_neq_f64_e32 vcc, 0, v[76:77]
	v_cndmask_b32_e32 v9, v93, v9, vcc
	v_cndmask_b32_e32 v8, 0, v8, vcc
	v_mul_f64 v[78:79], v[76:77], v[4:5]
	v_add_f64 v[80:81], v[6:7], -v[8:9]
	v_frexp_exp_i32_f64_e32 v6, v[4:5]
	v_frexp_mant_f64_e32 v[4:5], v[4:5]
	v_cmp_gt_f64_e32 vcc, s[34:35], v[4:5]
	v_cndmask_b32_e64 v75, v91, 2.0, vcc
	v_mul_f64 v[4:5], v[4:5], v[74:75]
	v_subbrev_co_u32_e32 v75, vcc, 0, v6, vcc
	v_add_f64 v[6:7], v[4:5], 1.0
	v_rcp_f64_e32 v[8:9], v[6:7]
	v_add_f64 v[84:85], v[6:7], -1.0
	v_add_f64 v[10:11], v[4:5], -1.0
	v_add_f64 v[4:5], v[4:5], -v[84:85]
	v_fma_f64 v[84:85], -v[6:7], v[8:9], 1.0
	v_fmac_f64_e32 v[8:9], v[84:85], v[8:9]
	v_fma_f64 v[84:85], -v[6:7], v[8:9], 1.0
	v_fmac_f64_e32 v[8:9], v[84:85], v[8:9]
	v_mul_f64 v[84:85], v[10:11], v[8:9]
	v_mul_f64 v[86:87], v[6:7], v[84:85]
	v_fma_f64 v[6:7], v[84:85], v[6:7], -v[86:87]
	v_fmac_f64_e32 v[6:7], v[84:85], v[4:5]
	v_add_f64 v[4:5], v[86:87], v[6:7]
	v_add_f64 v[116:117], v[10:11], -v[4:5]
	v_add_f64 v[86:87], v[4:5], -v[86:87]
	;; [unrolled: 1-line block ×5, first 2 shown]
	v_add_f64 v[4:5], v[6:7], v[4:5]
	v_add_f64 v[4:5], v[116:117], v[4:5]
	v_mul_f64 v[4:5], v[8:9], v[4:5]
	v_add_f64 v[6:7], v[84:85], v[4:5]
	v_add_f64 v[8:9], v[6:7], -v[84:85]
	v_add_f64 v[4:5], v[4:5], -v[8:9]
	v_mul_f64 v[8:9], v[6:7], v[6:7]
	v_fmac_f64_e32 v[82:83], s[38:39], v[8:9]
	v_fma_f64 v[10:11], v[8:9], v[82:83], s[40:41]
	v_fma_f64 v[10:11], v[8:9], v[10:11], s[42:43]
	;; [unrolled: 1-line block ×5, first 2 shown]
	v_ldexp_f64 v[82:83], v[6:7], 1
	v_mul_f64 v[6:7], v[6:7], v[8:9]
	v_mul_f64 v[6:7], v[6:7], v[10:11]
	v_add_f64 v[8:9], v[82:83], v[6:7]
	v_add_f64 v[10:11], v[8:9], -v[82:83]
	v_ldexp_f64 v[4:5], v[4:5], 1
	v_add_f64 v[6:7], v[6:7], -v[10:11]
	v_add_f64 v[4:5], v[4:5], v[6:7]
	v_add_f64 v[6:7], v[8:9], v[4:5]
	v_add_f64 v[8:9], v[6:7], -v[8:9]
	v_add_f64 v[4:5], v[4:5], -v[8:9]
	v_cvt_f64_i32_e32 v[8:9], v75
	v_mul_f64 v[10:11], v[8:9], s[50:51]
	v_fma_f64 v[82:83], v[8:9], s[50:51], -v[10:11]
	v_fmac_f64_e32 v[82:83], s[52:53], v[8:9]
	v_add_f64 v[8:9], v[10:11], v[82:83]
	v_add_f64 v[10:11], v[8:9], -v[10:11]
	v_add_f64 v[10:11], v[82:83], -v[10:11]
	v_add_f64 v[82:83], v[8:9], v[6:7]
	v_add_f64 v[84:85], v[82:83], -v[8:9]
	v_add_f64 v[86:87], v[82:83], -v[84:85]
	;; [unrolled: 1-line block ×4, first 2 shown]
	v_add_f64 v[6:7], v[6:7], v[8:9]
	v_add_f64 v[8:9], v[10:11], v[4:5]
	v_add_f64 v[84:85], v[8:9], -v[10:11]
	v_add_f64 v[86:87], v[8:9], -v[84:85]
	v_add_f64 v[6:7], v[8:9], v[6:7]
	v_add_f64 v[10:11], v[10:11], -v[86:87]
	v_add_f64 v[4:5], v[4:5], -v[84:85]
	v_add_f64 v[8:9], v[82:83], v[6:7]
	v_add_f64 v[4:5], v[4:5], v[10:11]
	v_add_f64 v[10:11], v[8:9], -v[82:83]
	v_add_f64 v[6:7], v[6:7], -v[10:11]
	v_add_f64 v[4:5], v[4:5], v[6:7]
	v_add_f64 v[82:83], v[8:9], v[4:5]
	s_mov_b64 s[14:15], 0
	s_mov_b64 s[4:5], 0
	v_mov_b32_e32 v116, v17
                                        ; implicit-def: $vgpr75
.LBB95_18:                              ;   Parent Loop BB95_5 Depth=1
                                        ; =>  This Inner Loop Header: Depth=2
	v_add_u32_e32 v117, 1, v15
	v_pk_mov_b32 v[10:11], v[2:3], v[2:3] op_sel:[0,1]
	v_cmp_eq_u32_e32 vcc, 4, v117
	v_pk_mov_b32 v[8:9], v[0:1], v[0:1] op_sel:[0,1]
	v_mov_b32_e32 v87, v0
	v_mov_b32_e32 v86, v1
	v_mov_b32_e32 v85, v2
	v_mov_b32_e32 v84, v3
	s_and_saveexec_b64 s[0:1], vcc
	s_cbranch_execz .LBB95_20
; %bb.19:                               ;   in Loop: Header=BB95_18 Depth=2
	v_add_co_u32_e32 v97, vcc, 1, v97
	v_cndmask_b32_e64 v4, 0, 1, vcc
	v_addc_co_u32_e32 v98, vcc, 0, v98, vcc
	v_cmp_eq_u32_e32 vcc, 0, v98
	v_cndmask_b32_e32 v4, 0, v4, vcc
	v_add_u32_e32 v116, v4, v116
	v_cmp_eq_u32_e32 vcc, 0, v116
	v_cndmask_b32_e32 v4, 0, v4, vcc
	v_add_u32_e32 v74, v4, v74
	v_mad_u64_u32 v[4:5], s[18:19], v97, s10, 0
	v_mad_u64_u32 v[6:7], s[18:19], v116, s9, 0
	v_xor_b32_e32 v5, v5, v73
	v_xor_b32_e32 v7, v7, v72
	v_xor_b32_e32 v5, v74, v5
	v_xor_b32_e32 v7, v98, v7
	v_mad_u64_u32 v[10:11], s[18:19], v5, s9, 0
	v_mad_u64_u32 v[8:9], s[18:19], v7, s10, 0
	v_xor_b32_e32 v5, v99, v11
	v_xor_b32_e32 v5, v5, v6
	v_xor_b32_e32 v6, v100, v9
	v_xor_b32_e32 v6, v6, v4
	;; [unrolled: 6-line block ×10, first 2 shown]
	v_mov_b32_e32 v117, 0
	v_mov_b32_e32 v9, v86
	;; [unrolled: 1-line block ×5, first 2 shown]
.LBB95_20:                              ;   in Loop: Header=BB95_18 Depth=2
	s_or_b64 exec, exec, s[0:1]
	v_add_u32_e32 v118, 1, v117
	v_pk_mov_b32 v[4:5], v[8:9], v[8:9] op_sel:[0,1]
	v_cmp_eq_u32_e32 vcc, 4, v118
	v_pk_mov_b32 v[6:7], v[10:11], v[10:11] op_sel:[0,1]
	s_and_saveexec_b64 s[0:1], vcc
	s_cbranch_execz .LBB95_22
; %bb.21:                               ;   in Loop: Header=BB95_18 Depth=2
	v_add_co_u32_e32 v97, vcc, 1, v97
	v_cndmask_b32_e64 v4, 0, 1, vcc
	v_addc_co_u32_e32 v98, vcc, 0, v98, vcc
	v_cmp_eq_u32_e32 vcc, 0, v98
	v_cndmask_b32_e32 v4, 0, v4, vcc
	v_add_u32_e32 v116, v4, v116
	v_cmp_eq_u32_e32 vcc, 0, v116
	v_cndmask_b32_e32 v4, 0, v4, vcc
	v_add_u32_e32 v74, v4, v74
	v_mad_u64_u32 v[4:5], s[18:19], v97, s10, 0
	v_mad_u64_u32 v[6:7], s[18:19], v116, s9, 0
	v_xor_b32_e32 v5, v5, v73
	v_xor_b32_e32 v7, v7, v72
	v_xor_b32_e32 v5, v74, v5
	v_xor_b32_e32 v7, v98, v7
	v_mad_u64_u32 v[86:87], s[18:19], v5, s9, 0
	v_mad_u64_u32 v[84:85], s[18:19], v7, s10, 0
	v_xor_b32_e32 v5, v99, v87
	v_xor_b32_e32 v5, v5, v6
	v_xor_b32_e32 v6, v100, v85
	v_xor_b32_e32 v6, v6, v4
	v_mad_u64_u32 v[4:5], s[18:19], v5, s10, 0
	v_mad_u64_u32 v[6:7], s[18:19], v6, s9, 0
	v_xor_b32_e32 v5, v102, v5
	v_xor_b32_e32 v7, v101, v7
	v_xor_b32_e32 v5, v5, v84
	v_xor_b32_e32 v7, v7, v86
	v_mad_u64_u32 v[86:87], s[18:19], v5, s9, 0
	v_mad_u64_u32 v[84:85], s[18:19], v7, s10, 0
	v_xor_b32_e32 v5, v104, v87
	v_xor_b32_e32 v5, v5, v6
	v_xor_b32_e32 v6, v105, v85
	v_xor_b32_e32 v6, v6, v4
	v_mad_u64_u32 v[4:5], s[18:19], v5, s10, 0
	v_mad_u64_u32 v[6:7], s[18:19], v6, s9, 0
	v_xor_b32_e32 v5, v108, v5
	v_xor_b32_e32 v7, v107, v7
	v_xor_b32_e32 v5, v5, v84
	v_xor_b32_e32 v7, v7, v86
	v_mad_u64_u32 v[86:87], s[18:19], v5, s9, 0
	v_mad_u64_u32 v[84:85], s[18:19], v7, s10, 0
	v_xor_b32_e32 v5, v109, v87
	v_xor_b32_e32 v5, v5, v6
	v_xor_b32_e32 v6, v110, v85
	v_xor_b32_e32 v6, v6, v4
	v_mad_u64_u32 v[4:5], s[18:19], v5, s10, 0
	v_mad_u64_u32 v[6:7], s[18:19], v6, s9, 0
	v_xor_b32_e32 v5, v112, v5
	v_xor_b32_e32 v7, v111, v7
	v_xor_b32_e32 v5, v5, v84
	v_xor_b32_e32 v7, v7, v86
	v_mad_u64_u32 v[86:87], s[18:19], v5, s9, 0
	v_mad_u64_u32 v[84:85], s[18:19], v7, s10, 0
	v_xor_b32_e32 v5, v113, v87
	v_xor_b32_e32 v5, v5, v6
	v_xor_b32_e32 v6, v114, v85
	v_xor_b32_e32 v4, v6, v4
	v_mad_u64_u32 v[6:7], s[18:19], v5, s10, 0
	v_mad_u64_u32 v[4:5], s[18:19], v4, s9, 0
	v_xor_b32_e32 v5, v103, v5
	v_xor_b32_e32 v7, v115, v7
	v_xor_b32_e32 v5, v5, v86
	v_xor_b32_e32 v7, v7, v84
	v_mad_u64_u32 v[84:85], s[18:19], v5, s10, 0
	v_mad_u64_u32 v[86:87], s[18:19], v7, s9, 0
	v_xor_b32_e32 v4, v87, v4
	v_xor_b32_e32 v5, v85, v6
	v_xor_b32_e32 v4, v106, v4
	v_xor_b32_e32 v6, v96, v5
	v_mov_b32_e32 v118, 0
	v_mov_b32_e32 v5, v86
	;; [unrolled: 1-line block ×5, first 2 shown]
.LBB95_22:                              ;   in Loop: Header=BB95_18 Depth=2
	s_or_b64 exec, exec, s[0:1]
	v_cmp_eq_u32_e32 vcc, 1, v15
	v_cndmask_b32_e32 v0, v0, v1, vcc
	v_cmp_eq_u32_e32 vcc, 2, v15
	v_cndmask_b32_e32 v0, v0, v2, vcc
	;; [unrolled: 2-line block ×6, first 2 shown]
	v_lshrrev_b32_e32 v0, 11, v0
	v_cvt_f64_u32_e32 v[0:1], v0
	v_ldexp_f64 v[0:1], v[0:1], 32
	v_cvt_f64_u32_e32 v[2:3], v2
	v_add_f64 v[0:1], v[0:1], v[2:3]
	v_mov_b32_e32 v2, 0
	v_mov_b32_e32 v3, 0x3ca00000
	v_fmac_f64_e32 v[2:3], 0x3ca00000, v[0:1]
	v_add_f64 v[0:1], -v[2:3], 1.0
	v_div_scale_f64 v[8:9], s[0:1], v[2:3], v[2:3], v[0:1]
	v_rcp_f64_e32 v[10:11], v[8:9]
	v_mov_b32_e32 v119, 2
	v_fma_f64 v[120:121], -v[8:9], v[10:11], 1.0
	v_fmac_f64_e32 v[10:11], v[10:11], v[120:121]
	v_fma_f64 v[120:121], -v[8:9], v[10:11], 1.0
	v_fmac_f64_e32 v[10:11], v[10:11], v[120:121]
	v_div_scale_f64 v[120:121], vcc, v[0:1], v[2:3], v[0:1]
	v_mul_f64 v[122:123], v[120:121], v[10:11]
	v_fma_f64 v[8:9], -v[8:9], v[122:123], v[120:121]
	s_nop 1
	v_div_fmas_f64 v[8:9], v[8:9], v[10:11], v[122:123]
	v_div_fixup_f64 v[0:1], v[8:9], v[2:3], v[0:1]
	v_frexp_mant_f64_e32 v[2:3], v[0:1]
	v_cmp_gt_f64_e32 vcc, s[34:35], v[2:3]
	v_cndmask_b32_e64 v15, v91, 2.0, vcc
	v_frexp_exp_i32_f64_e32 v8, v[0:1]
	v_mul_f64 v[2:3], v[2:3], v[14:15]
	v_subbrev_co_u32_e32 v15, vcc, 0, v8, vcc
	v_add_f64 v[8:9], v[2:3], 1.0
	v_rcp_f64_e32 v[10:11], v[8:9]
	v_add_f64 v[122:123], v[8:9], -1.0
	v_add_f64 v[120:121], v[2:3], -1.0
	v_add_f64 v[2:3], v[2:3], -v[122:123]
	v_fma_f64 v[122:123], -v[8:9], v[10:11], 1.0
	v_fmac_f64_e32 v[10:11], v[122:123], v[10:11]
	v_fma_f64 v[122:123], -v[8:9], v[10:11], 1.0
	v_fmac_f64_e32 v[10:11], v[122:123], v[10:11]
	v_mul_f64 v[122:123], v[120:121], v[10:11]
	v_mul_f64 v[124:125], v[8:9], v[122:123]
	v_fma_f64 v[8:9], v[122:123], v[8:9], -v[124:125]
	v_fmac_f64_e32 v[8:9], v[122:123], v[2:3]
	v_add_f64 v[2:3], v[124:125], v[8:9]
	v_add_f64 v[126:127], v[120:121], -v[2:3]
	v_add_f64 v[124:125], v[2:3], -v[124:125]
	;; [unrolled: 1-line block ×5, first 2 shown]
	v_add_f64 v[2:3], v[8:9], v[2:3]
	v_add_f64 v[2:3], v[126:127], v[2:3]
	v_mul_f64 v[2:3], v[10:11], v[2:3]
	v_add_f64 v[8:9], v[122:123], v[2:3]
	v_add_f64 v[10:11], v[8:9], -v[122:123]
	v_add_f64 v[2:3], v[2:3], -v[10:11]
	v_mul_f64 v[10:11], v[8:9], v[8:9]
	v_pk_mov_b32 v[120:121], v[18:19], v[18:19] op_sel:[0,1]
	v_fmac_f64_e32 v[120:121], s[38:39], v[10:11]
	v_pk_mov_b32 v[122:123], v[20:21], v[20:21] op_sel:[0,1]
	v_fmac_f64_e32 v[122:123], v[10:11], v[120:121]
	;; [unrolled: 2-line block ×6, first 2 shown]
	v_ldexp_f64 v[120:121], v[8:9], 1
	v_mul_f64 v[8:9], v[8:9], v[10:11]
	v_mul_f64 v[8:9], v[8:9], v[122:123]
	v_add_f64 v[10:11], v[120:121], v[8:9]
	v_add_f64 v[120:121], v[10:11], -v[120:121]
	v_ldexp_f64 v[2:3], v[2:3], 1
	v_add_f64 v[8:9], v[8:9], -v[120:121]
	v_add_f64 v[2:3], v[2:3], v[8:9]
	v_add_f64 v[8:9], v[10:11], v[2:3]
	v_add_f64 v[10:11], v[8:9], -v[10:11]
	v_add_f64 v[2:3], v[2:3], -v[10:11]
	v_cvt_f64_i32_e32 v[10:11], v15
	v_mul_f64 v[120:121], v[10:11], s[50:51]
	v_fma_f64 v[122:123], v[10:11], s[50:51], -v[120:121]
	v_fmac_f64_e32 v[122:123], s[52:53], v[10:11]
	v_add_f64 v[10:11], v[120:121], v[122:123]
	v_add_f64 v[120:121], v[10:11], -v[120:121]
	v_add_f64 v[120:121], v[122:123], -v[120:121]
	v_add_f64 v[122:123], v[10:11], v[8:9]
	v_add_f64 v[124:125], v[122:123], -v[10:11]
	v_add_f64 v[126:127], v[122:123], -v[124:125]
	v_add_f64 v[10:11], v[10:11], -v[126:127]
	v_add_f64 v[8:9], v[8:9], -v[124:125]
	v_add_f64 v[8:9], v[8:9], v[10:11]
	v_add_f64 v[10:11], v[120:121], v[2:3]
	v_add_f64 v[124:125], v[10:11], -v[120:121]
	v_add_f64 v[126:127], v[10:11], -v[124:125]
	v_add_f64 v[8:9], v[10:11], v[8:9]
	v_add_f64 v[120:121], v[120:121], -v[126:127]
	v_add_f64 v[2:3], v[2:3], -v[124:125]
	v_add_f64 v[10:11], v[122:123], v[8:9]
	v_add_f64 v[2:3], v[2:3], v[120:121]
	v_add_f64 v[120:121], v[10:11], -v[122:123]
	v_add_f64 v[8:9], v[8:9], -v[120:121]
	v_add_f64 v[2:3], v[2:3], v[8:9]
	v_add_f64 v[2:3], v[10:11], v[2:3]
	v_cmp_class_f64_e64 vcc, v[0:1], s11
	v_cndmask_b32_e32 v2, v2, v0, vcc
	v_cndmask_b32_e32 v3, v3, v1, vcc
	v_cmp_ngt_f64_e32 vcc, 0, v[0:1]
	v_cndmask_b32_e32 v3, v92, v3, vcc
	v_cmp_nge_f64_e32 vcc, 0, v[0:1]
	v_cndmask_b32_e32 v2, 0, v2, vcc
	v_cmp_neq_f64_e32 vcc, 0, v[0:1]
	v_cndmask_b32_e32 v3, v93, v3, vcc
	v_add_f64 v[0:1], v[78:79], -v[2:3]
	v_div_scale_f64 v[2:3], s[0:1], v[76:77], v[76:77], v[0:1]
	v_rcp_f64_e32 v[8:9], v[2:3]
	v_fma_f64 v[10:11], -v[2:3], v[8:9], 1.0
	v_fmac_f64_e32 v[8:9], v[8:9], v[10:11]
	v_fma_f64 v[10:11], -v[2:3], v[8:9], 1.0
	v_fmac_f64_e32 v[8:9], v[8:9], v[10:11]
	v_div_scale_f64 v[10:11], vcc, v[0:1], v[76:77], v[0:1]
	v_mul_f64 v[120:121], v[10:11], v[8:9]
	v_fma_f64 v[2:3], -v[2:3], v[120:121], v[10:11]
	s_nop 1
	v_div_fmas_f64 v[2:3], v[2:3], v[8:9], v[120:121]
	v_div_fixup_f64 v[10:11], v[2:3], v[76:77], v[0:1]
	v_add_f64 v[0:1], v[10:11], 0.5
	v_floor_f64_e32 v[8:9], v[0:1]
	v_cmp_ngt_f64_e32 vcc, 0, v[8:9]
	s_and_saveexec_b64 s[18:19], vcc
	s_cbranch_execz .LBB95_28
; %bb.23:                               ;   in Loop: Header=BB95_18 Depth=2
	v_add_u32_e32 v15, 1, v118
	v_pk_mov_b32 v[0:1], v[4:5], v[4:5] op_sel:[0,1]
	v_cmp_eq_u32_e32 vcc, 4, v15
	v_pk_mov_b32 v[2:3], v[6:7], v[6:7] op_sel:[0,1]
	s_and_saveexec_b64 s[0:1], vcc
	s_cbranch_execz .LBB95_25
; %bb.24:                               ;   in Loop: Header=BB95_18 Depth=2
	v_add_co_u32_e32 v97, vcc, 1, v97
	v_cndmask_b32_e64 v0, 0, 1, vcc
	v_addc_co_u32_e32 v98, vcc, 0, v98, vcc
	v_cmp_eq_u32_e32 vcc, 0, v98
	v_cndmask_b32_e32 v0, 0, v0, vcc
	v_add_u32_e32 v116, v0, v116
	v_cmp_eq_u32_e32 vcc, 0, v116
	v_cndmask_b32_e32 v0, 0, v0, vcc
	v_add_u32_e32 v74, v0, v74
	v_mad_u64_u32 v[0:1], vcc, v97, s10, 0
	v_mad_u64_u32 v[2:3], vcc, v116, s9, 0
	v_xor_b32_e32 v1, v1, v73
	v_xor_b32_e32 v3, v3, v72
	v_xor_b32_e32 v1, v74, v1
	v_xor_b32_e32 v3, v98, v3
	v_mad_u64_u32 v[86:87], vcc, v1, s9, 0
	v_mad_u64_u32 v[84:85], vcc, v3, s10, 0
	v_xor_b32_e32 v1, v99, v87
	v_xor_b32_e32 v1, v1, v2
	v_xor_b32_e32 v2, v100, v85
	v_xor_b32_e32 v2, v2, v0
	;; [unrolled: 6-line block ×10, first 2 shown]
	v_mov_b32_e32 v15, 0
	v_mov_b32_e32 v1, v86
	;; [unrolled: 1-line block ×5, first 2 shown]
.LBB95_25:                              ;   in Loop: Header=BB95_18 Depth=2
	s_or_b64 exec, exec, s[0:1]
	v_add_u32_e32 v117, 1, v15
	v_cmp_eq_u32_e32 vcc, 4, v117
	s_and_saveexec_b64 s[0:1], vcc
	s_cbranch_execz .LBB95_27
; %bb.26:                               ;   in Loop: Header=BB95_18 Depth=2
	v_add_co_u32_e32 v97, vcc, 1, v97
	v_cndmask_b32_e64 v84, 0, 1, vcc
	v_addc_co_u32_e32 v98, vcc, 0, v98, vcc
	v_cmp_eq_u32_e32 vcc, 0, v98
	v_cndmask_b32_e32 v84, 0, v84, vcc
	v_add_u32_e32 v116, v84, v116
	v_cmp_eq_u32_e32 vcc, 0, v116
	v_cndmask_b32_e32 v84, 0, v84, vcc
	v_add_u32_e32 v74, v84, v74
	v_mad_u64_u32 v[84:85], vcc, v97, s10, 0
	v_mad_u64_u32 v[86:87], vcc, v116, s9, 0
	v_xor_b32_e32 v85, v85, v73
	v_xor_b32_e32 v87, v87, v72
	v_xor_b32_e32 v85, v74, v85
	v_xor_b32_e32 v87, v98, v87
	v_mad_u64_u32 v[122:123], vcc, v85, s9, 0
	v_mad_u64_u32 v[120:121], vcc, v87, s10, 0
	v_xor_b32_e32 v85, v99, v123
	v_xor_b32_e32 v85, v85, v86
	v_xor_b32_e32 v86, v100, v121
	v_xor_b32_e32 v86, v86, v84
	;; [unrolled: 6-line block ×9, first 2 shown]
	v_mad_u64_u32 v[84:85], vcc, v84, s10, 0
	v_mad_u64_u32 v[86:87], vcc, v86, s9, 0
	v_xor_b32_e32 v87, v87, v126
	v_xor_b32_e32 v85, v85, v124
	v_mov_b32_e32 v117, 0
	v_xor_b32_e32 v87, v106, v87
	v_xor_b32_e32 v85, v96, v85
.LBB95_27:                              ;   in Loop: Header=BB95_18 Depth=2
	s_or_b64 exec, exec, s[0:1]
	v_cmp_eq_u32_e32 vcc, 1, v118
	v_cndmask_b32_e32 v4, v4, v5, vcc
	v_cmp_eq_u32_e32 vcc, 2, v118
	v_cndmask_b32_e32 v4, v4, v6, vcc
	;; [unrolled: 2-line block ×6, first 2 shown]
	v_lshrrev_b32_e32 v0, 11, v0
	v_cvt_f64_u32_e32 v[0:1], v0
	v_ldexp_f64 v[0:1], v[0:1], 32
	v_cvt_f64_u32_e32 v[2:3], v4
	v_add_f64 v[0:1], v[0:1], v[2:3]
	v_mov_b32_e32 v2, 0
	v_mov_b32_e32 v3, 0x3ca00000
	v_fma_f64 v[4:5], -v[76:77], v[10:11], v[78:79]
	v_fmac_f64_e32 v[2:3], 0x3ca00000, v[0:1]
	v_mul_f64 v[0:1], v[4:5], s[56:57]
	v_rndne_f64_e32 v[0:1], v[0:1]
	s_mov_b32 s58, s50
	v_fma_f64 v[6:7], s[58:59], v[0:1], v[4:5]
	s_mov_b32 s60, s52
	v_fmac_f64_e32 v[6:7], s[60:61], v[0:1]
	v_pk_mov_b32 v[10:11], v[30:31], v[30:31] op_sel:[0,1]
	v_fmac_f64_e32 v[10:11], s[64:65], v[6:7]
	v_pk_mov_b32 v[118:119], v[32:33], v[32:33] op_sel:[0,1]
	;; [unrolled: 2-line block ×9, first 2 shown]
	v_fmac_f64_e32 v[10:11], v[6:7], v[118:119]
	v_fma_f64 v[10:11], v[6:7], v[10:11], 1.0
	v_fma_f64 v[6:7], v[6:7], v[10:11], 1.0
	v_cvt_i32_f64_e32 v0, v[0:1]
	v_ldexp_f64 v[0:1], v[6:7], v0
	v_add_f64 v[0:1], v[0:1], 1.0
	v_cmp_nlt_f64_e32 vcc, s[66:67], v[4:5]
	v_cmp_ngt_f64_e64 s[0:1], s[68:69], v[4:5]
	v_cndmask_b32_e32 v1, v94, v1, vcc
	s_and_b64 vcc, s[0:1], vcc
	v_cndmask_b32_e64 v1, v91, v1, s[0:1]
	v_cndmask_b32_e32 v0, 0, v0, vcc
	v_mul_f64 v[0:1], v[0:1], v[0:1]
	v_div_scale_f64 v[6:7], s[0:1], v[0:1], v[0:1], v[2:3]
	v_rcp_f64_e32 v[10:11], v[6:7]
	s_mov_b32 s49, s35
	v_fma_f64 v[118:119], -v[6:7], v[10:11], 1.0
	v_fmac_f64_e32 v[10:11], v[10:11], v[118:119]
	v_fma_f64 v[118:119], -v[6:7], v[10:11], 1.0
	v_fmac_f64_e32 v[10:11], v[10:11], v[118:119]
	v_div_scale_f64 v[118:119], vcc, v[2:3], v[0:1], v[2:3]
	v_mul_f64 v[120:121], v[118:119], v[10:11]
	v_fma_f64 v[6:7], -v[6:7], v[120:121], v[118:119]
	s_nop 1
	v_div_fmas_f64 v[6:7], v[6:7], v[10:11], v[120:121]
	v_div_fixup_f64 v[2:3], v[6:7], v[0:1], v[2:3]
	v_frexp_mant_f64_e32 v[0:1], v[2:3]
	v_cmp_gt_f64_e32 vcc, s[34:35], v[0:1]
	v_cndmask_b32_e64 v15, v91, 2.0, vcc
	v_frexp_exp_i32_f64_e32 v6, v[2:3]
	v_mul_f64 v[0:1], v[0:1], v[14:15]
	v_subbrev_co_u32_e32 v15, vcc, 0, v6, vcc
	v_add_f64 v[6:7], v[0:1], 1.0
	v_rcp_f64_e32 v[10:11], v[6:7]
	v_add_f64 v[120:121], v[6:7], -1.0
	v_add_f64 v[118:119], v[0:1], -1.0
	v_add_f64 v[0:1], v[0:1], -v[120:121]
	v_fma_f64 v[120:121], -v[6:7], v[10:11], 1.0
	v_fmac_f64_e32 v[10:11], v[120:121], v[10:11]
	v_fma_f64 v[120:121], -v[6:7], v[10:11], 1.0
	v_fmac_f64_e32 v[10:11], v[120:121], v[10:11]
	v_mul_f64 v[120:121], v[118:119], v[10:11]
	v_mul_f64 v[122:123], v[6:7], v[120:121]
	v_fma_f64 v[6:7], v[120:121], v[6:7], -v[122:123]
	v_fmac_f64_e32 v[6:7], v[120:121], v[0:1]
	v_add_f64 v[0:1], v[122:123], v[6:7]
	v_add_f64 v[124:125], v[118:119], -v[0:1]
	v_add_f64 v[122:123], v[0:1], -v[122:123]
	;; [unrolled: 1-line block ×5, first 2 shown]
	v_add_f64 v[0:1], v[6:7], v[0:1]
	v_add_f64 v[0:1], v[124:125], v[0:1]
	v_mul_f64 v[0:1], v[10:11], v[0:1]
	v_add_f64 v[6:7], v[120:121], v[0:1]
	v_add_f64 v[10:11], v[6:7], -v[120:121]
	v_add_f64 v[10:11], v[0:1], -v[10:11]
	v_mul_f64 v[118:119], v[6:7], v[6:7]
	v_pk_mov_b32 v[0:1], s[36:37], s[36:37] op_sel:[0,1]
	v_fma_f64 v[120:121], s[38:39], v[118:119], v[0:1]
	v_fma_f64 v[120:121], v[118:119], v[120:121], s[40:41]
	;; [unrolled: 1-line block ×6, first 2 shown]
	v_ldexp_f64 v[122:123], v[6:7], 1
	v_mul_f64 v[6:7], v[6:7], v[118:119]
	v_mul_f64 v[6:7], v[6:7], v[120:121]
	v_add_f64 v[118:119], v[122:123], v[6:7]
	v_add_f64 v[120:121], v[118:119], -v[122:123]
	v_ldexp_f64 v[10:11], v[10:11], 1
	v_add_f64 v[6:7], v[6:7], -v[120:121]
	v_add_f64 v[6:7], v[10:11], v[6:7]
	v_add_f64 v[10:11], v[118:119], v[6:7]
	v_add_f64 v[118:119], v[10:11], -v[118:119]
	v_add_f64 v[6:7], v[6:7], -v[118:119]
	v_cvt_f64_i32_e32 v[118:119], v15
	v_mul_f64 v[120:121], v[118:119], s[50:51]
	v_fma_f64 v[122:123], v[118:119], s[50:51], -v[120:121]
	v_fmac_f64_e32 v[122:123], s[52:53], v[118:119]
	v_add_f64 v[118:119], v[120:121], v[122:123]
	v_add_f64 v[120:121], v[118:119], -v[120:121]
	v_add_f64 v[120:121], v[122:123], -v[120:121]
	v_add_f64 v[122:123], v[118:119], v[10:11]
	v_add_f64 v[124:125], v[122:123], -v[118:119]
	v_add_f64 v[126:127], v[122:123], -v[124:125]
	;; [unrolled: 1-line block ×4, first 2 shown]
	v_add_f64 v[10:11], v[10:11], v[118:119]
	v_add_f64 v[118:119], v[120:121], v[6:7]
	v_add_f64 v[124:125], v[118:119], -v[120:121]
	v_add_f64 v[126:127], v[118:119], -v[124:125]
	v_add_f64 v[10:11], v[118:119], v[10:11]
	v_add_f64 v[120:121], v[120:121], -v[126:127]
	v_add_f64 v[6:7], v[6:7], -v[124:125]
	v_add_f64 v[118:119], v[122:123], v[10:11]
	v_add_f64 v[6:7], v[6:7], v[120:121]
	v_add_f64 v[120:121], v[118:119], -v[122:123]
	v_add_f64 v[10:11], v[10:11], -v[120:121]
	v_add_f64 v[6:7], v[6:7], v[10:11]
	v_add_f64 v[6:7], v[118:119], v[6:7]
	v_cmp_class_f64_e64 vcc, v[2:3], s11
	v_cndmask_b32_e32 v15, v6, v2, vcc
	v_cndmask_b32_e32 v6, v7, v3, vcc
	v_cmp_neq_f64_e32 vcc, 0, v[2:3]
	v_cndmask_b32_e32 v3, v93, v6, vcc
	v_add_f64 v[6:7], v[8:9], 1.0
	v_add_f64 v[6:7], v[6:7], -1.0
	v_add_f64 v[118:119], v[6:7], s[70:71]
	v_div_scale_f64 v[10:11], s[0:1], v[118:119], v[118:119], s[72:73]
	v_rcp_f64_e32 v[120:121], v[10:11]
	v_cndmask_b32_e32 v2, 0, v15, vcc
	v_add_f64 v[2:3], v[4:5], v[2:3]
	v_fma_f64 v[4:5], v[82:83], v[8:9], v[80:81]
	v_fma_f64 v[122:123], -v[10:11], v[120:121], 1.0
	v_fmac_f64_e32 v[120:121], v[120:121], v[122:123]
	v_fma_f64 v[122:123], -v[10:11], v[120:121], 1.0
	v_fmac_f64_e32 v[120:121], v[120:121], v[122:123]
	v_div_scale_f64 v[122:123], vcc, s[72:73], v[118:119], s[72:73]
	v_mul_f64 v[124:125], v[122:123], v[120:121]
	v_fma_f64 v[122:123], -v[10:11], v[124:125], v[122:123]
	v_add_f64 v[10:11], v[6:7], s[74:75]
	v_div_scale_f64 v[126:127], s[0:1], v[10:11], v[10:11], s[76:77]
	v_rcp_f64_e32 v[128:129], v[126:127]
	v_div_fmas_f64 v[120:121], v[122:123], v[120:121], v[124:125]
	v_div_fixup_f64 v[118:119], v[120:121], v[118:119], s[72:73]
	v_add_f64 v[124:125], v[6:7], s[78:79]
	v_fma_f64 v[120:121], -v[126:127], v[128:129], 1.0
	v_fmac_f64_e32 v[128:129], v[128:129], v[120:121]
	v_fma_f64 v[120:121], -v[126:127], v[128:129], 1.0
	v_fmac_f64_e32 v[128:129], v[128:129], v[120:121]
	v_div_scale_f64 v[120:121], vcc, s[76:77], v[10:11], s[76:77]
	v_mul_f64 v[122:123], v[120:121], v[128:129]
	v_fma_f64 v[120:121], -v[126:127], v[122:123], v[120:121]
	v_div_scale_f64 v[126:127], s[0:1], v[124:125], v[124:125], s[80:81]
	v_rcp_f64_e32 v[130:131], v[126:127]
	v_div_fmas_f64 v[120:121], v[120:121], v[128:129], v[122:123]
	v_add_f64 v[118:119], v[118:119], 0
	v_div_fixup_f64 v[120:121], v[120:121], v[10:11], s[76:77]
	v_add_f64 v[118:119], v[120:121], v[118:119]
	v_fma_f64 v[120:121], -v[126:127], v[130:131], 1.0
	v_fmac_f64_e32 v[130:131], v[130:131], v[120:121]
	v_fma_f64 v[120:121], -v[126:127], v[130:131], 1.0
	v_fmac_f64_e32 v[130:131], v[130:131], v[120:121]
	v_div_scale_f64 v[120:121], vcc, s[80:81], v[124:125], s[80:81]
	v_mul_f64 v[122:123], v[120:121], v[130:131]
	v_fma_f64 v[120:121], -v[126:127], v[122:123], v[120:121]
	v_add_f64 v[126:127], v[6:7], s[82:83]
	v_div_scale_f64 v[128:129], s[0:1], v[126:127], v[126:127], s[84:85]
	v_rcp_f64_e32 v[132:133], v[128:129]
	v_div_fmas_f64 v[120:121], v[120:121], v[130:131], v[122:123]
	v_div_fixup_f64 v[120:121], v[120:121], v[124:125], s[80:81]
	v_add_f64 v[118:119], v[118:119], v[120:121]
	v_fma_f64 v[120:121], -v[128:129], v[132:133], 1.0
	v_fmac_f64_e32 v[132:133], v[132:133], v[120:121]
	v_fma_f64 v[120:121], -v[128:129], v[132:133], 1.0
	v_fmac_f64_e32 v[132:133], v[132:133], v[120:121]
	v_div_scale_f64 v[120:121], vcc, s[84:85], v[126:127], s[84:85]
	v_mul_f64 v[122:123], v[120:121], v[132:133]
	v_add_f64 v[124:125], v[6:7], 4.0
	v_fma_f64 v[120:121], -v[128:129], v[122:123], v[120:121]
	v_div_scale_f64 v[128:129], s[0:1], v[124:125], v[124:125], s[86:87]
	v_rcp_f64_e32 v[130:131], v[128:129]
	v_div_fmas_f64 v[120:121], v[120:121], v[132:133], v[122:123]
	v_div_fixup_f64 v[120:121], v[120:121], v[126:127], s[84:85]
	v_add_f64 v[118:119], v[120:121], v[118:119]
	v_fma_f64 v[120:121], -v[128:129], v[130:131], 1.0
	v_fmac_f64_e32 v[130:131], v[130:131], v[120:121]
	v_fma_f64 v[120:121], -v[128:129], v[130:131], 1.0
	v_fmac_f64_e32 v[130:131], v[130:131], v[120:121]
	v_div_scale_f64 v[120:121], vcc, s[86:87], v[124:125], s[86:87]
	v_mul_f64 v[122:123], v[120:121], v[130:131]
	v_add_f64 v[126:127], v[6:7], s[26:27]
	v_fma_f64 v[120:121], -v[128:129], v[122:123], v[120:121]
	v_div_scale_f64 v[128:129], s[0:1], v[126:127], v[126:127], s[88:89]
	v_rcp_f64_e32 v[132:133], v[128:129]
	v_div_fmas_f64 v[120:121], v[120:121], v[130:131], v[122:123]
	v_div_fixup_f64 v[120:121], v[120:121], v[124:125], s[86:87]
	v_add_f64 v[118:119], v[118:119], v[120:121]
	v_fma_f64 v[120:121], -v[128:129], v[132:133], 1.0
	v_fmac_f64_e32 v[132:133], v[132:133], v[120:121]
	v_fma_f64 v[120:121], -v[128:129], v[132:133], 1.0
	v_fmac_f64_e32 v[132:133], v[132:133], v[120:121]
	v_div_scale_f64 v[120:121], vcc, s[88:89], v[126:127], s[88:89]
	v_mul_f64 v[122:123], v[120:121], v[132:133]
	v_add_f64 v[124:125], v[6:7], 2.0
	v_fma_f64 v[120:121], -v[128:129], v[122:123], v[120:121]
	v_div_scale_f64 v[128:129], s[0:1], v[124:125], v[124:125], s[90:91]
	v_rcp_f64_e32 v[130:131], v[128:129]
	v_div_fmas_f64 v[120:121], v[120:121], v[132:133], v[122:123]
	v_div_fixup_f64 v[120:121], v[120:121], v[126:127], s[88:89]
	v_add_f64 v[118:119], v[120:121], v[118:119]
	v_fma_f64 v[120:121], -v[128:129], v[130:131], 1.0
	v_fmac_f64_e32 v[130:131], v[130:131], v[120:121]
	v_fma_f64 v[120:121], -v[128:129], v[130:131], 1.0
	v_fmac_f64_e32 v[130:131], v[130:131], v[120:121]
	v_div_scale_f64 v[120:121], vcc, s[90:91], v[124:125], s[90:91]
	v_mul_f64 v[122:123], v[120:121], v[130:131]
	v_add_f64 v[126:127], v[6:7], 1.0
	v_fma_f64 v[120:121], -v[128:129], v[122:123], v[120:121]
	v_div_scale_f64 v[128:129], s[0:1], v[126:127], v[126:127], s[92:93]
	v_rcp_f64_e32 v[132:133], v[128:129]
	v_div_fmas_f64 v[120:121], v[120:121], v[130:131], v[122:123]
	v_div_fixup_f64 v[120:121], v[120:121], v[124:125], s[90:91]
	v_add_f64 v[118:119], v[118:119], v[120:121]
	v_fma_f64 v[120:121], -v[128:129], v[132:133], 1.0
	v_fmac_f64_e32 v[132:133], v[132:133], v[120:121]
	v_fma_f64 v[120:121], -v[128:129], v[132:133], 1.0
	v_fmac_f64_e32 v[132:133], v[132:133], v[120:121]
	v_div_scale_f64 v[120:121], vcc, s[92:93], v[126:127], s[92:93]
	v_mul_f64 v[122:123], v[120:121], v[132:133]
	v_fma_f64 v[120:121], -v[128:129], v[122:123], v[120:121]
	v_add_f64 v[10:11], v[10:11], 0.5
	s_nop 0
	v_div_fmas_f64 v[120:121], v[120:121], v[132:133], v[122:123]
	v_div_fixup_f64 v[120:121], v[120:121], v[126:127], s[92:93]
	v_add_f64 v[118:119], v[120:121], v[118:119]
	v_add_f64 v[118:119], v[118:119], s[94:95]
	v_frexp_mant_f64_e32 v[120:121], v[118:119]
	v_cmp_gt_f64_e32 vcc, s[34:35], v[120:121]
	v_cndmask_b32_e64 v15, v91, 2.0, vcc
	v_frexp_exp_i32_f64_e32 v122, v[118:119]
	v_mul_f64 v[120:121], v[120:121], v[14:15]
	v_subbrev_co_u32_e32 v15, vcc, 0, v122, vcc
	v_add_f64 v[122:123], v[120:121], 1.0
	v_rcp_f64_e32 v[124:125], v[122:123]
	v_add_f64 v[128:129], v[122:123], -1.0
	v_add_f64 v[126:127], v[120:121], -1.0
	v_add_f64 v[120:121], v[120:121], -v[128:129]
	v_fma_f64 v[128:129], -v[122:123], v[124:125], 1.0
	v_fmac_f64_e32 v[124:125], v[128:129], v[124:125]
	v_fma_f64 v[128:129], -v[122:123], v[124:125], 1.0
	v_fmac_f64_e32 v[124:125], v[128:129], v[124:125]
	v_mul_f64 v[128:129], v[126:127], v[124:125]
	v_mul_f64 v[130:131], v[122:123], v[128:129]
	v_fma_f64 v[122:123], v[128:129], v[122:123], -v[130:131]
	v_fmac_f64_e32 v[122:123], v[128:129], v[120:121]
	v_add_f64 v[120:121], v[130:131], v[122:123]
	v_add_f64 v[132:133], v[126:127], -v[120:121]
	v_add_f64 v[130:131], v[120:121], -v[130:131]
	;; [unrolled: 1-line block ×5, first 2 shown]
	v_add_f64 v[120:121], v[122:123], v[120:121]
	v_add_f64 v[120:121], v[132:133], v[120:121]
	v_mul_f64 v[120:121], v[124:125], v[120:121]
	v_add_f64 v[122:123], v[128:129], v[120:121]
	v_add_f64 v[124:125], v[122:123], -v[128:129]
	v_add_f64 v[120:121], v[120:121], -v[124:125]
	v_mul_f64 v[124:125], v[122:123], v[122:123]
	v_fma_f64 v[126:127], s[38:39], v[124:125], v[0:1]
	v_fma_f64 v[126:127], v[124:125], v[126:127], s[40:41]
	v_fma_f64 v[126:127], v[124:125], v[126:127], s[42:43]
	v_fma_f64 v[126:127], v[124:125], v[126:127], s[44:45]
	v_fma_f64 v[126:127], v[124:125], v[126:127], s[46:47]
	v_fma_f64 v[126:127], v[124:125], v[126:127], s[48:49]
	v_ldexp_f64 v[128:129], v[122:123], 1
	v_mul_f64 v[122:123], v[122:123], v[124:125]
	v_mul_f64 v[122:123], v[122:123], v[126:127]
	v_add_f64 v[124:125], v[128:129], v[122:123]
	v_add_f64 v[126:127], v[124:125], -v[128:129]
	v_ldexp_f64 v[120:121], v[120:121], 1
	v_add_f64 v[122:123], v[122:123], -v[126:127]
	v_add_f64 v[120:121], v[120:121], v[122:123]
	v_add_f64 v[122:123], v[124:125], v[120:121]
	v_add_f64 v[124:125], v[122:123], -v[124:125]
	v_add_f64 v[120:121], v[120:121], -v[124:125]
	v_cvt_f64_i32_e32 v[124:125], v15
	v_mul_f64 v[126:127], v[124:125], s[50:51]
	v_fma_f64 v[128:129], v[124:125], s[50:51], -v[126:127]
	v_fmac_f64_e32 v[128:129], s[52:53], v[124:125]
	v_add_f64 v[124:125], v[126:127], v[128:129]
	v_add_f64 v[126:127], v[124:125], -v[126:127]
	v_add_f64 v[126:127], v[128:129], -v[126:127]
	v_add_f64 v[128:129], v[124:125], v[122:123]
	v_add_f64 v[130:131], v[128:129], -v[124:125]
	v_add_f64 v[132:133], v[128:129], -v[130:131]
	;; [unrolled: 1-line block ×4, first 2 shown]
	v_add_f64 v[122:123], v[122:123], v[124:125]
	v_add_f64 v[124:125], v[126:127], v[120:121]
	v_add_f64 v[130:131], v[124:125], -v[126:127]
	v_add_f64 v[132:133], v[124:125], -v[130:131]
	v_add_f64 v[122:123], v[124:125], v[122:123]
	v_add_f64 v[126:127], v[126:127], -v[132:133]
	v_add_f64 v[120:121], v[120:121], -v[130:131]
	v_add_f64 v[124:125], v[128:129], v[122:123]
	v_add_f64 v[120:121], v[120:121], v[126:127]
	v_add_f64 v[126:127], v[124:125], -v[128:129]
	v_add_f64 v[122:123], v[122:123], -v[126:127]
	v_add_f64 v[120:121], v[120:121], v[122:123]
	v_add_f64 v[120:121], v[124:125], v[120:121]
	v_cmp_class_f64_e64 vcc, v[118:119], s11
	v_div_scale_f64 v[122:123], s[0:1], s[28:29], s[28:29], v[10:11]
	v_cndmask_b32_e32 v121, v121, v119, vcc
	v_cndmask_b32_e32 v120, v120, v118, vcc
	v_rcp_f64_e32 v[124:125], v[122:123]
	v_add_f64 v[120:121], v[120:121], s[24:25]
	v_add_f64 v[120:121], v[120:121], s[22:23]
	v_cmp_ngt_f64_e32 vcc, 0, v[118:119]
	v_cndmask_b32_e32 v15, v92, v121, vcc
	v_cmp_nge_f64_e32 vcc, 0, v[118:119]
	v_cndmask_b32_e32 v120, 0, v120, vcc
	v_cmp_neq_f64_e32 vcc, 0, v[118:119]
	v_fma_f64 v[118:119], -v[122:123], v[124:125], 1.0
	v_fmac_f64_e32 v[124:125], v[124:125], v[118:119]
	v_fma_f64 v[118:119], -v[122:123], v[124:125], 1.0
	v_cndmask_b32_e32 v121, v93, v15, vcc
	v_fmac_f64_e32 v[124:125], v[124:125], v[118:119]
	v_div_scale_f64 v[118:119], vcc, v[10:11], s[28:29], v[10:11]
	v_mul_f64 v[126:127], v[118:119], v[124:125]
	v_fma_f64 v[118:119], -v[122:123], v[126:127], v[118:119]
	v_add_f64 v[6:7], v[6:7], 0.5
	s_nop 0
	v_div_fmas_f64 v[118:119], v[118:119], v[124:125], v[126:127]
	v_div_fixup_f64 v[10:11], v[118:119], s[28:29], v[10:11]
	v_frexp_mant_f64_e32 v[118:119], v[10:11]
	v_cmp_gt_f64_e32 vcc, s[34:35], v[118:119]
	v_cndmask_b32_e64 v15, v91, 2.0, vcc
	v_frexp_exp_i32_f64_e32 v122, v[10:11]
	v_mul_f64 v[118:119], v[118:119], v[14:15]
	v_subbrev_co_u32_e32 v15, vcc, 0, v122, vcc
	v_add_f64 v[122:123], v[118:119], 1.0
	v_rcp_f64_e32 v[124:125], v[122:123]
	v_add_f64 v[128:129], v[122:123], -1.0
	v_add_f64 v[126:127], v[118:119], -1.0
	v_add_f64 v[118:119], v[118:119], -v[128:129]
	v_fma_f64 v[128:129], -v[122:123], v[124:125], 1.0
	v_fmac_f64_e32 v[124:125], v[128:129], v[124:125]
	v_fma_f64 v[128:129], -v[122:123], v[124:125], 1.0
	v_fmac_f64_e32 v[124:125], v[128:129], v[124:125]
	v_mul_f64 v[128:129], v[126:127], v[124:125]
	v_mul_f64 v[130:131], v[122:123], v[128:129]
	v_fma_f64 v[122:123], v[128:129], v[122:123], -v[130:131]
	v_fmac_f64_e32 v[122:123], v[128:129], v[118:119]
	v_add_f64 v[118:119], v[130:131], v[122:123]
	v_add_f64 v[132:133], v[126:127], -v[118:119]
	v_add_f64 v[130:131], v[118:119], -v[130:131]
	;; [unrolled: 1-line block ×5, first 2 shown]
	v_add_f64 v[118:119], v[122:123], v[118:119]
	v_add_f64 v[118:119], v[132:133], v[118:119]
	v_mul_f64 v[118:119], v[124:125], v[118:119]
	v_add_f64 v[122:123], v[128:129], v[118:119]
	v_add_f64 v[124:125], v[122:123], -v[128:129]
	v_add_f64 v[118:119], v[118:119], -v[124:125]
	v_mul_f64 v[124:125], v[122:123], v[122:123]
	v_fmac_f64_e32 v[0:1], s[38:39], v[124:125]
	v_fma_f64 v[0:1], v[124:125], v[0:1], s[40:41]
	v_fma_f64 v[0:1], v[124:125], v[0:1], s[42:43]
	;; [unrolled: 1-line block ×5, first 2 shown]
	v_ldexp_f64 v[126:127], v[122:123], 1
	v_mul_f64 v[122:123], v[122:123], v[124:125]
	v_mul_f64 v[0:1], v[122:123], v[0:1]
	v_add_f64 v[122:123], v[126:127], v[0:1]
	v_add_f64 v[124:125], v[122:123], -v[126:127]
	v_ldexp_f64 v[118:119], v[118:119], 1
	v_add_f64 v[0:1], v[0:1], -v[124:125]
	v_add_f64 v[0:1], v[118:119], v[0:1]
	v_add_f64 v[118:119], v[122:123], v[0:1]
	v_add_f64 v[122:123], v[118:119], -v[122:123]
	v_add_f64 v[0:1], v[0:1], -v[122:123]
	v_cvt_f64_i32_e32 v[122:123], v15
	v_mul_f64 v[124:125], v[122:123], s[50:51]
	v_fma_f64 v[126:127], v[122:123], s[50:51], -v[124:125]
	v_fmac_f64_e32 v[126:127], s[52:53], v[122:123]
	v_add_f64 v[122:123], v[124:125], v[126:127]
	v_add_f64 v[124:125], v[122:123], -v[124:125]
	v_add_f64 v[124:125], v[126:127], -v[124:125]
	v_add_f64 v[126:127], v[122:123], v[118:119]
	v_add_f64 v[128:129], v[126:127], -v[122:123]
	v_add_f64 v[130:131], v[126:127], -v[128:129]
	;; [unrolled: 1-line block ×4, first 2 shown]
	v_add_f64 v[118:119], v[118:119], v[122:123]
	v_add_f64 v[122:123], v[124:125], v[0:1]
	v_add_f64 v[128:129], v[122:123], -v[124:125]
	v_add_f64 v[130:131], v[122:123], -v[128:129]
	v_add_f64 v[118:119], v[122:123], v[118:119]
	v_add_f64 v[124:125], v[124:125], -v[130:131]
	v_add_f64 v[0:1], v[0:1], -v[128:129]
	v_add_f64 v[122:123], v[126:127], v[118:119]
	v_add_f64 v[0:1], v[0:1], v[124:125]
	v_add_f64 v[124:125], v[122:123], -v[126:127]
	v_add_f64 v[118:119], v[118:119], -v[124:125]
	v_add_f64 v[0:1], v[0:1], v[118:119]
	v_add_f64 v[0:1], v[122:123], v[0:1]
	v_cmp_class_f64_e64 vcc, v[10:11], s11
	v_cndmask_b32_e32 v0, v0, v10, vcc
	v_cndmask_b32_e32 v1, v1, v11, vcc
	v_cmp_ngt_f64_e32 vcc, 0, v[10:11]
	v_cndmask_b32_e32 v1, v92, v1, vcc
	v_cmp_nge_f64_e32 vcc, 0, v[10:11]
	v_cndmask_b32_e32 v0, 0, v0, vcc
	v_cmp_neq_f64_e32 vcc, 0, v[10:11]
	v_cndmask_b32_e32 v1, v93, v1, vcc
	v_fmac_f64_e32 v[120:121], v[6:7], v[0:1]
	v_add_f64 v[0:1], v[4:5], -v[120:121]
	v_cvt_u32_f64_e32 v4, v[8:9]
	v_cmp_le_f64_e32 vcc, v[2:3], v[0:1]
	v_cndmask_b32_e64 v119, 0, 1, vcc
	v_cndmask_b32_e32 v75, v75, v4, vcc
	v_mov_b32_e32 v118, v117
.LBB95_28:                              ;   in Loop: Header=BB95_18 Depth=2
	s_or_b64 exec, exec, s[18:19]
	v_cmp_gt_i32_e32 vcc, 2, v119
	s_or_b64 s[4:5], vcc, s[4:5]
	v_mov_b32_e32 v15, v118
	v_mov_b32_e32 v0, v87
	;; [unrolled: 1-line block ×5, first 2 shown]
	s_andn2_b64 exec, exec, s[4:5]
	s_cbranch_execnz .LBB95_18
; %bb.29:                               ;   in Loop: Header=BB95_18 Depth=2
	s_or_b64 exec, exec, s[4:5]
	v_cmp_ne_u32_e32 vcc, 0, v119
	s_or_b64 s[14:15], vcc, s[14:15]
	s_mov_b64 s[4:5], 0
	v_mov_b32_e32 v15, v118
	v_mov_b32_e32 v0, v87
	;; [unrolled: 1-line block ×5, first 2 shown]
	s_andn2_b64 exec, exec, s[14:15]
	s_cbranch_execnz .LBB95_18
; %bb.30:                               ;   in Loop: Header=BB95_5 Depth=1
	s_or_b64 exec, exec, s[14:15]
	v_readlane_b32 s18, v134, 17
	v_readlane_b32 s19, v134, 18
                                        ; implicit-def: $vgpr72_vgpr73
                                        ; implicit-def: $vgpr15
                                        ; implicit-def: $vgpr97
                                        ; implicit-def: $vgpr98
                                        ; implicit-def: $vgpr106
                                        ; implicit-def: $vgpr96
                                        ; implicit-def: $vgpr3
                                        ; implicit-def: $vgpr4_vgpr5
                                        ; implicit-def: $vgpr99
                                        ; implicit-def: $vgpr100
                                        ; implicit-def: $vgpr101
                                        ; implicit-def: $vgpr102
                                        ; implicit-def: $vgpr104
                                        ; implicit-def: $vgpr105
                                        ; implicit-def: $vgpr107
                                        ; implicit-def: $vgpr108
                                        ; implicit-def: $vgpr109
                                        ; implicit-def: $vgpr110
                                        ; implicit-def: $vgpr111
                                        ; implicit-def: $vgpr112
                                        ; implicit-def: $vgpr113
                                        ; implicit-def: $vgpr114
                                        ; implicit-def: $vgpr103
                                        ; implicit-def: $vgpr115
.LBB95_31:                              ;   in Loop: Header=BB95_5 Depth=1
	s_andn2_saveexec_b64 s[4:5], s[12:13]
	s_cbranch_execz .LBB95_43
; %bb.32:                               ;   in Loop: Header=BB95_5 Depth=1
	v_add_co_u32_e32 v6, vcc, 1, v97
	v_cndmask_b32_e64 v7, 0, 1, vcc
	v_addc_co_u32_e32 v10, vcc, 0, v98, vcc
	v_cmp_eq_u32_e32 vcc, 0, v10
	v_cndmask_b32_e32 v7, 0, v7, vcc
	v_add_u32_e32 v8, v7, v17
	v_cmp_eq_u32_e32 vcc, 0, v8
	v_cndmask_b32_e32 v11, 0, v7, vcc
	v_mad_u64_u32 v[6:7], s[0:1], v6, s10, 0
	v_mad_u64_u32 v[8:9], s[0:1], v8, s9, 0
	v_xor_b32_e32 v7, v7, v73
	v_xor_b32_e32 v9, v9, v72
	v_xor_b32_e32 v7, v11, v7
	v_xor_b32_e32 v9, v10, v9
	v_mad_u64_u32 v[72:73], s[0:1], v7, s9, 0
	v_mad_u64_u32 v[10:11], s[0:1], v9, s10, 0
	v_xor_b32_e32 v7, v99, v73
	v_xor_b32_e32 v7, v7, v8
	v_xor_b32_e32 v8, v100, v11
	v_xor_b32_e32 v8, v8, v6
	;; [unrolled: 6-line block ×8, first 2 shown]
	v_mad_u64_u32 v[74:75], s[0:1], v7, s10, 0
	v_mad_u64_u32 v[8:9], s[0:1], v6, s9, 0
	v_xor_b32_e32 v6, v115, v75
	v_xor_b32_e32 v6, v6, v10
	v_mad_u64_u32 v[6:7], s[0:1], v6, s9, 0
	v_xor_b32_e32 v7, v7, v8
	v_xor_b32_e32 v10, v106, v7
	v_cmp_lt_i32_e32 vcc, 1, v15
                                        ; implicit-def: $vgpr8
	s_and_saveexec_b64 s[0:1], vcc
	s_xor_b64 s[0:1], exec, s[0:1]
	s_cbranch_execz .LBB95_38
; %bb.33:                               ;   in Loop: Header=BB95_5 Depth=1
	v_cmp_lt_i32_e32 vcc, 2, v15
                                        ; implicit-def: $vgpr8
	s_and_saveexec_b64 s[12:13], vcc
	s_xor_b64 s[12:13], exec, s[12:13]
; %bb.34:                               ;   in Loop: Header=BB95_5 Depth=1
	v_xor_b32_e32 v0, v103, v9
	v_xor_b32_e32 v0, v0, v72
	v_mul_hi_u32 v0, v0, s10
	v_xor_b32_e32 v0, v0, v74
	v_xor_b32_e32 v8, v96, v0
; %bb.35:                               ;   in Loop: Header=BB95_5 Depth=1
	s_andn2_saveexec_b64 s[12:13], s[12:13]
; %bb.36:                               ;   in Loop: Header=BB95_5 Depth=1
	v_mov_b32_e32 v8, v6
	v_mov_b32_e32 v6, v10
	;; [unrolled: 1-line block ×4, first 2 shown]
; %bb.37:                               ;   in Loop: Header=BB95_5 Depth=1
	s_or_b64 exec, exec, s[12:13]
                                        ; implicit-def: $vgpr15
.LBB95_38:                              ;   in Loop: Header=BB95_5 Depth=1
	s_andn2_saveexec_b64 s[0:1], s[0:1]
	s_cbranch_execz .LBB95_42
; %bb.39:                               ;   in Loop: Header=BB95_5 Depth=1
	v_cmp_eq_u32_e32 vcc, 1, v15
	v_mov_b32_e32 v8, v3
	v_mov_b32_e32 v6, v2
	;; [unrolled: 1-line block ×3, first 2 shown]
	s_and_saveexec_b64 s[12:13], vcc
; %bb.40:                               ;   in Loop: Header=BB95_5 Depth=1
	v_mov_b32_e32 v8, v10
	v_mov_b32_e32 v6, v3
	;; [unrolled: 1-line block ×4, first 2 shown]
; %bb.41:                               ;   in Loop: Header=BB95_5 Depth=1
	s_or_b64 exec, exec, s[12:13]
	v_mov_b32_e32 v3, v0
	v_mov_b32_e32 v10, v7
.LBB95_42:                              ;   in Loop: Header=BB95_5 Depth=1
	s_or_b64 exec, exec, s[0:1]
	v_mov_b32_e32 v11, v14
	v_lshlrev_b64 v[0:1], 21, v[10:11]
	v_xor_b32_e32 v2, v0, v3
	v_cvt_f64_u32_e32 v[0:1], v1
	v_ldexp_f64 v[0:1], v[0:1], 32
	v_cvt_f64_u32_e32 v[2:3], v2
	v_add_f64 v[0:1], v[0:1], v[2:3]
	v_mov_b32_e32 v2, 0
	v_mov_b32_e32 v3, 0x3ca00000
	v_fmac_f64_e32 v[2:3], 0x3ca00000, v[0:1]
	v_mov_b32_e32 v9, v14
	v_lshlrev_b64 v[0:1], 21, v[8:9]
	v_frexp_mant_f64_e32 v[8:9], v[2:3]
	v_cmp_gt_f64_e32 vcc, s[34:35], v[8:9]
	v_cndmask_b32_e64 v15, v91, 2.0, vcc
	v_frexp_exp_i32_f64_e32 v10, v[2:3]
	v_mul_f64 v[8:9], v[8:9], v[14:15]
	v_subbrev_co_u32_e32 v15, vcc, 0, v10, vcc
	v_add_f64 v[10:11], v[8:9], 1.0
	v_rcp_f64_e32 v[72:73], v[10:11]
	v_add_f64 v[76:77], v[10:11], -1.0
	v_add_f64 v[74:75], v[8:9], -1.0
	v_add_f64 v[8:9], v[8:9], -v[76:77]
	v_fma_f64 v[76:77], -v[10:11], v[72:73], 1.0
	v_fmac_f64_e32 v[72:73], v[76:77], v[72:73]
	v_fma_f64 v[76:77], -v[10:11], v[72:73], 1.0
	v_fmac_f64_e32 v[72:73], v[76:77], v[72:73]
	v_mul_f64 v[76:77], v[74:75], v[72:73]
	v_mul_f64 v[78:79], v[10:11], v[76:77]
	v_fma_f64 v[10:11], v[76:77], v[10:11], -v[78:79]
	v_fmac_f64_e32 v[10:11], v[76:77], v[8:9]
	v_add_f64 v[8:9], v[78:79], v[10:11]
	v_add_f64 v[80:81], v[74:75], -v[8:9]
	v_add_f64 v[78:79], v[8:9], -v[78:79]
	;; [unrolled: 1-line block ×5, first 2 shown]
	v_add_f64 v[8:9], v[10:11], v[8:9]
	v_add_f64 v[8:9], v[80:81], v[8:9]
	v_mul_f64 v[8:9], v[72:73], v[8:9]
	v_add_f64 v[10:11], v[76:77], v[8:9]
	v_add_f64 v[72:73], v[10:11], -v[76:77]
	v_add_f64 v[8:9], v[8:9], -v[72:73]
	v_mul_f64 v[72:73], v[10:11], v[10:11]
	v_pk_mov_b32 v[74:75], v[18:19], v[18:19] op_sel:[0,1]
	v_fmac_f64_e32 v[74:75], s[38:39], v[72:73]
	v_pk_mov_b32 v[76:77], v[20:21], v[20:21] op_sel:[0,1]
	v_fmac_f64_e32 v[76:77], v[72:73], v[74:75]
	;; [unrolled: 2-line block ×6, first 2 shown]
	v_ldexp_f64 v[74:75], v[10:11], 1
	v_mul_f64 v[10:11], v[10:11], v[72:73]
	v_mul_f64 v[10:11], v[10:11], v[76:77]
	v_add_f64 v[72:73], v[74:75], v[10:11]
	v_add_f64 v[74:75], v[72:73], -v[74:75]
	v_ldexp_f64 v[8:9], v[8:9], 1
	v_add_f64 v[10:11], v[10:11], -v[74:75]
	v_add_f64 v[8:9], v[8:9], v[10:11]
	v_add_f64 v[10:11], v[72:73], v[8:9]
	v_add_f64 v[72:73], v[10:11], -v[72:73]
	v_add_f64 v[8:9], v[8:9], -v[72:73]
	v_cvt_f64_i32_e32 v[72:73], v15
	v_mul_f64 v[74:75], v[72:73], s[50:51]
	v_fma_f64 v[76:77], v[72:73], s[50:51], -v[74:75]
	v_fmac_f64_e32 v[76:77], s[52:53], v[72:73]
	v_add_f64 v[72:73], v[74:75], v[76:77]
	v_add_f64 v[74:75], v[72:73], -v[74:75]
	v_add_f64 v[74:75], v[76:77], -v[74:75]
	v_add_f64 v[76:77], v[72:73], v[10:11]
	v_add_f64 v[78:79], v[76:77], -v[72:73]
	v_add_f64 v[80:81], v[76:77], -v[78:79]
	;; [unrolled: 1-line block ×4, first 2 shown]
	v_add_f64 v[10:11], v[10:11], v[72:73]
	v_add_f64 v[72:73], v[74:75], v[8:9]
	v_add_f64 v[78:79], v[72:73], -v[74:75]
	v_add_f64 v[80:81], v[72:73], -v[78:79]
	v_add_f64 v[10:11], v[72:73], v[10:11]
	v_add_f64 v[74:75], v[74:75], -v[80:81]
	v_add_f64 v[8:9], v[8:9], -v[78:79]
	v_add_f64 v[72:73], v[76:77], v[10:11]
	v_add_f64 v[8:9], v[8:9], v[74:75]
	v_add_f64 v[74:75], v[72:73], -v[76:77]
	v_add_f64 v[10:11], v[10:11], -v[74:75]
	s_mov_b32 s14, 0
	v_add_f64 v[8:9], v[8:9], v[10:11]
	s_mov_b32 s15, 0x7ff00000
	v_add_f64 v[8:9], v[72:73], v[8:9]
	v_cmp_eq_f64_e32 vcc, s[14:15], v[2:3]
	v_cndmask_b32_e32 v9, v9, v3, vcc
	v_cndmask_b32_e32 v8, v8, v2, vcc
	v_mul_f64 v[8:9], v[8:9], -2.0
	v_cmp_neq_f64_e32 vcc, 0, v[2:3]
	s_mov_b32 s0, 0
	v_cndmask_b32_e32 v3, v94, v9, vcc
	v_cndmask_b32_e32 v2, 0, v8, vcc
	s_brev_b32 s1, 8
	v_cmp_gt_f64_e32 vcc, s[0:1], v[2:3]
	v_cndmask_b32_e64 v8, 0, 1, vcc
	v_lshlrev_b32_e32 v8, 8, v8
	v_ldexp_f64 v[2:3], v[2:3], v8
	v_xor_b32_e32 v6, v0, v6
	v_cvt_f64_u32_e32 v[0:1], v1
	v_rsq_f64_e32 v[8:9], v[2:3]
	v_ldexp_f64 v[0:1], v[0:1], 32
	v_cvt_f64_u32_e32 v[6:7], v6
	v_add_f64 v[0:1], v[0:1], v[6:7]
	v_mov_b32_e32 v6, 0
	v_mov_b32_e32 v7, 0x3cb00000
	v_fmac_f64_e32 v[6:7], 0x3cb00000, v[0:1]
	v_mul_f64 v[0:1], v[2:3], v[8:9]
	v_mul_f64 v[8:9], v[8:9], 0.5
	v_fma_f64 v[10:11], -v[8:9], v[0:1], 0.5
	v_fmac_f64_e32 v[0:1], v[0:1], v[10:11]
	v_fma_f64 v[72:73], -v[0:1], v[0:1], v[2:3]
	v_fmac_f64_e32 v[8:9], v[8:9], v[10:11]
	v_fmac_f64_e32 v[0:1], v[72:73], v[8:9]
	v_fma_f64 v[10:11], -v[0:1], v[0:1], v[2:3]
	v_fmac_f64_e32 v[0:1], v[10:11], v[8:9]
	v_cndmask_b32_e32 v8, 0, v90, vcc
	v_ldexp_f64 v[0:1], v[0:1], v8
	v_cmp_class_f64_e32 vcc, v[2:3], v89
	v_cndmask_b32_e32 v1, v1, v3, vcc
	v_cndmask_b32_e32 v0, v0, v2, vcc
	v_mul_f64 v[2:3], v[6:7], 0.5
	v_fract_f64_e32 v[8:9], v[2:3]
	v_add_f64 v[8:9], v[8:9], v[8:9]
	v_cmp_neq_f64_e32 vcc, s[14:15], v[2:3]
	v_cndmask_b32_e32 v2, 0, v8, vcc
	v_cndmask_b32_e32 v3, 0, v9, vcc
	v_cmp_lt_f64_e32 vcc, 1.0, v[6:7]
	v_cndmask_b32_e32 v3, v7, v3, vcc
	v_cndmask_b32_e32 v2, v6, v2, vcc
	v_add_f64 v[8:9], v[2:3], v[2:3]
	v_rndne_f64_e32 v[8:9], v[8:9]
	v_fmac_f64_e32 v[2:3], -0.5, v[8:9]
	s_mov_b32 s12, 0xf99eb0bb
	v_cvt_i32_f64_e32 v15, v[8:9]
	v_mul_f64 v[8:9], v[2:3], v[2:3]
	v_pk_mov_b32 v[10:11], v[48:49], v[48:49] op_sel:[0,1]
	s_mov_b32 s13, 0x3f3e357e
	v_fmac_f64_e32 v[10:11], s[12:13], v[8:9]
	v_pk_mov_b32 v[72:73], v[50:51], v[50:51] op_sel:[0,1]
	v_fmac_f64_e32 v[72:73], v[8:9], v[10:11]
	v_pk_mov_b32 v[10:11], v[52:53], v[52:53] op_sel:[0,1]
	;; [unrolled: 2-line block ×4, first 2 shown]
	v_fmac_f64_e32 v[10:11], v[8:9], v[72:73]
	v_mul_f64 v[72:73], v[2:3], v[8:9]
	s_mov_b32 s12, 0x54442d18
	v_mul_f64 v[10:11], v[72:73], v[10:11]
	s_mov_b32 s13, 0x400921fb
	v_fmac_f64_e32 v[10:11], s[12:13], v[2:3]
	s_mov_b32 s12, 0x2e21c33
	v_pk_mov_b32 v[2:3], v[58:59], v[58:59] op_sel:[0,1]
	s_mov_b32 s13, 0xbf1b1673
	v_fmac_f64_e32 v[2:3], s[12:13], v[8:9]
	v_pk_mov_b32 v[72:73], v[60:61], v[60:61] op_sel:[0,1]
	v_fmac_f64_e32 v[72:73], v[8:9], v[2:3]
	v_pk_mov_b32 v[2:3], v[62:63], v[62:63] op_sel:[0,1]
	v_fmac_f64_e32 v[2:3], v[8:9], v[72:73]
	v_pk_mov_b32 v[72:73], v[64:65], v[64:65] op_sel:[0,1]
	v_fmac_f64_e32 v[72:73], v[8:9], v[2:3]
	v_pk_mov_b32 v[2:3], v[66:67], v[66:67] op_sel:[0,1]
	v_fmac_f64_e32 v[2:3], v[8:9], v[72:73]
	v_pk_mov_b32 v[72:73], v[68:69], v[68:69] op_sel:[0,1]
	v_fmac_f64_e32 v[72:73], v[8:9], v[2:3]
	v_fma_f64 v[2:3], v[8:9], v[72:73], 1.0
	v_and_b32_e32 v9, 1, v15
	v_lshlrev_b32_e32 v8, 30, v15
	v_cmp_eq_u32_e32 vcc, 0, v9
	v_cndmask_b32_e32 v10, v2, v10, vcc
	v_cndmask_b32_e32 v2, v3, v11, vcc
	v_xor_b32_e32 v3, v8, v7
	v_and_b32_e32 v3, 0x80000000, v3
	v_cmp_gt_f64_e32 vcc, s[0:1], v[4:5]
	v_xor_b32_e32 v11, v2, v3
	v_cndmask_b32_e64 v2, 0, 1, vcc
	v_lshlrev_b32_e32 v2, 8, v2
	v_ldexp_f64 v[2:3], v[4:5], v2
	v_rsq_f64_e32 v[8:9], v[2:3]
	v_cmp_lg_f64_e64 s[0:1], s[14:15], v[6:7]
	v_cndmask_b32_e64 v6, 0, v10, s[0:1]
	v_cndmask_b32_e64 v7, v92, v11, s[0:1]
	v_mul_f64 v[0:1], v[0:1], v[6:7]
	v_mul_f64 v[6:7], v[2:3], v[8:9]
	v_mul_f64 v[8:9], v[8:9], 0.5
	v_fma_f64 v[10:11], -v[8:9], v[6:7], 0.5
	v_fmac_f64_e32 v[6:7], v[6:7], v[10:11]
	v_fma_f64 v[72:73], -v[6:7], v[6:7], v[2:3]
	v_fmac_f64_e32 v[8:9], v[8:9], v[10:11]
	v_fmac_f64_e32 v[6:7], v[72:73], v[8:9]
	v_fma_f64 v[10:11], -v[6:7], v[6:7], v[2:3]
	v_fmac_f64_e32 v[6:7], v[10:11], v[8:9]
	v_cndmask_b32_e32 v8, 0, v90, vcc
	v_ldexp_f64 v[6:7], v[6:7], v8
	v_cmp_class_f64_e32 vcc, v[2:3], v89
	v_cndmask_b32_e32 v3, v7, v3, vcc
	v_cndmask_b32_e32 v2, v6, v2, vcc
	v_fmac_f64_e32 v[4:5], v[2:3], v[0:1]
	v_trunc_f64_e32 v[0:1], v[4:5]
	v_add_f64 v[2:3], v[4:5], -v[0:1]
	v_cmp_ge_f64_e64 vcc, |v[2:3]|, 0.5
	v_cndmask_b32_e32 v2, 0, v91, vcc
	s_brev_b32 s0, -2
	v_bfi_b32 v15, s0, v2, v5
	v_add_f64 v[0:1], v[0:1], v[14:15]
	v_cvt_u32_f64_e32 v75, v[0:1]
.LBB95_43:                              ;   in Loop: Header=BB95_5 Depth=1
	s_or_b64 exec, exec, s[4:5]
                                        ; implicit-def: $vgpr6
                                        ; implicit-def: $vgpr72_vgpr73
                                        ; implicit-def: $vgpr15
                                        ; implicit-def: $vgpr97
                                        ; implicit-def: $vgpr98
                                        ; implicit-def: $vgpr106
                                        ; implicit-def: $vgpr96
                                        ; implicit-def: $vgpr3
                                        ; implicit-def: $vgpr4_vgpr5
                                        ; implicit-def: $vgpr99
                                        ; implicit-def: $vgpr100
                                        ; implicit-def: $vgpr101
                                        ; implicit-def: $vgpr102
                                        ; implicit-def: $vgpr104
                                        ; implicit-def: $vgpr105
                                        ; implicit-def: $vgpr107
                                        ; implicit-def: $vgpr108
                                        ; implicit-def: $vgpr109
                                        ; implicit-def: $vgpr110
                                        ; implicit-def: $vgpr111
                                        ; implicit-def: $vgpr112
                                        ; implicit-def: $vgpr113
                                        ; implicit-def: $vgpr114
                                        ; implicit-def: $vgpr103
                                        ; implicit-def: $vgpr115
.LBB95_44:                              ;   in Loop: Header=BB95_5 Depth=1
	s_andn2_saveexec_b64 s[4:5], s[6:7]
	s_cbranch_execz .LBB95_3
; %bb.45:                               ;   in Loop: Header=BB95_5 Depth=1
	s_mov_b32 s13, s30
	s_mov_b32 s30, s56
	v_mul_f64 v[8:9], v[4:5], s[30:31]
	v_rndne_f64_e32 v[10:11], v[8:9]
	s_mov_b32 s58, s50
	v_fma_f64 v[4:5], v[10:11], s[58:59], -v[4:5]
	s_mov_b32 s60, s52
	v_fmac_f64_e32 v[4:5], s[60:61], v[10:11]
	v_pk_mov_b32 v[8:9], v[30:31], v[30:31] op_sel:[0,1]
	v_fmac_f64_e32 v[8:9], s[64:65], v[4:5]
	v_pk_mov_b32 v[74:75], v[32:33], v[32:33] op_sel:[0,1]
	;; [unrolled: 2-line block ×9, first 2 shown]
	v_fmac_f64_e32 v[76:77], v[4:5], v[74:75]
	v_fma_f64 v[74:75], v[4:5], v[76:77], 1.0
	s_mov_b32 s0, 0xc4800000
	v_fma_f64 v[4:5], v[4:5], v[74:75], 1.0
	v_cvt_i32_f64_e32 v7, v[10:11]
	v_cmp_ngt_f32_e32 vcc, s0, v6
	s_mov_b32 s0, 0x44866000
	v_ldexp_f64 v[4:5], v[4:5], v7
	v_cmp_nlt_f32_e64 s[0:1], s0, v6
	v_mov_b32_e32 v8, 0
	v_cndmask_b32_e32 v5, v94, v5, vcc
	s_and_b64 vcc, s[0:1], vcc
	v_mov_b32_e32 v9, 0x3ff00000
	v_mov_b32_e32 v78, 0
	v_cndmask_b32_e64 v11, 0, v5, s[0:1]
	v_cndmask_b32_e32 v10, 0, v4, vcc
	s_mov_b32 s12, -1
	s_mov_b64 s[0:1], 0
	v_mov_b32_e32 v79, v17
	s_branch .LBB95_47
.LBB95_46:                              ;   in Loop: Header=BB95_47 Depth=2
	s_or_b64 exec, exec, s[6:7]
	v_cmp_eq_u32_e32 vcc, 1, v15
	v_cndmask_b32_e32 v0, v0, v1, vcc
	v_cmp_eq_u32_e32 vcc, 2, v15
	v_cndmask_b32_e32 v0, v0, v2, vcc
	;; [unrolled: 2-line block ×6, first 2 shown]
	v_lshrrev_b32_e32 v0, 11, v0
	v_cvt_f64_u32_e32 v[0:1], v0
	v_ldexp_f64 v[0:1], v[0:1], 32
	v_cvt_f64_u32_e32 v[2:3], v2
	v_add_f64 v[0:1], v[0:1], v[2:3]
	v_mov_b32_e32 v2, 0
	v_mov_b32_e32 v3, 0x3ca00000
	v_fmac_f64_e32 v[2:3], 0x3ca00000, v[0:1]
	v_mul_f64 v[8:9], v[8:9], v[2:3]
	v_cmp_ngt_f64_e32 vcc, v[8:9], v[10:11]
	s_add_i32 s12, s12, 1
	s_or_b64 s[0:1], vcc, s[0:1]
	v_mov_b32_e32 v75, s12
	v_mov_b32_e32 v15, v81
	;; [unrolled: 1-line block ×6, first 2 shown]
	s_andn2_b64 exec, exec, s[0:1]
	s_cbranch_execz .LBB95_2
.LBB95_47:                              ;   Parent Loop BB95_5 Depth=1
                                        ; =>  This Inner Loop Header: Depth=2
	v_add_u32_e32 v80, 1, v15
	v_pk_mov_b32 v[6:7], v[2:3], v[2:3] op_sel:[0,1]
	v_cmp_eq_u32_e32 vcc, 4, v80
	v_pk_mov_b32 v[4:5], v[0:1], v[0:1] op_sel:[0,1]
	v_mov_b32_e32 v77, v0
	v_mov_b32_e32 v76, v1
	;; [unrolled: 1-line block ×4, first 2 shown]
	s_and_saveexec_b64 s[6:7], vcc
	s_cbranch_execz .LBB95_49
; %bb.48:                               ;   in Loop: Header=BB95_47 Depth=2
	v_add_co_u32_e32 v97, vcc, 1, v97
	v_cndmask_b32_e64 v4, 0, 1, vcc
	v_addc_co_u32_e32 v98, vcc, 0, v98, vcc
	v_cmp_eq_u32_e32 vcc, 0, v98
	v_cndmask_b32_e32 v4, 0, v4, vcc
	v_add_u32_e32 v79, v4, v79
	v_cmp_eq_u32_e32 vcc, 0, v79
	v_cndmask_b32_e32 v4, 0, v4, vcc
	v_add_u32_e32 v78, v4, v78
	v_mad_u64_u32 v[4:5], s[14:15], v97, s10, 0
	v_mad_u64_u32 v[6:7], s[14:15], v79, s9, 0
	v_xor_b32_e32 v5, v5, v73
	v_xor_b32_e32 v7, v7, v72
	v_xor_b32_e32 v5, v78, v5
	v_xor_b32_e32 v7, v98, v7
	v_mad_u64_u32 v[76:77], s[14:15], v5, s9, 0
	v_mad_u64_u32 v[74:75], s[14:15], v7, s10, 0
	v_xor_b32_e32 v5, v99, v77
	v_xor_b32_e32 v5, v5, v6
	v_xor_b32_e32 v6, v100, v75
	v_xor_b32_e32 v6, v6, v4
	v_mad_u64_u32 v[4:5], s[14:15], v5, s10, 0
	v_mad_u64_u32 v[6:7], s[14:15], v6, s9, 0
	v_xor_b32_e32 v5, v102, v5
	v_xor_b32_e32 v7, v101, v7
	v_xor_b32_e32 v5, v5, v74
	v_xor_b32_e32 v7, v7, v76
	v_mad_u64_u32 v[76:77], s[14:15], v5, s9, 0
	v_mad_u64_u32 v[74:75], s[14:15], v7, s10, 0
	v_xor_b32_e32 v5, v104, v77
	v_xor_b32_e32 v5, v5, v6
	v_xor_b32_e32 v6, v105, v75
	v_xor_b32_e32 v6, v6, v4
	v_mad_u64_u32 v[4:5], s[14:15], v5, s10, 0
	v_mad_u64_u32 v[6:7], s[14:15], v6, s9, 0
	v_xor_b32_e32 v5, v108, v5
	v_xor_b32_e32 v7, v107, v7
	v_xor_b32_e32 v5, v5, v74
	v_xor_b32_e32 v7, v7, v76
	v_mad_u64_u32 v[76:77], s[14:15], v5, s9, 0
	v_mad_u64_u32 v[74:75], s[14:15], v7, s10, 0
	v_xor_b32_e32 v5, v109, v77
	v_xor_b32_e32 v5, v5, v6
	v_xor_b32_e32 v6, v110, v75
	v_xor_b32_e32 v6, v6, v4
	v_mad_u64_u32 v[4:5], s[14:15], v5, s10, 0
	v_mad_u64_u32 v[6:7], s[14:15], v6, s9, 0
	v_xor_b32_e32 v5, v112, v5
	v_xor_b32_e32 v7, v111, v7
	v_xor_b32_e32 v5, v5, v74
	v_xor_b32_e32 v7, v7, v76
	v_mad_u64_u32 v[76:77], s[14:15], v5, s9, 0
	v_mad_u64_u32 v[74:75], s[14:15], v7, s10, 0
	v_xor_b32_e32 v5, v113, v77
	v_xor_b32_e32 v5, v5, v6
	v_xor_b32_e32 v6, v114, v75
	v_xor_b32_e32 v4, v6, v4
	v_mad_u64_u32 v[6:7], s[14:15], v5, s10, 0
	v_mad_u64_u32 v[4:5], s[14:15], v4, s9, 0
	v_xor_b32_e32 v5, v103, v5
	v_xor_b32_e32 v7, v115, v7
	v_xor_b32_e32 v5, v5, v76
	v_xor_b32_e32 v7, v7, v74
	v_mad_u64_u32 v[74:75], s[14:15], v5, s10, 0
	v_mad_u64_u32 v[76:77], s[14:15], v7, s9, 0
	v_xor_b32_e32 v4, v77, v4
	v_xor_b32_e32 v5, v75, v6
	v_xor_b32_e32 v4, v106, v4
	v_xor_b32_e32 v6, v96, v5
	v_mov_b32_e32 v80, 0
	v_mov_b32_e32 v5, v76
	;; [unrolled: 1-line block ×5, first 2 shown]
.LBB95_49:                              ;   in Loop: Header=BB95_47 Depth=2
	s_or_b64 exec, exec, s[6:7]
	v_add_u32_e32 v81, 1, v80
	v_cmp_eq_u32_e32 vcc, 4, v81
	s_and_saveexec_b64 s[6:7], vcc
	s_cbranch_execz .LBB95_46
; %bb.50:                               ;   in Loop: Header=BB95_47 Depth=2
	v_add_co_u32_e32 v97, vcc, 1, v97
	v_cndmask_b32_e64 v74, 0, 1, vcc
	v_addc_co_u32_e32 v98, vcc, 0, v98, vcc
	v_cmp_eq_u32_e32 vcc, 0, v98
	v_cndmask_b32_e32 v74, 0, v74, vcc
	v_add_u32_e32 v79, v74, v79
	v_cmp_eq_u32_e32 vcc, 0, v79
	v_cndmask_b32_e32 v74, 0, v74, vcc
	v_add_u32_e32 v78, v74, v78
	v_mad_u64_u32 v[74:75], s[14:15], v97, s10, 0
	v_mad_u64_u32 v[76:77], s[14:15], v79, s9, 0
	v_xor_b32_e32 v75, v75, v73
	v_xor_b32_e32 v77, v77, v72
	v_xor_b32_e32 v75, v78, v75
	v_xor_b32_e32 v77, v98, v77
	v_mad_u64_u32 v[84:85], s[14:15], v75, s9, 0
	v_mad_u64_u32 v[82:83], s[14:15], v77, s10, 0
	v_xor_b32_e32 v75, v99, v85
	v_xor_b32_e32 v75, v75, v76
	v_xor_b32_e32 v76, v100, v83
	v_xor_b32_e32 v76, v76, v74
	;; [unrolled: 6-line block ×9, first 2 shown]
	v_mad_u64_u32 v[74:75], s[14:15], v74, s10, 0
	v_mad_u64_u32 v[76:77], s[14:15], v76, s9, 0
	v_xor_b32_e32 v77, v77, v116
	v_xor_b32_e32 v75, v75, v86
	v_mov_b32_e32 v81, 0
	v_xor_b32_e32 v77, v106, v77
	v_xor_b32_e32 v82, v96, v75
	s_branch .LBB95_46
.LBB95_51:
	s_or_b64 exec, exec, s[16:17]
	s_and_saveexec_b64 s[0:1], s[2:3]
	s_xor_b64 s[0:1], exec, s[0:1]
	s_cbranch_execnz .LBB95_53
.LBB95_52:
	s_endpgm
.LBB95_53:
	s_trap 2
	; divergent unreachable
	s_endpgm
	.section	.rodata,"a",@progbits
	.p2align	6, 0x0
	.amdhsa_kernel _ZN2at4cuda12_GLOBAL__N_121kernelPointwiseApply2IZN12_GLOBAL__N_119poisson_cuda_kernelIN3c108BFloat16EEEvRKNS_10TensorBaseES9_NS_15PhiloxCudaStateEEUlRS6_RKS6_E_S6_S6_jLi2ELin1ELi1ELi512ELi2EEEvNS0_6detail10TensorInfoIT0_T2_EENSG_IT1_SI_EESI_T_
		.amdhsa_group_segment_fixed_size 0
		.amdhsa_private_segment_fixed_size 0
		.amdhsa_kernarg_size 728
		.amdhsa_user_sgpr_count 6
		.amdhsa_user_sgpr_private_segment_buffer 1
		.amdhsa_user_sgpr_dispatch_ptr 0
		.amdhsa_user_sgpr_queue_ptr 0
		.amdhsa_user_sgpr_kernarg_segment_ptr 1
		.amdhsa_user_sgpr_dispatch_id 0
		.amdhsa_user_sgpr_flat_scratch_init 0
		.amdhsa_user_sgpr_kernarg_preload_length 0
		.amdhsa_user_sgpr_kernarg_preload_offset 0
		.amdhsa_user_sgpr_private_segment_size 0
		.amdhsa_uses_dynamic_stack 0
		.amdhsa_system_sgpr_private_segment_wavefront_offset 0
		.amdhsa_system_sgpr_workgroup_id_x 1
		.amdhsa_system_sgpr_workgroup_id_y 0
		.amdhsa_system_sgpr_workgroup_id_z 0
		.amdhsa_system_sgpr_workgroup_info 0
		.amdhsa_system_vgpr_workitem_id 0
		.amdhsa_next_free_vgpr 135
		.amdhsa_next_free_sgpr 96
		.amdhsa_accum_offset 136
		.amdhsa_reserve_vcc 1
		.amdhsa_reserve_flat_scratch 0
		.amdhsa_float_round_mode_32 0
		.amdhsa_float_round_mode_16_64 0
		.amdhsa_float_denorm_mode_32 3
		.amdhsa_float_denorm_mode_16_64 3
		.amdhsa_dx10_clamp 1
		.amdhsa_ieee_mode 1
		.amdhsa_fp16_overflow 0
		.amdhsa_tg_split 0
		.amdhsa_exception_fp_ieee_invalid_op 0
		.amdhsa_exception_fp_denorm_src 0
		.amdhsa_exception_fp_ieee_div_zero 0
		.amdhsa_exception_fp_ieee_overflow 0
		.amdhsa_exception_fp_ieee_underflow 0
		.amdhsa_exception_fp_ieee_inexact 0
		.amdhsa_exception_int_div_zero 0
	.end_amdhsa_kernel
	.section	.text._ZN2at4cuda12_GLOBAL__N_121kernelPointwiseApply2IZN12_GLOBAL__N_119poisson_cuda_kernelIN3c108BFloat16EEEvRKNS_10TensorBaseES9_NS_15PhiloxCudaStateEEUlRS6_RKS6_E_S6_S6_jLi2ELin1ELi1ELi512ELi2EEEvNS0_6detail10TensorInfoIT0_T2_EENSG_IT1_SI_EESI_T_,"axG",@progbits,_ZN2at4cuda12_GLOBAL__N_121kernelPointwiseApply2IZN12_GLOBAL__N_119poisson_cuda_kernelIN3c108BFloat16EEEvRKNS_10TensorBaseES9_NS_15PhiloxCudaStateEEUlRS6_RKS6_E_S6_S6_jLi2ELin1ELi1ELi512ELi2EEEvNS0_6detail10TensorInfoIT0_T2_EENSG_IT1_SI_EESI_T_,comdat
.Lfunc_end95:
	.size	_ZN2at4cuda12_GLOBAL__N_121kernelPointwiseApply2IZN12_GLOBAL__N_119poisson_cuda_kernelIN3c108BFloat16EEEvRKNS_10TensorBaseES9_NS_15PhiloxCudaStateEEUlRS6_RKS6_E_S6_S6_jLi2ELin1ELi1ELi512ELi2EEEvNS0_6detail10TensorInfoIT0_T2_EENSG_IT1_SI_EESI_T_, .Lfunc_end95-_ZN2at4cuda12_GLOBAL__N_121kernelPointwiseApply2IZN12_GLOBAL__N_119poisson_cuda_kernelIN3c108BFloat16EEEvRKNS_10TensorBaseES9_NS_15PhiloxCudaStateEEUlRS6_RKS6_E_S6_S6_jLi2ELin1ELi1ELi512ELi2EEEvNS0_6detail10TensorInfoIT0_T2_EENSG_IT1_SI_EESI_T_
                                        ; -- End function
	.section	.AMDGPU.csdata,"",@progbits
; Kernel info:
; codeLenInByte = 13784
; NumSgprs: 100
; NumVgprs: 135
; NumAgprs: 0
; TotalNumVgprs: 135
; ScratchSize: 0
; MemoryBound: 0
; FloatMode: 240
; IeeeMode: 1
; LDSByteSize: 0 bytes/workgroup (compile time only)
; SGPRBlocks: 12
; VGPRBlocks: 16
; NumSGPRsForWavesPerEU: 100
; NumVGPRsForWavesPerEU: 135
; AccumOffset: 136
; Occupancy: 3
; WaveLimiterHint : 1
; COMPUTE_PGM_RSRC2:SCRATCH_EN: 0
; COMPUTE_PGM_RSRC2:USER_SGPR: 6
; COMPUTE_PGM_RSRC2:TRAP_HANDLER: 0
; COMPUTE_PGM_RSRC2:TGID_X_EN: 1
; COMPUTE_PGM_RSRC2:TGID_Y_EN: 0
; COMPUTE_PGM_RSRC2:TGID_Z_EN: 0
; COMPUTE_PGM_RSRC2:TIDIG_COMP_CNT: 0
; COMPUTE_PGM_RSRC3_GFX90A:ACCUM_OFFSET: 33
; COMPUTE_PGM_RSRC3_GFX90A:TG_SPLIT: 0
	.section	.text._ZN2at4cuda12_GLOBAL__N_121kernelPointwiseApply2IZN12_GLOBAL__N_119poisson_cuda_kernelIN3c108BFloat16EEEvRKNS_10TensorBaseES9_NS_15PhiloxCudaStateEEUlRS6_RKS6_E_S6_S6_jLin1ELi1ELi1ELi512ELi2EEEvNS0_6detail10TensorInfoIT0_T2_EENSG_IT1_SI_EESI_T_,"axG",@progbits,_ZN2at4cuda12_GLOBAL__N_121kernelPointwiseApply2IZN12_GLOBAL__N_119poisson_cuda_kernelIN3c108BFloat16EEEvRKNS_10TensorBaseES9_NS_15PhiloxCudaStateEEUlRS6_RKS6_E_S6_S6_jLin1ELi1ELi1ELi512ELi2EEEvNS0_6detail10TensorInfoIT0_T2_EENSG_IT1_SI_EESI_T_,comdat
	.globl	_ZN2at4cuda12_GLOBAL__N_121kernelPointwiseApply2IZN12_GLOBAL__N_119poisson_cuda_kernelIN3c108BFloat16EEEvRKNS_10TensorBaseES9_NS_15PhiloxCudaStateEEUlRS6_RKS6_E_S6_S6_jLin1ELi1ELi1ELi512ELi2EEEvNS0_6detail10TensorInfoIT0_T2_EENSG_IT1_SI_EESI_T_ ; -- Begin function _ZN2at4cuda12_GLOBAL__N_121kernelPointwiseApply2IZN12_GLOBAL__N_119poisson_cuda_kernelIN3c108BFloat16EEEvRKNS_10TensorBaseES9_NS_15PhiloxCudaStateEEUlRS6_RKS6_E_S6_S6_jLin1ELi1ELi1ELi512ELi2EEEvNS0_6detail10TensorInfoIT0_T2_EENSG_IT1_SI_EESI_T_
	.p2align	8
	.type	_ZN2at4cuda12_GLOBAL__N_121kernelPointwiseApply2IZN12_GLOBAL__N_119poisson_cuda_kernelIN3c108BFloat16EEEvRKNS_10TensorBaseES9_NS_15PhiloxCudaStateEEUlRS6_RKS6_E_S6_S6_jLin1ELi1ELi1ELi512ELi2EEEvNS0_6detail10TensorInfoIT0_T2_EENSG_IT1_SI_EESI_T_,@function
_ZN2at4cuda12_GLOBAL__N_121kernelPointwiseApply2IZN12_GLOBAL__N_119poisson_cuda_kernelIN3c108BFloat16EEEvRKNS_10TensorBaseES9_NS_15PhiloxCudaStateEEUlRS6_RKS6_E_S6_S6_jLin1ELi1ELi1ELi512ELi2EEEvNS0_6detail10TensorInfoIT0_T2_EENSG_IT1_SI_EESI_T_: ; @_ZN2at4cuda12_GLOBAL__N_121kernelPointwiseApply2IZN12_GLOBAL__N_119poisson_cuda_kernelIN3c108BFloat16EEEvRKNS_10TensorBaseES9_NS_15PhiloxCudaStateEEUlRS6_RKS6_E_S6_S6_jLin1ELi1ELi1ELi512ELi2EEEvNS0_6detail10TensorInfoIT0_T2_EENSG_IT1_SI_EESI_T_
; %bb.0:
	s_load_dword s2, s[4:5], 0x1e4
	s_load_dword s33, s[4:5], 0x1b0
	s_add_u32 s0, s4, 0x1d8
	s_addc_u32 s1, s5, 0
	s_waitcnt lgkmcnt(0)
	s_and_b32 s2, s2, 0xffff
	s_mul_i32 s6, s6, s2
	v_add_u32_e32 v17, s6, v0
	v_cmp_gt_u32_e32 vcc, s33, v17
	s_and_saveexec_b64 s[6:7], vcc
	s_cbranch_execz .LBB96_50
; %bb.1:
	s_load_dword s18, s[4:5], 0x144
	s_load_dwordx4 s[8:11], s[4:5], 0x1b8
                                        ; implicit-def: $vgpr134 : SGPR spill to VGPR lane
                                        ; kill: killed $sgpr0 killed $sgpr1
	s_mov_b32 s24, 0
	s_mov_b32 s30, 0x55555555
	;; [unrolled: 1-line block ×4, first 2 shown]
	s_waitcnt lgkmcnt(0)
	v_writelane_b32 v134, s8, 0
	v_writelane_b32 v134, s9, 1
	v_writelane_b32 v134, s10, 2
	v_writelane_b32 v134, s11, 3
	s_load_dwordx2 s[12:13], s[4:5], 0xd8
	s_load_dword s3, s[4:5], 0xd0
	s_load_dword s9, s[0:1], 0x0
	s_load_dwordx2 s[6:7], s[4:5], 0x1c8
	s_load_dword s8, s[4:5], 0x1d0
	s_load_dword s19, s[4:5], 0x6c
	s_mov_b32 s38, 0xd7f4df2e
	s_load_dwordx2 s[0:1], s[4:5], 0x0
	s_waitcnt lgkmcnt(0)
	s_cmp_gt_i32 s3, 1
	v_writelane_b32 v134, s6, 4
	v_writelane_b32 v134, s7, 5
	s_cselect_b64 s[6:7], -1, 0
	v_writelane_b32 v134, s0, 6
	v_writelane_b32 v134, s1, 7
	s_getpc_b64 s[0:1]
	s_add_u32 s0, s0, .str@rel32@lo+4
	s_addc_u32 s1, s1, .str@rel32@hi+12
	s_cmp_eq_u64 s[0:1], 0
	s_cselect_b64 s[0:1], -1, 0
	s_bitcmp1_b32 s8, 0
	s_cselect_b64 s[10:11], -1, 0
	v_writelane_b32 v134, s10, 8
	s_mov_b32 s8, 0xcd9e8d57
	v_writelane_b32 v134, s11, 9
	v_mad_u64_u32 v[12:13], s[10:11], v17, s8, 0
	s_mul_i32 s10, s9, s2
	s_add_i32 s2, s3, 1
	v_writelane_b32 v134, s2, 10
	s_add_i32 s2, s3, -1
	s_mov_b32 s3, 0
	s_lshl_b64 s[2:3], s[2:3], 2
	s_add_u32 s2, s2, s4
	s_addc_u32 s3, s3, s5
	s_add_u32 s2, s2, 8
	s_addc_u32 s3, s3, 0
	v_writelane_b32 v134, s2, 11
	v_cndmask_b32_e64 v0, 0, 1, s[6:7]
	v_writelane_b32 v134, s3, 12
	v_cmp_ne_u32_e64 s[2:3], 1, v0
	v_writelane_b32 v134, s2, 13
	v_writelane_b32 v134, s3, 14
	s_mov_b32 s2, s12
	v_writelane_b32 v134, s2, 15
	s_mov_b32 s40, 0x16291751
	s_mov_b32 s42, 0x9b27acf1
	s_mov_b32 s44, 0x998ef7b6
	s_mov_b32 s48, 0xfefa39ef
	s_mov_b32 s50, 0x3b39803f
	s_mov_b32 s54, 0x652b82fe
	s_mov_b32 s62, 0x6a5dcb37
	s_mov_b32 s64, 0
	s_mov_b32 s66, 0
	s_mov_b32 s68, 0
	s_mov_b32 s70, 0x8f3faeef
	s_mov_b32 s72, 0
	s_mov_b32 s74, 0x4e4e324f
	s_mov_b32 s76, 0
	s_mov_b32 s78, 0x992b2855
	s_mov_b32 s80, 0
	s_mov_b32 s82, 0x7f8b9c81
	s_mov_b32 s84, 0x51a32f5d
	s_mov_b32 s86, 0x61d3b4d8
	s_mov_b32 s88, 0x8ed4171b
	s_mov_b32 s90, 0xb6c30b05
	s_movk_i32 s92, 0xf950
	s_mov_b32 s94, 0xc864beb5
	s_mov_b32 s22, 0
	;; [unrolled: 1-line block ×3, first 2 shown]
	s_mov_b64 s[16:17], 0
	v_mov_b32_e32 v14, 0
	v_mov_b32_e32 v16, v13
	v_writelane_b32 v134, s3, 16
	v_mov_b32_e32 v13, s13
	s_mov_b32 s11, 0xd2511f53
	s_mov_b32 s25, 0x40080000
	;; [unrolled: 1-line block ×12, first 2 shown]
	s_movk_i32 s9, 0x204
	s_mov_b32 s55, 0x3ff71547
	s_mov_b32 s57, 0xbfe62e42
	;; [unrolled: 1-line block ×3, first 2 shown]
	s_xor_b64 s[60:61], s[0:1], -1
	v_mov_b32_e32 v18, 0x6b47b09a
	v_mov_b32_e32 v20, 0xd7f4df2e
	;; [unrolled: 1-line block ×59, first 2 shown]
	s_mov_b32 s63, 0x3e5ade15
	s_mov_b32 s65, 0x40900000
	;; [unrolled: 1-line block ×20, first 2 shown]
                                        ; implicit-def: $sgpr26_sgpr27
                                        ; implicit-def: $sgpr28_sgpr29
	v_writelane_b32 v134, s10, 17
	s_branch .LBB96_5
.LBB96_2:                               ;   in Loop: Header=BB96_5 Depth=1
	s_or_b64 exec, exec, s[2:3]
.LBB96_3:                               ;   in Loop: Header=BB96_5 Depth=1
	s_or_b64 exec, exec, s[0:1]
	v_readlane_b32 s0, v134, 6
	v_cvt_f32_u32_e32 v3, v75
	v_lshlrev_b64 v[0:1], 1, v[70:71]
	v_readlane_b32 s1, v134, 7
	v_mov_b32_e32 v2, s1
	v_add_co_u32_e32 v0, vcc, s0, v0
	v_addc_co_u32_e32 v1, vcc, v2, v1, vcc
	v_add_u32_e32 v94, s10, v94
	v_bfe_u32 v2, v3, 16, 1
	s_movk_i32 s0, 0x7fff
	v_cmp_le_u32_e32 vcc, s33, v94
	v_add3_u32 v2, v3, v2, s0
	s_andn2_b64 s[28:29], s[28:29], exec
	s_orn2_b64 s[0:1], vcc, exec
	global_store_short_d16_hi v[0:1], v2, off
.LBB96_4:                               ;   in Loop: Header=BB96_5 Depth=1
	s_or_b64 exec, exec, s[52:53]
	s_and_b64 s[0:1], exec, s[0:1]
	s_or_b64 s[16:17], s[0:1], s[16:17]
	s_andn2_b64 s[0:1], s[26:27], exec
	s_and_b64 s[2:3], s[28:29], exec
	s_or_b64 s[26:27], s[0:1], s[2:3]
	s_andn2_b64 exec, exec, s[16:17]
	s_cbranch_execz .LBB96_49
.LBB96_5:                               ; =>This Loop Header: Depth=1
                                        ;     Child Loop BB96_8 Depth 2
                                        ;     Child Loop BB96_16 Depth 2
	;; [unrolled: 1-line block ×3, first 2 shown]
	v_sub_u32_e32 v0, s33, v94
	v_cmp_lt_i32_e64 s[2:3], 0, v0
	v_pk_mov_b32 v[70:71], 0, 0
	s_and_saveexec_b64 s[0:1], s[2:3]
	s_cbranch_execz .LBB96_10
; %bb.6:                                ;   in Loop: Header=BB96_5 Depth=1
	v_readlane_b32 s4, v134, 13
	v_readlane_b32 s5, v134, 14
	s_and_b64 vcc, exec, s[4:5]
	v_mov_b32_e32 v0, 0
	v_mov_b32_e32 v2, v94
	s_cbranch_vccnz .LBB96_9
; %bb.7:                                ;   in Loop: Header=BB96_5 Depth=1
	v_readlane_b32 s4, v134, 11
	v_mov_b32_e32 v0, 0
	v_readlane_b32 s5, v134, 12
	v_readlane_b32 s6, v134, 10
	v_mov_b32_e32 v2, v94
.LBB96_8:                               ;   Parent Loop BB96_5 Depth=1
                                        ; =>  This Inner Loop Header: Depth=2
	s_load_dword s7, s[4:5], 0x0
	s_load_dword s12, s[4:5], 0x64
	v_mov_b32_e32 v1, v2
	s_add_i32 s6, s6, -1
	s_waitcnt lgkmcnt(0)
	v_cvt_f32_u32_e32 v2, s7
	s_sub_i32 s14, 0, s7
	s_add_u32 s4, s4, -4
	s_addc_u32 s5, s5, -1
	v_rcp_iflag_f32_e32 v2, v2
	s_cmp_gt_u32 s6, 2
	v_mul_f32_e32 v2, 0x4f7ffffe, v2
	v_cvt_u32_f32_e32 v2, v2
	v_mul_lo_u32 v3, s14, v2
	v_mul_hi_u32 v3, v2, v3
	v_add_u32_e32 v2, v2, v3
	v_mul_hi_u32 v2, v1, v2
	v_mul_lo_u32 v3, v2, s7
	v_sub_u32_e32 v3, v1, v3
	v_add_u32_e32 v4, 1, v2
	v_subrev_u32_e32 v5, s7, v3
	v_cmp_le_u32_e32 vcc, s7, v3
	v_cndmask_b32_e32 v2, v2, v4, vcc
	v_cndmask_b32_e32 v3, v3, v5, vcc
	v_add_u32_e32 v4, 1, v2
	v_cmp_le_u32_e32 vcc, s7, v3
	v_cndmask_b32_e32 v2, v2, v4, vcc
	v_mul_lo_u32 v3, v2, s7
	v_sub_u32_e32 v1, v1, v3
	v_mad_u64_u32 v[0:1], s[14:15], s12, v1, v[0:1]
	s_cbranch_scc1 .LBB96_8
.LBB96_9:                               ;   in Loop: Header=BB96_5 Depth=1
	v_mad_u64_u32 v[70:71], s[4:5], s19, v2, v[0:1]
	v_mov_b32_e32 v71, v14
.LBB96_10:                              ;   in Loop: Header=BB96_5 Depth=1
	s_or_b64 exec, exec, s[0:1]
	v_mul_lo_u32 v0, v94, s18
	v_cndmask_b32_e64 v0, 0, v0, s[2:3]
	v_mov_b32_e32 v1, v14
	v_lshlrev_b64 v[0:1], 1, v[0:1]
	v_readlane_b32 s0, v134, 15
	v_add_co_u32_e32 v0, vcc, s0, v0
	v_addc_co_u32_e32 v1, vcc, v13, v1, vcc
	global_load_ushort v0, v[0:1], off
	v_readlane_b32 s1, v134, 16
	s_mov_b64 s[0:1], -1
	s_or_b64 s[28:29], s[28:29], exec
	s_waitcnt vmcnt(0)
	v_lshlrev_b32_e32 v6, 16, v0
	v_cmp_le_f32_e32 vcc, 0, v6
	s_and_b64 s[2:3], s[60:61], vcc
	s_and_saveexec_b64 s[52:53], s[2:3]
	s_cbranch_execz .LBB96_4
; %bb.11:                               ;   in Loop: Header=BB96_5 Depth=1
	v_readlane_b32 s0, v134, 8
	v_readlane_b32 s1, v134, 9
	s_andn2_b64 vcc, exec, s[0:1]
	v_readlane_b32 s0, v134, 0
	v_readlane_b32 s1, v134, 1
	;; [unrolled: 1-line block ×4, first 2 shown]
	v_pk_mov_b32 v[0:1], s[2:3], s[2:3] op_sel:[0,1]
	v_pk_mov_b32 v[72:73], s[0:1], s[0:1] op_sel:[0,1]
	s_cbranch_vccnz .LBB96_13
; %bb.12:                               ;   in Loop: Header=BB96_5 Depth=1
	v_readlane_b32 s0, v134, 0
	v_readlane_b32 s2, v134, 2
	;; [unrolled: 1-line block ×3, first 2 shown]
	v_pk_mov_b32 v[0:1], s[2:3], s[2:3] op_sel:[0,1]
	v_readlane_b32 s1, v134, 1
	flat_load_dwordx2 v[0:1], v[0:1]
	v_pk_mov_b32 v[2:3], s[0:1], s[0:1] op_sel:[0,1]
	flat_load_dwordx2 v[72:73], v[2:3]
	v_readlane_b32 s0, v134, 4
	v_readlane_b32 s1, v134, 5
	v_mov_b32_e32 v2, s1
	s_waitcnt vmcnt(0) lgkmcnt(0)
	v_add_co_u32_e32 v0, vcc, s0, v0
	v_addc_co_u32_e32 v1, vcc, v1, v2, vcc
.LBB96_13:                              ;   in Loop: Header=BB96_5 Depth=1
	v_alignbit_b32 v96, v1, v0, 2
	v_and_b32_e32 v15, 3, v0
	v_lshrrev_b32_e32 v97, 2, v1
	v_mad_u64_u32 v[0:1], s[0:1], v96, s11, 0
	v_xor_b32_e32 v3, v16, v72
	v_mov_b32_e32 v2, v73
	v_xor_b32_e32 v1, v1, v73
	s_mov_b32 s0, 0xbb67ae85
	v_xor_b32_e32 v3, v3, v97
	v_add_co_u32_e32 v99, vcc, s0, v2
	v_mad_u64_u32 v[4:5], s[0:1], v3, s11, 0
	v_mad_u64_u32 v[8:9], s[0:1], v1, s8, 0
	v_add_co_u32_e32 v98, vcc, 0x9e3779b9, v72
	v_xor_b32_e32 v1, v12, v9
	v_xor_b32_e32 v3, v99, v5
	s_mov_b32 s0, 0x3c6ef372
	v_xor_b32_e32 v1, v1, v98
	v_xor_b32_e32 v3, v3, v0
	v_add_co_u32_e32 v100, vcc, s0, v72
	s_mov_b32 s0, 0x76cf5d0a
	v_add_co_u32_e32 v101, vcc, s0, v2
	v_mad_u64_u32 v[0:1], s[0:1], v1, s11, 0
	v_mad_u64_u32 v[10:11], s[0:1], v3, s8, 0
	v_xor_b32_e32 v3, v100, v11
	v_xor_b32_e32 v1, v101, v1
	s_mov_b32 s0, 0xdaa66d2b
	v_xor_b32_e32 v3, v3, v8
	v_xor_b32_e32 v1, v1, v4
	v_add_co_u32_e32 v103, vcc, s0, v72
	s_mov_b32 s0, 0x32370b8f
	v_add_co_u32_e32 v104, vcc, s0, v2
	v_mad_u64_u32 v[4:5], s[0:1], v3, s11, 0
	v_mad_u64_u32 v[8:9], s[0:1], v1, s8, 0
	;; [unrolled: 10-line block ×7, first 2 shown]
	v_xor_b32_e32 v1, v102, v1
	v_xor_b32_e32 v3, v114, v3
	;; [unrolled: 1-line block ×4, first 2 shown]
	v_mad_u64_u32 v[4:5], s[0:1], v1, s11, 0
	v_mad_u64_u32 v[8:9], s[0:1], v7, s8, 0
	v_add_u32_e32 v105, 0x8ff34781, v72
	v_add_u32_e32 v95, 0x96a522ad, v73
	v_xor_b32_e32 v0, v9, v0
	v_xor_b32_e32 v2, v5, v2
	s_mov_b32 s0, 0x42800000
	v_mov_b32_e32 v3, v4
	v_mov_b32_e32 v1, v8
	v_xor_b32_e32 v0, v105, v0
	v_xor_b32_e32 v2, v95, v2
	v_cvt_f64_f32_e32 v[4:5], v6
	v_cmp_ngt_f32_e32 vcc, s0, v6
                                        ; implicit-def: $vgpr75
	s_and_saveexec_b64 s[0:1], vcc
	s_xor_b64 s[4:5], exec, s[0:1]
	s_cbranch_execz .LBB96_42
; %bb.14:                               ;   in Loop: Header=BB96_5 Depth=1
	s_mov_b32 s0, 0x457a0000
	v_cmp_ge_f32_e32 vcc, s0, v6
                                        ; implicit-def: $vgpr75
	s_and_saveexec_b64 s[0:1], vcc
	s_xor_b64 s[14:15], exec, s[0:1]
	s_cbranch_execz .LBB96_29
; %bb.15:                               ;   in Loop: Header=BB96_5 Depth=1
	s_mov_b32 s6, 0xae147ae1
	s_mov_b32 s7, 0xc00ae147
	v_div_scale_f64 v[6:7], s[0:1], v[4:5], v[4:5], s[6:7]
	v_rcp_f64_e32 v[8:9], v[6:7]
	s_mov_b32 s0, 0
	v_mul_f64 v[76:77], v[4:5], s[24:25]
	s_brev_b32 s1, 8
	v_cmp_gt_f64_e64 s[2:3], s[0:1], v[76:77]
	v_cndmask_b32_e64 v78, 0, 1, s[2:3]
	v_fma_f64 v[74:75], -v[6:7], v[8:9], 1.0
	v_lshlrev_b32_e32 v78, 8, v78
	v_fmac_f64_e32 v[8:9], v[8:9], v[74:75]
	v_ldexp_f64 v[76:77], v[76:77], v78
	v_fma_f64 v[74:75], -v[6:7], v[8:9], 1.0
	v_rsq_f64_e32 v[78:79], v[76:77]
	v_div_scale_f64 v[10:11], vcc, s[6:7], v[4:5], s[6:7]
	v_fmac_f64_e32 v[8:9], v[8:9], v[74:75]
	v_mul_f64 v[74:75], v[10:11], v[8:9]
	v_fma_f64 v[6:7], -v[6:7], v[74:75], v[10:11]
	s_nop 0
	v_div_fmas_f64 v[6:7], v[6:7], v[8:9], v[74:75]
	v_mul_f64 v[8:9], v[76:77], v[78:79]
	v_mul_f64 v[10:11], v[78:79], 0.5
	v_fma_f64 v[74:75], -v[10:11], v[8:9], 0.5
	v_fmac_f64_e32 v[8:9], v[8:9], v[74:75]
	v_fma_f64 v[78:79], -v[8:9], v[8:9], v[76:77]
	v_fmac_f64_e32 v[10:11], v[10:11], v[74:75]
	v_fmac_f64_e32 v[8:9], v[78:79], v[10:11]
	v_fma_f64 v[74:75], -v[8:9], v[8:9], v[76:77]
	v_fmac_f64_e32 v[8:9], v[74:75], v[10:11]
	v_cndmask_b32_e64 v10, 0, v89, s[2:3]
	v_ldexp_f64 v[8:9], v[8:9], v10
	v_cmp_class_f64_e32 vcc, v[76:77], v88
	s_mov_b32 s2, 0x54442d18
	v_cndmask_b32_e32 v9, v9, v77, vcc
	v_cndmask_b32_e32 v8, v8, v76, vcc
	s_mov_b32 s3, 0x400921fb
	v_div_scale_f64 v[10:11], s[0:1], v[8:9], v[8:9], s[2:3]
	v_rcp_f64_e32 v[76:77], v[10:11]
	s_mov_b32 s0, 0x95810625
	v_div_fixup_f64 v[6:7], v[6:7], v[4:5], s[6:7]
	s_mov_b32 s1, 0x3fe88b43
	v_fma_f64 v[78:79], -v[10:11], v[76:77], 1.0
	v_fmac_f64_e32 v[76:77], v[76:77], v[78:79]
	v_fma_f64 v[78:79], -v[10:11], v[76:77], 1.0
	v_fmac_f64_e32 v[76:77], v[76:77], v[78:79]
	v_div_scale_f64 v[78:79], vcc, s[2:3], v[8:9], s[2:3]
	v_mul_f64 v[80:81], v[78:79], v[76:77]
	v_fma_f64 v[10:11], -v[10:11], v[80:81], v[78:79]
	v_add_f64 v[6:7], v[6:7], s[0:1]
	s_nop 0
	v_div_fmas_f64 v[10:11], v[10:11], v[76:77], v[80:81]
	v_div_fixup_f64 v[76:77], v[10:11], v[8:9], s[2:3]
	v_frexp_mant_f64_e32 v[8:9], v[6:7]
	v_cmp_gt_f64_e32 vcc, s[30:31], v[8:9]
	v_mov_b32_e32 v74, 0
	v_cndmask_b32_e64 v75, v90, 2.0, vcc
	v_frexp_exp_i32_f64_e32 v10, v[6:7]
	v_mul_f64 v[8:9], v[8:9], v[74:75]
	v_subbrev_co_u32_e32 v75, vcc, 0, v10, vcc
	v_add_f64 v[10:11], v[8:9], 1.0
	v_rcp_f64_e32 v[80:81], v[10:11]
	v_add_f64 v[84:85], v[10:11], -1.0
	v_add_f64 v[82:83], v[8:9], -1.0
	v_add_f64 v[8:9], v[8:9], -v[84:85]
	v_fma_f64 v[84:85], -v[10:11], v[80:81], 1.0
	v_fmac_f64_e32 v[80:81], v[84:85], v[80:81]
	v_fma_f64 v[84:85], -v[10:11], v[80:81], 1.0
	v_fmac_f64_e32 v[80:81], v[84:85], v[80:81]
	v_mul_f64 v[84:85], v[82:83], v[80:81]
	v_mul_f64 v[86:87], v[10:11], v[84:85]
	v_fma_f64 v[10:11], v[84:85], v[10:11], -v[86:87]
	v_fmac_f64_e32 v[10:11], v[84:85], v[8:9]
	v_add_f64 v[8:9], v[86:87], v[10:11]
	v_add_f64 v[116:117], v[82:83], -v[8:9]
	v_add_f64 v[86:87], v[8:9], -v[86:87]
	;; [unrolled: 1-line block ×5, first 2 shown]
	v_add_f64 v[8:9], v[10:11], v[8:9]
	v_add_f64 v[8:9], v[116:117], v[8:9]
	v_mul_f64 v[8:9], v[80:81], v[8:9]
	v_add_f64 v[10:11], v[84:85], v[8:9]
	v_add_f64 v[80:81], v[10:11], -v[84:85]
	v_add_f64 v[8:9], v[8:9], -v[80:81]
	v_mul_f64 v[80:81], v[10:11], v[10:11]
	v_pk_mov_b32 v[82:83], s[34:35], s[34:35] op_sel:[0,1]
	v_fma_f64 v[84:85], s[36:37], v[80:81], v[82:83]
	v_fma_f64 v[84:85], v[80:81], v[84:85], s[38:39]
	;; [unrolled: 1-line block ×5, first 2 shown]
	s_mov_b32 s47, s31
	v_fma_f64 v[84:85], v[80:81], v[84:85], s[46:47]
	v_ldexp_f64 v[86:87], v[10:11], 1
	v_mul_f64 v[10:11], v[10:11], v[80:81]
	v_mul_f64 v[10:11], v[10:11], v[84:85]
	v_add_f64 v[80:81], v[86:87], v[10:11]
	v_add_f64 v[84:85], v[80:81], -v[86:87]
	v_ldexp_f64 v[8:9], v[8:9], 1
	v_add_f64 v[10:11], v[10:11], -v[84:85]
	v_add_f64 v[8:9], v[8:9], v[10:11]
	v_add_f64 v[10:11], v[80:81], v[8:9]
	v_add_f64 v[80:81], v[10:11], -v[80:81]
	v_add_f64 v[8:9], v[8:9], -v[80:81]
	v_cvt_f64_i32_e32 v[80:81], v75
	v_mul_f64 v[84:85], v[80:81], s[48:49]
	v_fma_f64 v[86:87], v[80:81], s[48:49], -v[84:85]
	v_fmac_f64_e32 v[86:87], s[50:51], v[80:81]
	v_add_f64 v[80:81], v[84:85], v[86:87]
	v_add_f64 v[84:85], v[80:81], -v[84:85]
	v_add_f64 v[84:85], v[86:87], -v[84:85]
	v_add_f64 v[86:87], v[80:81], v[10:11]
	v_add_f64 v[116:117], v[86:87], -v[80:81]
	v_add_f64 v[118:119], v[86:87], -v[116:117]
	;; [unrolled: 1-line block ×4, first 2 shown]
	v_add_f64 v[10:11], v[10:11], v[80:81]
	v_add_f64 v[80:81], v[84:85], v[8:9]
	v_add_f64 v[116:117], v[80:81], -v[84:85]
	v_add_f64 v[118:119], v[80:81], -v[116:117]
	v_add_f64 v[10:11], v[80:81], v[10:11]
	v_add_f64 v[84:85], v[84:85], -v[118:119]
	v_add_f64 v[8:9], v[8:9], -v[116:117]
	v_add_f64 v[80:81], v[86:87], v[10:11]
	v_add_f64 v[8:9], v[8:9], v[84:85]
	v_add_f64 v[84:85], v[80:81], -v[86:87]
	v_add_f64 v[10:11], v[10:11], -v[84:85]
	v_add_f64 v[8:9], v[8:9], v[10:11]
	v_add_f64 v[8:9], v[80:81], v[8:9]
	v_cmp_class_f64_e64 vcc, v[6:7], s9
	v_cndmask_b32_e32 v8, v8, v6, vcc
	v_cndmask_b32_e32 v9, v9, v7, vcc
	v_cmp_ngt_f64_e32 vcc, 0, v[6:7]
	v_cndmask_b32_e32 v9, v91, v9, vcc
	v_cmp_nge_f64_e32 vcc, 0, v[6:7]
	v_cndmask_b32_e32 v8, 0, v8, vcc
	v_cmp_neq_f64_e32 vcc, 0, v[6:7]
	v_cndmask_b32_e32 v9, v92, v9, vcc
	v_add_f64 v[6:7], v[8:9], -v[4:5]
	v_frexp_mant_f64_e32 v[8:9], v[76:77]
	v_cmp_gt_f64_e32 vcc, s[30:31], v[8:9]
	v_cndmask_b32_e64 v75, v90, 2.0, vcc
	v_frexp_exp_i32_f64_e32 v10, v[76:77]
	v_mul_f64 v[8:9], v[8:9], v[74:75]
	v_subbrev_co_u32_e32 v75, vcc, 0, v10, vcc
	v_add_f64 v[10:11], v[8:9], 1.0
	v_rcp_f64_e32 v[80:81], v[10:11]
	v_add_f64 v[86:87], v[10:11], -1.0
	v_add_f64 v[84:85], v[8:9], -1.0
	v_add_f64 v[8:9], v[8:9], -v[86:87]
	v_fma_f64 v[86:87], -v[10:11], v[80:81], 1.0
	v_fmac_f64_e32 v[80:81], v[86:87], v[80:81]
	v_fma_f64 v[86:87], -v[10:11], v[80:81], 1.0
	v_fmac_f64_e32 v[80:81], v[86:87], v[80:81]
	v_mul_f64 v[86:87], v[84:85], v[80:81]
	v_mul_f64 v[116:117], v[10:11], v[86:87]
	v_fma_f64 v[10:11], v[86:87], v[10:11], -v[116:117]
	v_fmac_f64_e32 v[10:11], v[86:87], v[8:9]
	v_add_f64 v[8:9], v[116:117], v[10:11]
	v_add_f64 v[118:119], v[84:85], -v[8:9]
	v_add_f64 v[116:117], v[8:9], -v[116:117]
	;; [unrolled: 1-line block ×5, first 2 shown]
	v_add_f64 v[8:9], v[10:11], v[8:9]
	v_add_f64 v[8:9], v[118:119], v[8:9]
	v_mul_f64 v[8:9], v[80:81], v[8:9]
	v_add_f64 v[10:11], v[86:87], v[8:9]
	v_add_f64 v[80:81], v[10:11], -v[86:87]
	v_add_f64 v[8:9], v[8:9], -v[80:81]
	v_mul_f64 v[80:81], v[10:11], v[10:11]
	v_fma_f64 v[84:85], s[36:37], v[80:81], v[82:83]
	v_fma_f64 v[84:85], v[80:81], v[84:85], s[38:39]
	;; [unrolled: 1-line block ×6, first 2 shown]
	v_ldexp_f64 v[86:87], v[10:11], 1
	v_mul_f64 v[10:11], v[10:11], v[80:81]
	v_mul_f64 v[10:11], v[10:11], v[84:85]
	v_add_f64 v[80:81], v[86:87], v[10:11]
	v_add_f64 v[84:85], v[80:81], -v[86:87]
	v_ldexp_f64 v[8:9], v[8:9], 1
	v_add_f64 v[10:11], v[10:11], -v[84:85]
	v_add_f64 v[8:9], v[8:9], v[10:11]
	v_add_f64 v[10:11], v[80:81], v[8:9]
	v_add_f64 v[80:81], v[10:11], -v[80:81]
	v_add_f64 v[8:9], v[8:9], -v[80:81]
	v_cvt_f64_i32_e32 v[80:81], v75
	v_mul_f64 v[84:85], v[80:81], s[48:49]
	v_fma_f64 v[86:87], v[80:81], s[48:49], -v[84:85]
	v_fmac_f64_e32 v[86:87], s[50:51], v[80:81]
	v_add_f64 v[80:81], v[84:85], v[86:87]
	v_add_f64 v[84:85], v[80:81], -v[84:85]
	v_add_f64 v[84:85], v[86:87], -v[84:85]
	v_add_f64 v[86:87], v[80:81], v[10:11]
	v_add_f64 v[116:117], v[86:87], -v[80:81]
	v_add_f64 v[118:119], v[86:87], -v[116:117]
	;; [unrolled: 1-line block ×4, first 2 shown]
	v_add_f64 v[10:11], v[10:11], v[80:81]
	v_add_f64 v[80:81], v[84:85], v[8:9]
	v_add_f64 v[116:117], v[80:81], -v[84:85]
	v_add_f64 v[118:119], v[80:81], -v[116:117]
	v_add_f64 v[10:11], v[80:81], v[10:11]
	v_add_f64 v[84:85], v[84:85], -v[118:119]
	v_add_f64 v[8:9], v[8:9], -v[116:117]
	v_add_f64 v[80:81], v[86:87], v[10:11]
	v_add_f64 v[8:9], v[8:9], v[84:85]
	v_add_f64 v[84:85], v[80:81], -v[86:87]
	v_add_f64 v[10:11], v[10:11], -v[84:85]
	s_mov_b32 s0, 0
	v_add_f64 v[8:9], v[8:9], v[10:11]
	s_mov_b32 s1, 0x7ff00000
	v_add_f64 v[8:9], v[80:81], v[8:9]
	v_cmp_eq_f64_e32 vcc, s[0:1], v[76:77]
	v_cndmask_b32_e32 v8, v8, v76, vcc
	v_cndmask_b32_e32 v9, v9, v77, vcc
	v_cmp_neq_f64_e32 vcc, 0, v[76:77]
	v_cndmask_b32_e32 v9, v92, v9, vcc
	v_cndmask_b32_e32 v8, 0, v8, vcc
	v_mul_f64 v[78:79], v[76:77], v[4:5]
	v_add_f64 v[80:81], v[6:7], -v[8:9]
	v_frexp_exp_i32_f64_e32 v6, v[4:5]
	v_frexp_mant_f64_e32 v[4:5], v[4:5]
	v_cmp_gt_f64_e32 vcc, s[30:31], v[4:5]
	v_cndmask_b32_e64 v75, v90, 2.0, vcc
	v_mul_f64 v[4:5], v[4:5], v[74:75]
	v_subbrev_co_u32_e32 v75, vcc, 0, v6, vcc
	v_add_f64 v[6:7], v[4:5], 1.0
	v_rcp_f64_e32 v[8:9], v[6:7]
	v_add_f64 v[84:85], v[6:7], -1.0
	v_add_f64 v[10:11], v[4:5], -1.0
	v_add_f64 v[4:5], v[4:5], -v[84:85]
	v_fma_f64 v[84:85], -v[6:7], v[8:9], 1.0
	v_fmac_f64_e32 v[8:9], v[84:85], v[8:9]
	v_fma_f64 v[84:85], -v[6:7], v[8:9], 1.0
	v_fmac_f64_e32 v[8:9], v[84:85], v[8:9]
	v_mul_f64 v[84:85], v[10:11], v[8:9]
	v_mul_f64 v[86:87], v[6:7], v[84:85]
	v_fma_f64 v[6:7], v[84:85], v[6:7], -v[86:87]
	v_fmac_f64_e32 v[6:7], v[84:85], v[4:5]
	v_add_f64 v[4:5], v[86:87], v[6:7]
	v_add_f64 v[116:117], v[10:11], -v[4:5]
	v_add_f64 v[86:87], v[4:5], -v[86:87]
	;; [unrolled: 1-line block ×5, first 2 shown]
	v_add_f64 v[4:5], v[6:7], v[4:5]
	v_add_f64 v[4:5], v[116:117], v[4:5]
	v_mul_f64 v[4:5], v[8:9], v[4:5]
	v_add_f64 v[6:7], v[84:85], v[4:5]
	v_add_f64 v[8:9], v[6:7], -v[84:85]
	v_add_f64 v[4:5], v[4:5], -v[8:9]
	v_mul_f64 v[8:9], v[6:7], v[6:7]
	v_fmac_f64_e32 v[82:83], s[36:37], v[8:9]
	v_fma_f64 v[10:11], v[8:9], v[82:83], s[38:39]
	v_fma_f64 v[10:11], v[8:9], v[10:11], s[40:41]
	;; [unrolled: 1-line block ×5, first 2 shown]
	v_ldexp_f64 v[82:83], v[6:7], 1
	v_mul_f64 v[6:7], v[6:7], v[8:9]
	v_mul_f64 v[6:7], v[6:7], v[10:11]
	v_add_f64 v[8:9], v[82:83], v[6:7]
	v_add_f64 v[10:11], v[8:9], -v[82:83]
	v_ldexp_f64 v[4:5], v[4:5], 1
	v_add_f64 v[6:7], v[6:7], -v[10:11]
	v_add_f64 v[4:5], v[4:5], v[6:7]
	v_add_f64 v[6:7], v[8:9], v[4:5]
	v_add_f64 v[8:9], v[6:7], -v[8:9]
	v_add_f64 v[4:5], v[4:5], -v[8:9]
	v_cvt_f64_i32_e32 v[8:9], v75
	v_mul_f64 v[10:11], v[8:9], s[48:49]
	v_fma_f64 v[82:83], v[8:9], s[48:49], -v[10:11]
	v_fmac_f64_e32 v[82:83], s[50:51], v[8:9]
	v_add_f64 v[8:9], v[10:11], v[82:83]
	v_add_f64 v[10:11], v[8:9], -v[10:11]
	v_add_f64 v[10:11], v[82:83], -v[10:11]
	v_add_f64 v[82:83], v[8:9], v[6:7]
	v_add_f64 v[84:85], v[82:83], -v[8:9]
	v_add_f64 v[86:87], v[82:83], -v[84:85]
	;; [unrolled: 1-line block ×4, first 2 shown]
	v_add_f64 v[6:7], v[6:7], v[8:9]
	v_add_f64 v[8:9], v[10:11], v[4:5]
	v_add_f64 v[84:85], v[8:9], -v[10:11]
	v_add_f64 v[86:87], v[8:9], -v[84:85]
	v_add_f64 v[6:7], v[8:9], v[6:7]
	v_add_f64 v[10:11], v[10:11], -v[86:87]
	v_add_f64 v[4:5], v[4:5], -v[84:85]
	v_add_f64 v[8:9], v[82:83], v[6:7]
	v_add_f64 v[4:5], v[4:5], v[10:11]
	v_add_f64 v[10:11], v[8:9], -v[82:83]
	v_add_f64 v[6:7], v[6:7], -v[10:11]
	v_add_f64 v[4:5], v[4:5], v[6:7]
	s_mov_b32 s10, s19
	s_mov_b32 s12, s18
	v_add_f64 v[82:83], v[8:9], v[4:5]
	s_mov_b64 s[6:7], 0
	s_mov_b64 s[18:19], 0
	v_mov_b32_e32 v115, v17
                                        ; implicit-def: $vgpr75
.LBB96_16:                              ;   Parent Loop BB96_5 Depth=1
                                        ; =>  This Inner Loop Header: Depth=2
	v_add_u32_e32 v116, 1, v15
	v_pk_mov_b32 v[10:11], v[2:3], v[2:3] op_sel:[0,1]
	v_cmp_eq_u32_e32 vcc, 4, v116
	v_pk_mov_b32 v[8:9], v[0:1], v[0:1] op_sel:[0,1]
	v_mov_b32_e32 v87, v0
	v_mov_b32_e32 v86, v1
	;; [unrolled: 1-line block ×4, first 2 shown]
	s_and_saveexec_b64 s[0:1], vcc
	s_cbranch_execz .LBB96_18
; %bb.17:                               ;   in Loop: Header=BB96_16 Depth=2
	v_add_co_u32_e32 v96, vcc, 1, v96
	v_cndmask_b32_e64 v4, 0, 1, vcc
	v_addc_co_u32_e32 v97, vcc, 0, v97, vcc
	v_cmp_eq_u32_e32 vcc, 0, v97
	v_cndmask_b32_e32 v4, 0, v4, vcc
	v_add_u32_e32 v115, v4, v115
	v_cmp_eq_u32_e32 vcc, 0, v115
	v_cndmask_b32_e32 v4, 0, v4, vcc
	v_add_u32_e32 v74, v4, v74
	v_mad_u64_u32 v[4:5], s[2:3], v96, s11, 0
	v_mad_u64_u32 v[6:7], s[2:3], v115, s8, 0
	v_xor_b32_e32 v5, v5, v73
	v_xor_b32_e32 v7, v7, v72
	v_xor_b32_e32 v5, v74, v5
	v_xor_b32_e32 v7, v97, v7
	v_mad_u64_u32 v[10:11], s[2:3], v5, s8, 0
	v_mad_u64_u32 v[8:9], s[2:3], v7, s11, 0
	v_xor_b32_e32 v5, v98, v11
	v_xor_b32_e32 v5, v5, v6
	v_xor_b32_e32 v6, v99, v9
	v_xor_b32_e32 v6, v6, v4
	v_mad_u64_u32 v[4:5], s[2:3], v5, s11, 0
	v_mad_u64_u32 v[6:7], s[2:3], v6, s8, 0
	v_xor_b32_e32 v5, v101, v5
	v_xor_b32_e32 v7, v100, v7
	v_xor_b32_e32 v5, v5, v8
	v_xor_b32_e32 v7, v7, v10
	v_mad_u64_u32 v[10:11], s[2:3], v5, s8, 0
	v_mad_u64_u32 v[8:9], s[2:3], v7, s11, 0
	v_xor_b32_e32 v5, v103, v11
	v_xor_b32_e32 v5, v5, v6
	v_xor_b32_e32 v6, v104, v9
	v_xor_b32_e32 v6, v6, v4
	v_mad_u64_u32 v[4:5], s[2:3], v5, s11, 0
	v_mad_u64_u32 v[6:7], s[2:3], v6, s8, 0
	v_xor_b32_e32 v5, v107, v5
	v_xor_b32_e32 v7, v106, v7
	v_xor_b32_e32 v5, v5, v8
	v_xor_b32_e32 v7, v7, v10
	v_mad_u64_u32 v[10:11], s[2:3], v5, s8, 0
	v_mad_u64_u32 v[8:9], s[2:3], v7, s11, 0
	v_xor_b32_e32 v5, v108, v11
	v_xor_b32_e32 v5, v5, v6
	v_xor_b32_e32 v6, v109, v9
	v_xor_b32_e32 v6, v6, v4
	v_mad_u64_u32 v[4:5], s[2:3], v5, s11, 0
	v_mad_u64_u32 v[6:7], s[2:3], v6, s8, 0
	v_xor_b32_e32 v5, v111, v5
	v_xor_b32_e32 v7, v110, v7
	v_xor_b32_e32 v5, v5, v8
	v_xor_b32_e32 v7, v7, v10
	v_mad_u64_u32 v[10:11], s[2:3], v5, s8, 0
	v_mad_u64_u32 v[8:9], s[2:3], v7, s11, 0
	v_xor_b32_e32 v5, v112, v11
	v_xor_b32_e32 v5, v5, v6
	v_xor_b32_e32 v6, v113, v9
	v_xor_b32_e32 v6, v6, v4
	v_mad_u64_u32 v[4:5], s[2:3], v5, s11, 0
	v_mad_u64_u32 v[6:7], s[2:3], v6, s8, 0
	v_xor_b32_e32 v7, v102, v7
	v_xor_b32_e32 v5, v114, v5
	v_xor_b32_e32 v7, v7, v10
	v_xor_b32_e32 v5, v5, v8
	v_mad_u64_u32 v[84:85], s[2:3], v7, s11, 0
	v_mad_u64_u32 v[86:87], s[2:3], v5, s8, 0
	v_xor_b32_e32 v5, v87, v6
	v_xor_b32_e32 v4, v85, v4
	v_xor_b32_e32 v8, v105, v5
	v_xor_b32_e32 v10, v95, v4
	v_mov_b32_e32 v116, 0
	v_mov_b32_e32 v9, v86
	;; [unrolled: 1-line block ×5, first 2 shown]
.LBB96_18:                              ;   in Loop: Header=BB96_16 Depth=2
	s_or_b64 exec, exec, s[0:1]
	v_add_u32_e32 v117, 1, v116
	v_pk_mov_b32 v[4:5], v[8:9], v[8:9] op_sel:[0,1]
	v_cmp_eq_u32_e32 vcc, 4, v117
	v_pk_mov_b32 v[6:7], v[10:11], v[10:11] op_sel:[0,1]
	s_and_saveexec_b64 s[0:1], vcc
	s_cbranch_execz .LBB96_20
; %bb.19:                               ;   in Loop: Header=BB96_16 Depth=2
	v_add_co_u32_e32 v96, vcc, 1, v96
	v_cndmask_b32_e64 v4, 0, 1, vcc
	v_addc_co_u32_e32 v97, vcc, 0, v97, vcc
	v_cmp_eq_u32_e32 vcc, 0, v97
	v_cndmask_b32_e32 v4, 0, v4, vcc
	v_add_u32_e32 v115, v4, v115
	v_cmp_eq_u32_e32 vcc, 0, v115
	v_cndmask_b32_e32 v4, 0, v4, vcc
	v_add_u32_e32 v74, v4, v74
	v_mad_u64_u32 v[4:5], s[2:3], v96, s11, 0
	v_mad_u64_u32 v[6:7], s[2:3], v115, s8, 0
	v_xor_b32_e32 v5, v5, v73
	v_xor_b32_e32 v7, v7, v72
	v_xor_b32_e32 v5, v74, v5
	v_xor_b32_e32 v7, v97, v7
	v_mad_u64_u32 v[86:87], s[2:3], v5, s8, 0
	v_mad_u64_u32 v[84:85], s[2:3], v7, s11, 0
	v_xor_b32_e32 v5, v98, v87
	v_xor_b32_e32 v5, v5, v6
	v_xor_b32_e32 v6, v99, v85
	v_xor_b32_e32 v6, v6, v4
	;; [unrolled: 6-line block ×10, first 2 shown]
	v_mov_b32_e32 v117, 0
	v_mov_b32_e32 v5, v86
	;; [unrolled: 1-line block ×5, first 2 shown]
.LBB96_20:                              ;   in Loop: Header=BB96_16 Depth=2
	s_or_b64 exec, exec, s[0:1]
	v_cmp_eq_u32_e32 vcc, 1, v15
	v_cndmask_b32_e32 v0, v0, v1, vcc
	v_cmp_eq_u32_e32 vcc, 2, v15
	v_cndmask_b32_e32 v0, v0, v2, vcc
	;; [unrolled: 2-line block ×6, first 2 shown]
	v_lshrrev_b32_e32 v0, 11, v0
	v_cvt_f64_u32_e32 v[0:1], v0
	v_ldexp_f64 v[0:1], v[0:1], 32
	v_cvt_f64_u32_e32 v[2:3], v2
	v_add_f64 v[0:1], v[0:1], v[2:3]
	v_mov_b32_e32 v2, 0
	v_mov_b32_e32 v3, 0x3ca00000
	v_fmac_f64_e32 v[2:3], 0x3ca00000, v[0:1]
	v_add_f64 v[0:1], -v[2:3], 1.0
	v_div_scale_f64 v[8:9], s[0:1], v[2:3], v[2:3], v[0:1]
	v_rcp_f64_e32 v[10:11], v[8:9]
	v_fma_f64 v[118:119], -v[8:9], v[10:11], 1.0
	v_fmac_f64_e32 v[10:11], v[10:11], v[118:119]
	v_fma_f64 v[118:119], -v[8:9], v[10:11], 1.0
	v_fmac_f64_e32 v[10:11], v[10:11], v[118:119]
	v_div_scale_f64 v[118:119], vcc, v[0:1], v[2:3], v[0:1]
	v_mul_f64 v[120:121], v[118:119], v[10:11]
	v_fma_f64 v[8:9], -v[8:9], v[120:121], v[118:119]
	s_nop 1
	v_div_fmas_f64 v[8:9], v[8:9], v[10:11], v[120:121]
	v_div_fixup_f64 v[0:1], v[8:9], v[2:3], v[0:1]
	v_frexp_mant_f64_e32 v[2:3], v[0:1]
	v_cmp_gt_f64_e32 vcc, s[30:31], v[2:3]
	v_cndmask_b32_e64 v15, v90, 2.0, vcc
	v_frexp_exp_i32_f64_e32 v8, v[0:1]
	v_mul_f64 v[2:3], v[2:3], v[14:15]
	v_subbrev_co_u32_e32 v15, vcc, 0, v8, vcc
	v_add_f64 v[8:9], v[2:3], 1.0
	v_rcp_f64_e32 v[10:11], v[8:9]
	v_add_f64 v[120:121], v[8:9], -1.0
	v_add_f64 v[118:119], v[2:3], -1.0
	v_add_f64 v[2:3], v[2:3], -v[120:121]
	v_fma_f64 v[120:121], -v[8:9], v[10:11], 1.0
	v_fmac_f64_e32 v[10:11], v[120:121], v[10:11]
	v_fma_f64 v[120:121], -v[8:9], v[10:11], 1.0
	v_fmac_f64_e32 v[10:11], v[120:121], v[10:11]
	v_mul_f64 v[120:121], v[118:119], v[10:11]
	v_mul_f64 v[122:123], v[8:9], v[120:121]
	v_fma_f64 v[8:9], v[120:121], v[8:9], -v[122:123]
	v_fmac_f64_e32 v[8:9], v[120:121], v[2:3]
	v_add_f64 v[2:3], v[122:123], v[8:9]
	v_add_f64 v[124:125], v[118:119], -v[2:3]
	v_add_f64 v[122:123], v[2:3], -v[122:123]
	;; [unrolled: 1-line block ×5, first 2 shown]
	v_add_f64 v[2:3], v[8:9], v[2:3]
	v_add_f64 v[2:3], v[124:125], v[2:3]
	v_mul_f64 v[2:3], v[10:11], v[2:3]
	v_add_f64 v[8:9], v[120:121], v[2:3]
	v_add_f64 v[10:11], v[8:9], -v[120:121]
	v_add_f64 v[2:3], v[2:3], -v[10:11]
	v_mul_f64 v[10:11], v[8:9], v[8:9]
	v_pk_mov_b32 v[118:119], v[18:19], v[18:19] op_sel:[0,1]
	v_fmac_f64_e32 v[118:119], s[36:37], v[10:11]
	v_pk_mov_b32 v[120:121], v[20:21], v[20:21] op_sel:[0,1]
	v_fmac_f64_e32 v[120:121], v[10:11], v[118:119]
	;; [unrolled: 2-line block ×6, first 2 shown]
	v_ldexp_f64 v[118:119], v[8:9], 1
	v_mul_f64 v[8:9], v[8:9], v[10:11]
	v_mul_f64 v[8:9], v[8:9], v[120:121]
	v_add_f64 v[10:11], v[118:119], v[8:9]
	v_add_f64 v[118:119], v[10:11], -v[118:119]
	v_ldexp_f64 v[2:3], v[2:3], 1
	v_add_f64 v[8:9], v[8:9], -v[118:119]
	v_add_f64 v[2:3], v[2:3], v[8:9]
	v_add_f64 v[8:9], v[10:11], v[2:3]
	v_add_f64 v[10:11], v[8:9], -v[10:11]
	v_add_f64 v[2:3], v[2:3], -v[10:11]
	v_cvt_f64_i32_e32 v[10:11], v15
	v_mul_f64 v[118:119], v[10:11], s[48:49]
	v_fma_f64 v[120:121], v[10:11], s[48:49], -v[118:119]
	v_fmac_f64_e32 v[120:121], s[50:51], v[10:11]
	v_add_f64 v[10:11], v[118:119], v[120:121]
	v_add_f64 v[118:119], v[10:11], -v[118:119]
	v_add_f64 v[118:119], v[120:121], -v[118:119]
	v_add_f64 v[120:121], v[10:11], v[8:9]
	v_add_f64 v[122:123], v[120:121], -v[10:11]
	v_add_f64 v[124:125], v[120:121], -v[122:123]
	;; [unrolled: 1-line block ×4, first 2 shown]
	v_add_f64 v[8:9], v[8:9], v[10:11]
	v_add_f64 v[10:11], v[118:119], v[2:3]
	v_add_f64 v[122:123], v[10:11], -v[118:119]
	v_add_f64 v[124:125], v[10:11], -v[122:123]
	v_add_f64 v[8:9], v[10:11], v[8:9]
	v_add_f64 v[118:119], v[118:119], -v[124:125]
	v_add_f64 v[2:3], v[2:3], -v[122:123]
	v_add_f64 v[10:11], v[120:121], v[8:9]
	v_add_f64 v[2:3], v[2:3], v[118:119]
	v_add_f64 v[118:119], v[10:11], -v[120:121]
	v_add_f64 v[8:9], v[8:9], -v[118:119]
	v_add_f64 v[2:3], v[2:3], v[8:9]
	v_add_f64 v[2:3], v[10:11], v[2:3]
	v_cmp_class_f64_e64 vcc, v[0:1], s9
	v_cndmask_b32_e32 v2, v2, v0, vcc
	v_cndmask_b32_e32 v3, v3, v1, vcc
	v_cmp_ngt_f64_e32 vcc, 0, v[0:1]
	v_cndmask_b32_e32 v3, v91, v3, vcc
	v_cmp_nge_f64_e32 vcc, 0, v[0:1]
	v_cndmask_b32_e32 v2, 0, v2, vcc
	v_cmp_neq_f64_e32 vcc, 0, v[0:1]
	v_cndmask_b32_e32 v3, v92, v3, vcc
	v_add_f64 v[0:1], v[78:79], -v[2:3]
	v_div_scale_f64 v[2:3], s[0:1], v[76:77], v[76:77], v[0:1]
	v_rcp_f64_e32 v[8:9], v[2:3]
	v_fma_f64 v[10:11], -v[2:3], v[8:9], 1.0
	v_fmac_f64_e32 v[8:9], v[8:9], v[10:11]
	v_fma_f64 v[10:11], -v[2:3], v[8:9], 1.0
	v_fmac_f64_e32 v[8:9], v[8:9], v[10:11]
	v_div_scale_f64 v[10:11], vcc, v[0:1], v[76:77], v[0:1]
	v_mul_f64 v[118:119], v[10:11], v[8:9]
	v_fma_f64 v[2:3], -v[2:3], v[118:119], v[10:11]
	s_nop 1
	v_div_fmas_f64 v[2:3], v[2:3], v[8:9], v[118:119]
	v_div_fixup_f64 v[10:11], v[2:3], v[76:77], v[0:1]
	v_add_f64 v[0:1], v[10:11], 0.5
	v_floor_f64_e32 v[8:9], v[0:1]
	v_cmp_ngt_f64_e32 vcc, 0, v[8:9]
	v_mov_b32_e32 v118, 2
	s_and_saveexec_b64 s[0:1], vcc
	s_cbranch_execz .LBB96_26
; %bb.21:                               ;   in Loop: Header=BB96_16 Depth=2
	v_add_u32_e32 v15, 1, v117
	v_pk_mov_b32 v[0:1], v[4:5], v[4:5] op_sel:[0,1]
	v_cmp_eq_u32_e32 vcc, 4, v15
	v_pk_mov_b32 v[2:3], v[6:7], v[6:7] op_sel:[0,1]
	s_and_saveexec_b64 s[2:3], vcc
	s_cbranch_execz .LBB96_23
; %bb.22:                               ;   in Loop: Header=BB96_16 Depth=2
	v_add_co_u32_e32 v96, vcc, 1, v96
	v_cndmask_b32_e64 v0, 0, 1, vcc
	v_addc_co_u32_e32 v97, vcc, 0, v97, vcc
	v_cmp_eq_u32_e32 vcc, 0, v97
	v_cndmask_b32_e32 v0, 0, v0, vcc
	v_add_u32_e32 v115, v0, v115
	v_cmp_eq_u32_e32 vcc, 0, v115
	v_cndmask_b32_e32 v0, 0, v0, vcc
	v_add_u32_e32 v74, v0, v74
	v_mad_u64_u32 v[0:1], vcc, v96, s11, 0
	v_mad_u64_u32 v[2:3], vcc, v115, s8, 0
	v_xor_b32_e32 v1, v1, v73
	v_xor_b32_e32 v3, v3, v72
	v_xor_b32_e32 v1, v74, v1
	v_xor_b32_e32 v3, v97, v3
	v_mad_u64_u32 v[86:87], vcc, v1, s8, 0
	v_mad_u64_u32 v[84:85], vcc, v3, s11, 0
	v_xor_b32_e32 v1, v98, v87
	v_xor_b32_e32 v1, v1, v2
	v_xor_b32_e32 v2, v99, v85
	v_xor_b32_e32 v2, v2, v0
	;; [unrolled: 6-line block ×10, first 2 shown]
	v_mov_b32_e32 v15, 0
	v_mov_b32_e32 v1, v86
	;; [unrolled: 1-line block ×5, first 2 shown]
.LBB96_23:                              ;   in Loop: Header=BB96_16 Depth=2
	s_or_b64 exec, exec, s[2:3]
	v_add_u32_e32 v116, 1, v15
	v_cmp_eq_u32_e32 vcc, 4, v116
	s_and_saveexec_b64 s[2:3], vcc
	s_cbranch_execz .LBB96_25
; %bb.24:                               ;   in Loop: Header=BB96_16 Depth=2
	v_add_co_u32_e32 v96, vcc, 1, v96
	v_cndmask_b32_e64 v84, 0, 1, vcc
	v_addc_co_u32_e32 v97, vcc, 0, v97, vcc
	v_cmp_eq_u32_e32 vcc, 0, v97
	v_cndmask_b32_e32 v84, 0, v84, vcc
	v_add_u32_e32 v115, v84, v115
	v_cmp_eq_u32_e32 vcc, 0, v115
	v_cndmask_b32_e32 v84, 0, v84, vcc
	v_add_u32_e32 v74, v84, v74
	v_mad_u64_u32 v[84:85], vcc, v96, s11, 0
	v_mad_u64_u32 v[86:87], vcc, v115, s8, 0
	v_xor_b32_e32 v85, v85, v73
	v_xor_b32_e32 v87, v87, v72
	v_xor_b32_e32 v85, v74, v85
	v_xor_b32_e32 v87, v97, v87
	v_mad_u64_u32 v[120:121], vcc, v85, s8, 0
	v_mad_u64_u32 v[118:119], vcc, v87, s11, 0
	v_xor_b32_e32 v85, v98, v121
	v_xor_b32_e32 v85, v85, v86
	v_xor_b32_e32 v86, v99, v119
	v_xor_b32_e32 v86, v86, v84
	;; [unrolled: 6-line block ×9, first 2 shown]
	v_mad_u64_u32 v[84:85], vcc, v84, s11, 0
	v_mad_u64_u32 v[86:87], vcc, v86, s8, 0
	v_xor_b32_e32 v87, v87, v124
	v_xor_b32_e32 v85, v85, v122
	v_mov_b32_e32 v116, 0
	v_xor_b32_e32 v87, v105, v87
	v_xor_b32_e32 v85, v95, v85
.LBB96_25:                              ;   in Loop: Header=BB96_16 Depth=2
	s_or_b64 exec, exec, s[2:3]
	v_cmp_eq_u32_e32 vcc, 1, v117
	v_cndmask_b32_e32 v4, v4, v5, vcc
	v_cmp_eq_u32_e32 vcc, 2, v117
	v_cndmask_b32_e32 v4, v4, v6, vcc
	;; [unrolled: 2-line block ×6, first 2 shown]
	v_lshrrev_b32_e32 v0, 11, v0
	v_cvt_f64_u32_e32 v[0:1], v0
	v_ldexp_f64 v[0:1], v[0:1], 32
	v_cvt_f64_u32_e32 v[2:3], v4
	v_add_f64 v[0:1], v[0:1], v[2:3]
	v_mov_b32_e32 v2, 0
	v_mov_b32_e32 v3, 0x3ca00000
	v_fma_f64 v[4:5], -v[76:77], v[10:11], v[78:79]
	v_fmac_f64_e32 v[2:3], 0x3ca00000, v[0:1]
	v_mul_f64 v[0:1], v[4:5], s[54:55]
	v_rndne_f64_e32 v[0:1], v[0:1]
	s_mov_b32 s56, s48
	v_fma_f64 v[6:7], s[56:57], v[0:1], v[4:5]
	s_mov_b32 s58, s50
	v_fmac_f64_e32 v[6:7], s[58:59], v[0:1]
	v_pk_mov_b32 v[10:11], v[30:31], v[30:31] op_sel:[0,1]
	v_fmac_f64_e32 v[10:11], s[62:63], v[6:7]
	v_pk_mov_b32 v[118:119], v[32:33], v[32:33] op_sel:[0,1]
	v_fmac_f64_e32 v[118:119], v[6:7], v[10:11]
	v_pk_mov_b32 v[10:11], v[34:35], v[34:35] op_sel:[0,1]
	v_fmac_f64_e32 v[10:11], v[6:7], v[118:119]
	v_pk_mov_b32 v[118:119], v[36:37], v[36:37] op_sel:[0,1]
	v_fmac_f64_e32 v[118:119], v[6:7], v[10:11]
	v_pk_mov_b32 v[10:11], v[38:39], v[38:39] op_sel:[0,1]
	v_fmac_f64_e32 v[10:11], v[6:7], v[118:119]
	v_pk_mov_b32 v[118:119], v[40:41], v[40:41] op_sel:[0,1]
	v_fmac_f64_e32 v[118:119], v[6:7], v[10:11]
	v_pk_mov_b32 v[10:11], v[42:43], v[42:43] op_sel:[0,1]
	v_fmac_f64_e32 v[10:11], v[6:7], v[118:119]
	v_pk_mov_b32 v[118:119], v[44:45], v[44:45] op_sel:[0,1]
	v_fmac_f64_e32 v[118:119], v[6:7], v[10:11]
	v_pk_mov_b32 v[10:11], v[46:47], v[46:47] op_sel:[0,1]
	v_fmac_f64_e32 v[10:11], v[6:7], v[118:119]
	v_fma_f64 v[10:11], v[6:7], v[10:11], 1.0
	v_fma_f64 v[6:7], v[6:7], v[10:11], 1.0
	v_cvt_i32_f64_e32 v0, v[0:1]
	v_ldexp_f64 v[0:1], v[6:7], v0
	v_add_f64 v[0:1], v[0:1], 1.0
	v_cmp_nlt_f64_e32 vcc, s[64:65], v[4:5]
	v_cmp_ngt_f64_e64 s[2:3], s[66:67], v[4:5]
	v_cndmask_b32_e32 v1, v93, v1, vcc
	s_and_b64 vcc, s[2:3], vcc
	v_cndmask_b32_e64 v1, v90, v1, s[2:3]
	v_cndmask_b32_e32 v0, 0, v0, vcc
	v_mul_f64 v[0:1], v[0:1], v[0:1]
	v_div_scale_f64 v[6:7], s[2:3], v[0:1], v[0:1], v[2:3]
	v_rcp_f64_e32 v[10:11], v[6:7]
	s_mov_b32 s47, s31
	v_fma_f64 v[118:119], -v[6:7], v[10:11], 1.0
	v_fmac_f64_e32 v[10:11], v[10:11], v[118:119]
	v_fma_f64 v[118:119], -v[6:7], v[10:11], 1.0
	v_fmac_f64_e32 v[10:11], v[10:11], v[118:119]
	v_div_scale_f64 v[118:119], vcc, v[2:3], v[0:1], v[2:3]
	v_mul_f64 v[120:121], v[118:119], v[10:11]
	v_fma_f64 v[6:7], -v[6:7], v[120:121], v[118:119]
	s_nop 1
	v_div_fmas_f64 v[6:7], v[6:7], v[10:11], v[120:121]
	v_div_fixup_f64 v[2:3], v[6:7], v[0:1], v[2:3]
	v_frexp_mant_f64_e32 v[0:1], v[2:3]
	v_cmp_gt_f64_e32 vcc, s[30:31], v[0:1]
	v_cndmask_b32_e64 v15, v90, 2.0, vcc
	v_frexp_exp_i32_f64_e32 v6, v[2:3]
	v_mul_f64 v[0:1], v[0:1], v[14:15]
	v_subbrev_co_u32_e32 v15, vcc, 0, v6, vcc
	v_add_f64 v[6:7], v[0:1], 1.0
	v_rcp_f64_e32 v[10:11], v[6:7]
	v_add_f64 v[120:121], v[6:7], -1.0
	v_add_f64 v[118:119], v[0:1], -1.0
	v_add_f64 v[0:1], v[0:1], -v[120:121]
	v_fma_f64 v[120:121], -v[6:7], v[10:11], 1.0
	v_fmac_f64_e32 v[10:11], v[120:121], v[10:11]
	v_fma_f64 v[120:121], -v[6:7], v[10:11], 1.0
	v_fmac_f64_e32 v[10:11], v[120:121], v[10:11]
	v_mul_f64 v[120:121], v[118:119], v[10:11]
	v_mul_f64 v[122:123], v[6:7], v[120:121]
	v_fma_f64 v[6:7], v[120:121], v[6:7], -v[122:123]
	v_fmac_f64_e32 v[6:7], v[120:121], v[0:1]
	v_add_f64 v[0:1], v[122:123], v[6:7]
	v_add_f64 v[124:125], v[118:119], -v[0:1]
	v_add_f64 v[122:123], v[0:1], -v[122:123]
	;; [unrolled: 1-line block ×5, first 2 shown]
	v_add_f64 v[0:1], v[6:7], v[0:1]
	v_add_f64 v[0:1], v[124:125], v[0:1]
	v_mul_f64 v[0:1], v[10:11], v[0:1]
	v_add_f64 v[6:7], v[120:121], v[0:1]
	v_add_f64 v[10:11], v[6:7], -v[120:121]
	v_add_f64 v[10:11], v[0:1], -v[10:11]
	v_mul_f64 v[118:119], v[6:7], v[6:7]
	v_pk_mov_b32 v[0:1], s[34:35], s[34:35] op_sel:[0,1]
	v_fma_f64 v[120:121], s[36:37], v[118:119], v[0:1]
	v_fma_f64 v[120:121], v[118:119], v[120:121], s[38:39]
	;; [unrolled: 1-line block ×6, first 2 shown]
	v_ldexp_f64 v[122:123], v[6:7], 1
	v_mul_f64 v[6:7], v[6:7], v[118:119]
	v_mul_f64 v[6:7], v[6:7], v[120:121]
	v_add_f64 v[118:119], v[122:123], v[6:7]
	v_add_f64 v[120:121], v[118:119], -v[122:123]
	v_ldexp_f64 v[10:11], v[10:11], 1
	v_add_f64 v[6:7], v[6:7], -v[120:121]
	v_add_f64 v[6:7], v[10:11], v[6:7]
	v_add_f64 v[10:11], v[118:119], v[6:7]
	v_add_f64 v[118:119], v[10:11], -v[118:119]
	v_add_f64 v[6:7], v[6:7], -v[118:119]
	v_cvt_f64_i32_e32 v[118:119], v15
	v_mul_f64 v[120:121], v[118:119], s[48:49]
	v_fma_f64 v[122:123], v[118:119], s[48:49], -v[120:121]
	v_fmac_f64_e32 v[122:123], s[50:51], v[118:119]
	v_add_f64 v[118:119], v[120:121], v[122:123]
	v_add_f64 v[120:121], v[118:119], -v[120:121]
	v_add_f64 v[120:121], v[122:123], -v[120:121]
	v_add_f64 v[122:123], v[118:119], v[10:11]
	v_add_f64 v[124:125], v[122:123], -v[118:119]
	v_add_f64 v[126:127], v[122:123], -v[124:125]
	;; [unrolled: 1-line block ×4, first 2 shown]
	v_add_f64 v[10:11], v[10:11], v[118:119]
	v_add_f64 v[118:119], v[120:121], v[6:7]
	v_add_f64 v[124:125], v[118:119], -v[120:121]
	v_add_f64 v[126:127], v[118:119], -v[124:125]
	v_add_f64 v[10:11], v[118:119], v[10:11]
	v_add_f64 v[120:121], v[120:121], -v[126:127]
	v_add_f64 v[6:7], v[6:7], -v[124:125]
	v_add_f64 v[118:119], v[122:123], v[10:11]
	v_add_f64 v[6:7], v[6:7], v[120:121]
	v_add_f64 v[120:121], v[118:119], -v[122:123]
	v_add_f64 v[10:11], v[10:11], -v[120:121]
	v_add_f64 v[6:7], v[6:7], v[10:11]
	v_add_f64 v[6:7], v[118:119], v[6:7]
	v_cmp_class_f64_e64 vcc, v[2:3], s9
	v_cndmask_b32_e32 v15, v6, v2, vcc
	v_cndmask_b32_e32 v6, v7, v3, vcc
	v_cmp_neq_f64_e32 vcc, 0, v[2:3]
	v_cndmask_b32_e32 v3, v92, v6, vcc
	v_add_f64 v[6:7], v[8:9], 1.0
	v_add_f64 v[6:7], v[6:7], -1.0
	v_add_f64 v[118:119], v[6:7], s[68:69]
	v_div_scale_f64 v[10:11], s[2:3], v[118:119], v[118:119], s[70:71]
	v_rcp_f64_e32 v[120:121], v[10:11]
	v_cndmask_b32_e32 v2, 0, v15, vcc
	v_add_f64 v[2:3], v[4:5], v[2:3]
	v_fma_f64 v[4:5], v[82:83], v[8:9], v[80:81]
	v_fma_f64 v[122:123], -v[10:11], v[120:121], 1.0
	v_fmac_f64_e32 v[120:121], v[120:121], v[122:123]
	v_fma_f64 v[122:123], -v[10:11], v[120:121], 1.0
	v_fmac_f64_e32 v[120:121], v[120:121], v[122:123]
	v_div_scale_f64 v[122:123], vcc, s[70:71], v[118:119], s[70:71]
	v_mul_f64 v[124:125], v[122:123], v[120:121]
	v_fma_f64 v[122:123], -v[10:11], v[124:125], v[122:123]
	v_add_f64 v[10:11], v[6:7], s[72:73]
	v_div_scale_f64 v[126:127], s[2:3], v[10:11], v[10:11], s[74:75]
	v_rcp_f64_e32 v[128:129], v[126:127]
	v_div_fmas_f64 v[120:121], v[122:123], v[120:121], v[124:125]
	v_div_fixup_f64 v[118:119], v[120:121], v[118:119], s[70:71]
	v_add_f64 v[124:125], v[6:7], s[76:77]
	v_fma_f64 v[120:121], -v[126:127], v[128:129], 1.0
	v_fmac_f64_e32 v[128:129], v[128:129], v[120:121]
	v_fma_f64 v[120:121], -v[126:127], v[128:129], 1.0
	v_fmac_f64_e32 v[128:129], v[128:129], v[120:121]
	v_div_scale_f64 v[120:121], vcc, s[74:75], v[10:11], s[74:75]
	v_mul_f64 v[122:123], v[120:121], v[128:129]
	v_fma_f64 v[120:121], -v[126:127], v[122:123], v[120:121]
	v_div_scale_f64 v[126:127], s[2:3], v[124:125], v[124:125], s[78:79]
	v_rcp_f64_e32 v[130:131], v[126:127]
	v_div_fmas_f64 v[120:121], v[120:121], v[128:129], v[122:123]
	v_add_f64 v[118:119], v[118:119], 0
	v_div_fixup_f64 v[120:121], v[120:121], v[10:11], s[74:75]
	v_add_f64 v[118:119], v[120:121], v[118:119]
	v_fma_f64 v[120:121], -v[126:127], v[130:131], 1.0
	v_fmac_f64_e32 v[130:131], v[130:131], v[120:121]
	v_fma_f64 v[120:121], -v[126:127], v[130:131], 1.0
	v_fmac_f64_e32 v[130:131], v[130:131], v[120:121]
	v_div_scale_f64 v[120:121], vcc, s[78:79], v[124:125], s[78:79]
	v_mul_f64 v[122:123], v[120:121], v[130:131]
	v_fma_f64 v[120:121], -v[126:127], v[122:123], v[120:121]
	v_add_f64 v[126:127], v[6:7], s[80:81]
	v_div_scale_f64 v[128:129], s[2:3], v[126:127], v[126:127], s[82:83]
	v_rcp_f64_e32 v[132:133], v[128:129]
	v_div_fmas_f64 v[120:121], v[120:121], v[130:131], v[122:123]
	v_div_fixup_f64 v[120:121], v[120:121], v[124:125], s[78:79]
	v_add_f64 v[118:119], v[118:119], v[120:121]
	v_fma_f64 v[120:121], -v[128:129], v[132:133], 1.0
	v_fmac_f64_e32 v[132:133], v[132:133], v[120:121]
	v_fma_f64 v[120:121], -v[128:129], v[132:133], 1.0
	v_fmac_f64_e32 v[132:133], v[132:133], v[120:121]
	v_div_scale_f64 v[120:121], vcc, s[82:83], v[126:127], s[82:83]
	v_mul_f64 v[122:123], v[120:121], v[132:133]
	v_add_f64 v[124:125], v[6:7], 4.0
	v_fma_f64 v[120:121], -v[128:129], v[122:123], v[120:121]
	v_div_scale_f64 v[128:129], s[2:3], v[124:125], v[124:125], s[84:85]
	v_rcp_f64_e32 v[130:131], v[128:129]
	v_div_fmas_f64 v[120:121], v[120:121], v[132:133], v[122:123]
	v_div_fixup_f64 v[120:121], v[120:121], v[126:127], s[82:83]
	v_add_f64 v[118:119], v[120:121], v[118:119]
	v_fma_f64 v[120:121], -v[128:129], v[130:131], 1.0
	v_fmac_f64_e32 v[130:131], v[130:131], v[120:121]
	v_fma_f64 v[120:121], -v[128:129], v[130:131], 1.0
	v_fmac_f64_e32 v[130:131], v[130:131], v[120:121]
	v_div_scale_f64 v[120:121], vcc, s[84:85], v[124:125], s[84:85]
	v_mul_f64 v[122:123], v[120:121], v[130:131]
	v_add_f64 v[126:127], v[6:7], s[24:25]
	v_fma_f64 v[120:121], -v[128:129], v[122:123], v[120:121]
	v_div_scale_f64 v[128:129], s[2:3], v[126:127], v[126:127], s[86:87]
	v_rcp_f64_e32 v[132:133], v[128:129]
	v_div_fmas_f64 v[120:121], v[120:121], v[130:131], v[122:123]
	v_div_fixup_f64 v[120:121], v[120:121], v[124:125], s[84:85]
	v_add_f64 v[118:119], v[118:119], v[120:121]
	v_fma_f64 v[120:121], -v[128:129], v[132:133], 1.0
	v_fmac_f64_e32 v[132:133], v[132:133], v[120:121]
	v_fma_f64 v[120:121], -v[128:129], v[132:133], 1.0
	v_fmac_f64_e32 v[132:133], v[132:133], v[120:121]
	v_div_scale_f64 v[120:121], vcc, s[86:87], v[126:127], s[86:87]
	v_mul_f64 v[122:123], v[120:121], v[132:133]
	v_add_f64 v[124:125], v[6:7], 2.0
	v_fma_f64 v[120:121], -v[128:129], v[122:123], v[120:121]
	v_div_scale_f64 v[128:129], s[2:3], v[124:125], v[124:125], s[88:89]
	v_rcp_f64_e32 v[130:131], v[128:129]
	v_div_fmas_f64 v[120:121], v[120:121], v[132:133], v[122:123]
	v_div_fixup_f64 v[120:121], v[120:121], v[126:127], s[86:87]
	v_add_f64 v[118:119], v[120:121], v[118:119]
	v_fma_f64 v[120:121], -v[128:129], v[130:131], 1.0
	v_fmac_f64_e32 v[130:131], v[130:131], v[120:121]
	v_fma_f64 v[120:121], -v[128:129], v[130:131], 1.0
	v_fmac_f64_e32 v[130:131], v[130:131], v[120:121]
	v_div_scale_f64 v[120:121], vcc, s[88:89], v[124:125], s[88:89]
	v_mul_f64 v[122:123], v[120:121], v[130:131]
	v_add_f64 v[126:127], v[6:7], 1.0
	v_fma_f64 v[120:121], -v[128:129], v[122:123], v[120:121]
	v_div_scale_f64 v[128:129], s[2:3], v[126:127], v[126:127], s[90:91]
	v_rcp_f64_e32 v[132:133], v[128:129]
	v_div_fmas_f64 v[120:121], v[120:121], v[130:131], v[122:123]
	v_div_fixup_f64 v[120:121], v[120:121], v[124:125], s[88:89]
	v_add_f64 v[118:119], v[118:119], v[120:121]
	v_fma_f64 v[120:121], -v[128:129], v[132:133], 1.0
	v_fmac_f64_e32 v[132:133], v[132:133], v[120:121]
	v_fma_f64 v[120:121], -v[128:129], v[132:133], 1.0
	v_fmac_f64_e32 v[132:133], v[132:133], v[120:121]
	v_div_scale_f64 v[120:121], vcc, s[90:91], v[126:127], s[90:91]
	v_mul_f64 v[122:123], v[120:121], v[132:133]
	v_fma_f64 v[120:121], -v[128:129], v[122:123], v[120:121]
	v_add_f64 v[10:11], v[10:11], 0.5
	s_nop 0
	v_div_fmas_f64 v[120:121], v[120:121], v[132:133], v[122:123]
	v_div_fixup_f64 v[120:121], v[120:121], v[126:127], s[90:91]
	v_add_f64 v[118:119], v[120:121], v[118:119]
	v_add_f64 v[118:119], v[118:119], s[92:93]
	v_frexp_mant_f64_e32 v[120:121], v[118:119]
	v_cmp_gt_f64_e32 vcc, s[30:31], v[120:121]
	v_cndmask_b32_e64 v15, v90, 2.0, vcc
	v_mul_f64 v[120:121], v[120:121], v[14:15]
	v_add_f64 v[122:123], v[120:121], 1.0
	v_rcp_f64_e32 v[124:125], v[122:123]
	v_add_f64 v[128:129], v[122:123], -1.0
	v_add_f64 v[126:127], v[120:121], -1.0
	v_add_f64 v[120:121], v[120:121], -v[128:129]
	v_fma_f64 v[128:129], -v[122:123], v[124:125], 1.0
	v_fmac_f64_e32 v[124:125], v[128:129], v[124:125]
	v_fma_f64 v[128:129], -v[122:123], v[124:125], 1.0
	v_fmac_f64_e32 v[124:125], v[128:129], v[124:125]
	v_mul_f64 v[128:129], v[126:127], v[124:125]
	v_mul_f64 v[130:131], v[122:123], v[128:129]
	v_fma_f64 v[122:123], v[128:129], v[122:123], -v[130:131]
	v_fmac_f64_e32 v[122:123], v[128:129], v[120:121]
	v_add_f64 v[120:121], v[130:131], v[122:123]
	v_add_f64 v[132:133], v[126:127], -v[120:121]
	v_add_f64 v[130:131], v[120:121], -v[130:131]
	;; [unrolled: 1-line block ×5, first 2 shown]
	v_add_f64 v[120:121], v[122:123], v[120:121]
	v_add_f64 v[120:121], v[132:133], v[120:121]
	v_mul_f64 v[120:121], v[124:125], v[120:121]
	v_add_f64 v[122:123], v[128:129], v[120:121]
	v_add_f64 v[124:125], v[122:123], -v[128:129]
	v_add_f64 v[120:121], v[120:121], -v[124:125]
	v_mul_f64 v[124:125], v[122:123], v[122:123]
	v_fma_f64 v[126:127], s[36:37], v[124:125], v[0:1]
	v_fma_f64 v[126:127], v[124:125], v[126:127], s[38:39]
	;; [unrolled: 1-line block ×6, first 2 shown]
	v_ldexp_f64 v[128:129], v[122:123], 1
	v_mul_f64 v[122:123], v[122:123], v[124:125]
	v_mul_f64 v[122:123], v[122:123], v[126:127]
	v_add_f64 v[124:125], v[128:129], v[122:123]
	v_add_f64 v[126:127], v[124:125], -v[128:129]
	v_ldexp_f64 v[120:121], v[120:121], 1
	v_add_f64 v[122:123], v[122:123], -v[126:127]
	v_add_f64 v[120:121], v[120:121], v[122:123]
	v_frexp_exp_i32_f64_e32 v117, v[118:119]
	v_add_f64 v[122:123], v[124:125], v[120:121]
	v_subbrev_co_u32_e32 v15, vcc, 0, v117, vcc
	v_add_f64 v[124:125], v[122:123], -v[124:125]
	v_add_f64 v[120:121], v[120:121], -v[124:125]
	v_cvt_f64_i32_e32 v[124:125], v15
	v_mul_f64 v[126:127], v[124:125], s[48:49]
	v_fma_f64 v[128:129], v[124:125], s[48:49], -v[126:127]
	v_fmac_f64_e32 v[128:129], s[50:51], v[124:125]
	v_add_f64 v[124:125], v[126:127], v[128:129]
	v_add_f64 v[126:127], v[124:125], -v[126:127]
	v_add_f64 v[126:127], v[128:129], -v[126:127]
	v_add_f64 v[128:129], v[124:125], v[122:123]
	v_add_f64 v[130:131], v[128:129], -v[124:125]
	v_add_f64 v[132:133], v[128:129], -v[130:131]
	;; [unrolled: 1-line block ×4, first 2 shown]
	v_add_f64 v[122:123], v[122:123], v[124:125]
	v_add_f64 v[124:125], v[126:127], v[120:121]
	v_add_f64 v[130:131], v[124:125], -v[126:127]
	v_add_f64 v[132:133], v[124:125], -v[130:131]
	v_add_f64 v[122:123], v[124:125], v[122:123]
	v_add_f64 v[126:127], v[126:127], -v[132:133]
	v_add_f64 v[120:121], v[120:121], -v[130:131]
	v_add_f64 v[124:125], v[128:129], v[122:123]
	v_add_f64 v[120:121], v[120:121], v[126:127]
	v_add_f64 v[126:127], v[124:125], -v[128:129]
	v_add_f64 v[122:123], v[122:123], -v[126:127]
	v_add_f64 v[120:121], v[120:121], v[122:123]
	v_add_f64 v[120:121], v[124:125], v[120:121]
	v_cmp_class_f64_e64 vcc, v[118:119], s9
	v_div_scale_f64 v[122:123], s[2:3], s[20:21], s[20:21], v[10:11]
	v_cndmask_b32_e32 v121, v121, v119, vcc
	v_cndmask_b32_e32 v120, v120, v118, vcc
	v_rcp_f64_e32 v[124:125], v[122:123]
	v_add_f64 v[120:121], v[120:121], s[94:95]
	v_add_f64 v[120:121], v[120:121], s[22:23]
	v_cmp_ngt_f64_e32 vcc, 0, v[118:119]
	v_cndmask_b32_e32 v15, v91, v121, vcc
	v_cmp_nge_f64_e32 vcc, 0, v[118:119]
	v_cndmask_b32_e32 v120, 0, v120, vcc
	v_cmp_neq_f64_e32 vcc, 0, v[118:119]
	v_fma_f64 v[118:119], -v[122:123], v[124:125], 1.0
	v_fmac_f64_e32 v[124:125], v[124:125], v[118:119]
	v_fma_f64 v[118:119], -v[122:123], v[124:125], 1.0
	v_cndmask_b32_e32 v121, v92, v15, vcc
	v_fmac_f64_e32 v[124:125], v[124:125], v[118:119]
	v_div_scale_f64 v[118:119], vcc, v[10:11], s[20:21], v[10:11]
	v_mul_f64 v[126:127], v[118:119], v[124:125]
	v_fma_f64 v[118:119], -v[122:123], v[126:127], v[118:119]
	v_add_f64 v[6:7], v[6:7], 0.5
	s_nop 0
	v_div_fmas_f64 v[118:119], v[118:119], v[124:125], v[126:127]
	v_div_fixup_f64 v[10:11], v[118:119], s[20:21], v[10:11]
	v_frexp_mant_f64_e32 v[118:119], v[10:11]
	v_cmp_gt_f64_e32 vcc, s[30:31], v[118:119]
	v_cndmask_b32_e64 v15, v90, 2.0, vcc
	v_mul_f64 v[118:119], v[118:119], v[14:15]
	v_add_f64 v[122:123], v[118:119], 1.0
	v_rcp_f64_e32 v[124:125], v[122:123]
	v_add_f64 v[128:129], v[122:123], -1.0
	v_add_f64 v[126:127], v[118:119], -1.0
	v_add_f64 v[118:119], v[118:119], -v[128:129]
	v_fma_f64 v[128:129], -v[122:123], v[124:125], 1.0
	v_fmac_f64_e32 v[124:125], v[128:129], v[124:125]
	v_fma_f64 v[128:129], -v[122:123], v[124:125], 1.0
	v_fmac_f64_e32 v[124:125], v[128:129], v[124:125]
	v_mul_f64 v[128:129], v[126:127], v[124:125]
	v_mul_f64 v[130:131], v[122:123], v[128:129]
	v_fma_f64 v[122:123], v[128:129], v[122:123], -v[130:131]
	v_fmac_f64_e32 v[122:123], v[128:129], v[118:119]
	v_add_f64 v[118:119], v[130:131], v[122:123]
	v_add_f64 v[132:133], v[126:127], -v[118:119]
	v_add_f64 v[130:131], v[118:119], -v[130:131]
	;; [unrolled: 1-line block ×5, first 2 shown]
	v_add_f64 v[118:119], v[122:123], v[118:119]
	v_add_f64 v[118:119], v[132:133], v[118:119]
	v_mul_f64 v[118:119], v[124:125], v[118:119]
	v_add_f64 v[122:123], v[128:129], v[118:119]
	v_add_f64 v[124:125], v[122:123], -v[128:129]
	v_add_f64 v[118:119], v[118:119], -v[124:125]
	v_mul_f64 v[124:125], v[122:123], v[122:123]
	v_fmac_f64_e32 v[0:1], s[36:37], v[124:125]
	v_fma_f64 v[0:1], v[124:125], v[0:1], s[38:39]
	v_fma_f64 v[0:1], v[124:125], v[0:1], s[40:41]
	;; [unrolled: 1-line block ×5, first 2 shown]
	v_ldexp_f64 v[126:127], v[122:123], 1
	v_mul_f64 v[122:123], v[122:123], v[124:125]
	v_mul_f64 v[0:1], v[122:123], v[0:1]
	v_add_f64 v[122:123], v[126:127], v[0:1]
	v_add_f64 v[124:125], v[122:123], -v[126:127]
	v_ldexp_f64 v[118:119], v[118:119], 1
	v_add_f64 v[0:1], v[0:1], -v[124:125]
	v_add_f64 v[0:1], v[118:119], v[0:1]
	v_frexp_exp_i32_f64_e32 v117, v[10:11]
	v_add_f64 v[118:119], v[122:123], v[0:1]
	v_subbrev_co_u32_e32 v15, vcc, 0, v117, vcc
	v_add_f64 v[122:123], v[118:119], -v[122:123]
	v_add_f64 v[0:1], v[0:1], -v[122:123]
	v_cvt_f64_i32_e32 v[122:123], v15
	v_mul_f64 v[124:125], v[122:123], s[48:49]
	v_fma_f64 v[126:127], v[122:123], s[48:49], -v[124:125]
	v_fmac_f64_e32 v[126:127], s[50:51], v[122:123]
	v_add_f64 v[122:123], v[124:125], v[126:127]
	v_add_f64 v[124:125], v[122:123], -v[124:125]
	v_add_f64 v[124:125], v[126:127], -v[124:125]
	v_add_f64 v[126:127], v[122:123], v[118:119]
	v_add_f64 v[128:129], v[126:127], -v[122:123]
	v_add_f64 v[130:131], v[126:127], -v[128:129]
	;; [unrolled: 1-line block ×4, first 2 shown]
	v_add_f64 v[118:119], v[118:119], v[122:123]
	v_add_f64 v[122:123], v[124:125], v[0:1]
	v_add_f64 v[128:129], v[122:123], -v[124:125]
	v_add_f64 v[130:131], v[122:123], -v[128:129]
	v_add_f64 v[118:119], v[122:123], v[118:119]
	v_add_f64 v[124:125], v[124:125], -v[130:131]
	v_add_f64 v[0:1], v[0:1], -v[128:129]
	v_add_f64 v[122:123], v[126:127], v[118:119]
	v_add_f64 v[0:1], v[0:1], v[124:125]
	v_add_f64 v[124:125], v[122:123], -v[126:127]
	v_add_f64 v[118:119], v[118:119], -v[124:125]
	v_add_f64 v[0:1], v[0:1], v[118:119]
	v_add_f64 v[0:1], v[122:123], v[0:1]
	v_cmp_class_f64_e64 vcc, v[10:11], s9
	v_cndmask_b32_e32 v0, v0, v10, vcc
	v_cndmask_b32_e32 v1, v1, v11, vcc
	v_cmp_ngt_f64_e32 vcc, 0, v[10:11]
	v_cndmask_b32_e32 v1, v91, v1, vcc
	v_cmp_nge_f64_e32 vcc, 0, v[10:11]
	v_cndmask_b32_e32 v0, 0, v0, vcc
	v_cmp_neq_f64_e32 vcc, 0, v[10:11]
	v_cndmask_b32_e32 v1, v92, v1, vcc
	v_fmac_f64_e32 v[120:121], v[6:7], v[0:1]
	v_add_f64 v[0:1], v[4:5], -v[120:121]
	v_cvt_u32_f64_e32 v4, v[8:9]
	v_cmp_le_f64_e32 vcc, v[2:3], v[0:1]
	v_cndmask_b32_e64 v118, 0, 1, vcc
	v_cndmask_b32_e32 v75, v75, v4, vcc
	v_mov_b32_e32 v117, v116
.LBB96_26:                              ;   in Loop: Header=BB96_16 Depth=2
	s_or_b64 exec, exec, s[0:1]
	v_cmp_gt_i32_e32 vcc, 2, v118
	s_or_b64 s[18:19], vcc, s[18:19]
	v_mov_b32_e32 v15, v117
	v_mov_b32_e32 v0, v87
	;; [unrolled: 1-line block ×5, first 2 shown]
	s_andn2_b64 exec, exec, s[18:19]
	s_cbranch_execnz .LBB96_16
; %bb.27:                               ;   in Loop: Header=BB96_16 Depth=2
	s_or_b64 exec, exec, s[18:19]
	v_cmp_ne_u32_e32 vcc, 0, v118
	s_or_b64 s[6:7], vcc, s[6:7]
	s_mov_b64 s[18:19], 0
	v_mov_b32_e32 v15, v117
	v_mov_b32_e32 v0, v87
	;; [unrolled: 1-line block ×5, first 2 shown]
	s_andn2_b64 exec, exec, s[6:7]
	s_cbranch_execnz .LBB96_16
; %bb.28:                               ;   in Loop: Header=BB96_5 Depth=1
	s_or_b64 exec, exec, s[6:7]
	s_mov_b32 s18, s12
	s_mov_b32 s19, s10
	v_readlane_b32 s10, v134, 17
                                        ; implicit-def: $vgpr72_vgpr73
                                        ; implicit-def: $vgpr15
                                        ; implicit-def: $vgpr96
                                        ; implicit-def: $vgpr97
                                        ; implicit-def: $vgpr105
                                        ; implicit-def: $vgpr95
                                        ; implicit-def: $vgpr3
                                        ; implicit-def: $vgpr4_vgpr5
                                        ; implicit-def: $vgpr98
                                        ; implicit-def: $vgpr99
                                        ; implicit-def: $vgpr100
                                        ; implicit-def: $vgpr101
                                        ; implicit-def: $vgpr103
                                        ; implicit-def: $vgpr104
                                        ; implicit-def: $vgpr106
                                        ; implicit-def: $vgpr107
                                        ; implicit-def: $vgpr108
                                        ; implicit-def: $vgpr109
                                        ; implicit-def: $vgpr110
                                        ; implicit-def: $vgpr111
                                        ; implicit-def: $vgpr112
                                        ; implicit-def: $vgpr113
                                        ; implicit-def: $vgpr102
                                        ; implicit-def: $vgpr114
.LBB96_29:                              ;   in Loop: Header=BB96_5 Depth=1
	s_andn2_saveexec_b64 s[0:1], s[14:15]
	s_cbranch_execz .LBB96_41
; %bb.30:                               ;   in Loop: Header=BB96_5 Depth=1
	v_add_co_u32_e32 v6, vcc, 1, v96
	v_cndmask_b32_e64 v7, 0, 1, vcc
	v_addc_co_u32_e32 v10, vcc, 0, v97, vcc
	v_cmp_eq_u32_e32 vcc, 0, v10
	v_cndmask_b32_e32 v7, 0, v7, vcc
	v_add_u32_e32 v8, v7, v17
	v_cmp_eq_u32_e32 vcc, 0, v8
	v_cndmask_b32_e32 v11, 0, v7, vcc
	v_mad_u64_u32 v[6:7], s[2:3], v6, s11, 0
	v_mad_u64_u32 v[8:9], s[2:3], v8, s8, 0
	v_xor_b32_e32 v7, v7, v73
	v_xor_b32_e32 v9, v9, v72
	v_xor_b32_e32 v7, v11, v7
	v_xor_b32_e32 v9, v10, v9
	v_mad_u64_u32 v[72:73], s[2:3], v7, s8, 0
	v_mad_u64_u32 v[10:11], s[2:3], v9, s11, 0
	v_xor_b32_e32 v7, v98, v73
	v_xor_b32_e32 v7, v7, v8
	v_xor_b32_e32 v8, v99, v11
	v_xor_b32_e32 v8, v8, v6
	;; [unrolled: 6-line block ×8, first 2 shown]
	v_mad_u64_u32 v[74:75], s[2:3], v7, s11, 0
	v_mad_u64_u32 v[8:9], s[2:3], v6, s8, 0
	v_xor_b32_e32 v6, v114, v75
	v_xor_b32_e32 v6, v6, v10
	v_mad_u64_u32 v[6:7], s[2:3], v6, s8, 0
	v_xor_b32_e32 v7, v7, v8
	v_xor_b32_e32 v10, v105, v7
	v_cmp_lt_i32_e32 vcc, 1, v15
                                        ; implicit-def: $vgpr8
	s_and_saveexec_b64 s[2:3], vcc
	s_xor_b64 s[2:3], exec, s[2:3]
	s_cbranch_execz .LBB96_36
; %bb.31:                               ;   in Loop: Header=BB96_5 Depth=1
	v_cmp_lt_i32_e32 vcc, 2, v15
                                        ; implicit-def: $vgpr8
	s_and_saveexec_b64 s[6:7], vcc
	s_xor_b64 s[6:7], exec, s[6:7]
; %bb.32:                               ;   in Loop: Header=BB96_5 Depth=1
	v_xor_b32_e32 v0, v102, v9
	v_xor_b32_e32 v0, v0, v72
	v_mul_hi_u32 v0, v0, s11
	v_xor_b32_e32 v0, v0, v74
	v_xor_b32_e32 v8, v95, v0
; %bb.33:                               ;   in Loop: Header=BB96_5 Depth=1
	s_andn2_saveexec_b64 s[6:7], s[6:7]
; %bb.34:                               ;   in Loop: Header=BB96_5 Depth=1
	v_mov_b32_e32 v8, v6
	v_mov_b32_e32 v6, v10
	;; [unrolled: 1-line block ×4, first 2 shown]
; %bb.35:                               ;   in Loop: Header=BB96_5 Depth=1
	s_or_b64 exec, exec, s[6:7]
                                        ; implicit-def: $vgpr15
.LBB96_36:                              ;   in Loop: Header=BB96_5 Depth=1
	s_andn2_saveexec_b64 s[2:3], s[2:3]
	s_cbranch_execz .LBB96_40
; %bb.37:                               ;   in Loop: Header=BB96_5 Depth=1
	v_cmp_eq_u32_e32 vcc, 1, v15
	v_mov_b32_e32 v8, v3
	v_mov_b32_e32 v6, v2
	;; [unrolled: 1-line block ×3, first 2 shown]
	s_and_saveexec_b64 s[6:7], vcc
; %bb.38:                               ;   in Loop: Header=BB96_5 Depth=1
	v_mov_b32_e32 v8, v10
	v_mov_b32_e32 v6, v3
	;; [unrolled: 1-line block ×4, first 2 shown]
; %bb.39:                               ;   in Loop: Header=BB96_5 Depth=1
	s_or_b64 exec, exec, s[6:7]
	v_mov_b32_e32 v3, v0
	v_mov_b32_e32 v10, v7
.LBB96_40:                              ;   in Loop: Header=BB96_5 Depth=1
	s_or_b64 exec, exec, s[2:3]
	v_mov_b32_e32 v11, v14
	v_lshlrev_b64 v[0:1], 21, v[10:11]
	v_xor_b32_e32 v2, v0, v3
	v_cvt_f64_u32_e32 v[0:1], v1
	v_ldexp_f64 v[0:1], v[0:1], 32
	v_cvt_f64_u32_e32 v[2:3], v2
	v_add_f64 v[0:1], v[0:1], v[2:3]
	v_mov_b32_e32 v2, 0
	v_mov_b32_e32 v3, 0x3ca00000
	v_fmac_f64_e32 v[2:3], 0x3ca00000, v[0:1]
	v_mov_b32_e32 v9, v14
	v_lshlrev_b64 v[0:1], 21, v[8:9]
	v_frexp_mant_f64_e32 v[8:9], v[2:3]
	v_cmp_gt_f64_e32 vcc, s[30:31], v[8:9]
	v_cndmask_b32_e64 v15, v90, 2.0, vcc
	v_frexp_exp_i32_f64_e32 v10, v[2:3]
	v_mul_f64 v[8:9], v[8:9], v[14:15]
	v_subbrev_co_u32_e32 v15, vcc, 0, v10, vcc
	v_add_f64 v[10:11], v[8:9], 1.0
	v_rcp_f64_e32 v[72:73], v[10:11]
	v_add_f64 v[76:77], v[10:11], -1.0
	v_add_f64 v[74:75], v[8:9], -1.0
	v_add_f64 v[8:9], v[8:9], -v[76:77]
	v_fma_f64 v[76:77], -v[10:11], v[72:73], 1.0
	v_fmac_f64_e32 v[72:73], v[76:77], v[72:73]
	v_fma_f64 v[76:77], -v[10:11], v[72:73], 1.0
	v_fmac_f64_e32 v[72:73], v[76:77], v[72:73]
	v_mul_f64 v[76:77], v[74:75], v[72:73]
	v_mul_f64 v[78:79], v[10:11], v[76:77]
	v_fma_f64 v[10:11], v[76:77], v[10:11], -v[78:79]
	v_fmac_f64_e32 v[10:11], v[76:77], v[8:9]
	v_add_f64 v[8:9], v[78:79], v[10:11]
	v_add_f64 v[80:81], v[74:75], -v[8:9]
	v_add_f64 v[78:79], v[8:9], -v[78:79]
	;; [unrolled: 1-line block ×5, first 2 shown]
	v_add_f64 v[8:9], v[10:11], v[8:9]
	v_add_f64 v[8:9], v[80:81], v[8:9]
	v_mul_f64 v[8:9], v[72:73], v[8:9]
	v_add_f64 v[10:11], v[76:77], v[8:9]
	v_add_f64 v[72:73], v[10:11], -v[76:77]
	v_add_f64 v[8:9], v[8:9], -v[72:73]
	v_mul_f64 v[72:73], v[10:11], v[10:11]
	v_pk_mov_b32 v[74:75], v[18:19], v[18:19] op_sel:[0,1]
	v_fmac_f64_e32 v[74:75], s[36:37], v[72:73]
	v_pk_mov_b32 v[76:77], v[20:21], v[20:21] op_sel:[0,1]
	v_fmac_f64_e32 v[76:77], v[72:73], v[74:75]
	v_pk_mov_b32 v[74:75], v[22:23], v[22:23] op_sel:[0,1]
	v_fmac_f64_e32 v[74:75], v[72:73], v[76:77]
	v_pk_mov_b32 v[76:77], v[24:25], v[24:25] op_sel:[0,1]
	v_fmac_f64_e32 v[76:77], v[72:73], v[74:75]
	v_pk_mov_b32 v[74:75], v[26:27], v[26:27] op_sel:[0,1]
	v_fmac_f64_e32 v[74:75], v[72:73], v[76:77]
	v_pk_mov_b32 v[76:77], v[28:29], v[28:29] op_sel:[0,1]
	v_fmac_f64_e32 v[76:77], v[72:73], v[74:75]
	v_ldexp_f64 v[74:75], v[10:11], 1
	v_mul_f64 v[10:11], v[10:11], v[72:73]
	v_mul_f64 v[10:11], v[10:11], v[76:77]
	v_add_f64 v[72:73], v[74:75], v[10:11]
	v_add_f64 v[74:75], v[72:73], -v[74:75]
	v_ldexp_f64 v[8:9], v[8:9], 1
	v_add_f64 v[10:11], v[10:11], -v[74:75]
	v_add_f64 v[8:9], v[8:9], v[10:11]
	v_add_f64 v[10:11], v[72:73], v[8:9]
	v_add_f64 v[72:73], v[10:11], -v[72:73]
	v_add_f64 v[8:9], v[8:9], -v[72:73]
	v_cvt_f64_i32_e32 v[72:73], v15
	v_mul_f64 v[74:75], v[72:73], s[48:49]
	v_fma_f64 v[76:77], v[72:73], s[48:49], -v[74:75]
	v_fmac_f64_e32 v[76:77], s[50:51], v[72:73]
	v_add_f64 v[72:73], v[74:75], v[76:77]
	v_add_f64 v[74:75], v[72:73], -v[74:75]
	v_add_f64 v[74:75], v[76:77], -v[74:75]
	v_add_f64 v[76:77], v[72:73], v[10:11]
	v_add_f64 v[78:79], v[76:77], -v[72:73]
	v_add_f64 v[80:81], v[76:77], -v[78:79]
	;; [unrolled: 1-line block ×4, first 2 shown]
	v_add_f64 v[10:11], v[10:11], v[72:73]
	v_add_f64 v[72:73], v[74:75], v[8:9]
	v_add_f64 v[78:79], v[72:73], -v[74:75]
	v_add_f64 v[80:81], v[72:73], -v[78:79]
	v_add_f64 v[10:11], v[72:73], v[10:11]
	v_add_f64 v[74:75], v[74:75], -v[80:81]
	v_add_f64 v[8:9], v[8:9], -v[78:79]
	v_add_f64 v[72:73], v[76:77], v[10:11]
	v_add_f64 v[8:9], v[8:9], v[74:75]
	v_add_f64 v[74:75], v[72:73], -v[76:77]
	v_add_f64 v[10:11], v[10:11], -v[74:75]
	s_mov_b32 s14, 0
	v_add_f64 v[8:9], v[8:9], v[10:11]
	s_mov_b32 s15, 0x7ff00000
	v_add_f64 v[8:9], v[72:73], v[8:9]
	v_cmp_eq_f64_e32 vcc, s[14:15], v[2:3]
	v_cndmask_b32_e32 v9, v9, v3, vcc
	v_cndmask_b32_e32 v8, v8, v2, vcc
	v_mul_f64 v[8:9], v[8:9], -2.0
	v_cmp_neq_f64_e32 vcc, 0, v[2:3]
	s_mov_b32 s2, 0
	v_cndmask_b32_e32 v3, v93, v9, vcc
	v_cndmask_b32_e32 v2, 0, v8, vcc
	s_brev_b32 s3, 8
	v_cmp_gt_f64_e32 vcc, s[2:3], v[2:3]
	v_cndmask_b32_e64 v8, 0, 1, vcc
	v_lshlrev_b32_e32 v8, 8, v8
	v_ldexp_f64 v[2:3], v[2:3], v8
	v_xor_b32_e32 v6, v0, v6
	v_cvt_f64_u32_e32 v[0:1], v1
	v_rsq_f64_e32 v[8:9], v[2:3]
	v_ldexp_f64 v[0:1], v[0:1], 32
	v_cvt_f64_u32_e32 v[6:7], v6
	v_add_f64 v[0:1], v[0:1], v[6:7]
	v_mov_b32_e32 v6, 0
	v_mov_b32_e32 v7, 0x3cb00000
	v_fmac_f64_e32 v[6:7], 0x3cb00000, v[0:1]
	v_mul_f64 v[0:1], v[2:3], v[8:9]
	v_mul_f64 v[8:9], v[8:9], 0.5
	v_fma_f64 v[10:11], -v[8:9], v[0:1], 0.5
	v_fmac_f64_e32 v[0:1], v[0:1], v[10:11]
	v_fma_f64 v[72:73], -v[0:1], v[0:1], v[2:3]
	v_fmac_f64_e32 v[8:9], v[8:9], v[10:11]
	v_fmac_f64_e32 v[0:1], v[72:73], v[8:9]
	v_fma_f64 v[10:11], -v[0:1], v[0:1], v[2:3]
	v_fmac_f64_e32 v[0:1], v[10:11], v[8:9]
	v_cndmask_b32_e32 v8, 0, v89, vcc
	v_ldexp_f64 v[0:1], v[0:1], v8
	v_cmp_class_f64_e32 vcc, v[2:3], v88
	v_cndmask_b32_e32 v1, v1, v3, vcc
	v_cndmask_b32_e32 v0, v0, v2, vcc
	v_mul_f64 v[2:3], v[6:7], 0.5
	v_fract_f64_e32 v[8:9], v[2:3]
	v_add_f64 v[8:9], v[8:9], v[8:9]
	v_cmp_neq_f64_e32 vcc, s[14:15], v[2:3]
	v_cndmask_b32_e32 v2, 0, v8, vcc
	v_cndmask_b32_e32 v3, 0, v9, vcc
	v_cmp_lt_f64_e32 vcc, 1.0, v[6:7]
	v_cndmask_b32_e32 v3, v7, v3, vcc
	v_cndmask_b32_e32 v2, v6, v2, vcc
	v_add_f64 v[8:9], v[2:3], v[2:3]
	v_rndne_f64_e32 v[8:9], v[8:9]
	v_fmac_f64_e32 v[2:3], -0.5, v[8:9]
	s_mov_b32 s6, 0xf99eb0bb
	v_cvt_i32_f64_e32 v15, v[8:9]
	v_mul_f64 v[8:9], v[2:3], v[2:3]
	v_pk_mov_b32 v[10:11], v[48:49], v[48:49] op_sel:[0,1]
	s_mov_b32 s7, 0x3f3e357e
	v_fmac_f64_e32 v[10:11], s[6:7], v[8:9]
	v_pk_mov_b32 v[72:73], v[50:51], v[50:51] op_sel:[0,1]
	v_fmac_f64_e32 v[72:73], v[8:9], v[10:11]
	v_pk_mov_b32 v[10:11], v[52:53], v[52:53] op_sel:[0,1]
	;; [unrolled: 2-line block ×4, first 2 shown]
	v_fmac_f64_e32 v[10:11], v[8:9], v[72:73]
	v_mul_f64 v[72:73], v[2:3], v[8:9]
	s_mov_b32 s6, 0x54442d18
	v_mul_f64 v[10:11], v[72:73], v[10:11]
	s_mov_b32 s7, 0x400921fb
	v_fmac_f64_e32 v[10:11], s[6:7], v[2:3]
	s_mov_b32 s6, 0x2e21c33
	v_pk_mov_b32 v[2:3], v[58:59], v[58:59] op_sel:[0,1]
	s_mov_b32 s7, 0xbf1b1673
	v_fmac_f64_e32 v[2:3], s[6:7], v[8:9]
	v_pk_mov_b32 v[72:73], v[60:61], v[60:61] op_sel:[0,1]
	v_fmac_f64_e32 v[72:73], v[8:9], v[2:3]
	v_pk_mov_b32 v[2:3], v[62:63], v[62:63] op_sel:[0,1]
	;; [unrolled: 2-line block ×5, first 2 shown]
	v_fmac_f64_e32 v[72:73], v[8:9], v[2:3]
	v_fma_f64 v[2:3], v[8:9], v[72:73], 1.0
	v_and_b32_e32 v9, 1, v15
	v_lshlrev_b32_e32 v8, 30, v15
	v_cmp_eq_u32_e32 vcc, 0, v9
	v_cndmask_b32_e32 v10, v2, v10, vcc
	v_cndmask_b32_e32 v2, v3, v11, vcc
	v_xor_b32_e32 v3, v8, v7
	v_and_b32_e32 v3, 0x80000000, v3
	v_cmp_gt_f64_e32 vcc, s[2:3], v[4:5]
	v_xor_b32_e32 v11, v2, v3
	v_cndmask_b32_e64 v2, 0, 1, vcc
	v_lshlrev_b32_e32 v2, 8, v2
	v_ldexp_f64 v[2:3], v[4:5], v2
	v_rsq_f64_e32 v[8:9], v[2:3]
	v_cmp_lg_f64_e64 s[2:3], s[14:15], v[6:7]
	v_cndmask_b32_e64 v6, 0, v10, s[2:3]
	v_cndmask_b32_e64 v7, v91, v11, s[2:3]
	v_mul_f64 v[0:1], v[0:1], v[6:7]
	v_mul_f64 v[6:7], v[2:3], v[8:9]
	v_mul_f64 v[8:9], v[8:9], 0.5
	v_fma_f64 v[10:11], -v[8:9], v[6:7], 0.5
	v_fmac_f64_e32 v[6:7], v[6:7], v[10:11]
	v_fma_f64 v[72:73], -v[6:7], v[6:7], v[2:3]
	v_fmac_f64_e32 v[8:9], v[8:9], v[10:11]
	v_fmac_f64_e32 v[6:7], v[72:73], v[8:9]
	v_fma_f64 v[10:11], -v[6:7], v[6:7], v[2:3]
	v_fmac_f64_e32 v[6:7], v[10:11], v[8:9]
	v_cndmask_b32_e32 v8, 0, v89, vcc
	v_ldexp_f64 v[6:7], v[6:7], v8
	v_cmp_class_f64_e32 vcc, v[2:3], v88
	v_cndmask_b32_e32 v3, v7, v3, vcc
	v_cndmask_b32_e32 v2, v6, v2, vcc
	v_fmac_f64_e32 v[4:5], v[2:3], v[0:1]
	v_trunc_f64_e32 v[0:1], v[4:5]
	v_add_f64 v[2:3], v[4:5], -v[0:1]
	v_cmp_ge_f64_e64 vcc, |v[2:3]|, 0.5
	v_cndmask_b32_e32 v2, 0, v90, vcc
	s_brev_b32 s2, -2
	v_bfi_b32 v15, s2, v2, v5
	v_add_f64 v[0:1], v[0:1], v[14:15]
	v_cvt_u32_f64_e32 v75, v[0:1]
.LBB96_41:                              ;   in Loop: Header=BB96_5 Depth=1
	s_or_b64 exec, exec, s[0:1]
                                        ; implicit-def: $vgpr6
                                        ; implicit-def: $vgpr72_vgpr73
                                        ; implicit-def: $vgpr15
                                        ; implicit-def: $vgpr96
                                        ; implicit-def: $vgpr97
                                        ; implicit-def: $vgpr105
                                        ; implicit-def: $vgpr95
                                        ; implicit-def: $vgpr3
                                        ; implicit-def: $vgpr4_vgpr5
                                        ; implicit-def: $vgpr98
                                        ; implicit-def: $vgpr99
                                        ; implicit-def: $vgpr100
                                        ; implicit-def: $vgpr101
                                        ; implicit-def: $vgpr103
                                        ; implicit-def: $vgpr104
                                        ; implicit-def: $vgpr106
                                        ; implicit-def: $vgpr107
                                        ; implicit-def: $vgpr108
                                        ; implicit-def: $vgpr109
                                        ; implicit-def: $vgpr110
                                        ; implicit-def: $vgpr111
                                        ; implicit-def: $vgpr112
                                        ; implicit-def: $vgpr113
                                        ; implicit-def: $vgpr102
                                        ; implicit-def: $vgpr114
.LBB96_42:                              ;   in Loop: Header=BB96_5 Depth=1
	s_andn2_saveexec_b64 s[0:1], s[4:5]
	s_cbranch_execz .LBB96_3
; %bb.43:                               ;   in Loop: Header=BB96_5 Depth=1
	s_mov_b32 s12, s54
	v_mul_f64 v[8:9], v[4:5], s[12:13]
	v_rndne_f64_e32 v[10:11], v[8:9]
	s_mov_b32 s56, s48
	v_fma_f64 v[4:5], v[10:11], s[56:57], -v[4:5]
	s_mov_b32 s58, s50
	v_fmac_f64_e32 v[4:5], s[58:59], v[10:11]
	v_pk_mov_b32 v[8:9], v[30:31], v[30:31] op_sel:[0,1]
	v_fmac_f64_e32 v[8:9], s[62:63], v[4:5]
	v_pk_mov_b32 v[74:75], v[32:33], v[32:33] op_sel:[0,1]
	v_fmac_f64_e32 v[74:75], v[4:5], v[8:9]
	v_pk_mov_b32 v[8:9], v[34:35], v[34:35] op_sel:[0,1]
	v_fmac_f64_e32 v[8:9], v[4:5], v[74:75]
	v_pk_mov_b32 v[74:75], v[36:37], v[36:37] op_sel:[0,1]
	v_fmac_f64_e32 v[74:75], v[4:5], v[8:9]
	v_pk_mov_b32 v[8:9], v[38:39], v[38:39] op_sel:[0,1]
	v_fmac_f64_e32 v[8:9], v[4:5], v[74:75]
	v_pk_mov_b32 v[74:75], v[40:41], v[40:41] op_sel:[0,1]
	v_fmac_f64_e32 v[74:75], v[4:5], v[8:9]
	v_pk_mov_b32 v[8:9], v[42:43], v[42:43] op_sel:[0,1]
	v_fmac_f64_e32 v[8:9], v[4:5], v[74:75]
	v_pk_mov_b32 v[74:75], v[44:45], v[44:45] op_sel:[0,1]
	v_fmac_f64_e32 v[74:75], v[4:5], v[8:9]
	v_pk_mov_b32 v[76:77], v[46:47], v[46:47] op_sel:[0,1]
	v_fmac_f64_e32 v[76:77], v[4:5], v[74:75]
	v_fma_f64 v[74:75], v[4:5], v[76:77], 1.0
	s_mov_b32 s2, 0xc4800000
	v_fma_f64 v[4:5], v[4:5], v[74:75], 1.0
	v_cvt_i32_f64_e32 v7, v[10:11]
	v_cmp_ngt_f32_e32 vcc, s2, v6
	s_mov_b32 s2, 0x44866000
	v_ldexp_f64 v[4:5], v[4:5], v7
	v_cmp_nlt_f32_e64 s[2:3], s2, v6
	v_mov_b32_e32 v8, 0
	v_cndmask_b32_e32 v5, v93, v5, vcc
	s_and_b64 vcc, s[2:3], vcc
	v_mov_b32_e32 v9, 0x3ff00000
	v_mov_b32_e32 v78, 0
	v_cndmask_b32_e64 v11, 0, v5, s[2:3]
	v_cndmask_b32_e32 v10, 0, v4, vcc
	s_mov_b32 s6, -1
	s_mov_b64 s[2:3], 0
	v_mov_b32_e32 v79, v17
	s_branch .LBB96_45
.LBB96_44:                              ;   in Loop: Header=BB96_45 Depth=2
	s_or_b64 exec, exec, s[4:5]
	v_cmp_eq_u32_e32 vcc, 1, v15
	v_cndmask_b32_e32 v0, v0, v1, vcc
	v_cmp_eq_u32_e32 vcc, 2, v15
	v_cndmask_b32_e32 v0, v0, v2, vcc
	;; [unrolled: 2-line block ×6, first 2 shown]
	v_lshrrev_b32_e32 v0, 11, v0
	v_cvt_f64_u32_e32 v[0:1], v0
	v_ldexp_f64 v[0:1], v[0:1], 32
	v_cvt_f64_u32_e32 v[2:3], v2
	v_add_f64 v[0:1], v[0:1], v[2:3]
	v_mov_b32_e32 v2, 0
	v_mov_b32_e32 v3, 0x3ca00000
	v_fmac_f64_e32 v[2:3], 0x3ca00000, v[0:1]
	v_mul_f64 v[8:9], v[8:9], v[2:3]
	v_cmp_ngt_f64_e32 vcc, v[8:9], v[10:11]
	s_add_i32 s6, s6, 1
	s_or_b64 s[2:3], vcc, s[2:3]
	v_mov_b32_e32 v75, s6
	v_mov_b32_e32 v15, v81
	;; [unrolled: 1-line block ×6, first 2 shown]
	s_andn2_b64 exec, exec, s[2:3]
	s_cbranch_execz .LBB96_2
.LBB96_45:                              ;   Parent Loop BB96_5 Depth=1
                                        ; =>  This Inner Loop Header: Depth=2
	v_add_u32_e32 v80, 1, v15
	v_pk_mov_b32 v[6:7], v[2:3], v[2:3] op_sel:[0,1]
	v_cmp_eq_u32_e32 vcc, 4, v80
	v_pk_mov_b32 v[4:5], v[0:1], v[0:1] op_sel:[0,1]
	v_mov_b32_e32 v77, v0
	v_mov_b32_e32 v76, v1
	;; [unrolled: 1-line block ×4, first 2 shown]
	s_and_saveexec_b64 s[4:5], vcc
	s_cbranch_execz .LBB96_47
; %bb.46:                               ;   in Loop: Header=BB96_45 Depth=2
	v_add_co_u32_e32 v96, vcc, 1, v96
	v_cndmask_b32_e64 v4, 0, 1, vcc
	v_addc_co_u32_e32 v97, vcc, 0, v97, vcc
	v_cmp_eq_u32_e32 vcc, 0, v97
	v_cndmask_b32_e32 v4, 0, v4, vcc
	v_add_u32_e32 v79, v4, v79
	v_cmp_eq_u32_e32 vcc, 0, v79
	v_cndmask_b32_e32 v4, 0, v4, vcc
	v_add_u32_e32 v78, v4, v78
	v_mad_u64_u32 v[4:5], s[14:15], v96, s11, 0
	v_mad_u64_u32 v[6:7], s[14:15], v79, s8, 0
	v_xor_b32_e32 v5, v5, v73
	v_xor_b32_e32 v7, v7, v72
	v_xor_b32_e32 v5, v78, v5
	v_xor_b32_e32 v7, v97, v7
	v_mad_u64_u32 v[76:77], s[14:15], v5, s8, 0
	v_mad_u64_u32 v[74:75], s[14:15], v7, s11, 0
	v_xor_b32_e32 v5, v98, v77
	v_xor_b32_e32 v5, v5, v6
	v_xor_b32_e32 v6, v99, v75
	v_xor_b32_e32 v6, v6, v4
	;; [unrolled: 6-line block ×10, first 2 shown]
	v_mov_b32_e32 v80, 0
	v_mov_b32_e32 v5, v76
	;; [unrolled: 1-line block ×5, first 2 shown]
.LBB96_47:                              ;   in Loop: Header=BB96_45 Depth=2
	s_or_b64 exec, exec, s[4:5]
	v_add_u32_e32 v81, 1, v80
	v_cmp_eq_u32_e32 vcc, 4, v81
	s_and_saveexec_b64 s[4:5], vcc
	s_cbranch_execz .LBB96_44
; %bb.48:                               ;   in Loop: Header=BB96_45 Depth=2
	v_add_co_u32_e32 v96, vcc, 1, v96
	v_cndmask_b32_e64 v74, 0, 1, vcc
	v_addc_co_u32_e32 v97, vcc, 0, v97, vcc
	v_cmp_eq_u32_e32 vcc, 0, v97
	v_cndmask_b32_e32 v74, 0, v74, vcc
	v_add_u32_e32 v79, v74, v79
	v_cmp_eq_u32_e32 vcc, 0, v79
	v_cndmask_b32_e32 v74, 0, v74, vcc
	v_add_u32_e32 v78, v74, v78
	v_mad_u64_u32 v[74:75], s[14:15], v96, s11, 0
	v_mad_u64_u32 v[76:77], s[14:15], v79, s8, 0
	v_xor_b32_e32 v75, v75, v73
	v_xor_b32_e32 v77, v77, v72
	v_xor_b32_e32 v75, v78, v75
	v_xor_b32_e32 v77, v97, v77
	v_mad_u64_u32 v[84:85], s[14:15], v75, s8, 0
	v_mad_u64_u32 v[82:83], s[14:15], v77, s11, 0
	v_xor_b32_e32 v75, v98, v85
	v_xor_b32_e32 v75, v75, v76
	v_xor_b32_e32 v76, v99, v83
	v_xor_b32_e32 v76, v76, v74
	;; [unrolled: 6-line block ×9, first 2 shown]
	v_mad_u64_u32 v[74:75], s[14:15], v74, s11, 0
	v_mad_u64_u32 v[76:77], s[14:15], v76, s8, 0
	v_xor_b32_e32 v77, v77, v116
	v_xor_b32_e32 v75, v75, v86
	v_mov_b32_e32 v81, 0
	v_xor_b32_e32 v77, v105, v77
	v_xor_b32_e32 v82, v95, v75
	s_branch .LBB96_44
.LBB96_49:
	s_or_b64 exec, exec, s[16:17]
	s_and_saveexec_b64 s[0:1], s[26:27]
	s_xor_b64 s[0:1], exec, s[0:1]
	s_cbranch_execnz .LBB96_51
.LBB96_50:
	s_endpgm
.LBB96_51:
	s_trap 2
	; divergent unreachable
	s_endpgm
	.section	.rodata,"a",@progbits
	.p2align	6, 0x0
	.amdhsa_kernel _ZN2at4cuda12_GLOBAL__N_121kernelPointwiseApply2IZN12_GLOBAL__N_119poisson_cuda_kernelIN3c108BFloat16EEEvRKNS_10TensorBaseES9_NS_15PhiloxCudaStateEEUlRS6_RKS6_E_S6_S6_jLin1ELi1ELi1ELi512ELi2EEEvNS0_6detail10TensorInfoIT0_T2_EENSG_IT1_SI_EESI_T_
		.amdhsa_group_segment_fixed_size 0
		.amdhsa_private_segment_fixed_size 0
		.amdhsa_kernarg_size 728
		.amdhsa_user_sgpr_count 6
		.amdhsa_user_sgpr_private_segment_buffer 1
		.amdhsa_user_sgpr_dispatch_ptr 0
		.amdhsa_user_sgpr_queue_ptr 0
		.amdhsa_user_sgpr_kernarg_segment_ptr 1
		.amdhsa_user_sgpr_dispatch_id 0
		.amdhsa_user_sgpr_flat_scratch_init 0
		.amdhsa_user_sgpr_kernarg_preload_length 0
		.amdhsa_user_sgpr_kernarg_preload_offset 0
		.amdhsa_user_sgpr_private_segment_size 0
		.amdhsa_uses_dynamic_stack 0
		.amdhsa_system_sgpr_private_segment_wavefront_offset 0
		.amdhsa_system_sgpr_workgroup_id_x 1
		.amdhsa_system_sgpr_workgroup_id_y 0
		.amdhsa_system_sgpr_workgroup_id_z 0
		.amdhsa_system_sgpr_workgroup_info 0
		.amdhsa_system_vgpr_workitem_id 0
		.amdhsa_next_free_vgpr 135
		.amdhsa_next_free_sgpr 96
		.amdhsa_accum_offset 136
		.amdhsa_reserve_vcc 1
		.amdhsa_reserve_flat_scratch 0
		.amdhsa_float_round_mode_32 0
		.amdhsa_float_round_mode_16_64 0
		.amdhsa_float_denorm_mode_32 3
		.amdhsa_float_denorm_mode_16_64 3
		.amdhsa_dx10_clamp 1
		.amdhsa_ieee_mode 1
		.amdhsa_fp16_overflow 0
		.amdhsa_tg_split 0
		.amdhsa_exception_fp_ieee_invalid_op 0
		.amdhsa_exception_fp_denorm_src 0
		.amdhsa_exception_fp_ieee_div_zero 0
		.amdhsa_exception_fp_ieee_overflow 0
		.amdhsa_exception_fp_ieee_underflow 0
		.amdhsa_exception_fp_ieee_inexact 0
		.amdhsa_exception_int_div_zero 0
	.end_amdhsa_kernel
	.section	.text._ZN2at4cuda12_GLOBAL__N_121kernelPointwiseApply2IZN12_GLOBAL__N_119poisson_cuda_kernelIN3c108BFloat16EEEvRKNS_10TensorBaseES9_NS_15PhiloxCudaStateEEUlRS6_RKS6_E_S6_S6_jLin1ELi1ELi1ELi512ELi2EEEvNS0_6detail10TensorInfoIT0_T2_EENSG_IT1_SI_EESI_T_,"axG",@progbits,_ZN2at4cuda12_GLOBAL__N_121kernelPointwiseApply2IZN12_GLOBAL__N_119poisson_cuda_kernelIN3c108BFloat16EEEvRKNS_10TensorBaseES9_NS_15PhiloxCudaStateEEUlRS6_RKS6_E_S6_S6_jLin1ELi1ELi1ELi512ELi2EEEvNS0_6detail10TensorInfoIT0_T2_EENSG_IT1_SI_EESI_T_,comdat
.Lfunc_end96:
	.size	_ZN2at4cuda12_GLOBAL__N_121kernelPointwiseApply2IZN12_GLOBAL__N_119poisson_cuda_kernelIN3c108BFloat16EEEvRKNS_10TensorBaseES9_NS_15PhiloxCudaStateEEUlRS6_RKS6_E_S6_S6_jLin1ELi1ELi1ELi512ELi2EEEvNS0_6detail10TensorInfoIT0_T2_EENSG_IT1_SI_EESI_T_, .Lfunc_end96-_ZN2at4cuda12_GLOBAL__N_121kernelPointwiseApply2IZN12_GLOBAL__N_119poisson_cuda_kernelIN3c108BFloat16EEEvRKNS_10TensorBaseES9_NS_15PhiloxCudaStateEEUlRS6_RKS6_E_S6_S6_jLin1ELi1ELi1ELi512ELi2EEEvNS0_6detail10TensorInfoIT0_T2_EENSG_IT1_SI_EESI_T_
                                        ; -- End function
	.section	.AMDGPU.csdata,"",@progbits
; Kernel info:
; codeLenInByte = 13624
; NumSgprs: 100
; NumVgprs: 135
; NumAgprs: 0
; TotalNumVgprs: 135
; ScratchSize: 0
; MemoryBound: 0
; FloatMode: 240
; IeeeMode: 1
; LDSByteSize: 0 bytes/workgroup (compile time only)
; SGPRBlocks: 12
; VGPRBlocks: 16
; NumSGPRsForWavesPerEU: 100
; NumVGPRsForWavesPerEU: 135
; AccumOffset: 136
; Occupancy: 3
; WaveLimiterHint : 1
; COMPUTE_PGM_RSRC2:SCRATCH_EN: 0
; COMPUTE_PGM_RSRC2:USER_SGPR: 6
; COMPUTE_PGM_RSRC2:TRAP_HANDLER: 0
; COMPUTE_PGM_RSRC2:TGID_X_EN: 1
; COMPUTE_PGM_RSRC2:TGID_Y_EN: 0
; COMPUTE_PGM_RSRC2:TGID_Z_EN: 0
; COMPUTE_PGM_RSRC2:TIDIG_COMP_CNT: 0
; COMPUTE_PGM_RSRC3_GFX90A:ACCUM_OFFSET: 33
; COMPUTE_PGM_RSRC3_GFX90A:TG_SPLIT: 0
	.section	.text._ZN2at4cuda12_GLOBAL__N_121kernelPointwiseApply2IZN12_GLOBAL__N_119poisson_cuda_kernelIN3c108BFloat16EEEvRKNS_10TensorBaseES9_NS_15PhiloxCudaStateEEUlRS6_RKS6_E_S6_S6_jLin1ELi2ELi1ELi512ELi2EEEvNS0_6detail10TensorInfoIT0_T2_EENSG_IT1_SI_EESI_T_,"axG",@progbits,_ZN2at4cuda12_GLOBAL__N_121kernelPointwiseApply2IZN12_GLOBAL__N_119poisson_cuda_kernelIN3c108BFloat16EEEvRKNS_10TensorBaseES9_NS_15PhiloxCudaStateEEUlRS6_RKS6_E_S6_S6_jLin1ELi2ELi1ELi512ELi2EEEvNS0_6detail10TensorInfoIT0_T2_EENSG_IT1_SI_EESI_T_,comdat
	.globl	_ZN2at4cuda12_GLOBAL__N_121kernelPointwiseApply2IZN12_GLOBAL__N_119poisson_cuda_kernelIN3c108BFloat16EEEvRKNS_10TensorBaseES9_NS_15PhiloxCudaStateEEUlRS6_RKS6_E_S6_S6_jLin1ELi2ELi1ELi512ELi2EEEvNS0_6detail10TensorInfoIT0_T2_EENSG_IT1_SI_EESI_T_ ; -- Begin function _ZN2at4cuda12_GLOBAL__N_121kernelPointwiseApply2IZN12_GLOBAL__N_119poisson_cuda_kernelIN3c108BFloat16EEEvRKNS_10TensorBaseES9_NS_15PhiloxCudaStateEEUlRS6_RKS6_E_S6_S6_jLin1ELi2ELi1ELi512ELi2EEEvNS0_6detail10TensorInfoIT0_T2_EENSG_IT1_SI_EESI_T_
	.p2align	8
	.type	_ZN2at4cuda12_GLOBAL__N_121kernelPointwiseApply2IZN12_GLOBAL__N_119poisson_cuda_kernelIN3c108BFloat16EEEvRKNS_10TensorBaseES9_NS_15PhiloxCudaStateEEUlRS6_RKS6_E_S6_S6_jLin1ELi2ELi1ELi512ELi2EEEvNS0_6detail10TensorInfoIT0_T2_EENSG_IT1_SI_EESI_T_,@function
_ZN2at4cuda12_GLOBAL__N_121kernelPointwiseApply2IZN12_GLOBAL__N_119poisson_cuda_kernelIN3c108BFloat16EEEvRKNS_10TensorBaseES9_NS_15PhiloxCudaStateEEUlRS6_RKS6_E_S6_S6_jLin1ELi2ELi1ELi512ELi2EEEvNS0_6detail10TensorInfoIT0_T2_EENSG_IT1_SI_EESI_T_: ; @_ZN2at4cuda12_GLOBAL__N_121kernelPointwiseApply2IZN12_GLOBAL__N_119poisson_cuda_kernelIN3c108BFloat16EEEvRKNS_10TensorBaseES9_NS_15PhiloxCudaStateEEUlRS6_RKS6_E_S6_S6_jLin1ELi2ELi1ELi512ELi2EEEvNS0_6detail10TensorInfoIT0_T2_EENSG_IT1_SI_EESI_T_
; %bb.0:
	s_load_dword s2, s[4:5], 0x1e4
	s_load_dword s33, s[4:5], 0x1b0
	s_add_u32 s0, s4, 0x1d8
	s_addc_u32 s1, s5, 0
	s_waitcnt lgkmcnt(0)
	s_and_b32 s2, s2, 0xffff
	s_mul_i32 s6, s6, s2
	v_add_u32_e32 v17, s6, v0
	v_cmp_gt_u32_e32 vcc, s33, v17
	s_and_saveexec_b64 s[6:7], vcc
	s_cbranch_execz .LBB97_52
; %bb.1:
	s_load_dword s8, s[4:5], 0xe4
	s_load_dwordx2 s[20:21], s[4:5], 0x144
	s_load_dwordx2 s[30:31], s[4:5], 0xd8
	s_load_dword s9, s[4:5], 0xd0
	s_load_dwordx2 s[6:7], s[4:5], 0x1c8
	s_load_dwordx4 s[12:15], s[4:5], 0x1b8
                                        ; implicit-def: $vgpr134 : SGPR spill to VGPR lane
	s_waitcnt lgkmcnt(0)
	v_cvt_f32_u32_e32 v0, s8
	s_mov_b32 s10, 0xcd9e8d57
	s_cmp_gt_i32 s9, 1
	v_writelane_b32 v134, s6, 0
	v_writelane_b32 v134, s7, 1
	;; [unrolled: 1-line block ×6, first 2 shown]
	s_load_dword s11, s[0:1], 0x0
	s_load_dword s3, s[4:5], 0x1d0
	;; [unrolled: 1-line block ×3, first 2 shown]
	v_rcp_iflag_f32_e32 v0, v0
	s_load_dwordx2 s[0:1], s[4:5], 0x0
	s_cselect_b64 s[6:7], -1, 0
	s_waitcnt lgkmcnt(0)
	s_mul_i32 s2, s11, s2
	v_mul_f32_e32 v0, 0x4f7ffffe, v0
	v_cvt_u32_f32_e32 v0, v0
	v_writelane_b32 v134, s0, 6
	v_writelane_b32 v134, s1, 7
	s_getpc_b64 s[0:1]
	s_add_u32 s0, s0, .str@rel32@lo+4
	s_addc_u32 s1, s1, .str@rel32@hi+12
	s_cmp_eq_u64 s[0:1], 0
	s_cselect_b64 s[0:1], -1, 0
	s_bitcmp1_b32 s3, 0
	s_cselect_b64 s[12:13], -1, 0
	v_writelane_b32 v134, s12, 8
	v_writelane_b32 v134, s13, 9
	;; [unrolled: 1-line block ×3, first 2 shown]
	s_sub_i32 s2, 0, s8
	v_mul_lo_u32 v1, s2, v0
	s_add_i32 s2, s9, 1
	s_mov_b32 s3, 0
	v_writelane_b32 v134, s2, 11
	s_add_i32 s2, s9, -1
	s_lshl_b64 s[2:3], s[2:3], 2
	s_add_u32 s2, s2, s4
	s_addc_u32 s3, s3, s5
	s_add_u32 s2, s2, 8
	v_mad_u64_u32 v[12:13], s[12:13], v17, s10, 0
	v_mul_hi_u32 v1, v0, v1
	s_addc_u32 s3, s3, 0
	v_mov_b32_e32 v16, v13
	v_add_u32_e32 v13, v0, v1
	v_writelane_b32 v134, s2, 12
	v_cndmask_b32_e64 v0, 0, 1, s[6:7]
	v_writelane_b32 v134, s3, 13
	s_xor_b64 s[62:63], s[0:1], -1
	v_cmp_ne_u32_e64 s[0:1], 1, v0
	v_writelane_b32 v134, s0, 14
	v_writelane_b32 v134, s1, 15
	s_mov_b32 s1, 0xbff71547
	v_writelane_b32 v134, s0, 16
	s_mov_b32 s26, 0
	s_mov_b32 s34, 0x55555555
	;; [unrolled: 1-line block ×26, first 2 shown]
	s_movk_i32 s94, 0xf950
	s_mov_b32 s24, 0xc864beb5
	s_mov_b32 s22, 0
	;; [unrolled: 1-line block ×3, first 2 shown]
	v_writelane_b32 v134, s1, 17
	s_mov_b64 s[18:19], 0
	v_mov_b32_e32 v14, 0
	s_mov_b32 s11, 0xd2511f53
	s_mov_b32 s27, 0x40080000
	s_mov_b32 s35, 0x3fe55555
	s_mov_b32 s37, 0x3fc38538
	s_mov_b32 s39, 0x3fc3ab76
	s_mov_b32 s41, 0x3fc7474d
	s_mov_b32 s43, 0x3fcc71c0
	s_mov_b32 s45, 0x3fd24924
	s_mov_b32 s47, 0x3fd99999
	s_mov_b32 s48, 0x55555780
	s_mov_b32 s51, 0x3fe62e42
	s_mov_b32 s53, 0x3c7abc9e
	s_movk_i32 s9, 0x204
	s_mov_b32 s57, 0x3ff71547
	s_mov_b32 s59, 0xbfe62e42
	;; [unrolled: 1-line block ×3, first 2 shown]
	v_mov_b32_e32 v18, 0x6b47b09a
	v_mov_b32_e32 v20, 0xd7f4df2e
	;; [unrolled: 1-line block ×27, first 2 shown]
	s_mov_b32 s31, s14
	v_mov_b32_e32 v89, 0x260
	v_mov_b32_e32 v90, 0xffffff80
	;; [unrolled: 1-line block ×33, first 2 shown]
	s_mov_b32 s65, 0x3e5ade15
	s_mov_b32 s67, 0x40900000
	;; [unrolled: 1-line block ×19, first 2 shown]
	v_writelane_b32 v134, s20, 18
                                        ; implicit-def: $sgpr14_sgpr15
                                        ; implicit-def: $sgpr54_sgpr55
	v_writelane_b32 v134, s21, 19
	s_branch .LBB97_5
.LBB97_2:                               ;   in Loop: Header=BB97_5 Depth=1
	s_or_b64 exec, exec, s[2:3]
.LBB97_3:                               ;   in Loop: Header=BB97_5 Depth=1
	s_or_b64 exec, exec, s[0:1]
	v_cvt_f32_u32_e32 v3, v75
	v_readlane_b32 s0, v134, 6
	v_lshlrev_b64 v[0:1], 1, v[70:71]
	v_readlane_b32 s1, v134, 7
	v_mov_b32_e32 v2, s1
	v_add_co_u32_e32 v0, vcc, s0, v0
	v_addc_co_u32_e32 v1, vcc, v2, v1, vcc
	v_bfe_u32 v2, v3, 16, 1
	s_movk_i32 s0, 0x7fff
	v_add3_u32 v2, v3, v2, s0
	v_readlane_b32 s0, v134, 10
	v_add_u32_e32 v95, s0, v95
	v_cmp_le_u32_e32 vcc, s33, v95
	s_andn2_b64 s[54:55], s[54:55], exec
	s_orn2_b64 s[0:1], vcc, exec
	global_store_short_d16_hi v[0:1], v2, off
.LBB97_4:                               ;   in Loop: Header=BB97_5 Depth=1
	s_or_b64 exec, exec, s[4:5]
	s_and_b64 s[0:1], exec, s[0:1]
	s_or_b64 s[18:19], s[0:1], s[18:19]
	s_andn2_b64 s[0:1], s[14:15], exec
	s_and_b64 s[2:3], s[54:55], exec
	s_or_b64 s[14:15], s[0:1], s[2:3]
	s_andn2_b64 exec, exec, s[18:19]
	s_cbranch_execz .LBB97_51
.LBB97_5:                               ; =>This Loop Header: Depth=1
                                        ;     Child Loop BB97_8 Depth 2
                                        ;     Child Loop BB97_18 Depth 2
	;; [unrolled: 1-line block ×3, first 2 shown]
	v_sub_u32_e32 v0, s33, v95
	v_cmp_lt_i32_e64 s[2:3], 0, v0
	v_pk_mov_b32 v[70:71], 0, 0
	s_and_saveexec_b64 s[0:1], s[2:3]
	s_cbranch_execz .LBB97_10
; %bb.6:                                ;   in Loop: Header=BB97_5 Depth=1
	v_readlane_b32 s4, v134, 14
	v_readlane_b32 s5, v134, 15
	s_and_b64 vcc, exec, s[4:5]
	v_mov_b32_e32 v0, 0
	v_mov_b32_e32 v2, v95
	s_cbranch_vccnz .LBB97_9
; %bb.7:                                ;   in Loop: Header=BB97_5 Depth=1
	v_readlane_b32 s4, v134, 12
	v_mov_b32_e32 v0, 0
	v_readlane_b32 s5, v134, 13
	v_readlane_b32 s6, v134, 11
	v_mov_b32_e32 v2, v95
.LBB97_8:                               ;   Parent Loop BB97_5 Depth=1
                                        ; =>  This Inner Loop Header: Depth=2
	s_load_dword s7, s[4:5], 0x0
	s_load_dword s12, s[4:5], 0x64
	v_mov_b32_e32 v1, v2
	s_add_i32 s6, s6, -1
	s_waitcnt lgkmcnt(0)
	v_cvt_f32_u32_e32 v2, s7
	s_sub_i32 s13, 0, s7
	s_add_u32 s4, s4, -4
	s_addc_u32 s5, s5, -1
	v_rcp_iflag_f32_e32 v2, v2
	s_cmp_gt_u32 s6, 2
	v_mul_f32_e32 v2, 0x4f7ffffe, v2
	v_cvt_u32_f32_e32 v2, v2
	v_mul_lo_u32 v3, s13, v2
	v_mul_hi_u32 v3, v2, v3
	v_add_u32_e32 v2, v2, v3
	v_mul_hi_u32 v2, v1, v2
	v_mul_lo_u32 v3, v2, s7
	v_sub_u32_e32 v3, v1, v3
	v_add_u32_e32 v4, 1, v2
	v_subrev_u32_e32 v5, s7, v3
	v_cmp_le_u32_e32 vcc, s7, v3
	v_cndmask_b32_e32 v2, v2, v4, vcc
	v_cndmask_b32_e32 v3, v3, v5, vcc
	v_add_u32_e32 v4, 1, v2
	v_cmp_le_u32_e32 vcc, s7, v3
	v_cndmask_b32_e32 v2, v2, v4, vcc
	v_mul_lo_u32 v3, v2, s7
	v_sub_u32_e32 v1, v1, v3
	v_mad_u64_u32 v[0:1], s[12:13], s12, v1, v[0:1]
	s_cbranch_scc1 .LBB97_8
.LBB97_9:                               ;   in Loop: Header=BB97_5 Depth=1
	v_mad_u64_u32 v[70:71], s[4:5], s31, v2, v[0:1]
	v_mov_b32_e32 v71, v14
.LBB97_10:                              ;   in Loop: Header=BB97_5 Depth=1
	s_or_b64 exec, exec, s[0:1]
	v_pk_mov_b32 v[0:1], 0, 0
	s_and_saveexec_b64 s[0:1], s[2:3]
	s_cbranch_execz .LBB97_12
; %bb.11:                               ;   in Loop: Header=BB97_5 Depth=1
	v_mul_hi_u32 v0, v95, v13
	v_mul_lo_u32 v1, v0, s8
	v_sub_u32_e32 v1, v95, v1
	v_add_u32_e32 v2, 1, v0
	v_cmp_le_u32_e32 vcc, s8, v1
	v_cndmask_b32_e32 v0, v0, v2, vcc
	v_subrev_u32_e32 v2, s8, v1
	v_cndmask_b32_e32 v1, v1, v2, vcc
	v_add_u32_e32 v2, 1, v0
	v_cmp_le_u32_e32 vcc, s8, v1
	v_cndmask_b32_e32 v1, v0, v2, vcc
	v_mul_lo_u32 v0, v1, s8
	v_sub_u32_e32 v0, v95, v0
	v_mul_lo_u32 v0, v0, s21
	v_mad_u64_u32 v[0:1], s[2:3], v1, s20, v[0:1]
	v_mov_b32_e32 v1, v14
.LBB97_12:                              ;   in Loop: Header=BB97_5 Depth=1
	s_or_b64 exec, exec, s[0:1]
	v_lshlrev_b64 v[0:1], 1, v[0:1]
	v_add_co_u32_e32 v0, vcc, s30, v0
	v_addc_co_u32_e32 v1, vcc, v88, v1, vcc
	global_load_ushort v0, v[0:1], off
	s_mov_b64 s[0:1], -1
	s_or_b64 s[54:55], s[54:55], exec
	s_waitcnt vmcnt(0)
	v_lshlrev_b32_e32 v6, 16, v0
	v_cmp_le_f32_e32 vcc, 0, v6
	s_and_b64 s[2:3], s[62:63], vcc
	s_and_saveexec_b64 s[4:5], s[2:3]
	s_cbranch_execz .LBB97_4
; %bb.13:                               ;   in Loop: Header=BB97_5 Depth=1
	v_readlane_b32 s0, v134, 8
	v_readlane_b32 s1, v134, 9
	s_andn2_b64 vcc, exec, s[0:1]
	v_readlane_b32 s0, v134, 2
	v_readlane_b32 s1, v134, 3
	;; [unrolled: 1-line block ×4, first 2 shown]
	v_pk_mov_b32 v[0:1], s[2:3], s[2:3] op_sel:[0,1]
	v_pk_mov_b32 v[72:73], s[0:1], s[0:1] op_sel:[0,1]
	s_cbranch_vccnz .LBB97_15
; %bb.14:                               ;   in Loop: Header=BB97_5 Depth=1
	v_readlane_b32 s0, v134, 2
	v_readlane_b32 s2, v134, 4
	v_readlane_b32 s3, v134, 5
	v_pk_mov_b32 v[0:1], s[2:3], s[2:3] op_sel:[0,1]
	v_readlane_b32 s1, v134, 3
	flat_load_dwordx2 v[0:1], v[0:1]
	v_pk_mov_b32 v[2:3], s[0:1], s[0:1] op_sel:[0,1]
	flat_load_dwordx2 v[72:73], v[2:3]
	v_readlane_b32 s0, v134, 0
	v_readlane_b32 s1, v134, 1
	v_mov_b32_e32 v2, s1
	s_waitcnt vmcnt(0) lgkmcnt(0)
	v_add_co_u32_e32 v0, vcc, s0, v0
	v_addc_co_u32_e32 v1, vcc, v1, v2, vcc
.LBB97_15:                              ;   in Loop: Header=BB97_5 Depth=1
	v_alignbit_b32 v97, v1, v0, 2
	v_and_b32_e32 v15, 3, v0
	v_lshrrev_b32_e32 v98, 2, v1
	v_mad_u64_u32 v[0:1], s[0:1], v97, s11, 0
	v_xor_b32_e32 v3, v16, v72
	v_mov_b32_e32 v2, v73
	v_xor_b32_e32 v1, v1, v73
	s_mov_b32 s0, 0xbb67ae85
	v_xor_b32_e32 v3, v3, v98
	v_add_co_u32_e32 v100, vcc, s0, v2
	v_mad_u64_u32 v[4:5], s[0:1], v3, s11, 0
	v_mad_u64_u32 v[8:9], s[0:1], v1, s10, 0
	v_add_co_u32_e32 v99, vcc, 0x9e3779b9, v72
	v_xor_b32_e32 v1, v12, v9
	v_xor_b32_e32 v3, v100, v5
	s_mov_b32 s0, 0x3c6ef372
	v_xor_b32_e32 v1, v1, v99
	v_xor_b32_e32 v3, v3, v0
	v_add_co_u32_e32 v101, vcc, s0, v72
	s_mov_b32 s0, 0x76cf5d0a
	v_add_co_u32_e32 v102, vcc, s0, v2
	v_mad_u64_u32 v[0:1], s[0:1], v1, s11, 0
	v_mad_u64_u32 v[10:11], s[0:1], v3, s10, 0
	v_xor_b32_e32 v3, v101, v11
	v_xor_b32_e32 v1, v102, v1
	s_mov_b32 s0, 0xdaa66d2b
	v_xor_b32_e32 v3, v3, v8
	v_xor_b32_e32 v1, v1, v4
	v_add_co_u32_e32 v104, vcc, s0, v72
	s_mov_b32 s0, 0x32370b8f
	v_add_co_u32_e32 v105, vcc, s0, v2
	v_mad_u64_u32 v[4:5], s[0:1], v3, s11, 0
	v_mad_u64_u32 v[8:9], s[0:1], v1, s10, 0
	;; [unrolled: 10-line block ×7, first 2 shown]
	v_xor_b32_e32 v1, v103, v1
	v_xor_b32_e32 v3, v115, v3
	;; [unrolled: 1-line block ×4, first 2 shown]
	v_mad_u64_u32 v[4:5], s[0:1], v1, s11, 0
	v_mad_u64_u32 v[8:9], s[0:1], v7, s10, 0
	v_add_u32_e32 v106, 0x8ff34781, v72
	v_add_u32_e32 v96, 0x96a522ad, v73
	v_xor_b32_e32 v0, v9, v0
	v_xor_b32_e32 v2, v5, v2
	s_mov_b32 s0, 0x42800000
	v_mov_b32_e32 v3, v4
	v_mov_b32_e32 v1, v8
	v_xor_b32_e32 v0, v106, v0
	v_xor_b32_e32 v2, v96, v2
	v_cvt_f64_f32_e32 v[4:5], v6
	v_cmp_ngt_f32_e32 vcc, s0, v6
                                        ; implicit-def: $vgpr75
	s_and_saveexec_b64 s[0:1], vcc
	s_xor_b64 s[6:7], exec, s[0:1]
	s_cbranch_execz .LBB97_44
; %bb.16:                               ;   in Loop: Header=BB97_5 Depth=1
	s_mov_b32 s0, 0x457a0000
	v_cmp_ge_f32_e32 vcc, s0, v6
                                        ; implicit-def: $vgpr75
	s_and_saveexec_b64 s[0:1], vcc
	s_xor_b64 s[16:17], exec, s[0:1]
	s_cbranch_execz .LBB97_31
; %bb.17:                               ;   in Loop: Header=BB97_5 Depth=1
	s_mov_b32 s12, 0xae147ae1
	s_mov_b32 s13, 0xc00ae147
	v_div_scale_f64 v[6:7], s[0:1], v[4:5], v[4:5], s[12:13]
	v_rcp_f64_e32 v[8:9], v[6:7]
	s_mov_b32 s0, 0
	v_mul_f64 v[76:77], v[4:5], s[26:27]
	s_brev_b32 s1, 8
	v_cmp_gt_f64_e64 s[2:3], s[0:1], v[76:77]
	v_cndmask_b32_e64 v78, 0, 1, s[2:3]
	v_fma_f64 v[74:75], -v[6:7], v[8:9], 1.0
	v_lshlrev_b32_e32 v78, 8, v78
	v_fmac_f64_e32 v[8:9], v[8:9], v[74:75]
	v_ldexp_f64 v[76:77], v[76:77], v78
	v_fma_f64 v[74:75], -v[6:7], v[8:9], 1.0
	v_rsq_f64_e32 v[78:79], v[76:77]
	v_div_scale_f64 v[10:11], vcc, s[12:13], v[4:5], s[12:13]
	v_fmac_f64_e32 v[8:9], v[8:9], v[74:75]
	v_mul_f64 v[74:75], v[10:11], v[8:9]
	v_fma_f64 v[6:7], -v[6:7], v[74:75], v[10:11]
	s_nop 0
	v_div_fmas_f64 v[6:7], v[6:7], v[8:9], v[74:75]
	v_mul_f64 v[8:9], v[76:77], v[78:79]
	v_mul_f64 v[10:11], v[78:79], 0.5
	v_fma_f64 v[74:75], -v[10:11], v[8:9], 0.5
	v_fmac_f64_e32 v[8:9], v[8:9], v[74:75]
	v_fma_f64 v[78:79], -v[8:9], v[8:9], v[76:77]
	v_fmac_f64_e32 v[10:11], v[10:11], v[74:75]
	v_fmac_f64_e32 v[8:9], v[78:79], v[10:11]
	v_fma_f64 v[74:75], -v[8:9], v[8:9], v[76:77]
	v_fmac_f64_e32 v[8:9], v[74:75], v[10:11]
	v_cndmask_b32_e64 v10, 0, v90, s[2:3]
	v_ldexp_f64 v[8:9], v[8:9], v10
	v_cmp_class_f64_e32 vcc, v[76:77], v89
	s_mov_b32 s2, 0x54442d18
	v_cndmask_b32_e32 v9, v9, v77, vcc
	v_cndmask_b32_e32 v8, v8, v76, vcc
	s_mov_b32 s3, 0x400921fb
	v_div_scale_f64 v[10:11], s[0:1], v[8:9], v[8:9], s[2:3]
	v_rcp_f64_e32 v[76:77], v[10:11]
	s_mov_b32 s0, 0x95810625
	v_div_fixup_f64 v[6:7], v[6:7], v[4:5], s[12:13]
	s_mov_b32 s1, 0x3fe88b43
	v_fma_f64 v[78:79], -v[10:11], v[76:77], 1.0
	v_fmac_f64_e32 v[76:77], v[76:77], v[78:79]
	v_fma_f64 v[78:79], -v[10:11], v[76:77], 1.0
	v_fmac_f64_e32 v[76:77], v[76:77], v[78:79]
	v_div_scale_f64 v[78:79], vcc, s[2:3], v[8:9], s[2:3]
	v_mul_f64 v[80:81], v[78:79], v[76:77]
	v_fma_f64 v[10:11], -v[10:11], v[80:81], v[78:79]
	v_add_f64 v[6:7], v[6:7], s[0:1]
	s_nop 0
	v_div_fmas_f64 v[10:11], v[10:11], v[76:77], v[80:81]
	v_div_fixup_f64 v[76:77], v[10:11], v[8:9], s[2:3]
	v_frexp_mant_f64_e32 v[8:9], v[6:7]
	v_cmp_gt_f64_e32 vcc, s[34:35], v[8:9]
	v_mov_b32_e32 v74, 0
	v_cndmask_b32_e64 v75, v91, 2.0, vcc
	v_frexp_exp_i32_f64_e32 v10, v[6:7]
	v_mul_f64 v[8:9], v[8:9], v[74:75]
	v_subbrev_co_u32_e32 v75, vcc, 0, v10, vcc
	v_add_f64 v[10:11], v[8:9], 1.0
	v_rcp_f64_e32 v[80:81], v[10:11]
	v_add_f64 v[84:85], v[10:11], -1.0
	v_add_f64 v[82:83], v[8:9], -1.0
	v_add_f64 v[8:9], v[8:9], -v[84:85]
	v_fma_f64 v[84:85], -v[10:11], v[80:81], 1.0
	v_fmac_f64_e32 v[80:81], v[84:85], v[80:81]
	v_fma_f64 v[84:85], -v[10:11], v[80:81], 1.0
	v_fmac_f64_e32 v[80:81], v[84:85], v[80:81]
	v_mul_f64 v[84:85], v[82:83], v[80:81]
	v_mul_f64 v[86:87], v[10:11], v[84:85]
	v_fma_f64 v[10:11], v[84:85], v[10:11], -v[86:87]
	v_fmac_f64_e32 v[10:11], v[84:85], v[8:9]
	v_add_f64 v[8:9], v[86:87], v[10:11]
	v_add_f64 v[116:117], v[82:83], -v[8:9]
	v_add_f64 v[86:87], v[8:9], -v[86:87]
	;; [unrolled: 1-line block ×5, first 2 shown]
	v_add_f64 v[8:9], v[10:11], v[8:9]
	v_add_f64 v[8:9], v[116:117], v[8:9]
	v_mul_f64 v[8:9], v[80:81], v[8:9]
	v_add_f64 v[10:11], v[84:85], v[8:9]
	v_add_f64 v[80:81], v[10:11], -v[84:85]
	v_add_f64 v[8:9], v[8:9], -v[80:81]
	v_mul_f64 v[80:81], v[10:11], v[10:11]
	v_pk_mov_b32 v[82:83], s[36:37], s[36:37] op_sel:[0,1]
	v_fma_f64 v[84:85], s[38:39], v[80:81], v[82:83]
	v_fma_f64 v[84:85], v[80:81], v[84:85], s[40:41]
	;; [unrolled: 1-line block ×5, first 2 shown]
	s_mov_b32 s49, s35
	v_fma_f64 v[84:85], v[80:81], v[84:85], s[48:49]
	v_ldexp_f64 v[86:87], v[10:11], 1
	v_mul_f64 v[10:11], v[10:11], v[80:81]
	v_mul_f64 v[10:11], v[10:11], v[84:85]
	v_add_f64 v[80:81], v[86:87], v[10:11]
	v_add_f64 v[84:85], v[80:81], -v[86:87]
	v_ldexp_f64 v[8:9], v[8:9], 1
	v_add_f64 v[10:11], v[10:11], -v[84:85]
	v_add_f64 v[8:9], v[8:9], v[10:11]
	v_add_f64 v[10:11], v[80:81], v[8:9]
	v_add_f64 v[80:81], v[10:11], -v[80:81]
	v_add_f64 v[8:9], v[8:9], -v[80:81]
	v_cvt_f64_i32_e32 v[80:81], v75
	v_mul_f64 v[84:85], v[80:81], s[50:51]
	v_fma_f64 v[86:87], v[80:81], s[50:51], -v[84:85]
	v_fmac_f64_e32 v[86:87], s[52:53], v[80:81]
	v_add_f64 v[80:81], v[84:85], v[86:87]
	v_add_f64 v[84:85], v[80:81], -v[84:85]
	v_add_f64 v[84:85], v[86:87], -v[84:85]
	v_add_f64 v[86:87], v[80:81], v[10:11]
	v_add_f64 v[116:117], v[86:87], -v[80:81]
	v_add_f64 v[118:119], v[86:87], -v[116:117]
	;; [unrolled: 1-line block ×4, first 2 shown]
	v_add_f64 v[10:11], v[10:11], v[80:81]
	v_add_f64 v[80:81], v[84:85], v[8:9]
	v_add_f64 v[116:117], v[80:81], -v[84:85]
	v_add_f64 v[118:119], v[80:81], -v[116:117]
	v_add_f64 v[10:11], v[80:81], v[10:11]
	v_add_f64 v[84:85], v[84:85], -v[118:119]
	v_add_f64 v[8:9], v[8:9], -v[116:117]
	v_add_f64 v[80:81], v[86:87], v[10:11]
	v_add_f64 v[8:9], v[8:9], v[84:85]
	v_add_f64 v[84:85], v[80:81], -v[86:87]
	v_add_f64 v[10:11], v[10:11], -v[84:85]
	v_add_f64 v[8:9], v[8:9], v[10:11]
	v_add_f64 v[8:9], v[80:81], v[8:9]
	v_cmp_class_f64_e64 vcc, v[6:7], s9
	v_cndmask_b32_e32 v8, v8, v6, vcc
	v_cndmask_b32_e32 v9, v9, v7, vcc
	v_cmp_ngt_f64_e32 vcc, 0, v[6:7]
	v_cndmask_b32_e32 v9, v92, v9, vcc
	v_cmp_nge_f64_e32 vcc, 0, v[6:7]
	v_cndmask_b32_e32 v8, 0, v8, vcc
	v_cmp_neq_f64_e32 vcc, 0, v[6:7]
	v_cndmask_b32_e32 v9, v93, v9, vcc
	v_add_f64 v[6:7], v[8:9], -v[4:5]
	v_frexp_mant_f64_e32 v[8:9], v[76:77]
	v_cmp_gt_f64_e32 vcc, s[34:35], v[8:9]
	v_cndmask_b32_e64 v75, v91, 2.0, vcc
	v_frexp_exp_i32_f64_e32 v10, v[76:77]
	v_mul_f64 v[8:9], v[8:9], v[74:75]
	v_subbrev_co_u32_e32 v75, vcc, 0, v10, vcc
	v_add_f64 v[10:11], v[8:9], 1.0
	v_rcp_f64_e32 v[80:81], v[10:11]
	v_add_f64 v[86:87], v[10:11], -1.0
	v_add_f64 v[84:85], v[8:9], -1.0
	v_add_f64 v[8:9], v[8:9], -v[86:87]
	v_fma_f64 v[86:87], -v[10:11], v[80:81], 1.0
	v_fmac_f64_e32 v[80:81], v[86:87], v[80:81]
	v_fma_f64 v[86:87], -v[10:11], v[80:81], 1.0
	v_fmac_f64_e32 v[80:81], v[86:87], v[80:81]
	v_mul_f64 v[86:87], v[84:85], v[80:81]
	v_mul_f64 v[116:117], v[10:11], v[86:87]
	v_fma_f64 v[10:11], v[86:87], v[10:11], -v[116:117]
	v_fmac_f64_e32 v[10:11], v[86:87], v[8:9]
	v_add_f64 v[8:9], v[116:117], v[10:11]
	v_add_f64 v[118:119], v[84:85], -v[8:9]
	v_add_f64 v[116:117], v[8:9], -v[116:117]
	;; [unrolled: 1-line block ×5, first 2 shown]
	v_add_f64 v[8:9], v[10:11], v[8:9]
	v_add_f64 v[8:9], v[118:119], v[8:9]
	v_mul_f64 v[8:9], v[80:81], v[8:9]
	v_add_f64 v[10:11], v[86:87], v[8:9]
	v_add_f64 v[80:81], v[10:11], -v[86:87]
	v_add_f64 v[8:9], v[8:9], -v[80:81]
	v_mul_f64 v[80:81], v[10:11], v[10:11]
	v_fma_f64 v[84:85], s[38:39], v[80:81], v[82:83]
	v_fma_f64 v[84:85], v[80:81], v[84:85], s[40:41]
	v_fma_f64 v[84:85], v[80:81], v[84:85], s[42:43]
	v_fma_f64 v[84:85], v[80:81], v[84:85], s[44:45]
	v_fma_f64 v[84:85], v[80:81], v[84:85], s[46:47]
	v_fma_f64 v[84:85], v[80:81], v[84:85], s[48:49]
	v_ldexp_f64 v[86:87], v[10:11], 1
	v_mul_f64 v[10:11], v[10:11], v[80:81]
	v_mul_f64 v[10:11], v[10:11], v[84:85]
	v_add_f64 v[80:81], v[86:87], v[10:11]
	v_add_f64 v[84:85], v[80:81], -v[86:87]
	v_ldexp_f64 v[8:9], v[8:9], 1
	v_add_f64 v[10:11], v[10:11], -v[84:85]
	v_add_f64 v[8:9], v[8:9], v[10:11]
	v_add_f64 v[10:11], v[80:81], v[8:9]
	v_add_f64 v[80:81], v[10:11], -v[80:81]
	v_add_f64 v[8:9], v[8:9], -v[80:81]
	v_cvt_f64_i32_e32 v[80:81], v75
	v_mul_f64 v[84:85], v[80:81], s[50:51]
	v_fma_f64 v[86:87], v[80:81], s[50:51], -v[84:85]
	v_fmac_f64_e32 v[86:87], s[52:53], v[80:81]
	v_add_f64 v[80:81], v[84:85], v[86:87]
	v_add_f64 v[84:85], v[80:81], -v[84:85]
	v_add_f64 v[84:85], v[86:87], -v[84:85]
	v_add_f64 v[86:87], v[80:81], v[10:11]
	v_add_f64 v[116:117], v[86:87], -v[80:81]
	v_add_f64 v[118:119], v[86:87], -v[116:117]
	;; [unrolled: 1-line block ×4, first 2 shown]
	v_add_f64 v[10:11], v[10:11], v[80:81]
	v_add_f64 v[80:81], v[84:85], v[8:9]
	v_add_f64 v[116:117], v[80:81], -v[84:85]
	v_add_f64 v[118:119], v[80:81], -v[116:117]
	v_add_f64 v[10:11], v[80:81], v[10:11]
	v_add_f64 v[84:85], v[84:85], -v[118:119]
	v_add_f64 v[8:9], v[8:9], -v[116:117]
	v_add_f64 v[80:81], v[86:87], v[10:11]
	v_add_f64 v[8:9], v[8:9], v[84:85]
	v_add_f64 v[84:85], v[80:81], -v[86:87]
	v_add_f64 v[10:11], v[10:11], -v[84:85]
	s_mov_b32 s0, 0
	v_add_f64 v[8:9], v[8:9], v[10:11]
	s_mov_b32 s1, 0x7ff00000
	v_add_f64 v[8:9], v[80:81], v[8:9]
	v_cmp_eq_f64_e32 vcc, s[0:1], v[76:77]
	v_cndmask_b32_e32 v8, v8, v76, vcc
	v_cndmask_b32_e32 v9, v9, v77, vcc
	v_cmp_neq_f64_e32 vcc, 0, v[76:77]
	v_cndmask_b32_e32 v9, v93, v9, vcc
	v_cndmask_b32_e32 v8, 0, v8, vcc
	v_mul_f64 v[78:79], v[76:77], v[4:5]
	v_add_f64 v[80:81], v[6:7], -v[8:9]
	v_frexp_exp_i32_f64_e32 v6, v[4:5]
	v_frexp_mant_f64_e32 v[4:5], v[4:5]
	v_cmp_gt_f64_e32 vcc, s[34:35], v[4:5]
	v_cndmask_b32_e64 v75, v91, 2.0, vcc
	v_mul_f64 v[4:5], v[4:5], v[74:75]
	v_subbrev_co_u32_e32 v75, vcc, 0, v6, vcc
	v_add_f64 v[6:7], v[4:5], 1.0
	v_rcp_f64_e32 v[8:9], v[6:7]
	v_add_f64 v[84:85], v[6:7], -1.0
	v_add_f64 v[10:11], v[4:5], -1.0
	v_add_f64 v[4:5], v[4:5], -v[84:85]
	v_fma_f64 v[84:85], -v[6:7], v[8:9], 1.0
	v_fmac_f64_e32 v[8:9], v[84:85], v[8:9]
	v_fma_f64 v[84:85], -v[6:7], v[8:9], 1.0
	v_fmac_f64_e32 v[8:9], v[84:85], v[8:9]
	v_mul_f64 v[84:85], v[10:11], v[8:9]
	v_mul_f64 v[86:87], v[6:7], v[84:85]
	v_fma_f64 v[6:7], v[84:85], v[6:7], -v[86:87]
	v_fmac_f64_e32 v[6:7], v[84:85], v[4:5]
	v_add_f64 v[4:5], v[86:87], v[6:7]
	v_add_f64 v[116:117], v[10:11], -v[4:5]
	v_add_f64 v[86:87], v[4:5], -v[86:87]
	;; [unrolled: 1-line block ×5, first 2 shown]
	v_add_f64 v[4:5], v[6:7], v[4:5]
	v_add_f64 v[4:5], v[116:117], v[4:5]
	v_mul_f64 v[4:5], v[8:9], v[4:5]
	v_add_f64 v[6:7], v[84:85], v[4:5]
	v_add_f64 v[8:9], v[6:7], -v[84:85]
	v_add_f64 v[4:5], v[4:5], -v[8:9]
	v_mul_f64 v[8:9], v[6:7], v[6:7]
	v_fmac_f64_e32 v[82:83], s[38:39], v[8:9]
	v_fma_f64 v[10:11], v[8:9], v[82:83], s[40:41]
	v_fma_f64 v[10:11], v[8:9], v[10:11], s[42:43]
	;; [unrolled: 1-line block ×5, first 2 shown]
	v_ldexp_f64 v[82:83], v[6:7], 1
	v_mul_f64 v[6:7], v[6:7], v[8:9]
	v_mul_f64 v[6:7], v[6:7], v[10:11]
	v_add_f64 v[8:9], v[82:83], v[6:7]
	v_add_f64 v[10:11], v[8:9], -v[82:83]
	v_ldexp_f64 v[4:5], v[4:5], 1
	v_add_f64 v[6:7], v[6:7], -v[10:11]
	v_add_f64 v[4:5], v[4:5], v[6:7]
	v_add_f64 v[6:7], v[8:9], v[4:5]
	v_add_f64 v[8:9], v[6:7], -v[8:9]
	v_add_f64 v[4:5], v[4:5], -v[8:9]
	v_cvt_f64_i32_e32 v[8:9], v75
	v_mul_f64 v[10:11], v[8:9], s[50:51]
	v_fma_f64 v[82:83], v[8:9], s[50:51], -v[10:11]
	v_fmac_f64_e32 v[82:83], s[52:53], v[8:9]
	v_add_f64 v[8:9], v[10:11], v[82:83]
	v_add_f64 v[10:11], v[8:9], -v[10:11]
	v_add_f64 v[10:11], v[82:83], -v[10:11]
	v_add_f64 v[82:83], v[8:9], v[6:7]
	v_add_f64 v[84:85], v[82:83], -v[8:9]
	v_add_f64 v[86:87], v[82:83], -v[84:85]
	v_add_f64 v[8:9], v[8:9], -v[86:87]
	v_add_f64 v[6:7], v[6:7], -v[84:85]
	v_add_f64 v[6:7], v[6:7], v[8:9]
	v_add_f64 v[8:9], v[10:11], v[4:5]
	v_add_f64 v[84:85], v[8:9], -v[10:11]
	v_add_f64 v[86:87], v[8:9], -v[84:85]
	v_add_f64 v[6:7], v[8:9], v[6:7]
	v_add_f64 v[10:11], v[10:11], -v[86:87]
	v_add_f64 v[4:5], v[4:5], -v[84:85]
	v_add_f64 v[8:9], v[82:83], v[6:7]
	v_add_f64 v[4:5], v[4:5], v[10:11]
	v_add_f64 v[10:11], v[8:9], -v[82:83]
	v_add_f64 v[6:7], v[6:7], -v[10:11]
	v_add_f64 v[4:5], v[4:5], v[6:7]
	v_add_f64 v[82:83], v[8:9], v[4:5]
	s_mov_b64 s[12:13], 0
	s_mov_b64 s[20:21], 0
	v_mov_b32_e32 v116, v17
                                        ; implicit-def: $vgpr75
.LBB97_18:                              ;   Parent Loop BB97_5 Depth=1
                                        ; =>  This Inner Loop Header: Depth=2
	v_add_u32_e32 v117, 1, v15
	v_pk_mov_b32 v[10:11], v[2:3], v[2:3] op_sel:[0,1]
	v_cmp_eq_u32_e32 vcc, 4, v117
	v_pk_mov_b32 v[8:9], v[0:1], v[0:1] op_sel:[0,1]
	v_mov_b32_e32 v87, v0
	v_mov_b32_e32 v86, v1
	;; [unrolled: 1-line block ×4, first 2 shown]
	s_and_saveexec_b64 s[0:1], vcc
	s_cbranch_execz .LBB97_20
; %bb.19:                               ;   in Loop: Header=BB97_18 Depth=2
	v_add_co_u32_e32 v97, vcc, 1, v97
	v_cndmask_b32_e64 v4, 0, 1, vcc
	v_addc_co_u32_e32 v98, vcc, 0, v98, vcc
	v_cmp_eq_u32_e32 vcc, 0, v98
	v_cndmask_b32_e32 v4, 0, v4, vcc
	v_add_u32_e32 v116, v4, v116
	v_cmp_eq_u32_e32 vcc, 0, v116
	v_cndmask_b32_e32 v4, 0, v4, vcc
	v_add_u32_e32 v74, v4, v74
	v_mad_u64_u32 v[4:5], s[2:3], v97, s11, 0
	v_mad_u64_u32 v[6:7], s[2:3], v116, s10, 0
	v_xor_b32_e32 v5, v5, v73
	v_xor_b32_e32 v7, v7, v72
	v_xor_b32_e32 v5, v74, v5
	v_xor_b32_e32 v7, v98, v7
	v_mad_u64_u32 v[10:11], s[2:3], v5, s10, 0
	v_mad_u64_u32 v[8:9], s[2:3], v7, s11, 0
	v_xor_b32_e32 v5, v99, v11
	v_xor_b32_e32 v5, v5, v6
	v_xor_b32_e32 v6, v100, v9
	v_xor_b32_e32 v6, v6, v4
	;; [unrolled: 6-line block ×10, first 2 shown]
	v_mov_b32_e32 v117, 0
	v_mov_b32_e32 v9, v86
	;; [unrolled: 1-line block ×5, first 2 shown]
.LBB97_20:                              ;   in Loop: Header=BB97_18 Depth=2
	s_or_b64 exec, exec, s[0:1]
	v_add_u32_e32 v118, 1, v117
	v_pk_mov_b32 v[4:5], v[8:9], v[8:9] op_sel:[0,1]
	v_cmp_eq_u32_e32 vcc, 4, v118
	v_pk_mov_b32 v[6:7], v[10:11], v[10:11] op_sel:[0,1]
	s_and_saveexec_b64 s[0:1], vcc
	s_cbranch_execz .LBB97_22
; %bb.21:                               ;   in Loop: Header=BB97_18 Depth=2
	v_add_co_u32_e32 v97, vcc, 1, v97
	v_cndmask_b32_e64 v4, 0, 1, vcc
	v_addc_co_u32_e32 v98, vcc, 0, v98, vcc
	v_cmp_eq_u32_e32 vcc, 0, v98
	v_cndmask_b32_e32 v4, 0, v4, vcc
	v_add_u32_e32 v116, v4, v116
	v_cmp_eq_u32_e32 vcc, 0, v116
	v_cndmask_b32_e32 v4, 0, v4, vcc
	v_add_u32_e32 v74, v4, v74
	v_mad_u64_u32 v[4:5], s[2:3], v97, s11, 0
	v_mad_u64_u32 v[6:7], s[2:3], v116, s10, 0
	v_xor_b32_e32 v5, v5, v73
	v_xor_b32_e32 v7, v7, v72
	v_xor_b32_e32 v5, v74, v5
	v_xor_b32_e32 v7, v98, v7
	v_mad_u64_u32 v[86:87], s[2:3], v5, s10, 0
	v_mad_u64_u32 v[84:85], s[2:3], v7, s11, 0
	v_xor_b32_e32 v5, v99, v87
	v_xor_b32_e32 v5, v5, v6
	v_xor_b32_e32 v6, v100, v85
	v_xor_b32_e32 v6, v6, v4
	;; [unrolled: 6-line block ×10, first 2 shown]
	v_mov_b32_e32 v118, 0
	v_mov_b32_e32 v5, v86
	;; [unrolled: 1-line block ×5, first 2 shown]
.LBB97_22:                              ;   in Loop: Header=BB97_18 Depth=2
	s_or_b64 exec, exec, s[0:1]
	v_cmp_eq_u32_e32 vcc, 1, v15
	v_cndmask_b32_e32 v0, v0, v1, vcc
	v_cmp_eq_u32_e32 vcc, 2, v15
	v_cndmask_b32_e32 v0, v0, v2, vcc
	;; [unrolled: 2-line block ×6, first 2 shown]
	v_lshrrev_b32_e32 v0, 11, v0
	v_cvt_f64_u32_e32 v[0:1], v0
	v_ldexp_f64 v[0:1], v[0:1], 32
	v_cvt_f64_u32_e32 v[2:3], v2
	v_add_f64 v[0:1], v[0:1], v[2:3]
	v_mov_b32_e32 v2, 0
	v_mov_b32_e32 v3, 0x3ca00000
	v_fmac_f64_e32 v[2:3], 0x3ca00000, v[0:1]
	v_add_f64 v[0:1], -v[2:3], 1.0
	v_div_scale_f64 v[8:9], s[0:1], v[2:3], v[2:3], v[0:1]
	v_rcp_f64_e32 v[10:11], v[8:9]
	v_mov_b32_e32 v119, 2
	v_fma_f64 v[120:121], -v[8:9], v[10:11], 1.0
	v_fmac_f64_e32 v[10:11], v[10:11], v[120:121]
	v_fma_f64 v[120:121], -v[8:9], v[10:11], 1.0
	v_fmac_f64_e32 v[10:11], v[10:11], v[120:121]
	v_div_scale_f64 v[120:121], vcc, v[0:1], v[2:3], v[0:1]
	v_mul_f64 v[122:123], v[120:121], v[10:11]
	v_fma_f64 v[8:9], -v[8:9], v[122:123], v[120:121]
	s_nop 1
	v_div_fmas_f64 v[8:9], v[8:9], v[10:11], v[122:123]
	v_div_fixup_f64 v[0:1], v[8:9], v[2:3], v[0:1]
	v_frexp_mant_f64_e32 v[2:3], v[0:1]
	v_cmp_gt_f64_e32 vcc, s[34:35], v[2:3]
	v_cndmask_b32_e64 v15, v91, 2.0, vcc
	v_frexp_exp_i32_f64_e32 v8, v[0:1]
	v_mul_f64 v[2:3], v[2:3], v[14:15]
	v_subbrev_co_u32_e32 v15, vcc, 0, v8, vcc
	v_add_f64 v[8:9], v[2:3], 1.0
	v_rcp_f64_e32 v[10:11], v[8:9]
	v_add_f64 v[122:123], v[8:9], -1.0
	v_add_f64 v[120:121], v[2:3], -1.0
	v_add_f64 v[2:3], v[2:3], -v[122:123]
	v_fma_f64 v[122:123], -v[8:9], v[10:11], 1.0
	v_fmac_f64_e32 v[10:11], v[122:123], v[10:11]
	v_fma_f64 v[122:123], -v[8:9], v[10:11], 1.0
	v_fmac_f64_e32 v[10:11], v[122:123], v[10:11]
	v_mul_f64 v[122:123], v[120:121], v[10:11]
	v_mul_f64 v[124:125], v[8:9], v[122:123]
	v_fma_f64 v[8:9], v[122:123], v[8:9], -v[124:125]
	v_fmac_f64_e32 v[8:9], v[122:123], v[2:3]
	v_add_f64 v[2:3], v[124:125], v[8:9]
	v_add_f64 v[126:127], v[120:121], -v[2:3]
	v_add_f64 v[124:125], v[2:3], -v[124:125]
	;; [unrolled: 1-line block ×5, first 2 shown]
	v_add_f64 v[2:3], v[8:9], v[2:3]
	v_add_f64 v[2:3], v[126:127], v[2:3]
	v_mul_f64 v[2:3], v[10:11], v[2:3]
	v_add_f64 v[8:9], v[122:123], v[2:3]
	v_add_f64 v[10:11], v[8:9], -v[122:123]
	v_add_f64 v[2:3], v[2:3], -v[10:11]
	v_mul_f64 v[10:11], v[8:9], v[8:9]
	v_pk_mov_b32 v[120:121], v[18:19], v[18:19] op_sel:[0,1]
	v_fmac_f64_e32 v[120:121], s[38:39], v[10:11]
	v_pk_mov_b32 v[122:123], v[20:21], v[20:21] op_sel:[0,1]
	v_fmac_f64_e32 v[122:123], v[10:11], v[120:121]
	;; [unrolled: 2-line block ×6, first 2 shown]
	v_ldexp_f64 v[120:121], v[8:9], 1
	v_mul_f64 v[8:9], v[8:9], v[10:11]
	v_mul_f64 v[8:9], v[8:9], v[122:123]
	v_add_f64 v[10:11], v[120:121], v[8:9]
	v_add_f64 v[120:121], v[10:11], -v[120:121]
	v_ldexp_f64 v[2:3], v[2:3], 1
	v_add_f64 v[8:9], v[8:9], -v[120:121]
	v_add_f64 v[2:3], v[2:3], v[8:9]
	v_add_f64 v[8:9], v[10:11], v[2:3]
	v_add_f64 v[10:11], v[8:9], -v[10:11]
	v_add_f64 v[2:3], v[2:3], -v[10:11]
	v_cvt_f64_i32_e32 v[10:11], v15
	v_mul_f64 v[120:121], v[10:11], s[50:51]
	v_fma_f64 v[122:123], v[10:11], s[50:51], -v[120:121]
	v_fmac_f64_e32 v[122:123], s[52:53], v[10:11]
	v_add_f64 v[10:11], v[120:121], v[122:123]
	v_add_f64 v[120:121], v[10:11], -v[120:121]
	v_add_f64 v[120:121], v[122:123], -v[120:121]
	v_add_f64 v[122:123], v[10:11], v[8:9]
	v_add_f64 v[124:125], v[122:123], -v[10:11]
	v_add_f64 v[126:127], v[122:123], -v[124:125]
	;; [unrolled: 1-line block ×4, first 2 shown]
	v_add_f64 v[8:9], v[8:9], v[10:11]
	v_add_f64 v[10:11], v[120:121], v[2:3]
	v_add_f64 v[124:125], v[10:11], -v[120:121]
	v_add_f64 v[126:127], v[10:11], -v[124:125]
	v_add_f64 v[8:9], v[10:11], v[8:9]
	v_add_f64 v[120:121], v[120:121], -v[126:127]
	v_add_f64 v[2:3], v[2:3], -v[124:125]
	v_add_f64 v[10:11], v[122:123], v[8:9]
	v_add_f64 v[2:3], v[2:3], v[120:121]
	v_add_f64 v[120:121], v[10:11], -v[122:123]
	v_add_f64 v[8:9], v[8:9], -v[120:121]
	v_add_f64 v[2:3], v[2:3], v[8:9]
	v_add_f64 v[2:3], v[10:11], v[2:3]
	v_cmp_class_f64_e64 vcc, v[0:1], s9
	v_cndmask_b32_e32 v2, v2, v0, vcc
	v_cndmask_b32_e32 v3, v3, v1, vcc
	v_cmp_ngt_f64_e32 vcc, 0, v[0:1]
	v_cndmask_b32_e32 v3, v92, v3, vcc
	v_cmp_nge_f64_e32 vcc, 0, v[0:1]
	v_cndmask_b32_e32 v2, 0, v2, vcc
	v_cmp_neq_f64_e32 vcc, 0, v[0:1]
	v_cndmask_b32_e32 v3, v93, v3, vcc
	v_add_f64 v[0:1], v[78:79], -v[2:3]
	v_div_scale_f64 v[2:3], s[0:1], v[76:77], v[76:77], v[0:1]
	v_rcp_f64_e32 v[8:9], v[2:3]
	v_fma_f64 v[10:11], -v[2:3], v[8:9], 1.0
	v_fmac_f64_e32 v[8:9], v[8:9], v[10:11]
	v_fma_f64 v[10:11], -v[2:3], v[8:9], 1.0
	v_fmac_f64_e32 v[8:9], v[8:9], v[10:11]
	v_div_scale_f64 v[10:11], vcc, v[0:1], v[76:77], v[0:1]
	v_mul_f64 v[120:121], v[10:11], v[8:9]
	v_fma_f64 v[2:3], -v[2:3], v[120:121], v[10:11]
	s_nop 1
	v_div_fmas_f64 v[2:3], v[2:3], v[8:9], v[120:121]
	v_div_fixup_f64 v[10:11], v[2:3], v[76:77], v[0:1]
	v_add_f64 v[0:1], v[10:11], 0.5
	v_floor_f64_e32 v[8:9], v[0:1]
	v_cmp_ngt_f64_e32 vcc, 0, v[8:9]
	s_and_saveexec_b64 s[0:1], vcc
	s_cbranch_execz .LBB97_28
; %bb.23:                               ;   in Loop: Header=BB97_18 Depth=2
	v_add_u32_e32 v15, 1, v118
	v_pk_mov_b32 v[0:1], v[4:5], v[4:5] op_sel:[0,1]
	v_cmp_eq_u32_e32 vcc, 4, v15
	v_pk_mov_b32 v[2:3], v[6:7], v[6:7] op_sel:[0,1]
	s_and_saveexec_b64 s[2:3], vcc
	s_cbranch_execz .LBB97_25
; %bb.24:                               ;   in Loop: Header=BB97_18 Depth=2
	v_add_co_u32_e32 v97, vcc, 1, v97
	v_cndmask_b32_e64 v0, 0, 1, vcc
	v_addc_co_u32_e32 v98, vcc, 0, v98, vcc
	v_cmp_eq_u32_e32 vcc, 0, v98
	v_cndmask_b32_e32 v0, 0, v0, vcc
	v_add_u32_e32 v116, v0, v116
	v_cmp_eq_u32_e32 vcc, 0, v116
	v_cndmask_b32_e32 v0, 0, v0, vcc
	v_add_u32_e32 v74, v0, v74
	v_mad_u64_u32 v[0:1], vcc, v97, s11, 0
	v_mad_u64_u32 v[2:3], vcc, v116, s10, 0
	v_xor_b32_e32 v1, v1, v73
	v_xor_b32_e32 v3, v3, v72
	v_xor_b32_e32 v1, v74, v1
	v_xor_b32_e32 v3, v98, v3
	v_mad_u64_u32 v[86:87], vcc, v1, s10, 0
	v_mad_u64_u32 v[84:85], vcc, v3, s11, 0
	v_xor_b32_e32 v1, v99, v87
	v_xor_b32_e32 v1, v1, v2
	v_xor_b32_e32 v2, v100, v85
	v_xor_b32_e32 v2, v2, v0
	;; [unrolled: 6-line block ×10, first 2 shown]
	v_mov_b32_e32 v15, 0
	v_mov_b32_e32 v1, v86
	;; [unrolled: 1-line block ×5, first 2 shown]
.LBB97_25:                              ;   in Loop: Header=BB97_18 Depth=2
	s_or_b64 exec, exec, s[2:3]
	v_add_u32_e32 v117, 1, v15
	v_cmp_eq_u32_e32 vcc, 4, v117
	s_and_saveexec_b64 s[2:3], vcc
	s_cbranch_execz .LBB97_27
; %bb.26:                               ;   in Loop: Header=BB97_18 Depth=2
	v_add_co_u32_e32 v97, vcc, 1, v97
	v_cndmask_b32_e64 v84, 0, 1, vcc
	v_addc_co_u32_e32 v98, vcc, 0, v98, vcc
	v_cmp_eq_u32_e32 vcc, 0, v98
	v_cndmask_b32_e32 v84, 0, v84, vcc
	v_add_u32_e32 v116, v84, v116
	v_cmp_eq_u32_e32 vcc, 0, v116
	v_cndmask_b32_e32 v84, 0, v84, vcc
	v_add_u32_e32 v74, v84, v74
	v_mad_u64_u32 v[84:85], vcc, v97, s11, 0
	v_mad_u64_u32 v[86:87], vcc, v116, s10, 0
	v_xor_b32_e32 v85, v85, v73
	v_xor_b32_e32 v87, v87, v72
	v_xor_b32_e32 v85, v74, v85
	v_xor_b32_e32 v87, v98, v87
	v_mad_u64_u32 v[122:123], vcc, v85, s10, 0
	v_mad_u64_u32 v[120:121], vcc, v87, s11, 0
	v_xor_b32_e32 v85, v99, v123
	v_xor_b32_e32 v85, v85, v86
	v_xor_b32_e32 v86, v100, v121
	v_xor_b32_e32 v86, v86, v84
	;; [unrolled: 6-line block ×9, first 2 shown]
	v_mad_u64_u32 v[84:85], vcc, v84, s11, 0
	v_mad_u64_u32 v[86:87], vcc, v86, s10, 0
	v_xor_b32_e32 v87, v87, v126
	v_xor_b32_e32 v85, v85, v124
	v_mov_b32_e32 v117, 0
	v_xor_b32_e32 v87, v106, v87
	v_xor_b32_e32 v85, v96, v85
.LBB97_27:                              ;   in Loop: Header=BB97_18 Depth=2
	s_or_b64 exec, exec, s[2:3]
	v_cmp_eq_u32_e32 vcc, 1, v118
	v_cndmask_b32_e32 v4, v4, v5, vcc
	v_cmp_eq_u32_e32 vcc, 2, v118
	v_cndmask_b32_e32 v4, v4, v6, vcc
	;; [unrolled: 2-line block ×6, first 2 shown]
	v_lshrrev_b32_e32 v0, 11, v0
	v_cvt_f64_u32_e32 v[0:1], v0
	v_ldexp_f64 v[0:1], v[0:1], 32
	v_cvt_f64_u32_e32 v[2:3], v4
	v_add_f64 v[0:1], v[0:1], v[2:3]
	v_mov_b32_e32 v2, 0
	v_mov_b32_e32 v3, 0x3ca00000
	v_fma_f64 v[4:5], -v[76:77], v[10:11], v[78:79]
	v_fmac_f64_e32 v[2:3], 0x3ca00000, v[0:1]
	v_mul_f64 v[0:1], v[4:5], s[56:57]
	v_rndne_f64_e32 v[0:1], v[0:1]
	s_mov_b32 s58, s50
	v_fma_f64 v[6:7], s[58:59], v[0:1], v[4:5]
	s_mov_b32 s60, s52
	v_fmac_f64_e32 v[6:7], s[60:61], v[0:1]
	v_pk_mov_b32 v[10:11], v[30:31], v[30:31] op_sel:[0,1]
	v_fmac_f64_e32 v[10:11], s[64:65], v[6:7]
	v_pk_mov_b32 v[118:119], v[32:33], v[32:33] op_sel:[0,1]
	;; [unrolled: 2-line block ×9, first 2 shown]
	v_fmac_f64_e32 v[10:11], v[6:7], v[118:119]
	v_fma_f64 v[10:11], v[6:7], v[10:11], 1.0
	v_fma_f64 v[6:7], v[6:7], v[10:11], 1.0
	v_cvt_i32_f64_e32 v0, v[0:1]
	v_ldexp_f64 v[0:1], v[6:7], v0
	v_add_f64 v[0:1], v[0:1], 1.0
	v_cmp_nlt_f64_e32 vcc, s[66:67], v[4:5]
	v_cmp_ngt_f64_e64 s[2:3], s[68:69], v[4:5]
	v_cndmask_b32_e32 v1, v94, v1, vcc
	s_and_b64 vcc, s[2:3], vcc
	v_cndmask_b32_e64 v1, v91, v1, s[2:3]
	v_cndmask_b32_e32 v0, 0, v0, vcc
	v_mul_f64 v[0:1], v[0:1], v[0:1]
	v_div_scale_f64 v[6:7], s[2:3], v[0:1], v[0:1], v[2:3]
	v_rcp_f64_e32 v[10:11], v[6:7]
	s_mov_b32 s49, s35
	v_fma_f64 v[118:119], -v[6:7], v[10:11], 1.0
	v_fmac_f64_e32 v[10:11], v[10:11], v[118:119]
	v_fma_f64 v[118:119], -v[6:7], v[10:11], 1.0
	v_fmac_f64_e32 v[10:11], v[10:11], v[118:119]
	v_div_scale_f64 v[118:119], vcc, v[2:3], v[0:1], v[2:3]
	v_mul_f64 v[120:121], v[118:119], v[10:11]
	v_fma_f64 v[6:7], -v[6:7], v[120:121], v[118:119]
	s_nop 1
	v_div_fmas_f64 v[6:7], v[6:7], v[10:11], v[120:121]
	v_div_fixup_f64 v[2:3], v[6:7], v[0:1], v[2:3]
	v_frexp_mant_f64_e32 v[0:1], v[2:3]
	v_cmp_gt_f64_e32 vcc, s[34:35], v[0:1]
	v_cndmask_b32_e64 v15, v91, 2.0, vcc
	v_frexp_exp_i32_f64_e32 v6, v[2:3]
	v_mul_f64 v[0:1], v[0:1], v[14:15]
	v_subbrev_co_u32_e32 v15, vcc, 0, v6, vcc
	v_add_f64 v[6:7], v[0:1], 1.0
	v_rcp_f64_e32 v[10:11], v[6:7]
	v_add_f64 v[120:121], v[6:7], -1.0
	v_add_f64 v[118:119], v[0:1], -1.0
	v_add_f64 v[0:1], v[0:1], -v[120:121]
	v_fma_f64 v[120:121], -v[6:7], v[10:11], 1.0
	v_fmac_f64_e32 v[10:11], v[120:121], v[10:11]
	v_fma_f64 v[120:121], -v[6:7], v[10:11], 1.0
	v_fmac_f64_e32 v[10:11], v[120:121], v[10:11]
	v_mul_f64 v[120:121], v[118:119], v[10:11]
	v_mul_f64 v[122:123], v[6:7], v[120:121]
	v_fma_f64 v[6:7], v[120:121], v[6:7], -v[122:123]
	v_fmac_f64_e32 v[6:7], v[120:121], v[0:1]
	v_add_f64 v[0:1], v[122:123], v[6:7]
	v_add_f64 v[124:125], v[118:119], -v[0:1]
	v_add_f64 v[122:123], v[0:1], -v[122:123]
	v_add_f64 v[118:119], v[118:119], -v[124:125]
	v_add_f64 v[0:1], v[118:119], -v[0:1]
	v_add_f64 v[6:7], v[122:123], -v[6:7]
	v_add_f64 v[0:1], v[6:7], v[0:1]
	v_add_f64 v[0:1], v[124:125], v[0:1]
	v_mul_f64 v[0:1], v[10:11], v[0:1]
	v_add_f64 v[6:7], v[120:121], v[0:1]
	v_add_f64 v[10:11], v[6:7], -v[120:121]
	v_add_f64 v[10:11], v[0:1], -v[10:11]
	v_mul_f64 v[118:119], v[6:7], v[6:7]
	v_pk_mov_b32 v[0:1], s[36:37], s[36:37] op_sel:[0,1]
	v_fma_f64 v[120:121], s[38:39], v[118:119], v[0:1]
	v_fma_f64 v[120:121], v[118:119], v[120:121], s[40:41]
	;; [unrolled: 1-line block ×6, first 2 shown]
	v_ldexp_f64 v[122:123], v[6:7], 1
	v_mul_f64 v[6:7], v[6:7], v[118:119]
	v_mul_f64 v[6:7], v[6:7], v[120:121]
	v_add_f64 v[118:119], v[122:123], v[6:7]
	v_add_f64 v[120:121], v[118:119], -v[122:123]
	v_ldexp_f64 v[10:11], v[10:11], 1
	v_add_f64 v[6:7], v[6:7], -v[120:121]
	v_add_f64 v[6:7], v[10:11], v[6:7]
	v_add_f64 v[10:11], v[118:119], v[6:7]
	v_add_f64 v[118:119], v[10:11], -v[118:119]
	v_add_f64 v[6:7], v[6:7], -v[118:119]
	v_cvt_f64_i32_e32 v[118:119], v15
	v_mul_f64 v[120:121], v[118:119], s[50:51]
	v_fma_f64 v[122:123], v[118:119], s[50:51], -v[120:121]
	v_fmac_f64_e32 v[122:123], s[52:53], v[118:119]
	v_add_f64 v[118:119], v[120:121], v[122:123]
	v_add_f64 v[120:121], v[118:119], -v[120:121]
	v_add_f64 v[120:121], v[122:123], -v[120:121]
	v_add_f64 v[122:123], v[118:119], v[10:11]
	v_add_f64 v[124:125], v[122:123], -v[118:119]
	v_add_f64 v[126:127], v[122:123], -v[124:125]
	;; [unrolled: 1-line block ×4, first 2 shown]
	v_add_f64 v[10:11], v[10:11], v[118:119]
	v_add_f64 v[118:119], v[120:121], v[6:7]
	v_add_f64 v[124:125], v[118:119], -v[120:121]
	v_add_f64 v[126:127], v[118:119], -v[124:125]
	v_add_f64 v[10:11], v[118:119], v[10:11]
	v_add_f64 v[120:121], v[120:121], -v[126:127]
	v_add_f64 v[6:7], v[6:7], -v[124:125]
	v_add_f64 v[118:119], v[122:123], v[10:11]
	v_add_f64 v[6:7], v[6:7], v[120:121]
	v_add_f64 v[120:121], v[118:119], -v[122:123]
	v_add_f64 v[10:11], v[10:11], -v[120:121]
	v_add_f64 v[6:7], v[6:7], v[10:11]
	v_add_f64 v[6:7], v[118:119], v[6:7]
	v_cmp_class_f64_e64 vcc, v[2:3], s9
	v_cndmask_b32_e32 v15, v6, v2, vcc
	v_cndmask_b32_e32 v6, v7, v3, vcc
	v_cmp_neq_f64_e32 vcc, 0, v[2:3]
	v_cndmask_b32_e32 v3, v93, v6, vcc
	v_add_f64 v[6:7], v[8:9], 1.0
	v_add_f64 v[6:7], v[6:7], -1.0
	v_add_f64 v[118:119], v[6:7], s[70:71]
	v_div_scale_f64 v[10:11], s[2:3], v[118:119], v[118:119], s[72:73]
	v_rcp_f64_e32 v[120:121], v[10:11]
	v_cndmask_b32_e32 v2, 0, v15, vcc
	v_add_f64 v[2:3], v[4:5], v[2:3]
	v_fma_f64 v[4:5], v[82:83], v[8:9], v[80:81]
	v_fma_f64 v[122:123], -v[10:11], v[120:121], 1.0
	v_fmac_f64_e32 v[120:121], v[120:121], v[122:123]
	v_fma_f64 v[122:123], -v[10:11], v[120:121], 1.0
	v_fmac_f64_e32 v[120:121], v[120:121], v[122:123]
	v_div_scale_f64 v[122:123], vcc, s[72:73], v[118:119], s[72:73]
	v_mul_f64 v[124:125], v[122:123], v[120:121]
	v_fma_f64 v[122:123], -v[10:11], v[124:125], v[122:123]
	v_add_f64 v[10:11], v[6:7], s[74:75]
	v_div_scale_f64 v[126:127], s[2:3], v[10:11], v[10:11], s[76:77]
	v_rcp_f64_e32 v[128:129], v[126:127]
	v_div_fmas_f64 v[120:121], v[122:123], v[120:121], v[124:125]
	v_div_fixup_f64 v[118:119], v[120:121], v[118:119], s[72:73]
	v_add_f64 v[124:125], v[6:7], s[78:79]
	v_fma_f64 v[120:121], -v[126:127], v[128:129], 1.0
	v_fmac_f64_e32 v[128:129], v[128:129], v[120:121]
	v_fma_f64 v[120:121], -v[126:127], v[128:129], 1.0
	v_fmac_f64_e32 v[128:129], v[128:129], v[120:121]
	v_div_scale_f64 v[120:121], vcc, s[76:77], v[10:11], s[76:77]
	v_mul_f64 v[122:123], v[120:121], v[128:129]
	v_fma_f64 v[120:121], -v[126:127], v[122:123], v[120:121]
	v_div_scale_f64 v[126:127], s[2:3], v[124:125], v[124:125], s[80:81]
	v_rcp_f64_e32 v[130:131], v[126:127]
	v_div_fmas_f64 v[120:121], v[120:121], v[128:129], v[122:123]
	v_add_f64 v[118:119], v[118:119], 0
	v_div_fixup_f64 v[120:121], v[120:121], v[10:11], s[76:77]
	v_add_f64 v[118:119], v[120:121], v[118:119]
	v_fma_f64 v[120:121], -v[126:127], v[130:131], 1.0
	v_fmac_f64_e32 v[130:131], v[130:131], v[120:121]
	v_fma_f64 v[120:121], -v[126:127], v[130:131], 1.0
	v_fmac_f64_e32 v[130:131], v[130:131], v[120:121]
	v_div_scale_f64 v[120:121], vcc, s[80:81], v[124:125], s[80:81]
	v_mul_f64 v[122:123], v[120:121], v[130:131]
	v_fma_f64 v[120:121], -v[126:127], v[122:123], v[120:121]
	v_add_f64 v[126:127], v[6:7], s[82:83]
	v_div_scale_f64 v[128:129], s[2:3], v[126:127], v[126:127], s[84:85]
	v_rcp_f64_e32 v[132:133], v[128:129]
	v_div_fmas_f64 v[120:121], v[120:121], v[130:131], v[122:123]
	v_div_fixup_f64 v[120:121], v[120:121], v[124:125], s[80:81]
	v_add_f64 v[118:119], v[118:119], v[120:121]
	v_fma_f64 v[120:121], -v[128:129], v[132:133], 1.0
	v_fmac_f64_e32 v[132:133], v[132:133], v[120:121]
	v_fma_f64 v[120:121], -v[128:129], v[132:133], 1.0
	v_fmac_f64_e32 v[132:133], v[132:133], v[120:121]
	v_div_scale_f64 v[120:121], vcc, s[84:85], v[126:127], s[84:85]
	v_mul_f64 v[122:123], v[120:121], v[132:133]
	v_add_f64 v[124:125], v[6:7], 4.0
	v_fma_f64 v[120:121], -v[128:129], v[122:123], v[120:121]
	v_div_scale_f64 v[128:129], s[2:3], v[124:125], v[124:125], s[86:87]
	v_rcp_f64_e32 v[130:131], v[128:129]
	v_div_fmas_f64 v[120:121], v[120:121], v[132:133], v[122:123]
	v_div_fixup_f64 v[120:121], v[120:121], v[126:127], s[84:85]
	v_add_f64 v[118:119], v[120:121], v[118:119]
	v_fma_f64 v[120:121], -v[128:129], v[130:131], 1.0
	v_fmac_f64_e32 v[130:131], v[130:131], v[120:121]
	v_fma_f64 v[120:121], -v[128:129], v[130:131], 1.0
	v_fmac_f64_e32 v[130:131], v[130:131], v[120:121]
	v_div_scale_f64 v[120:121], vcc, s[86:87], v[124:125], s[86:87]
	v_mul_f64 v[122:123], v[120:121], v[130:131]
	v_add_f64 v[126:127], v[6:7], s[26:27]
	v_fma_f64 v[120:121], -v[128:129], v[122:123], v[120:121]
	v_div_scale_f64 v[128:129], s[2:3], v[126:127], v[126:127], s[88:89]
	v_rcp_f64_e32 v[132:133], v[128:129]
	v_div_fmas_f64 v[120:121], v[120:121], v[130:131], v[122:123]
	v_div_fixup_f64 v[120:121], v[120:121], v[124:125], s[86:87]
	v_add_f64 v[118:119], v[118:119], v[120:121]
	v_fma_f64 v[120:121], -v[128:129], v[132:133], 1.0
	v_fmac_f64_e32 v[132:133], v[132:133], v[120:121]
	v_fma_f64 v[120:121], -v[128:129], v[132:133], 1.0
	v_fmac_f64_e32 v[132:133], v[132:133], v[120:121]
	v_div_scale_f64 v[120:121], vcc, s[88:89], v[126:127], s[88:89]
	v_mul_f64 v[122:123], v[120:121], v[132:133]
	v_add_f64 v[124:125], v[6:7], 2.0
	v_fma_f64 v[120:121], -v[128:129], v[122:123], v[120:121]
	v_div_scale_f64 v[128:129], s[2:3], v[124:125], v[124:125], s[90:91]
	v_rcp_f64_e32 v[130:131], v[128:129]
	v_div_fmas_f64 v[120:121], v[120:121], v[132:133], v[122:123]
	v_div_fixup_f64 v[120:121], v[120:121], v[126:127], s[88:89]
	v_add_f64 v[118:119], v[120:121], v[118:119]
	v_fma_f64 v[120:121], -v[128:129], v[130:131], 1.0
	v_fmac_f64_e32 v[130:131], v[130:131], v[120:121]
	v_fma_f64 v[120:121], -v[128:129], v[130:131], 1.0
	v_fmac_f64_e32 v[130:131], v[130:131], v[120:121]
	v_div_scale_f64 v[120:121], vcc, s[90:91], v[124:125], s[90:91]
	v_mul_f64 v[122:123], v[120:121], v[130:131]
	v_add_f64 v[126:127], v[6:7], 1.0
	v_fma_f64 v[120:121], -v[128:129], v[122:123], v[120:121]
	v_div_scale_f64 v[128:129], s[2:3], v[126:127], v[126:127], s[92:93]
	v_rcp_f64_e32 v[132:133], v[128:129]
	v_div_fmas_f64 v[120:121], v[120:121], v[130:131], v[122:123]
	v_div_fixup_f64 v[120:121], v[120:121], v[124:125], s[90:91]
	v_add_f64 v[118:119], v[118:119], v[120:121]
	v_fma_f64 v[120:121], -v[128:129], v[132:133], 1.0
	v_fmac_f64_e32 v[132:133], v[132:133], v[120:121]
	v_fma_f64 v[120:121], -v[128:129], v[132:133], 1.0
	v_fmac_f64_e32 v[132:133], v[132:133], v[120:121]
	v_div_scale_f64 v[120:121], vcc, s[92:93], v[126:127], s[92:93]
	v_mul_f64 v[122:123], v[120:121], v[132:133]
	v_fma_f64 v[120:121], -v[128:129], v[122:123], v[120:121]
	v_add_f64 v[10:11], v[10:11], 0.5
	s_nop 0
	v_div_fmas_f64 v[120:121], v[120:121], v[132:133], v[122:123]
	v_div_fixup_f64 v[120:121], v[120:121], v[126:127], s[92:93]
	v_add_f64 v[118:119], v[120:121], v[118:119]
	v_add_f64 v[118:119], v[118:119], s[94:95]
	v_frexp_mant_f64_e32 v[120:121], v[118:119]
	v_cmp_gt_f64_e32 vcc, s[34:35], v[120:121]
	v_cndmask_b32_e64 v15, v91, 2.0, vcc
	v_frexp_exp_i32_f64_e32 v122, v[118:119]
	v_mul_f64 v[120:121], v[120:121], v[14:15]
	v_subbrev_co_u32_e32 v15, vcc, 0, v122, vcc
	v_add_f64 v[122:123], v[120:121], 1.0
	v_rcp_f64_e32 v[124:125], v[122:123]
	v_add_f64 v[128:129], v[122:123], -1.0
	v_add_f64 v[126:127], v[120:121], -1.0
	v_add_f64 v[120:121], v[120:121], -v[128:129]
	v_fma_f64 v[128:129], -v[122:123], v[124:125], 1.0
	v_fmac_f64_e32 v[124:125], v[128:129], v[124:125]
	v_fma_f64 v[128:129], -v[122:123], v[124:125], 1.0
	v_fmac_f64_e32 v[124:125], v[128:129], v[124:125]
	v_mul_f64 v[128:129], v[126:127], v[124:125]
	v_mul_f64 v[130:131], v[122:123], v[128:129]
	v_fma_f64 v[122:123], v[128:129], v[122:123], -v[130:131]
	v_fmac_f64_e32 v[122:123], v[128:129], v[120:121]
	v_add_f64 v[120:121], v[130:131], v[122:123]
	v_add_f64 v[132:133], v[126:127], -v[120:121]
	v_add_f64 v[130:131], v[120:121], -v[130:131]
	;; [unrolled: 1-line block ×5, first 2 shown]
	v_add_f64 v[120:121], v[122:123], v[120:121]
	v_add_f64 v[120:121], v[132:133], v[120:121]
	v_mul_f64 v[120:121], v[124:125], v[120:121]
	v_add_f64 v[122:123], v[128:129], v[120:121]
	v_add_f64 v[124:125], v[122:123], -v[128:129]
	v_add_f64 v[120:121], v[120:121], -v[124:125]
	v_mul_f64 v[124:125], v[122:123], v[122:123]
	v_fma_f64 v[126:127], s[38:39], v[124:125], v[0:1]
	v_fma_f64 v[126:127], v[124:125], v[126:127], s[40:41]
	;; [unrolled: 1-line block ×6, first 2 shown]
	v_ldexp_f64 v[128:129], v[122:123], 1
	v_mul_f64 v[122:123], v[122:123], v[124:125]
	v_mul_f64 v[122:123], v[122:123], v[126:127]
	v_add_f64 v[124:125], v[128:129], v[122:123]
	v_add_f64 v[126:127], v[124:125], -v[128:129]
	v_ldexp_f64 v[120:121], v[120:121], 1
	v_add_f64 v[122:123], v[122:123], -v[126:127]
	v_add_f64 v[120:121], v[120:121], v[122:123]
	v_add_f64 v[122:123], v[124:125], v[120:121]
	v_add_f64 v[124:125], v[122:123], -v[124:125]
	v_add_f64 v[120:121], v[120:121], -v[124:125]
	v_cvt_f64_i32_e32 v[124:125], v15
	v_mul_f64 v[126:127], v[124:125], s[50:51]
	v_fma_f64 v[128:129], v[124:125], s[50:51], -v[126:127]
	v_fmac_f64_e32 v[128:129], s[52:53], v[124:125]
	v_add_f64 v[124:125], v[126:127], v[128:129]
	v_add_f64 v[126:127], v[124:125], -v[126:127]
	v_add_f64 v[126:127], v[128:129], -v[126:127]
	v_add_f64 v[128:129], v[124:125], v[122:123]
	v_add_f64 v[130:131], v[128:129], -v[124:125]
	v_add_f64 v[132:133], v[128:129], -v[130:131]
	;; [unrolled: 1-line block ×4, first 2 shown]
	v_add_f64 v[122:123], v[122:123], v[124:125]
	v_add_f64 v[124:125], v[126:127], v[120:121]
	v_add_f64 v[130:131], v[124:125], -v[126:127]
	v_add_f64 v[132:133], v[124:125], -v[130:131]
	v_add_f64 v[122:123], v[124:125], v[122:123]
	v_add_f64 v[126:127], v[126:127], -v[132:133]
	v_add_f64 v[120:121], v[120:121], -v[130:131]
	v_add_f64 v[124:125], v[128:129], v[122:123]
	v_add_f64 v[120:121], v[120:121], v[126:127]
	v_add_f64 v[126:127], v[124:125], -v[128:129]
	v_add_f64 v[122:123], v[122:123], -v[126:127]
	v_add_f64 v[120:121], v[120:121], v[122:123]
	v_add_f64 v[120:121], v[124:125], v[120:121]
	v_cmp_class_f64_e64 vcc, v[118:119], s9
	v_div_scale_f64 v[122:123], s[2:3], s[28:29], s[28:29], v[10:11]
	v_cndmask_b32_e32 v121, v121, v119, vcc
	v_cndmask_b32_e32 v120, v120, v118, vcc
	v_rcp_f64_e32 v[124:125], v[122:123]
	v_add_f64 v[120:121], v[120:121], s[24:25]
	v_add_f64 v[120:121], v[120:121], s[22:23]
	v_cmp_ngt_f64_e32 vcc, 0, v[118:119]
	v_cndmask_b32_e32 v15, v92, v121, vcc
	v_cmp_nge_f64_e32 vcc, 0, v[118:119]
	v_cndmask_b32_e32 v120, 0, v120, vcc
	v_cmp_neq_f64_e32 vcc, 0, v[118:119]
	v_fma_f64 v[118:119], -v[122:123], v[124:125], 1.0
	v_fmac_f64_e32 v[124:125], v[124:125], v[118:119]
	v_fma_f64 v[118:119], -v[122:123], v[124:125], 1.0
	v_cndmask_b32_e32 v121, v93, v15, vcc
	v_fmac_f64_e32 v[124:125], v[124:125], v[118:119]
	v_div_scale_f64 v[118:119], vcc, v[10:11], s[28:29], v[10:11]
	v_mul_f64 v[126:127], v[118:119], v[124:125]
	v_fma_f64 v[118:119], -v[122:123], v[126:127], v[118:119]
	v_add_f64 v[6:7], v[6:7], 0.5
	s_nop 0
	v_div_fmas_f64 v[118:119], v[118:119], v[124:125], v[126:127]
	v_div_fixup_f64 v[10:11], v[118:119], s[28:29], v[10:11]
	v_frexp_mant_f64_e32 v[118:119], v[10:11]
	v_cmp_gt_f64_e32 vcc, s[34:35], v[118:119]
	v_cndmask_b32_e64 v15, v91, 2.0, vcc
	v_frexp_exp_i32_f64_e32 v122, v[10:11]
	v_mul_f64 v[118:119], v[118:119], v[14:15]
	v_subbrev_co_u32_e32 v15, vcc, 0, v122, vcc
	v_add_f64 v[122:123], v[118:119], 1.0
	v_rcp_f64_e32 v[124:125], v[122:123]
	v_add_f64 v[128:129], v[122:123], -1.0
	v_add_f64 v[126:127], v[118:119], -1.0
	v_add_f64 v[118:119], v[118:119], -v[128:129]
	v_fma_f64 v[128:129], -v[122:123], v[124:125], 1.0
	v_fmac_f64_e32 v[124:125], v[128:129], v[124:125]
	v_fma_f64 v[128:129], -v[122:123], v[124:125], 1.0
	v_fmac_f64_e32 v[124:125], v[128:129], v[124:125]
	v_mul_f64 v[128:129], v[126:127], v[124:125]
	v_mul_f64 v[130:131], v[122:123], v[128:129]
	v_fma_f64 v[122:123], v[128:129], v[122:123], -v[130:131]
	v_fmac_f64_e32 v[122:123], v[128:129], v[118:119]
	v_add_f64 v[118:119], v[130:131], v[122:123]
	v_add_f64 v[132:133], v[126:127], -v[118:119]
	v_add_f64 v[130:131], v[118:119], -v[130:131]
	;; [unrolled: 1-line block ×5, first 2 shown]
	v_add_f64 v[118:119], v[122:123], v[118:119]
	v_add_f64 v[118:119], v[132:133], v[118:119]
	v_mul_f64 v[118:119], v[124:125], v[118:119]
	v_add_f64 v[122:123], v[128:129], v[118:119]
	v_add_f64 v[124:125], v[122:123], -v[128:129]
	v_add_f64 v[118:119], v[118:119], -v[124:125]
	v_mul_f64 v[124:125], v[122:123], v[122:123]
	v_fmac_f64_e32 v[0:1], s[38:39], v[124:125]
	v_fma_f64 v[0:1], v[124:125], v[0:1], s[40:41]
	v_fma_f64 v[0:1], v[124:125], v[0:1], s[42:43]
	;; [unrolled: 1-line block ×5, first 2 shown]
	v_ldexp_f64 v[126:127], v[122:123], 1
	v_mul_f64 v[122:123], v[122:123], v[124:125]
	v_mul_f64 v[0:1], v[122:123], v[0:1]
	v_add_f64 v[122:123], v[126:127], v[0:1]
	v_add_f64 v[124:125], v[122:123], -v[126:127]
	v_ldexp_f64 v[118:119], v[118:119], 1
	v_add_f64 v[0:1], v[0:1], -v[124:125]
	v_add_f64 v[0:1], v[118:119], v[0:1]
	v_add_f64 v[118:119], v[122:123], v[0:1]
	v_add_f64 v[122:123], v[118:119], -v[122:123]
	v_add_f64 v[0:1], v[0:1], -v[122:123]
	v_cvt_f64_i32_e32 v[122:123], v15
	v_mul_f64 v[124:125], v[122:123], s[50:51]
	v_fma_f64 v[126:127], v[122:123], s[50:51], -v[124:125]
	v_fmac_f64_e32 v[126:127], s[52:53], v[122:123]
	v_add_f64 v[122:123], v[124:125], v[126:127]
	v_add_f64 v[124:125], v[122:123], -v[124:125]
	v_add_f64 v[124:125], v[126:127], -v[124:125]
	v_add_f64 v[126:127], v[122:123], v[118:119]
	v_add_f64 v[128:129], v[126:127], -v[122:123]
	v_add_f64 v[130:131], v[126:127], -v[128:129]
	;; [unrolled: 1-line block ×4, first 2 shown]
	v_add_f64 v[118:119], v[118:119], v[122:123]
	v_add_f64 v[122:123], v[124:125], v[0:1]
	v_add_f64 v[128:129], v[122:123], -v[124:125]
	v_add_f64 v[130:131], v[122:123], -v[128:129]
	v_add_f64 v[118:119], v[122:123], v[118:119]
	v_add_f64 v[124:125], v[124:125], -v[130:131]
	v_add_f64 v[0:1], v[0:1], -v[128:129]
	v_add_f64 v[122:123], v[126:127], v[118:119]
	v_add_f64 v[0:1], v[0:1], v[124:125]
	v_add_f64 v[124:125], v[122:123], -v[126:127]
	v_add_f64 v[118:119], v[118:119], -v[124:125]
	v_add_f64 v[0:1], v[0:1], v[118:119]
	v_add_f64 v[0:1], v[122:123], v[0:1]
	v_cmp_class_f64_e64 vcc, v[10:11], s9
	v_cndmask_b32_e32 v0, v0, v10, vcc
	v_cndmask_b32_e32 v1, v1, v11, vcc
	v_cmp_ngt_f64_e32 vcc, 0, v[10:11]
	v_cndmask_b32_e32 v1, v92, v1, vcc
	v_cmp_nge_f64_e32 vcc, 0, v[10:11]
	v_cndmask_b32_e32 v0, 0, v0, vcc
	v_cmp_neq_f64_e32 vcc, 0, v[10:11]
	v_cndmask_b32_e32 v1, v93, v1, vcc
	v_fmac_f64_e32 v[120:121], v[6:7], v[0:1]
	v_add_f64 v[0:1], v[4:5], -v[120:121]
	v_cvt_u32_f64_e32 v4, v[8:9]
	v_cmp_le_f64_e32 vcc, v[2:3], v[0:1]
	v_cndmask_b32_e64 v119, 0, 1, vcc
	v_cndmask_b32_e32 v75, v75, v4, vcc
	v_mov_b32_e32 v118, v117
.LBB97_28:                              ;   in Loop: Header=BB97_18 Depth=2
	s_or_b64 exec, exec, s[0:1]
	v_cmp_gt_i32_e32 vcc, 2, v119
	s_or_b64 s[20:21], vcc, s[20:21]
	v_mov_b32_e32 v15, v118
	v_mov_b32_e32 v0, v87
	v_mov_b32_e32 v1, v86
	v_mov_b32_e32 v2, v85
	v_mov_b32_e32 v3, v84
	s_andn2_b64 exec, exec, s[20:21]
	s_cbranch_execnz .LBB97_18
; %bb.29:                               ;   in Loop: Header=BB97_18 Depth=2
	s_or_b64 exec, exec, s[20:21]
	v_cmp_ne_u32_e32 vcc, 0, v119
	s_or_b64 s[12:13], vcc, s[12:13]
	s_mov_b64 s[20:21], 0
	v_mov_b32_e32 v15, v118
	v_mov_b32_e32 v0, v87
	;; [unrolled: 1-line block ×5, first 2 shown]
	s_andn2_b64 exec, exec, s[12:13]
	s_cbranch_execnz .LBB97_18
; %bb.30:                               ;   in Loop: Header=BB97_5 Depth=1
	s_or_b64 exec, exec, s[12:13]
	v_readlane_b32 s20, v134, 18
	v_readlane_b32 s21, v134, 19
                                        ; implicit-def: $vgpr72_vgpr73
                                        ; implicit-def: $vgpr15
                                        ; implicit-def: $vgpr97
                                        ; implicit-def: $vgpr98
                                        ; implicit-def: $vgpr106
                                        ; implicit-def: $vgpr96
                                        ; implicit-def: $vgpr3
                                        ; implicit-def: $vgpr4_vgpr5
                                        ; implicit-def: $vgpr99
                                        ; implicit-def: $vgpr100
                                        ; implicit-def: $vgpr101
                                        ; implicit-def: $vgpr102
                                        ; implicit-def: $vgpr104
                                        ; implicit-def: $vgpr105
                                        ; implicit-def: $vgpr107
                                        ; implicit-def: $vgpr108
                                        ; implicit-def: $vgpr109
                                        ; implicit-def: $vgpr110
                                        ; implicit-def: $vgpr111
                                        ; implicit-def: $vgpr112
                                        ; implicit-def: $vgpr113
                                        ; implicit-def: $vgpr114
                                        ; implicit-def: $vgpr103
                                        ; implicit-def: $vgpr115
.LBB97_31:                              ;   in Loop: Header=BB97_5 Depth=1
	s_andn2_saveexec_b64 s[0:1], s[16:17]
	s_cbranch_execz .LBB97_43
; %bb.32:                               ;   in Loop: Header=BB97_5 Depth=1
	v_add_co_u32_e32 v6, vcc, 1, v97
	v_cndmask_b32_e64 v7, 0, 1, vcc
	v_addc_co_u32_e32 v10, vcc, 0, v98, vcc
	v_cmp_eq_u32_e32 vcc, 0, v10
	v_cndmask_b32_e32 v7, 0, v7, vcc
	v_add_u32_e32 v8, v7, v17
	v_cmp_eq_u32_e32 vcc, 0, v8
	v_cndmask_b32_e32 v11, 0, v7, vcc
	v_mad_u64_u32 v[6:7], s[2:3], v6, s11, 0
	v_mad_u64_u32 v[8:9], s[2:3], v8, s10, 0
	v_xor_b32_e32 v7, v7, v73
	v_xor_b32_e32 v9, v9, v72
	v_xor_b32_e32 v7, v11, v7
	v_xor_b32_e32 v9, v10, v9
	v_mad_u64_u32 v[72:73], s[2:3], v7, s10, 0
	v_mad_u64_u32 v[10:11], s[2:3], v9, s11, 0
	v_xor_b32_e32 v7, v99, v73
	v_xor_b32_e32 v7, v7, v8
	v_xor_b32_e32 v8, v100, v11
	v_xor_b32_e32 v8, v8, v6
	;; [unrolled: 6-line block ×8, first 2 shown]
	v_mad_u64_u32 v[74:75], s[2:3], v7, s11, 0
	v_mad_u64_u32 v[8:9], s[2:3], v6, s10, 0
	v_xor_b32_e32 v6, v115, v75
	v_xor_b32_e32 v6, v6, v10
	v_mad_u64_u32 v[6:7], s[2:3], v6, s10, 0
	v_xor_b32_e32 v7, v7, v8
	v_xor_b32_e32 v10, v106, v7
	v_cmp_lt_i32_e32 vcc, 1, v15
                                        ; implicit-def: $vgpr8
	s_and_saveexec_b64 s[2:3], vcc
	s_xor_b64 s[2:3], exec, s[2:3]
	s_cbranch_execz .LBB97_38
; %bb.33:                               ;   in Loop: Header=BB97_5 Depth=1
	v_cmp_lt_i32_e32 vcc, 2, v15
                                        ; implicit-def: $vgpr8
	s_and_saveexec_b64 s[12:13], vcc
	s_xor_b64 s[12:13], exec, s[12:13]
; %bb.34:                               ;   in Loop: Header=BB97_5 Depth=1
	v_xor_b32_e32 v0, v103, v9
	v_xor_b32_e32 v0, v0, v72
	v_mul_hi_u32 v0, v0, s11
	v_xor_b32_e32 v0, v0, v74
	v_xor_b32_e32 v8, v96, v0
; %bb.35:                               ;   in Loop: Header=BB97_5 Depth=1
	s_andn2_saveexec_b64 s[12:13], s[12:13]
; %bb.36:                               ;   in Loop: Header=BB97_5 Depth=1
	v_mov_b32_e32 v8, v6
	v_mov_b32_e32 v6, v10
	;; [unrolled: 1-line block ×4, first 2 shown]
; %bb.37:                               ;   in Loop: Header=BB97_5 Depth=1
	s_or_b64 exec, exec, s[12:13]
                                        ; implicit-def: $vgpr15
.LBB97_38:                              ;   in Loop: Header=BB97_5 Depth=1
	s_andn2_saveexec_b64 s[2:3], s[2:3]
	s_cbranch_execz .LBB97_42
; %bb.39:                               ;   in Loop: Header=BB97_5 Depth=1
	v_cmp_eq_u32_e32 vcc, 1, v15
	v_mov_b32_e32 v8, v3
	v_mov_b32_e32 v6, v2
	;; [unrolled: 1-line block ×3, first 2 shown]
	s_and_saveexec_b64 s[12:13], vcc
; %bb.40:                               ;   in Loop: Header=BB97_5 Depth=1
	v_mov_b32_e32 v8, v10
	v_mov_b32_e32 v6, v3
	;; [unrolled: 1-line block ×4, first 2 shown]
; %bb.41:                               ;   in Loop: Header=BB97_5 Depth=1
	s_or_b64 exec, exec, s[12:13]
	v_mov_b32_e32 v3, v0
	v_mov_b32_e32 v10, v7
.LBB97_42:                              ;   in Loop: Header=BB97_5 Depth=1
	s_or_b64 exec, exec, s[2:3]
	v_mov_b32_e32 v11, v14
	v_lshlrev_b64 v[0:1], 21, v[10:11]
	v_xor_b32_e32 v2, v0, v3
	v_cvt_f64_u32_e32 v[0:1], v1
	v_ldexp_f64 v[0:1], v[0:1], 32
	v_cvt_f64_u32_e32 v[2:3], v2
	v_add_f64 v[0:1], v[0:1], v[2:3]
	v_mov_b32_e32 v2, 0
	v_mov_b32_e32 v3, 0x3ca00000
	v_fmac_f64_e32 v[2:3], 0x3ca00000, v[0:1]
	v_mov_b32_e32 v9, v14
	v_lshlrev_b64 v[0:1], 21, v[8:9]
	v_frexp_mant_f64_e32 v[8:9], v[2:3]
	v_cmp_gt_f64_e32 vcc, s[34:35], v[8:9]
	v_cndmask_b32_e64 v15, v91, 2.0, vcc
	v_frexp_exp_i32_f64_e32 v10, v[2:3]
	v_mul_f64 v[8:9], v[8:9], v[14:15]
	v_subbrev_co_u32_e32 v15, vcc, 0, v10, vcc
	v_add_f64 v[10:11], v[8:9], 1.0
	v_rcp_f64_e32 v[72:73], v[10:11]
	v_add_f64 v[76:77], v[10:11], -1.0
	v_add_f64 v[74:75], v[8:9], -1.0
	v_add_f64 v[8:9], v[8:9], -v[76:77]
	v_fma_f64 v[76:77], -v[10:11], v[72:73], 1.0
	v_fmac_f64_e32 v[72:73], v[76:77], v[72:73]
	v_fma_f64 v[76:77], -v[10:11], v[72:73], 1.0
	v_fmac_f64_e32 v[72:73], v[76:77], v[72:73]
	v_mul_f64 v[76:77], v[74:75], v[72:73]
	v_mul_f64 v[78:79], v[10:11], v[76:77]
	v_fma_f64 v[10:11], v[76:77], v[10:11], -v[78:79]
	v_fmac_f64_e32 v[10:11], v[76:77], v[8:9]
	v_add_f64 v[8:9], v[78:79], v[10:11]
	v_add_f64 v[80:81], v[74:75], -v[8:9]
	v_add_f64 v[78:79], v[8:9], -v[78:79]
	;; [unrolled: 1-line block ×5, first 2 shown]
	v_add_f64 v[8:9], v[10:11], v[8:9]
	v_add_f64 v[8:9], v[80:81], v[8:9]
	v_mul_f64 v[8:9], v[72:73], v[8:9]
	v_add_f64 v[10:11], v[76:77], v[8:9]
	v_add_f64 v[72:73], v[10:11], -v[76:77]
	v_add_f64 v[8:9], v[8:9], -v[72:73]
	v_mul_f64 v[72:73], v[10:11], v[10:11]
	v_pk_mov_b32 v[74:75], v[18:19], v[18:19] op_sel:[0,1]
	v_fmac_f64_e32 v[74:75], s[38:39], v[72:73]
	v_pk_mov_b32 v[76:77], v[20:21], v[20:21] op_sel:[0,1]
	v_fmac_f64_e32 v[76:77], v[72:73], v[74:75]
	;; [unrolled: 2-line block ×6, first 2 shown]
	v_ldexp_f64 v[74:75], v[10:11], 1
	v_mul_f64 v[10:11], v[10:11], v[72:73]
	v_mul_f64 v[10:11], v[10:11], v[76:77]
	v_add_f64 v[72:73], v[74:75], v[10:11]
	v_add_f64 v[74:75], v[72:73], -v[74:75]
	v_ldexp_f64 v[8:9], v[8:9], 1
	v_add_f64 v[10:11], v[10:11], -v[74:75]
	v_add_f64 v[8:9], v[8:9], v[10:11]
	v_add_f64 v[10:11], v[72:73], v[8:9]
	v_add_f64 v[72:73], v[10:11], -v[72:73]
	v_add_f64 v[8:9], v[8:9], -v[72:73]
	v_cvt_f64_i32_e32 v[72:73], v15
	v_mul_f64 v[74:75], v[72:73], s[50:51]
	v_fma_f64 v[76:77], v[72:73], s[50:51], -v[74:75]
	v_fmac_f64_e32 v[76:77], s[52:53], v[72:73]
	v_add_f64 v[72:73], v[74:75], v[76:77]
	v_add_f64 v[74:75], v[72:73], -v[74:75]
	v_add_f64 v[74:75], v[76:77], -v[74:75]
	v_add_f64 v[76:77], v[72:73], v[10:11]
	v_add_f64 v[78:79], v[76:77], -v[72:73]
	v_add_f64 v[80:81], v[76:77], -v[78:79]
	;; [unrolled: 1-line block ×4, first 2 shown]
	v_add_f64 v[10:11], v[10:11], v[72:73]
	v_add_f64 v[72:73], v[74:75], v[8:9]
	v_add_f64 v[78:79], v[72:73], -v[74:75]
	v_add_f64 v[80:81], v[72:73], -v[78:79]
	v_add_f64 v[10:11], v[72:73], v[10:11]
	v_add_f64 v[74:75], v[74:75], -v[80:81]
	v_add_f64 v[8:9], v[8:9], -v[78:79]
	v_add_f64 v[72:73], v[76:77], v[10:11]
	v_add_f64 v[8:9], v[8:9], v[74:75]
	v_add_f64 v[74:75], v[72:73], -v[76:77]
	v_add_f64 v[10:11], v[10:11], -v[74:75]
	s_mov_b32 s16, 0
	v_add_f64 v[8:9], v[8:9], v[10:11]
	s_mov_b32 s17, 0x7ff00000
	v_add_f64 v[8:9], v[72:73], v[8:9]
	v_cmp_eq_f64_e32 vcc, s[16:17], v[2:3]
	v_cndmask_b32_e32 v9, v9, v3, vcc
	v_cndmask_b32_e32 v8, v8, v2, vcc
	v_mul_f64 v[8:9], v[8:9], -2.0
	v_cmp_neq_f64_e32 vcc, 0, v[2:3]
	s_mov_b32 s2, 0
	v_cndmask_b32_e32 v3, v94, v9, vcc
	v_cndmask_b32_e32 v2, 0, v8, vcc
	s_brev_b32 s3, 8
	v_cmp_gt_f64_e32 vcc, s[2:3], v[2:3]
	v_cndmask_b32_e64 v8, 0, 1, vcc
	v_lshlrev_b32_e32 v8, 8, v8
	v_ldexp_f64 v[2:3], v[2:3], v8
	v_xor_b32_e32 v6, v0, v6
	v_cvt_f64_u32_e32 v[0:1], v1
	v_rsq_f64_e32 v[8:9], v[2:3]
	v_ldexp_f64 v[0:1], v[0:1], 32
	v_cvt_f64_u32_e32 v[6:7], v6
	v_add_f64 v[0:1], v[0:1], v[6:7]
	v_mov_b32_e32 v6, 0
	v_mov_b32_e32 v7, 0x3cb00000
	v_fmac_f64_e32 v[6:7], 0x3cb00000, v[0:1]
	v_mul_f64 v[0:1], v[2:3], v[8:9]
	v_mul_f64 v[8:9], v[8:9], 0.5
	v_fma_f64 v[10:11], -v[8:9], v[0:1], 0.5
	v_fmac_f64_e32 v[0:1], v[0:1], v[10:11]
	v_fma_f64 v[72:73], -v[0:1], v[0:1], v[2:3]
	v_fmac_f64_e32 v[8:9], v[8:9], v[10:11]
	v_fmac_f64_e32 v[0:1], v[72:73], v[8:9]
	v_fma_f64 v[10:11], -v[0:1], v[0:1], v[2:3]
	v_fmac_f64_e32 v[0:1], v[10:11], v[8:9]
	v_cndmask_b32_e32 v8, 0, v90, vcc
	v_ldexp_f64 v[0:1], v[0:1], v8
	v_cmp_class_f64_e32 vcc, v[2:3], v89
	v_cndmask_b32_e32 v1, v1, v3, vcc
	v_cndmask_b32_e32 v0, v0, v2, vcc
	v_mul_f64 v[2:3], v[6:7], 0.5
	v_fract_f64_e32 v[8:9], v[2:3]
	v_add_f64 v[8:9], v[8:9], v[8:9]
	v_cmp_neq_f64_e32 vcc, s[16:17], v[2:3]
	v_cndmask_b32_e32 v2, 0, v8, vcc
	v_cndmask_b32_e32 v3, 0, v9, vcc
	v_cmp_lt_f64_e32 vcc, 1.0, v[6:7]
	v_cndmask_b32_e32 v3, v7, v3, vcc
	v_cndmask_b32_e32 v2, v6, v2, vcc
	v_add_f64 v[8:9], v[2:3], v[2:3]
	v_rndne_f64_e32 v[8:9], v[8:9]
	v_fmac_f64_e32 v[2:3], -0.5, v[8:9]
	s_mov_b32 s12, 0xf99eb0bb
	v_cvt_i32_f64_e32 v15, v[8:9]
	v_mul_f64 v[8:9], v[2:3], v[2:3]
	v_pk_mov_b32 v[10:11], v[48:49], v[48:49] op_sel:[0,1]
	s_mov_b32 s13, 0x3f3e357e
	v_fmac_f64_e32 v[10:11], s[12:13], v[8:9]
	v_pk_mov_b32 v[72:73], v[50:51], v[50:51] op_sel:[0,1]
	v_fmac_f64_e32 v[72:73], v[8:9], v[10:11]
	v_pk_mov_b32 v[10:11], v[52:53], v[52:53] op_sel:[0,1]
	;; [unrolled: 2-line block ×4, first 2 shown]
	v_fmac_f64_e32 v[10:11], v[8:9], v[72:73]
	v_mul_f64 v[72:73], v[2:3], v[8:9]
	s_mov_b32 s12, 0x54442d18
	v_mul_f64 v[10:11], v[72:73], v[10:11]
	s_mov_b32 s13, 0x400921fb
	v_fmac_f64_e32 v[10:11], s[12:13], v[2:3]
	s_mov_b32 s12, 0x2e21c33
	v_pk_mov_b32 v[2:3], v[58:59], v[58:59] op_sel:[0,1]
	s_mov_b32 s13, 0xbf1b1673
	v_fmac_f64_e32 v[2:3], s[12:13], v[8:9]
	v_pk_mov_b32 v[72:73], v[60:61], v[60:61] op_sel:[0,1]
	v_fmac_f64_e32 v[72:73], v[8:9], v[2:3]
	v_pk_mov_b32 v[2:3], v[62:63], v[62:63] op_sel:[0,1]
	;; [unrolled: 2-line block ×5, first 2 shown]
	v_fmac_f64_e32 v[72:73], v[8:9], v[2:3]
	v_fma_f64 v[2:3], v[8:9], v[72:73], 1.0
	v_and_b32_e32 v9, 1, v15
	v_lshlrev_b32_e32 v8, 30, v15
	v_cmp_eq_u32_e32 vcc, 0, v9
	v_cndmask_b32_e32 v10, v2, v10, vcc
	v_cndmask_b32_e32 v2, v3, v11, vcc
	v_xor_b32_e32 v3, v8, v7
	v_and_b32_e32 v3, 0x80000000, v3
	v_cmp_gt_f64_e32 vcc, s[2:3], v[4:5]
	v_xor_b32_e32 v11, v2, v3
	v_cndmask_b32_e64 v2, 0, 1, vcc
	v_lshlrev_b32_e32 v2, 8, v2
	v_ldexp_f64 v[2:3], v[4:5], v2
	v_rsq_f64_e32 v[8:9], v[2:3]
	v_cmp_lg_f64_e64 s[2:3], s[16:17], v[6:7]
	v_cndmask_b32_e64 v6, 0, v10, s[2:3]
	v_cndmask_b32_e64 v7, v92, v11, s[2:3]
	v_mul_f64 v[0:1], v[0:1], v[6:7]
	v_mul_f64 v[6:7], v[2:3], v[8:9]
	v_mul_f64 v[8:9], v[8:9], 0.5
	v_fma_f64 v[10:11], -v[8:9], v[6:7], 0.5
	v_fmac_f64_e32 v[6:7], v[6:7], v[10:11]
	v_fma_f64 v[72:73], -v[6:7], v[6:7], v[2:3]
	v_fmac_f64_e32 v[8:9], v[8:9], v[10:11]
	v_fmac_f64_e32 v[6:7], v[72:73], v[8:9]
	v_fma_f64 v[10:11], -v[6:7], v[6:7], v[2:3]
	v_fmac_f64_e32 v[6:7], v[10:11], v[8:9]
	v_cndmask_b32_e32 v8, 0, v90, vcc
	v_ldexp_f64 v[6:7], v[6:7], v8
	v_cmp_class_f64_e32 vcc, v[2:3], v89
	v_cndmask_b32_e32 v3, v7, v3, vcc
	v_cndmask_b32_e32 v2, v6, v2, vcc
	v_fmac_f64_e32 v[4:5], v[2:3], v[0:1]
	v_trunc_f64_e32 v[0:1], v[4:5]
	v_add_f64 v[2:3], v[4:5], -v[0:1]
	v_cmp_ge_f64_e64 vcc, |v[2:3]|, 0.5
	v_cndmask_b32_e32 v2, 0, v91, vcc
	s_brev_b32 s2, -2
	v_bfi_b32 v15, s2, v2, v5
	v_add_f64 v[0:1], v[0:1], v[14:15]
	v_cvt_u32_f64_e32 v75, v[0:1]
.LBB97_43:                              ;   in Loop: Header=BB97_5 Depth=1
	s_or_b64 exec, exec, s[0:1]
                                        ; implicit-def: $vgpr6
                                        ; implicit-def: $vgpr72_vgpr73
                                        ; implicit-def: $vgpr15
                                        ; implicit-def: $vgpr97
                                        ; implicit-def: $vgpr98
                                        ; implicit-def: $vgpr106
                                        ; implicit-def: $vgpr96
                                        ; implicit-def: $vgpr3
                                        ; implicit-def: $vgpr4_vgpr5
                                        ; implicit-def: $vgpr99
                                        ; implicit-def: $vgpr100
                                        ; implicit-def: $vgpr101
                                        ; implicit-def: $vgpr102
                                        ; implicit-def: $vgpr104
                                        ; implicit-def: $vgpr105
                                        ; implicit-def: $vgpr107
                                        ; implicit-def: $vgpr108
                                        ; implicit-def: $vgpr109
                                        ; implicit-def: $vgpr110
                                        ; implicit-def: $vgpr111
                                        ; implicit-def: $vgpr112
                                        ; implicit-def: $vgpr113
                                        ; implicit-def: $vgpr114
                                        ; implicit-def: $vgpr103
                                        ; implicit-def: $vgpr115
.LBB97_44:                              ;   in Loop: Header=BB97_5 Depth=1
	s_andn2_saveexec_b64 s[0:1], s[6:7]
	s_cbranch_execz .LBB97_3
; %bb.45:                               ;   in Loop: Header=BB97_5 Depth=1
	v_readlane_b32 s2, v134, 16
	v_readlane_b32 s3, v134, 17
	s_mov_b32 s2, s56
	v_mul_f64 v[8:9], v[4:5], s[2:3]
	v_rndne_f64_e32 v[10:11], v[8:9]
	s_mov_b32 s58, s50
	v_fma_f64 v[4:5], v[10:11], s[58:59], -v[4:5]
	s_mov_b32 s60, s52
	v_fmac_f64_e32 v[4:5], s[60:61], v[10:11]
	v_pk_mov_b32 v[8:9], v[30:31], v[30:31] op_sel:[0,1]
	v_fmac_f64_e32 v[8:9], s[64:65], v[4:5]
	v_pk_mov_b32 v[74:75], v[32:33], v[32:33] op_sel:[0,1]
	v_fmac_f64_e32 v[74:75], v[4:5], v[8:9]
	v_pk_mov_b32 v[8:9], v[34:35], v[34:35] op_sel:[0,1]
	v_fmac_f64_e32 v[8:9], v[4:5], v[74:75]
	v_pk_mov_b32 v[74:75], v[36:37], v[36:37] op_sel:[0,1]
	v_fmac_f64_e32 v[74:75], v[4:5], v[8:9]
	v_pk_mov_b32 v[8:9], v[38:39], v[38:39] op_sel:[0,1]
	v_fmac_f64_e32 v[8:9], v[4:5], v[74:75]
	v_pk_mov_b32 v[74:75], v[40:41], v[40:41] op_sel:[0,1]
	v_fmac_f64_e32 v[74:75], v[4:5], v[8:9]
	v_pk_mov_b32 v[8:9], v[42:43], v[42:43] op_sel:[0,1]
	v_fmac_f64_e32 v[8:9], v[4:5], v[74:75]
	v_pk_mov_b32 v[74:75], v[44:45], v[44:45] op_sel:[0,1]
	v_fmac_f64_e32 v[74:75], v[4:5], v[8:9]
	v_pk_mov_b32 v[76:77], v[46:47], v[46:47] op_sel:[0,1]
	v_fmac_f64_e32 v[76:77], v[4:5], v[74:75]
	v_fma_f64 v[74:75], v[4:5], v[76:77], 1.0
	s_mov_b32 s2, 0xc4800000
	v_fma_f64 v[4:5], v[4:5], v[74:75], 1.0
	v_cvt_i32_f64_e32 v7, v[10:11]
	v_cmp_ngt_f32_e32 vcc, s2, v6
	s_mov_b32 s2, 0x44866000
	s_mov_b32 s7, s3
	v_ldexp_f64 v[4:5], v[4:5], v7
	v_cmp_nlt_f32_e64 s[2:3], s2, v6
	v_mov_b32_e32 v8, 0
	v_cndmask_b32_e32 v5, v94, v5, vcc
	s_and_b64 vcc, s[2:3], vcc
	v_writelane_b32 v134, s6, 16
	v_mov_b32_e32 v9, 0x3ff00000
	v_mov_b32_e32 v78, 0
	v_cndmask_b32_e64 v11, 0, v5, s[2:3]
	v_cndmask_b32_e32 v10, 0, v4, vcc
	s_mov_b32 s12, -1
	s_mov_b64 s[2:3], 0
	v_mov_b32_e32 v79, v17
	v_writelane_b32 v134, s7, 17
	s_branch .LBB97_47
.LBB97_46:                              ;   in Loop: Header=BB97_47 Depth=2
	s_or_b64 exec, exec, s[6:7]
	v_cmp_eq_u32_e32 vcc, 1, v15
	v_cndmask_b32_e32 v0, v0, v1, vcc
	v_cmp_eq_u32_e32 vcc, 2, v15
	v_cndmask_b32_e32 v0, v0, v2, vcc
	;; [unrolled: 2-line block ×6, first 2 shown]
	v_lshrrev_b32_e32 v0, 11, v0
	v_cvt_f64_u32_e32 v[0:1], v0
	v_ldexp_f64 v[0:1], v[0:1], 32
	v_cvt_f64_u32_e32 v[2:3], v2
	v_add_f64 v[0:1], v[0:1], v[2:3]
	v_mov_b32_e32 v2, 0
	v_mov_b32_e32 v3, 0x3ca00000
	v_fmac_f64_e32 v[2:3], 0x3ca00000, v[0:1]
	v_mul_f64 v[8:9], v[8:9], v[2:3]
	v_cmp_ngt_f64_e32 vcc, v[8:9], v[10:11]
	s_add_i32 s12, s12, 1
	s_or_b64 s[2:3], vcc, s[2:3]
	v_mov_b32_e32 v75, s12
	v_mov_b32_e32 v15, v81
	;; [unrolled: 1-line block ×6, first 2 shown]
	s_andn2_b64 exec, exec, s[2:3]
	s_cbranch_execz .LBB97_2
.LBB97_47:                              ;   Parent Loop BB97_5 Depth=1
                                        ; =>  This Inner Loop Header: Depth=2
	v_add_u32_e32 v80, 1, v15
	v_pk_mov_b32 v[6:7], v[2:3], v[2:3] op_sel:[0,1]
	v_cmp_eq_u32_e32 vcc, 4, v80
	v_pk_mov_b32 v[4:5], v[0:1], v[0:1] op_sel:[0,1]
	v_mov_b32_e32 v77, v0
	v_mov_b32_e32 v76, v1
	;; [unrolled: 1-line block ×4, first 2 shown]
	s_and_saveexec_b64 s[6:7], vcc
	s_cbranch_execz .LBB97_49
; %bb.48:                               ;   in Loop: Header=BB97_47 Depth=2
	v_add_co_u32_e32 v97, vcc, 1, v97
	v_cndmask_b32_e64 v4, 0, 1, vcc
	v_addc_co_u32_e32 v98, vcc, 0, v98, vcc
	v_cmp_eq_u32_e32 vcc, 0, v98
	v_cndmask_b32_e32 v4, 0, v4, vcc
	v_add_u32_e32 v79, v4, v79
	v_cmp_eq_u32_e32 vcc, 0, v79
	v_cndmask_b32_e32 v4, 0, v4, vcc
	v_add_u32_e32 v78, v4, v78
	v_mad_u64_u32 v[4:5], s[16:17], v97, s11, 0
	v_mad_u64_u32 v[6:7], s[16:17], v79, s10, 0
	v_xor_b32_e32 v5, v5, v73
	v_xor_b32_e32 v7, v7, v72
	v_xor_b32_e32 v5, v78, v5
	v_xor_b32_e32 v7, v98, v7
	v_mad_u64_u32 v[76:77], s[16:17], v5, s10, 0
	v_mad_u64_u32 v[74:75], s[16:17], v7, s11, 0
	v_xor_b32_e32 v5, v99, v77
	v_xor_b32_e32 v5, v5, v6
	v_xor_b32_e32 v6, v100, v75
	v_xor_b32_e32 v6, v6, v4
	;; [unrolled: 6-line block ×10, first 2 shown]
	v_mov_b32_e32 v80, 0
	v_mov_b32_e32 v5, v76
	;; [unrolled: 1-line block ×5, first 2 shown]
.LBB97_49:                              ;   in Loop: Header=BB97_47 Depth=2
	s_or_b64 exec, exec, s[6:7]
	v_add_u32_e32 v81, 1, v80
	v_cmp_eq_u32_e32 vcc, 4, v81
	s_and_saveexec_b64 s[6:7], vcc
	s_cbranch_execz .LBB97_46
; %bb.50:                               ;   in Loop: Header=BB97_47 Depth=2
	v_add_co_u32_e32 v97, vcc, 1, v97
	v_cndmask_b32_e64 v74, 0, 1, vcc
	v_addc_co_u32_e32 v98, vcc, 0, v98, vcc
	v_cmp_eq_u32_e32 vcc, 0, v98
	v_cndmask_b32_e32 v74, 0, v74, vcc
	v_add_u32_e32 v79, v74, v79
	v_cmp_eq_u32_e32 vcc, 0, v79
	v_cndmask_b32_e32 v74, 0, v74, vcc
	v_add_u32_e32 v78, v74, v78
	v_mad_u64_u32 v[74:75], s[16:17], v97, s11, 0
	v_mad_u64_u32 v[76:77], s[16:17], v79, s10, 0
	v_xor_b32_e32 v75, v75, v73
	v_xor_b32_e32 v77, v77, v72
	v_xor_b32_e32 v75, v78, v75
	v_xor_b32_e32 v77, v98, v77
	v_mad_u64_u32 v[84:85], s[16:17], v75, s10, 0
	v_mad_u64_u32 v[82:83], s[16:17], v77, s11, 0
	v_xor_b32_e32 v75, v99, v85
	v_xor_b32_e32 v75, v75, v76
	v_xor_b32_e32 v76, v100, v83
	v_xor_b32_e32 v76, v76, v74
	;; [unrolled: 6-line block ×9, first 2 shown]
	v_mad_u64_u32 v[74:75], s[16:17], v74, s11, 0
	v_mad_u64_u32 v[76:77], s[16:17], v76, s10, 0
	v_xor_b32_e32 v77, v77, v116
	v_xor_b32_e32 v75, v75, v86
	v_mov_b32_e32 v81, 0
	v_xor_b32_e32 v77, v106, v77
	v_xor_b32_e32 v82, v96, v75
	s_branch .LBB97_46
.LBB97_51:
	s_or_b64 exec, exec, s[18:19]
	s_and_saveexec_b64 s[0:1], s[14:15]
	s_xor_b64 s[0:1], exec, s[0:1]
	s_cbranch_execnz .LBB97_53
.LBB97_52:
	s_endpgm
.LBB97_53:
	s_trap 2
	; divergent unreachable
	s_endpgm
	.section	.rodata,"a",@progbits
	.p2align	6, 0x0
	.amdhsa_kernel _ZN2at4cuda12_GLOBAL__N_121kernelPointwiseApply2IZN12_GLOBAL__N_119poisson_cuda_kernelIN3c108BFloat16EEEvRKNS_10TensorBaseES9_NS_15PhiloxCudaStateEEUlRS6_RKS6_E_S6_S6_jLin1ELi2ELi1ELi512ELi2EEEvNS0_6detail10TensorInfoIT0_T2_EENSG_IT1_SI_EESI_T_
		.amdhsa_group_segment_fixed_size 0
		.amdhsa_private_segment_fixed_size 0
		.amdhsa_kernarg_size 728
		.amdhsa_user_sgpr_count 6
		.amdhsa_user_sgpr_private_segment_buffer 1
		.amdhsa_user_sgpr_dispatch_ptr 0
		.amdhsa_user_sgpr_queue_ptr 0
		.amdhsa_user_sgpr_kernarg_segment_ptr 1
		.amdhsa_user_sgpr_dispatch_id 0
		.amdhsa_user_sgpr_flat_scratch_init 0
		.amdhsa_user_sgpr_kernarg_preload_length 0
		.amdhsa_user_sgpr_kernarg_preload_offset 0
		.amdhsa_user_sgpr_private_segment_size 0
		.amdhsa_uses_dynamic_stack 0
		.amdhsa_system_sgpr_private_segment_wavefront_offset 0
		.amdhsa_system_sgpr_workgroup_id_x 1
		.amdhsa_system_sgpr_workgroup_id_y 0
		.amdhsa_system_sgpr_workgroup_id_z 0
		.amdhsa_system_sgpr_workgroup_info 0
		.amdhsa_system_vgpr_workitem_id 0
		.amdhsa_next_free_vgpr 135
		.amdhsa_next_free_sgpr 96
		.amdhsa_accum_offset 136
		.amdhsa_reserve_vcc 1
		.amdhsa_reserve_flat_scratch 0
		.amdhsa_float_round_mode_32 0
		.amdhsa_float_round_mode_16_64 0
		.amdhsa_float_denorm_mode_32 3
		.amdhsa_float_denorm_mode_16_64 3
		.amdhsa_dx10_clamp 1
		.amdhsa_ieee_mode 1
		.amdhsa_fp16_overflow 0
		.amdhsa_tg_split 0
		.amdhsa_exception_fp_ieee_invalid_op 0
		.amdhsa_exception_fp_denorm_src 0
		.amdhsa_exception_fp_ieee_div_zero 0
		.amdhsa_exception_fp_ieee_overflow 0
		.amdhsa_exception_fp_ieee_underflow 0
		.amdhsa_exception_fp_ieee_inexact 0
		.amdhsa_exception_int_div_zero 0
	.end_amdhsa_kernel
	.section	.text._ZN2at4cuda12_GLOBAL__N_121kernelPointwiseApply2IZN12_GLOBAL__N_119poisson_cuda_kernelIN3c108BFloat16EEEvRKNS_10TensorBaseES9_NS_15PhiloxCudaStateEEUlRS6_RKS6_E_S6_S6_jLin1ELi2ELi1ELi512ELi2EEEvNS0_6detail10TensorInfoIT0_T2_EENSG_IT1_SI_EESI_T_,"axG",@progbits,_ZN2at4cuda12_GLOBAL__N_121kernelPointwiseApply2IZN12_GLOBAL__N_119poisson_cuda_kernelIN3c108BFloat16EEEvRKNS_10TensorBaseES9_NS_15PhiloxCudaStateEEUlRS6_RKS6_E_S6_S6_jLin1ELi2ELi1ELi512ELi2EEEvNS0_6detail10TensorInfoIT0_T2_EENSG_IT1_SI_EESI_T_,comdat
.Lfunc_end97:
	.size	_ZN2at4cuda12_GLOBAL__N_121kernelPointwiseApply2IZN12_GLOBAL__N_119poisson_cuda_kernelIN3c108BFloat16EEEvRKNS_10TensorBaseES9_NS_15PhiloxCudaStateEEUlRS6_RKS6_E_S6_S6_jLin1ELi2ELi1ELi512ELi2EEEvNS0_6detail10TensorInfoIT0_T2_EENSG_IT1_SI_EESI_T_, .Lfunc_end97-_ZN2at4cuda12_GLOBAL__N_121kernelPointwiseApply2IZN12_GLOBAL__N_119poisson_cuda_kernelIN3c108BFloat16EEEvRKNS_10TensorBaseES9_NS_15PhiloxCudaStateEEUlRS6_RKS6_E_S6_S6_jLin1ELi2ELi1ELi512ELi2EEEvNS0_6detail10TensorInfoIT0_T2_EENSG_IT1_SI_EESI_T_
                                        ; -- End function
	.section	.AMDGPU.csdata,"",@progbits
; Kernel info:
; codeLenInByte = 13796
; NumSgprs: 100
; NumVgprs: 135
; NumAgprs: 0
; TotalNumVgprs: 135
; ScratchSize: 0
; MemoryBound: 0
; FloatMode: 240
; IeeeMode: 1
; LDSByteSize: 0 bytes/workgroup (compile time only)
; SGPRBlocks: 12
; VGPRBlocks: 16
; NumSGPRsForWavesPerEU: 100
; NumVGPRsForWavesPerEU: 135
; AccumOffset: 136
; Occupancy: 3
; WaveLimiterHint : 1
; COMPUTE_PGM_RSRC2:SCRATCH_EN: 0
; COMPUTE_PGM_RSRC2:USER_SGPR: 6
; COMPUTE_PGM_RSRC2:TRAP_HANDLER: 0
; COMPUTE_PGM_RSRC2:TGID_X_EN: 1
; COMPUTE_PGM_RSRC2:TGID_Y_EN: 0
; COMPUTE_PGM_RSRC2:TGID_Z_EN: 0
; COMPUTE_PGM_RSRC2:TIDIG_COMP_CNT: 0
; COMPUTE_PGM_RSRC3_GFX90A:ACCUM_OFFSET: 33
; COMPUTE_PGM_RSRC3_GFX90A:TG_SPLIT: 0
	.section	.text._ZN2at4cuda12_GLOBAL__N_121kernelPointwiseApply2IZN12_GLOBAL__N_119poisson_cuda_kernelIN3c108BFloat16EEEvRKNS_10TensorBaseES9_NS_15PhiloxCudaStateEEUlRS6_RKS6_E_S6_S6_jLin1ELin1ELi1ELi512ELi2EEEvNS0_6detail10TensorInfoIT0_T2_EENSG_IT1_SI_EESI_T_,"axG",@progbits,_ZN2at4cuda12_GLOBAL__N_121kernelPointwiseApply2IZN12_GLOBAL__N_119poisson_cuda_kernelIN3c108BFloat16EEEvRKNS_10TensorBaseES9_NS_15PhiloxCudaStateEEUlRS6_RKS6_E_S6_S6_jLin1ELin1ELi1ELi512ELi2EEEvNS0_6detail10TensorInfoIT0_T2_EENSG_IT1_SI_EESI_T_,comdat
	.globl	_ZN2at4cuda12_GLOBAL__N_121kernelPointwiseApply2IZN12_GLOBAL__N_119poisson_cuda_kernelIN3c108BFloat16EEEvRKNS_10TensorBaseES9_NS_15PhiloxCudaStateEEUlRS6_RKS6_E_S6_S6_jLin1ELin1ELi1ELi512ELi2EEEvNS0_6detail10TensorInfoIT0_T2_EENSG_IT1_SI_EESI_T_ ; -- Begin function _ZN2at4cuda12_GLOBAL__N_121kernelPointwiseApply2IZN12_GLOBAL__N_119poisson_cuda_kernelIN3c108BFloat16EEEvRKNS_10TensorBaseES9_NS_15PhiloxCudaStateEEUlRS6_RKS6_E_S6_S6_jLin1ELin1ELi1ELi512ELi2EEEvNS0_6detail10TensorInfoIT0_T2_EENSG_IT1_SI_EESI_T_
	.p2align	8
	.type	_ZN2at4cuda12_GLOBAL__N_121kernelPointwiseApply2IZN12_GLOBAL__N_119poisson_cuda_kernelIN3c108BFloat16EEEvRKNS_10TensorBaseES9_NS_15PhiloxCudaStateEEUlRS6_RKS6_E_S6_S6_jLin1ELin1ELi1ELi512ELi2EEEvNS0_6detail10TensorInfoIT0_T2_EENSG_IT1_SI_EESI_T_,@function
_ZN2at4cuda12_GLOBAL__N_121kernelPointwiseApply2IZN12_GLOBAL__N_119poisson_cuda_kernelIN3c108BFloat16EEEvRKNS_10TensorBaseES9_NS_15PhiloxCudaStateEEUlRS6_RKS6_E_S6_S6_jLin1ELin1ELi1ELi512ELi2EEEvNS0_6detail10TensorInfoIT0_T2_EENSG_IT1_SI_EESI_T_: ; @_ZN2at4cuda12_GLOBAL__N_121kernelPointwiseApply2IZN12_GLOBAL__N_119poisson_cuda_kernelIN3c108BFloat16EEEvRKNS_10TensorBaseES9_NS_15PhiloxCudaStateEEUlRS6_RKS6_E_S6_S6_jLin1ELin1ELi1ELi512ELi2EEEvNS0_6detail10TensorInfoIT0_T2_EENSG_IT1_SI_EESI_T_
; %bb.0:
	s_load_dword s2, s[4:5], 0x1e4
	s_load_dword s33, s[4:5], 0x1b0
	s_add_u32 s0, s4, 0x1d8
	s_addc_u32 s1, s5, 0
	s_waitcnt lgkmcnt(0)
	s_and_b32 s2, s2, 0xffff
	s_mul_i32 s6, s6, s2
	v_add_u32_e32 v17, s6, v0
	v_cmp_gt_u32_e32 vcc, s33, v17
	s_and_saveexec_b64 s[6:7], vcc
	s_cbranch_execz .LBB98_55
; %bb.1:
	s_load_dword s3, s[0:1], 0x0
	s_load_dword s6, s[4:5], 0x1d0
	;; [unrolled: 1-line block ×3, first 2 shown]
	s_load_dwordx2 s[20:21], s[4:5], 0x1c8
	s_load_dwordx4 s[12:15], s[4:5], 0x1b8
                                        ; implicit-def: $vgpr134 : SGPR spill to VGPR lane
	s_add_u32 s9, s4, 0xd8
	s_addc_u32 s10, s5, 0
	s_waitcnt lgkmcnt(0)
	s_cmp_gt_i32 s11, 1
                                        ; kill: killed $sgpr0 killed $sgpr1
	s_cselect_b64 s[0:1], -1, 0
	v_writelane_b32 v134, s12, 0
	v_writelane_b32 v134, s13, 1
	;; [unrolled: 1-line block ×6, first 2 shown]
	s_load_dword s0, s[4:5], 0x144
	s_load_dword s12, s[4:5], 0x1a8
	s_load_dwordx2 s[56:57], s[4:5], 0xd8
	s_load_dword s13, s[4:5], 0x6c
	s_mul_i32 s2, s3, s2
	s_mov_b32 s8, 0xcd9e8d57
	s_waitcnt lgkmcnt(0)
	s_cmp_gt_i32 s12, 1
	v_writelane_b32 v134, s0, 6
	s_cselect_b64 s[0:1], -1, 0
	v_writelane_b32 v134, s0, 7
	v_writelane_b32 v134, s1, 8
	s_load_dwordx2 s[0:1], s[4:5], 0x0
	s_mov_b32 s3, 0
	s_mov_b32 s28, 0
	;; [unrolled: 1-line block ×4, first 2 shown]
	s_waitcnt lgkmcnt(0)
	v_writelane_b32 v134, s0, 9
	v_writelane_b32 v134, s1, 10
	s_getpc_b64 s[0:1]
	s_add_u32 s0, s0, .str@rel32@lo+4
	s_addc_u32 s1, s1, .str@rel32@hi+12
	s_cmp_eq_u64 s[0:1], 0
	s_cselect_b64 s[0:1], -1, 0
	s_bitcmp1_b32 s6, 0
	s_cselect_b64 s[6:7], -1, 0
	v_writelane_b32 v134, s6, 11
	v_writelane_b32 v134, s7, 12
	;; [unrolled: 1-line block ×3, first 2 shown]
	s_add_i32 s2, s11, 1
	v_mad_u64_u32 v[12:13], s[6:7], v17, s8, 0
	v_writelane_b32 v134, s2, 14
	s_add_i32 s2, s11, -1
	s_lshl_b64 s[6:7], s[2:3], 2
	s_add_u32 s2, s6, s4
	s_addc_u32 s4, s7, s5
	s_add_u32 s6, s2, 8
	s_addc_u32 s7, s4, 0
	v_writelane_b32 v134, s6, 15
	v_writelane_b32 v134, s7, 16
	s_add_i32 s2, s12, 1
	v_writelane_b32 v134, s2, 17
	s_add_i32 s2, s12, -1
	s_lshl_b64 s[2:3], s[2:3], 2
	s_add_u32 s2, s2, s9
	s_addc_u32 s3, s3, s10
	s_add_u32 s2, s2, 8
	s_addc_u32 s3, s3, 0
	v_writelane_b32 v134, s2, 18
	v_writelane_b32 v134, s3, 19
	s_xor_b64 s[64:65], s[0:1], -1
	s_mov_b32 s1, 0xbff71547
	v_writelane_b32 v134, s0, 20
	s_mov_b32 s40, 0xbf559e2b
	s_mov_b32 s42, 0xd7f4df2e
	;; [unrolled: 1-line block ×23, first 2 shown]
	s_movk_i32 s26, 0xf950
	s_mov_b32 s24, 0xc864beb5
	s_mov_b32 s30, 0
	;; [unrolled: 1-line block ×3, first 2 shown]
	v_writelane_b32 v134, s1, 21
	s_mov_b64 s[18:19], 0
	v_mov_b32_e32 v14, 0
	v_mov_b32_e32 v16, v13
	s_mov_b32 s9, 0xd2511f53
	s_mov_b32 s29, 0x40080000
	;; [unrolled: 1-line block ×12, first 2 shown]
	s_movk_i32 s10, 0x204
	s_mov_b32 s59, 0x3ff71547
	s_mov_b32 s61, 0xbfe62e42
	;; [unrolled: 1-line block ×3, first 2 shown]
	v_mov_b32_e32 v18, 0x6b47b09a
	v_mov_b32_e32 v20, 0xd7f4df2e
	v_mov_b32_e32 v22, 0x16291751
	v_mov_b32_e32 v24, 0x9b27acf1
	v_mov_b32_e32 v26, 0x998ef7b6
	v_mov_b32_e32 v28, 0x55555780
	v_mov_b32_e32 v30, 0xfca7ab0c
	v_mov_b32_e32 v32, 0x623fde64
	v_mov_b32_e32 v34, 0x7c89e6b0
	v_mov_b32_e32 v36, 0x14761f6e
	v_mov_b32_e32 v38, 0x1852b7b0
	v_mov_b32_e32 v40, 0x11122322
	v_mov_b32_e32 v42, 0x555502a1
	v_mov_b32_e32 v44, 0x55555511
	v_mov_b32_e32 v46, 11
	v_mov_b32_e32 v48, 0x6fdffd2b
	v_mov_b32_e32 v50, 0xd5f14825
	v_mov_b32_e32 v52, 0xcdfe9424
	v_mov_b32_e32 v54, 0x67754fff
	v_mov_b32_e32 v56, 0xe625be09
	v_mov_b32_e32 v58, 0xca1d4f33
	v_mov_b32_e32 v60, 0x7294bff9
	v_mov_b32_e32 v62, 0x67b90b37
	v_mov_b32_e32 v64, 0x7e3c325b
	v_mov_b32_e32 v66, 0x81b5a67
	v_mov_b32_e32 v68, 0xc9be45de
	v_mov_b32_e32 v13, s57
	s_mov_b32 s57, s13
	v_mov_b32_e32 v88, 0x260
	v_mov_b32_e32 v89, 0xffffff80
	;; [unrolled: 1-line block ×33, first 2 shown]
	s_mov_b32 s11, 0xdb3d7428
	s_mov_b32 s67, 0x3e5ade15
	;; [unrolled: 1-line block ×20, first 2 shown]
	v_writelane_b32 v134, s20, 22
                                        ; implicit-def: $sgpr34_sgpr35
                                        ; implicit-def: $sgpr4_sgpr5
	v_writelane_b32 v134, s21, 23
	s_branch .LBB98_5
.LBB98_2:                               ;   in Loop: Header=BB98_5 Depth=1
	s_or_b64 exec, exec, s[0:1]
.LBB98_3:                               ;   in Loop: Header=BB98_5 Depth=1
	s_or_b64 exec, exec, s[6:7]
	v_cvt_f32_u32_e32 v3, v75
	v_readlane_b32 s0, v134, 9
	v_lshlrev_b64 v[0:1], 1, v[70:71]
	v_readlane_b32 s1, v134, 10
	v_mov_b32_e32 v2, s1
	v_add_co_u32_e32 v0, vcc, s0, v0
	v_addc_co_u32_e32 v1, vcc, v2, v1, vcc
	v_bfe_u32 v2, v3, 16, 1
	s_movk_i32 s0, 0x7fff
	v_add3_u32 v2, v3, v2, s0
	v_readlane_b32 s0, v134, 13
	v_add_u32_e32 v94, s0, v94
	v_cmp_le_u32_e32 vcc, s33, v94
	s_andn2_b64 s[4:5], s[4:5], exec
	s_orn2_b64 s[0:1], vcc, exec
	global_store_short_d16_hi v[0:1], v2, off
.LBB98_4:                               ;   in Loop: Header=BB98_5 Depth=1
	s_or_b64 exec, exec, s[22:23]
	s_and_b64 s[0:1], exec, s[0:1]
	s_or_b64 s[18:19], s[0:1], s[18:19]
	s_andn2_b64 s[0:1], s[34:35], exec
	s_and_b64 s[6:7], s[4:5], exec
	s_or_b64 s[34:35], s[0:1], s[6:7]
	s_andn2_b64 exec, exec, s[18:19]
	s_cbranch_execz .LBB98_54
.LBB98_5:                               ; =>This Loop Header: Depth=1
                                        ;     Child Loop BB98_8 Depth 2
                                        ;     Child Loop BB98_13 Depth 2
	;; [unrolled: 1-line block ×4, first 2 shown]
	v_sub_u32_e32 v0, s33, v94
	v_cmp_lt_i32_e64 s[0:1], 0, v0
	v_pk_mov_b32 v[70:71], 0, 0
	s_and_saveexec_b64 s[6:7], s[0:1]
	s_cbranch_execz .LBB98_10
; %bb.6:                                ;   in Loop: Header=BB98_5 Depth=1
	v_readlane_b32 s12, v134, 4
	v_readlane_b32 s13, v134, 5
	s_andn2_b64 vcc, exec, s[12:13]
	v_mov_b32_e32 v0, 0
	v_mov_b32_e32 v2, v94
	s_cbranch_vccnz .LBB98_9
; %bb.7:                                ;   in Loop: Header=BB98_5 Depth=1
	v_readlane_b32 s12, v134, 15
	v_mov_b32_e32 v0, 0
	v_readlane_b32 s13, v134, 16
	v_readlane_b32 s14, v134, 14
	v_mov_b32_e32 v2, v94
.LBB98_8:                               ;   Parent Loop BB98_5 Depth=1
                                        ; =>  This Inner Loop Header: Depth=2
	s_load_dword s15, s[12:13], 0x0
	s_load_dword s16, s[12:13], 0x64
	v_mov_b32_e32 v1, v2
	s_add_i32 s14, s14, -1
	s_waitcnt lgkmcnt(0)
	v_cvt_f32_u32_e32 v2, s15
	s_sub_i32 s17, 0, s15
	s_add_u32 s12, s12, -4
	s_addc_u32 s13, s13, -1
	v_rcp_iflag_f32_e32 v2, v2
	s_cmp_gt_u32 s14, 2
	v_mul_f32_e32 v2, 0x4f7ffffe, v2
	v_cvt_u32_f32_e32 v2, v2
	v_mul_lo_u32 v3, s17, v2
	v_mul_hi_u32 v3, v2, v3
	v_add_u32_e32 v2, v2, v3
	v_mul_hi_u32 v2, v1, v2
	v_mul_lo_u32 v3, v2, s15
	v_sub_u32_e32 v3, v1, v3
	v_add_u32_e32 v4, 1, v2
	v_subrev_u32_e32 v5, s15, v3
	v_cmp_le_u32_e32 vcc, s15, v3
	v_cndmask_b32_e32 v2, v2, v4, vcc
	v_cndmask_b32_e32 v3, v3, v5, vcc
	v_add_u32_e32 v4, 1, v2
	v_cmp_le_u32_e32 vcc, s15, v3
	v_cndmask_b32_e32 v2, v2, v4, vcc
	v_mul_lo_u32 v3, v2, s15
	v_sub_u32_e32 v1, v1, v3
	v_mad_u64_u32 v[0:1], s[16:17], s16, v1, v[0:1]
	s_cbranch_scc1 .LBB98_8
.LBB98_9:                               ;   in Loop: Header=BB98_5 Depth=1
	v_mad_u64_u32 v[70:71], s[12:13], s57, v2, v[0:1]
	v_mov_b32_e32 v71, v14
.LBB98_10:                              ;   in Loop: Header=BB98_5 Depth=1
	s_or_b64 exec, exec, s[6:7]
	v_pk_mov_b32 v[0:1], 0, 0
	s_and_saveexec_b64 s[6:7], s[0:1]
	s_cbranch_execz .LBB98_15
; %bb.11:                               ;   in Loop: Header=BB98_5 Depth=1
	v_readlane_b32 s0, v134, 7
	v_readlane_b32 s1, v134, 8
	s_andn2_b64 vcc, exec, s[0:1]
	v_mov_b32_e32 v0, 0
	v_mov_b32_e32 v2, v94
	s_cbranch_vccnz .LBB98_14
; %bb.12:                               ;   in Loop: Header=BB98_5 Depth=1
	v_readlane_b32 s0, v134, 18
	v_mov_b32_e32 v0, 0
	v_readlane_b32 s1, v134, 19
	v_readlane_b32 s12, v134, 17
	v_mov_b32_e32 v2, v94
.LBB98_13:                              ;   Parent Loop BB98_5 Depth=1
                                        ; =>  This Inner Loop Header: Depth=2
	s_load_dword s13, s[0:1], 0x0
	s_load_dword s14, s[0:1], 0x64
	v_mov_b32_e32 v1, v2
	s_add_i32 s12, s12, -1
	s_waitcnt lgkmcnt(0)
	v_cvt_f32_u32_e32 v2, s13
	s_sub_i32 s15, 0, s13
	s_add_u32 s0, s0, -4
	s_addc_u32 s1, s1, -1
	v_rcp_iflag_f32_e32 v2, v2
	s_cmp_gt_u32 s12, 2
	v_mul_f32_e32 v2, 0x4f7ffffe, v2
	v_cvt_u32_f32_e32 v2, v2
	v_mul_lo_u32 v3, s15, v2
	v_mul_hi_u32 v3, v2, v3
	v_add_u32_e32 v2, v2, v3
	v_mul_hi_u32 v2, v1, v2
	v_mul_lo_u32 v3, v2, s13
	v_sub_u32_e32 v3, v1, v3
	v_add_u32_e32 v4, 1, v2
	v_subrev_u32_e32 v5, s13, v3
	v_cmp_le_u32_e32 vcc, s13, v3
	v_cndmask_b32_e32 v2, v2, v4, vcc
	v_cndmask_b32_e32 v3, v3, v5, vcc
	v_add_u32_e32 v4, 1, v2
	v_cmp_le_u32_e32 vcc, s13, v3
	v_cndmask_b32_e32 v2, v2, v4, vcc
	v_mul_lo_u32 v3, v2, s13
	v_sub_u32_e32 v1, v1, v3
	v_mad_u64_u32 v[0:1], s[14:15], s14, v1, v[0:1]
	s_cbranch_scc1 .LBB98_13
.LBB98_14:                              ;   in Loop: Header=BB98_5 Depth=1
	v_readlane_b32 s0, v134, 6
	v_mad_u64_u32 v[0:1], s[0:1], s0, v2, v[0:1]
	v_mov_b32_e32 v1, v14
.LBB98_15:                              ;   in Loop: Header=BB98_5 Depth=1
	s_or_b64 exec, exec, s[6:7]
	v_lshlrev_b64 v[0:1], 1, v[0:1]
	v_add_co_u32_e32 v0, vcc, s56, v0
	v_addc_co_u32_e32 v1, vcc, v13, v1, vcc
	global_load_ushort v0, v[0:1], off
	s_mov_b64 s[0:1], -1
	s_or_b64 s[4:5], s[4:5], exec
	s_waitcnt vmcnt(0)
	v_lshlrev_b32_e32 v6, 16, v0
	v_cmp_le_f32_e32 vcc, 0, v6
	s_and_b64 s[6:7], s[64:65], vcc
	s_and_saveexec_b64 s[22:23], s[6:7]
	s_cbranch_execz .LBB98_4
; %bb.16:                               ;   in Loop: Header=BB98_5 Depth=1
	v_readlane_b32 s0, v134, 11
	v_readlane_b32 s12, v134, 0
	;; [unrolled: 1-line block ×6, first 2 shown]
	s_andn2_b64 vcc, exec, s[0:1]
	v_pk_mov_b32 v[0:1], s[14:15], s[14:15] op_sel:[0,1]
	v_pk_mov_b32 v[72:73], s[12:13], s[12:13] op_sel:[0,1]
	s_cbranch_vccnz .LBB98_18
; %bb.17:                               ;   in Loop: Header=BB98_5 Depth=1
	v_readlane_b32 s12, v134, 0
	v_readlane_b32 s14, v134, 2
	;; [unrolled: 1-line block ×3, first 2 shown]
	v_pk_mov_b32 v[0:1], s[14:15], s[14:15] op_sel:[0,1]
	v_readlane_b32 s13, v134, 1
	flat_load_dwordx2 v[0:1], v[0:1]
	v_pk_mov_b32 v[2:3], s[12:13], s[12:13] op_sel:[0,1]
	flat_load_dwordx2 v[72:73], v[2:3]
	v_mov_b32_e32 v2, s21
	s_waitcnt vmcnt(0) lgkmcnt(0)
	v_add_co_u32_e32 v0, vcc, s20, v0
	v_addc_co_u32_e32 v1, vcc, v1, v2, vcc
.LBB98_18:                              ;   in Loop: Header=BB98_5 Depth=1
	v_alignbit_b32 v96, v1, v0, 2
	v_and_b32_e32 v15, 3, v0
	v_lshrrev_b32_e32 v97, 2, v1
	v_mad_u64_u32 v[0:1], s[0:1], v96, s9, 0
	v_xor_b32_e32 v3, v16, v72
	v_mov_b32_e32 v2, v73
	v_xor_b32_e32 v1, v1, v73
	s_mov_b32 s0, 0xbb67ae85
	v_xor_b32_e32 v3, v3, v97
	v_add_co_u32_e32 v99, vcc, s0, v2
	v_mad_u64_u32 v[4:5], s[0:1], v3, s9, 0
	v_mad_u64_u32 v[8:9], s[0:1], v1, s8, 0
	v_add_co_u32_e32 v98, vcc, 0x9e3779b9, v72
	v_xor_b32_e32 v1, v12, v9
	v_xor_b32_e32 v3, v99, v5
	s_mov_b32 s0, 0x3c6ef372
	v_xor_b32_e32 v1, v1, v98
	v_xor_b32_e32 v3, v3, v0
	v_add_co_u32_e32 v100, vcc, s0, v72
	s_mov_b32 s0, 0x76cf5d0a
	v_add_co_u32_e32 v101, vcc, s0, v2
	v_mad_u64_u32 v[0:1], s[0:1], v1, s9, 0
	v_mad_u64_u32 v[10:11], s[0:1], v3, s8, 0
	v_xor_b32_e32 v3, v100, v11
	v_xor_b32_e32 v1, v101, v1
	s_mov_b32 s0, 0xdaa66d2b
	v_xor_b32_e32 v3, v3, v8
	v_xor_b32_e32 v1, v1, v4
	v_add_co_u32_e32 v103, vcc, s0, v72
	s_mov_b32 s0, 0x32370b8f
	v_add_co_u32_e32 v105, vcc, s0, v2
	v_mad_u64_u32 v[4:5], s[0:1], v3, s9, 0
	v_mad_u64_u32 v[8:9], s[0:1], v1, s8, 0
	;; [unrolled: 10-line block ×6, first 2 shown]
	v_xor_b32_e32 v1, v112, v9
	v_xor_b32_e32 v3, v113, v5
	;; [unrolled: 1-line block ×4, first 2 shown]
	s_mov_b32 s0, 0xf1bbcdc8
	v_add_co_u32_e32 v102, vcc, s0, v72
	v_add_co_u32_e32 v114, vcc, s11, v2
	v_mad_u64_u32 v[2:3], s[0:1], v1, s9, 0
	v_mad_u64_u32 v[0:1], s[0:1], v0, s8, 0
	v_xor_b32_e32 v1, v102, v1
	v_xor_b32_e32 v3, v114, v3
	;; [unrolled: 1-line block ×4, first 2 shown]
	v_mad_u64_u32 v[4:5], s[0:1], v1, s9, 0
	v_mad_u64_u32 v[8:9], s[0:1], v7, s8, 0
	v_add_u32_e32 v104, 0x8ff34781, v72
	v_add_u32_e32 v95, 0x96a522ad, v73
	v_xor_b32_e32 v0, v9, v0
	v_xor_b32_e32 v2, v5, v2
	s_mov_b32 s0, 0x42800000
	v_mov_b32_e32 v3, v4
	v_mov_b32_e32 v1, v8
	v_xor_b32_e32 v0, v104, v0
	v_xor_b32_e32 v2, v95, v2
	v_cvt_f64_f32_e32 v[4:5], v6
	v_cmp_ngt_f32_e32 vcc, s0, v6
                                        ; implicit-def: $vgpr75
	s_and_saveexec_b64 s[0:1], vcc
	s_xor_b64 s[16:17], exec, s[0:1]
	s_cbranch_execz .LBB98_47
; %bb.19:                               ;   in Loop: Header=BB98_5 Depth=1
	s_mov_b32 s0, 0x457a0000
	v_cmp_ge_f32_e32 vcc, s0, v6
                                        ; implicit-def: $vgpr75
	s_and_saveexec_b64 s[0:1], vcc
	s_xor_b64 s[6:7], exec, s[0:1]
	s_cbranch_execz .LBB98_34
; %bb.20:                               ;   in Loop: Header=BB98_5 Depth=1
	s_mov_b32 s12, 0xae147ae1
	s_mov_b32 s13, 0xc00ae147
	v_div_scale_f64 v[6:7], s[0:1], v[4:5], v[4:5], s[12:13]
	v_rcp_f64_e32 v[8:9], v[6:7]
	s_mov_b32 s0, 0
	v_mul_f64 v[76:77], v[4:5], s[28:29]
	s_brev_b32 s1, 8
	v_cmp_gt_f64_e64 s[0:1], s[0:1], v[76:77]
	v_cndmask_b32_e64 v78, 0, 1, s[0:1]
	v_fma_f64 v[74:75], -v[6:7], v[8:9], 1.0
	v_lshlrev_b32_e32 v78, 8, v78
	v_fmac_f64_e32 v[8:9], v[8:9], v[74:75]
	v_ldexp_f64 v[76:77], v[76:77], v78
	v_fma_f64 v[74:75], -v[6:7], v[8:9], 1.0
	v_rsq_f64_e32 v[78:79], v[76:77]
	v_div_scale_f64 v[10:11], vcc, s[12:13], v[4:5], s[12:13]
	v_fmac_f64_e32 v[8:9], v[8:9], v[74:75]
	v_mul_f64 v[74:75], v[10:11], v[8:9]
	v_fma_f64 v[6:7], -v[6:7], v[74:75], v[10:11]
	s_nop 0
	v_div_fmas_f64 v[6:7], v[6:7], v[8:9], v[74:75]
	v_mul_f64 v[8:9], v[76:77], v[78:79]
	v_mul_f64 v[10:11], v[78:79], 0.5
	v_fma_f64 v[74:75], -v[10:11], v[8:9], 0.5
	v_fmac_f64_e32 v[8:9], v[8:9], v[74:75]
	v_fma_f64 v[78:79], -v[8:9], v[8:9], v[76:77]
	v_fmac_f64_e32 v[10:11], v[10:11], v[74:75]
	v_fmac_f64_e32 v[8:9], v[78:79], v[10:11]
	v_fma_f64 v[74:75], -v[8:9], v[8:9], v[76:77]
	v_fmac_f64_e32 v[8:9], v[74:75], v[10:11]
	v_cndmask_b32_e64 v10, 0, v89, s[0:1]
	v_ldexp_f64 v[8:9], v[8:9], v10
	v_cmp_class_f64_e32 vcc, v[76:77], v88
	s_mov_b32 s14, 0x54442d18
	v_cndmask_b32_e32 v9, v9, v77, vcc
	v_cndmask_b32_e32 v8, v8, v76, vcc
	s_mov_b32 s15, 0x400921fb
	v_div_scale_f64 v[10:11], s[0:1], v[8:9], v[8:9], s[14:15]
	v_rcp_f64_e32 v[76:77], v[10:11]
	s_mov_b32 s0, 0x95810625
	v_div_fixup_f64 v[6:7], v[6:7], v[4:5], s[12:13]
	s_mov_b32 s1, 0x3fe88b43
	v_fma_f64 v[78:79], -v[10:11], v[76:77], 1.0
	v_fmac_f64_e32 v[76:77], v[76:77], v[78:79]
	v_fma_f64 v[78:79], -v[10:11], v[76:77], 1.0
	v_fmac_f64_e32 v[76:77], v[76:77], v[78:79]
	v_div_scale_f64 v[78:79], vcc, s[14:15], v[8:9], s[14:15]
	v_mul_f64 v[80:81], v[78:79], v[76:77]
	v_fma_f64 v[10:11], -v[10:11], v[80:81], v[78:79]
	v_add_f64 v[6:7], v[6:7], s[0:1]
	s_nop 0
	v_div_fmas_f64 v[10:11], v[10:11], v[76:77], v[80:81]
	v_div_fixup_f64 v[76:77], v[10:11], v[8:9], s[14:15]
	v_frexp_mant_f64_e32 v[8:9], v[6:7]
	v_cmp_gt_f64_e32 vcc, s[36:37], v[8:9]
	v_mov_b32_e32 v74, 0
	v_cndmask_b32_e64 v75, v90, 2.0, vcc
	v_frexp_exp_i32_f64_e32 v10, v[6:7]
	v_mul_f64 v[8:9], v[8:9], v[74:75]
	v_subbrev_co_u32_e32 v75, vcc, 0, v10, vcc
	v_add_f64 v[10:11], v[8:9], 1.0
	v_rcp_f64_e32 v[80:81], v[10:11]
	v_add_f64 v[84:85], v[10:11], -1.0
	v_add_f64 v[82:83], v[8:9], -1.0
	v_add_f64 v[8:9], v[8:9], -v[84:85]
	v_fma_f64 v[84:85], -v[10:11], v[80:81], 1.0
	v_fmac_f64_e32 v[80:81], v[84:85], v[80:81]
	v_fma_f64 v[84:85], -v[10:11], v[80:81], 1.0
	v_fmac_f64_e32 v[80:81], v[84:85], v[80:81]
	v_mul_f64 v[84:85], v[82:83], v[80:81]
	v_mul_f64 v[86:87], v[10:11], v[84:85]
	v_fma_f64 v[10:11], v[84:85], v[10:11], -v[86:87]
	v_fmac_f64_e32 v[10:11], v[84:85], v[8:9]
	v_add_f64 v[8:9], v[86:87], v[10:11]
	v_add_f64 v[116:117], v[82:83], -v[8:9]
	v_add_f64 v[86:87], v[8:9], -v[86:87]
	;; [unrolled: 1-line block ×5, first 2 shown]
	v_add_f64 v[8:9], v[10:11], v[8:9]
	v_add_f64 v[8:9], v[116:117], v[8:9]
	v_mul_f64 v[8:9], v[80:81], v[8:9]
	v_add_f64 v[10:11], v[84:85], v[8:9]
	v_add_f64 v[80:81], v[10:11], -v[84:85]
	v_add_f64 v[8:9], v[8:9], -v[80:81]
	v_mul_f64 v[80:81], v[10:11], v[10:11]
	v_pk_mov_b32 v[82:83], s[38:39], s[38:39] op_sel:[0,1]
	v_fma_f64 v[84:85], s[40:41], v[80:81], v[82:83]
	v_fma_f64 v[84:85], v[80:81], v[84:85], s[42:43]
	;; [unrolled: 1-line block ×5, first 2 shown]
	s_mov_b32 s51, s37
	v_fma_f64 v[84:85], v[80:81], v[84:85], s[50:51]
	v_ldexp_f64 v[86:87], v[10:11], 1
	v_mul_f64 v[10:11], v[10:11], v[80:81]
	v_mul_f64 v[10:11], v[10:11], v[84:85]
	v_add_f64 v[80:81], v[86:87], v[10:11]
	v_add_f64 v[84:85], v[80:81], -v[86:87]
	v_ldexp_f64 v[8:9], v[8:9], 1
	v_add_f64 v[10:11], v[10:11], -v[84:85]
	v_add_f64 v[8:9], v[8:9], v[10:11]
	v_add_f64 v[10:11], v[80:81], v[8:9]
	v_add_f64 v[80:81], v[10:11], -v[80:81]
	v_add_f64 v[8:9], v[8:9], -v[80:81]
	v_cvt_f64_i32_e32 v[80:81], v75
	v_mul_f64 v[84:85], v[80:81], s[52:53]
	v_fma_f64 v[86:87], v[80:81], s[52:53], -v[84:85]
	v_fmac_f64_e32 v[86:87], s[54:55], v[80:81]
	v_add_f64 v[80:81], v[84:85], v[86:87]
	v_add_f64 v[84:85], v[80:81], -v[84:85]
	v_add_f64 v[84:85], v[86:87], -v[84:85]
	v_add_f64 v[86:87], v[80:81], v[10:11]
	v_add_f64 v[116:117], v[86:87], -v[80:81]
	v_add_f64 v[118:119], v[86:87], -v[116:117]
	;; [unrolled: 1-line block ×4, first 2 shown]
	v_add_f64 v[10:11], v[10:11], v[80:81]
	v_add_f64 v[80:81], v[84:85], v[8:9]
	v_add_f64 v[116:117], v[80:81], -v[84:85]
	v_add_f64 v[118:119], v[80:81], -v[116:117]
	v_add_f64 v[10:11], v[80:81], v[10:11]
	v_add_f64 v[84:85], v[84:85], -v[118:119]
	v_add_f64 v[8:9], v[8:9], -v[116:117]
	v_add_f64 v[80:81], v[86:87], v[10:11]
	v_add_f64 v[8:9], v[8:9], v[84:85]
	v_add_f64 v[84:85], v[80:81], -v[86:87]
	v_add_f64 v[10:11], v[10:11], -v[84:85]
	v_add_f64 v[8:9], v[8:9], v[10:11]
	v_add_f64 v[8:9], v[80:81], v[8:9]
	v_cmp_class_f64_e64 vcc, v[6:7], s10
	v_cndmask_b32_e32 v8, v8, v6, vcc
	v_cndmask_b32_e32 v9, v9, v7, vcc
	v_cmp_ngt_f64_e32 vcc, 0, v[6:7]
	v_cndmask_b32_e32 v9, v91, v9, vcc
	v_cmp_nge_f64_e32 vcc, 0, v[6:7]
	v_cndmask_b32_e32 v8, 0, v8, vcc
	v_cmp_neq_f64_e32 vcc, 0, v[6:7]
	v_cndmask_b32_e32 v9, v92, v9, vcc
	v_add_f64 v[6:7], v[8:9], -v[4:5]
	v_frexp_mant_f64_e32 v[8:9], v[76:77]
	v_cmp_gt_f64_e32 vcc, s[36:37], v[8:9]
	v_cndmask_b32_e64 v75, v90, 2.0, vcc
	v_frexp_exp_i32_f64_e32 v10, v[76:77]
	v_mul_f64 v[8:9], v[8:9], v[74:75]
	v_subbrev_co_u32_e32 v75, vcc, 0, v10, vcc
	v_add_f64 v[10:11], v[8:9], 1.0
	v_rcp_f64_e32 v[80:81], v[10:11]
	v_add_f64 v[86:87], v[10:11], -1.0
	v_add_f64 v[84:85], v[8:9], -1.0
	v_add_f64 v[8:9], v[8:9], -v[86:87]
	v_fma_f64 v[86:87], -v[10:11], v[80:81], 1.0
	v_fmac_f64_e32 v[80:81], v[86:87], v[80:81]
	v_fma_f64 v[86:87], -v[10:11], v[80:81], 1.0
	v_fmac_f64_e32 v[80:81], v[86:87], v[80:81]
	v_mul_f64 v[86:87], v[84:85], v[80:81]
	v_mul_f64 v[116:117], v[10:11], v[86:87]
	v_fma_f64 v[10:11], v[86:87], v[10:11], -v[116:117]
	v_fmac_f64_e32 v[10:11], v[86:87], v[8:9]
	v_add_f64 v[8:9], v[116:117], v[10:11]
	v_add_f64 v[118:119], v[84:85], -v[8:9]
	v_add_f64 v[116:117], v[8:9], -v[116:117]
	;; [unrolled: 1-line block ×5, first 2 shown]
	v_add_f64 v[8:9], v[10:11], v[8:9]
	v_add_f64 v[8:9], v[118:119], v[8:9]
	v_mul_f64 v[8:9], v[80:81], v[8:9]
	v_add_f64 v[10:11], v[86:87], v[8:9]
	v_add_f64 v[80:81], v[10:11], -v[86:87]
	v_add_f64 v[8:9], v[8:9], -v[80:81]
	v_mul_f64 v[80:81], v[10:11], v[10:11]
	v_fma_f64 v[84:85], s[40:41], v[80:81], v[82:83]
	v_fma_f64 v[84:85], v[80:81], v[84:85], s[42:43]
	;; [unrolled: 1-line block ×6, first 2 shown]
	v_ldexp_f64 v[86:87], v[10:11], 1
	v_mul_f64 v[10:11], v[10:11], v[80:81]
	v_mul_f64 v[10:11], v[10:11], v[84:85]
	v_add_f64 v[80:81], v[86:87], v[10:11]
	v_add_f64 v[84:85], v[80:81], -v[86:87]
	v_ldexp_f64 v[8:9], v[8:9], 1
	v_add_f64 v[10:11], v[10:11], -v[84:85]
	v_add_f64 v[8:9], v[8:9], v[10:11]
	v_add_f64 v[10:11], v[80:81], v[8:9]
	v_add_f64 v[80:81], v[10:11], -v[80:81]
	v_add_f64 v[8:9], v[8:9], -v[80:81]
	v_cvt_f64_i32_e32 v[80:81], v75
	v_mul_f64 v[84:85], v[80:81], s[52:53]
	v_fma_f64 v[86:87], v[80:81], s[52:53], -v[84:85]
	v_fmac_f64_e32 v[86:87], s[54:55], v[80:81]
	v_add_f64 v[80:81], v[84:85], v[86:87]
	v_add_f64 v[84:85], v[80:81], -v[84:85]
	v_add_f64 v[84:85], v[86:87], -v[84:85]
	v_add_f64 v[86:87], v[80:81], v[10:11]
	v_add_f64 v[116:117], v[86:87], -v[80:81]
	v_add_f64 v[118:119], v[86:87], -v[116:117]
	v_add_f64 v[80:81], v[80:81], -v[118:119]
	v_add_f64 v[10:11], v[10:11], -v[116:117]
	v_add_f64 v[10:11], v[10:11], v[80:81]
	v_add_f64 v[80:81], v[84:85], v[8:9]
	v_add_f64 v[116:117], v[80:81], -v[84:85]
	v_add_f64 v[118:119], v[80:81], -v[116:117]
	v_add_f64 v[10:11], v[80:81], v[10:11]
	v_add_f64 v[84:85], v[84:85], -v[118:119]
	v_add_f64 v[8:9], v[8:9], -v[116:117]
	v_add_f64 v[80:81], v[86:87], v[10:11]
	v_add_f64 v[8:9], v[8:9], v[84:85]
	v_add_f64 v[84:85], v[80:81], -v[86:87]
	v_add_f64 v[10:11], v[10:11], -v[84:85]
	s_mov_b32 s0, 0
	v_add_f64 v[8:9], v[8:9], v[10:11]
	s_mov_b32 s1, 0x7ff00000
	v_add_f64 v[8:9], v[80:81], v[8:9]
	v_cmp_eq_f64_e32 vcc, s[0:1], v[76:77]
	v_cndmask_b32_e32 v8, v8, v76, vcc
	v_cndmask_b32_e32 v9, v9, v77, vcc
	v_cmp_neq_f64_e32 vcc, 0, v[76:77]
	v_cndmask_b32_e32 v9, v92, v9, vcc
	v_cndmask_b32_e32 v8, 0, v8, vcc
	v_mul_f64 v[78:79], v[76:77], v[4:5]
	v_add_f64 v[80:81], v[6:7], -v[8:9]
	v_frexp_exp_i32_f64_e32 v6, v[4:5]
	v_frexp_mant_f64_e32 v[4:5], v[4:5]
	v_cmp_gt_f64_e32 vcc, s[36:37], v[4:5]
	v_cndmask_b32_e64 v75, v90, 2.0, vcc
	v_mul_f64 v[4:5], v[4:5], v[74:75]
	v_subbrev_co_u32_e32 v75, vcc, 0, v6, vcc
	v_add_f64 v[6:7], v[4:5], 1.0
	v_rcp_f64_e32 v[8:9], v[6:7]
	v_add_f64 v[84:85], v[6:7], -1.0
	v_add_f64 v[10:11], v[4:5], -1.0
	v_add_f64 v[4:5], v[4:5], -v[84:85]
	v_fma_f64 v[84:85], -v[6:7], v[8:9], 1.0
	v_fmac_f64_e32 v[8:9], v[84:85], v[8:9]
	v_fma_f64 v[84:85], -v[6:7], v[8:9], 1.0
	v_fmac_f64_e32 v[8:9], v[84:85], v[8:9]
	v_mul_f64 v[84:85], v[10:11], v[8:9]
	v_mul_f64 v[86:87], v[6:7], v[84:85]
	v_fma_f64 v[6:7], v[84:85], v[6:7], -v[86:87]
	v_fmac_f64_e32 v[6:7], v[84:85], v[4:5]
	v_add_f64 v[4:5], v[86:87], v[6:7]
	v_add_f64 v[116:117], v[10:11], -v[4:5]
	v_add_f64 v[86:87], v[4:5], -v[86:87]
	;; [unrolled: 1-line block ×5, first 2 shown]
	v_add_f64 v[4:5], v[6:7], v[4:5]
	v_add_f64 v[4:5], v[116:117], v[4:5]
	v_mul_f64 v[4:5], v[8:9], v[4:5]
	v_add_f64 v[6:7], v[84:85], v[4:5]
	v_add_f64 v[8:9], v[6:7], -v[84:85]
	v_add_f64 v[4:5], v[4:5], -v[8:9]
	v_mul_f64 v[8:9], v[6:7], v[6:7]
	v_fmac_f64_e32 v[82:83], s[40:41], v[8:9]
	v_fma_f64 v[10:11], v[8:9], v[82:83], s[42:43]
	v_fma_f64 v[10:11], v[8:9], v[10:11], s[44:45]
	;; [unrolled: 1-line block ×5, first 2 shown]
	v_ldexp_f64 v[82:83], v[6:7], 1
	v_mul_f64 v[6:7], v[6:7], v[8:9]
	v_mul_f64 v[6:7], v[6:7], v[10:11]
	v_add_f64 v[8:9], v[82:83], v[6:7]
	v_add_f64 v[10:11], v[8:9], -v[82:83]
	v_ldexp_f64 v[4:5], v[4:5], 1
	v_add_f64 v[6:7], v[6:7], -v[10:11]
	v_add_f64 v[4:5], v[4:5], v[6:7]
	v_add_f64 v[6:7], v[8:9], v[4:5]
	v_add_f64 v[8:9], v[6:7], -v[8:9]
	v_add_f64 v[4:5], v[4:5], -v[8:9]
	v_cvt_f64_i32_e32 v[8:9], v75
	v_mul_f64 v[10:11], v[8:9], s[52:53]
	v_fma_f64 v[82:83], v[8:9], s[52:53], -v[10:11]
	v_fmac_f64_e32 v[82:83], s[54:55], v[8:9]
	v_add_f64 v[8:9], v[10:11], v[82:83]
	v_add_f64 v[10:11], v[8:9], -v[10:11]
	v_add_f64 v[10:11], v[82:83], -v[10:11]
	v_add_f64 v[82:83], v[8:9], v[6:7]
	v_add_f64 v[84:85], v[82:83], -v[8:9]
	v_add_f64 v[86:87], v[82:83], -v[84:85]
	;; [unrolled: 1-line block ×4, first 2 shown]
	v_add_f64 v[6:7], v[6:7], v[8:9]
	v_add_f64 v[8:9], v[10:11], v[4:5]
	v_add_f64 v[84:85], v[8:9], -v[10:11]
	v_add_f64 v[86:87], v[8:9], -v[84:85]
	v_add_f64 v[6:7], v[8:9], v[6:7]
	v_add_f64 v[10:11], v[10:11], -v[86:87]
	v_add_f64 v[4:5], v[4:5], -v[84:85]
	v_add_f64 v[8:9], v[82:83], v[6:7]
	v_add_f64 v[4:5], v[4:5], v[10:11]
	v_add_f64 v[10:11], v[8:9], -v[82:83]
	v_add_f64 v[6:7], v[6:7], -v[10:11]
	v_add_f64 v[4:5], v[4:5], v[6:7]
	v_add_f64 v[82:83], v[8:9], v[4:5]
	s_mov_b64 s[12:13], 0
	s_mov_b64 s[14:15], 0
	v_mov_b32_e32 v115, v17
                                        ; implicit-def: $vgpr75
.LBB98_21:                              ;   Parent Loop BB98_5 Depth=1
                                        ; =>  This Inner Loop Header: Depth=2
	v_add_u32_e32 v116, 1, v15
	v_pk_mov_b32 v[10:11], v[2:3], v[2:3] op_sel:[0,1]
	v_cmp_eq_u32_e32 vcc, 4, v116
	v_pk_mov_b32 v[8:9], v[0:1], v[0:1] op_sel:[0,1]
	v_mov_b32_e32 v87, v0
	v_mov_b32_e32 v86, v1
	;; [unrolled: 1-line block ×4, first 2 shown]
	s_and_saveexec_b64 s[0:1], vcc
	s_cbranch_execz .LBB98_23
; %bb.22:                               ;   in Loop: Header=BB98_21 Depth=2
	v_add_co_u32_e32 v96, vcc, 1, v96
	v_cndmask_b32_e64 v4, 0, 1, vcc
	v_addc_co_u32_e32 v97, vcc, 0, v97, vcc
	v_cmp_eq_u32_e32 vcc, 0, v97
	v_cndmask_b32_e32 v4, 0, v4, vcc
	v_add_u32_e32 v115, v4, v115
	v_cmp_eq_u32_e32 vcc, 0, v115
	v_cndmask_b32_e32 v4, 0, v4, vcc
	v_add_u32_e32 v74, v4, v74
	v_mad_u64_u32 v[4:5], s[20:21], v96, s9, 0
	v_mad_u64_u32 v[6:7], s[20:21], v115, s8, 0
	v_xor_b32_e32 v5, v5, v73
	v_xor_b32_e32 v7, v7, v72
	v_xor_b32_e32 v5, v74, v5
	v_xor_b32_e32 v7, v97, v7
	v_mad_u64_u32 v[10:11], s[20:21], v5, s8, 0
	v_mad_u64_u32 v[8:9], s[20:21], v7, s9, 0
	v_xor_b32_e32 v5, v98, v11
	v_xor_b32_e32 v5, v5, v6
	v_xor_b32_e32 v6, v99, v9
	v_xor_b32_e32 v6, v6, v4
	;; [unrolled: 6-line block ×10, first 2 shown]
	v_mov_b32_e32 v116, 0
	v_mov_b32_e32 v9, v86
	;; [unrolled: 1-line block ×5, first 2 shown]
.LBB98_23:                              ;   in Loop: Header=BB98_21 Depth=2
	s_or_b64 exec, exec, s[0:1]
	v_add_u32_e32 v117, 1, v116
	v_pk_mov_b32 v[4:5], v[8:9], v[8:9] op_sel:[0,1]
	v_cmp_eq_u32_e32 vcc, 4, v117
	v_pk_mov_b32 v[6:7], v[10:11], v[10:11] op_sel:[0,1]
	s_and_saveexec_b64 s[0:1], vcc
	s_cbranch_execz .LBB98_25
; %bb.24:                               ;   in Loop: Header=BB98_21 Depth=2
	v_add_co_u32_e32 v96, vcc, 1, v96
	v_cndmask_b32_e64 v4, 0, 1, vcc
	v_addc_co_u32_e32 v97, vcc, 0, v97, vcc
	v_cmp_eq_u32_e32 vcc, 0, v97
	v_cndmask_b32_e32 v4, 0, v4, vcc
	v_add_u32_e32 v115, v4, v115
	v_cmp_eq_u32_e32 vcc, 0, v115
	v_cndmask_b32_e32 v4, 0, v4, vcc
	v_add_u32_e32 v74, v4, v74
	v_mad_u64_u32 v[4:5], s[20:21], v96, s9, 0
	v_mad_u64_u32 v[6:7], s[20:21], v115, s8, 0
	v_xor_b32_e32 v5, v5, v73
	v_xor_b32_e32 v7, v7, v72
	v_xor_b32_e32 v5, v74, v5
	v_xor_b32_e32 v7, v97, v7
	v_mad_u64_u32 v[86:87], s[20:21], v5, s8, 0
	v_mad_u64_u32 v[84:85], s[20:21], v7, s9, 0
	v_xor_b32_e32 v5, v98, v87
	v_xor_b32_e32 v5, v5, v6
	v_xor_b32_e32 v6, v99, v85
	v_xor_b32_e32 v6, v6, v4
	;; [unrolled: 6-line block ×10, first 2 shown]
	v_mov_b32_e32 v117, 0
	v_mov_b32_e32 v5, v86
	;; [unrolled: 1-line block ×5, first 2 shown]
.LBB98_25:                              ;   in Loop: Header=BB98_21 Depth=2
	s_or_b64 exec, exec, s[0:1]
	v_cmp_eq_u32_e32 vcc, 1, v15
	v_cndmask_b32_e32 v0, v0, v1, vcc
	v_cmp_eq_u32_e32 vcc, 2, v15
	v_cndmask_b32_e32 v0, v0, v2, vcc
	;; [unrolled: 2-line block ×6, first 2 shown]
	v_lshrrev_b32_e32 v0, 11, v0
	v_cvt_f64_u32_e32 v[0:1], v0
	v_ldexp_f64 v[0:1], v[0:1], 32
	v_cvt_f64_u32_e32 v[2:3], v2
	v_add_f64 v[0:1], v[0:1], v[2:3]
	v_mov_b32_e32 v2, 0
	v_mov_b32_e32 v3, 0x3ca00000
	v_fmac_f64_e32 v[2:3], 0x3ca00000, v[0:1]
	v_add_f64 v[0:1], -v[2:3], 1.0
	v_div_scale_f64 v[8:9], s[0:1], v[2:3], v[2:3], v[0:1]
	v_rcp_f64_e32 v[10:11], v[8:9]
	v_fma_f64 v[118:119], -v[8:9], v[10:11], 1.0
	v_fmac_f64_e32 v[10:11], v[10:11], v[118:119]
	v_fma_f64 v[118:119], -v[8:9], v[10:11], 1.0
	v_fmac_f64_e32 v[10:11], v[10:11], v[118:119]
	v_div_scale_f64 v[118:119], vcc, v[0:1], v[2:3], v[0:1]
	v_mul_f64 v[120:121], v[118:119], v[10:11]
	v_fma_f64 v[8:9], -v[8:9], v[120:121], v[118:119]
	s_nop 1
	v_div_fmas_f64 v[8:9], v[8:9], v[10:11], v[120:121]
	v_div_fixup_f64 v[0:1], v[8:9], v[2:3], v[0:1]
	v_frexp_mant_f64_e32 v[2:3], v[0:1]
	v_cmp_gt_f64_e32 vcc, s[36:37], v[2:3]
	v_cndmask_b32_e64 v15, v90, 2.0, vcc
	v_frexp_exp_i32_f64_e32 v8, v[0:1]
	v_mul_f64 v[2:3], v[2:3], v[14:15]
	v_subbrev_co_u32_e32 v15, vcc, 0, v8, vcc
	v_add_f64 v[8:9], v[2:3], 1.0
	v_rcp_f64_e32 v[10:11], v[8:9]
	v_add_f64 v[120:121], v[8:9], -1.0
	v_add_f64 v[118:119], v[2:3], -1.0
	v_add_f64 v[2:3], v[2:3], -v[120:121]
	v_fma_f64 v[120:121], -v[8:9], v[10:11], 1.0
	v_fmac_f64_e32 v[10:11], v[120:121], v[10:11]
	v_fma_f64 v[120:121], -v[8:9], v[10:11], 1.0
	v_fmac_f64_e32 v[10:11], v[120:121], v[10:11]
	v_mul_f64 v[120:121], v[118:119], v[10:11]
	v_mul_f64 v[122:123], v[8:9], v[120:121]
	v_fma_f64 v[8:9], v[120:121], v[8:9], -v[122:123]
	v_fmac_f64_e32 v[8:9], v[120:121], v[2:3]
	v_add_f64 v[2:3], v[122:123], v[8:9]
	v_add_f64 v[124:125], v[118:119], -v[2:3]
	v_add_f64 v[122:123], v[2:3], -v[122:123]
	;; [unrolled: 1-line block ×5, first 2 shown]
	v_add_f64 v[2:3], v[8:9], v[2:3]
	v_add_f64 v[2:3], v[124:125], v[2:3]
	v_mul_f64 v[2:3], v[10:11], v[2:3]
	v_add_f64 v[8:9], v[120:121], v[2:3]
	v_add_f64 v[10:11], v[8:9], -v[120:121]
	v_add_f64 v[2:3], v[2:3], -v[10:11]
	v_mul_f64 v[10:11], v[8:9], v[8:9]
	v_pk_mov_b32 v[118:119], v[18:19], v[18:19] op_sel:[0,1]
	v_fmac_f64_e32 v[118:119], s[40:41], v[10:11]
	v_pk_mov_b32 v[120:121], v[20:21], v[20:21] op_sel:[0,1]
	v_fmac_f64_e32 v[120:121], v[10:11], v[118:119]
	;; [unrolled: 2-line block ×6, first 2 shown]
	v_ldexp_f64 v[118:119], v[8:9], 1
	v_mul_f64 v[8:9], v[8:9], v[10:11]
	v_mul_f64 v[8:9], v[8:9], v[120:121]
	v_add_f64 v[10:11], v[118:119], v[8:9]
	v_add_f64 v[118:119], v[10:11], -v[118:119]
	v_ldexp_f64 v[2:3], v[2:3], 1
	v_add_f64 v[8:9], v[8:9], -v[118:119]
	v_add_f64 v[2:3], v[2:3], v[8:9]
	v_add_f64 v[8:9], v[10:11], v[2:3]
	v_add_f64 v[10:11], v[8:9], -v[10:11]
	v_add_f64 v[2:3], v[2:3], -v[10:11]
	v_cvt_f64_i32_e32 v[10:11], v15
	v_mul_f64 v[118:119], v[10:11], s[52:53]
	v_fma_f64 v[120:121], v[10:11], s[52:53], -v[118:119]
	v_fmac_f64_e32 v[120:121], s[54:55], v[10:11]
	v_add_f64 v[10:11], v[118:119], v[120:121]
	v_add_f64 v[118:119], v[10:11], -v[118:119]
	v_add_f64 v[118:119], v[120:121], -v[118:119]
	v_add_f64 v[120:121], v[10:11], v[8:9]
	v_add_f64 v[122:123], v[120:121], -v[10:11]
	v_add_f64 v[124:125], v[120:121], -v[122:123]
	;; [unrolled: 1-line block ×4, first 2 shown]
	v_add_f64 v[8:9], v[8:9], v[10:11]
	v_add_f64 v[10:11], v[118:119], v[2:3]
	v_add_f64 v[122:123], v[10:11], -v[118:119]
	v_add_f64 v[124:125], v[10:11], -v[122:123]
	v_add_f64 v[8:9], v[10:11], v[8:9]
	v_add_f64 v[118:119], v[118:119], -v[124:125]
	v_add_f64 v[2:3], v[2:3], -v[122:123]
	v_add_f64 v[10:11], v[120:121], v[8:9]
	v_add_f64 v[2:3], v[2:3], v[118:119]
	v_add_f64 v[118:119], v[10:11], -v[120:121]
	v_add_f64 v[8:9], v[8:9], -v[118:119]
	v_add_f64 v[2:3], v[2:3], v[8:9]
	v_add_f64 v[2:3], v[10:11], v[2:3]
	v_cmp_class_f64_e64 vcc, v[0:1], s10
	v_cndmask_b32_e32 v2, v2, v0, vcc
	v_cndmask_b32_e32 v3, v3, v1, vcc
	v_cmp_ngt_f64_e32 vcc, 0, v[0:1]
	v_cndmask_b32_e32 v3, v91, v3, vcc
	v_cmp_nge_f64_e32 vcc, 0, v[0:1]
	v_cndmask_b32_e32 v2, 0, v2, vcc
	v_cmp_neq_f64_e32 vcc, 0, v[0:1]
	v_cndmask_b32_e32 v3, v92, v3, vcc
	v_add_f64 v[0:1], v[78:79], -v[2:3]
	v_div_scale_f64 v[2:3], s[0:1], v[76:77], v[76:77], v[0:1]
	v_rcp_f64_e32 v[8:9], v[2:3]
	v_fma_f64 v[10:11], -v[2:3], v[8:9], 1.0
	v_fmac_f64_e32 v[8:9], v[8:9], v[10:11]
	v_fma_f64 v[10:11], -v[2:3], v[8:9], 1.0
	v_fmac_f64_e32 v[8:9], v[8:9], v[10:11]
	v_div_scale_f64 v[10:11], vcc, v[0:1], v[76:77], v[0:1]
	v_mul_f64 v[118:119], v[10:11], v[8:9]
	v_fma_f64 v[2:3], -v[2:3], v[118:119], v[10:11]
	s_nop 1
	v_div_fmas_f64 v[2:3], v[2:3], v[8:9], v[118:119]
	v_div_fixup_f64 v[10:11], v[2:3], v[76:77], v[0:1]
	v_add_f64 v[0:1], v[10:11], 0.5
	v_floor_f64_e32 v[8:9], v[0:1]
	v_cmp_ngt_f64_e32 vcc, 0, v[8:9]
	v_mov_b32_e32 v118, 2
	s_and_saveexec_b64 s[20:21], vcc
	s_cbranch_execz .LBB98_31
; %bb.26:                               ;   in Loop: Header=BB98_21 Depth=2
	v_add_u32_e32 v15, 1, v117
	v_pk_mov_b32 v[0:1], v[4:5], v[4:5] op_sel:[0,1]
	v_cmp_eq_u32_e32 vcc, 4, v15
	v_pk_mov_b32 v[2:3], v[6:7], v[6:7] op_sel:[0,1]
	s_and_saveexec_b64 s[0:1], vcc
	s_cbranch_execz .LBB98_28
; %bb.27:                               ;   in Loop: Header=BB98_21 Depth=2
	v_add_co_u32_e32 v96, vcc, 1, v96
	v_cndmask_b32_e64 v0, 0, 1, vcc
	v_addc_co_u32_e32 v97, vcc, 0, v97, vcc
	v_cmp_eq_u32_e32 vcc, 0, v97
	v_cndmask_b32_e32 v0, 0, v0, vcc
	v_add_u32_e32 v115, v0, v115
	v_cmp_eq_u32_e32 vcc, 0, v115
	v_cndmask_b32_e32 v0, 0, v0, vcc
	v_add_u32_e32 v74, v0, v74
	v_mad_u64_u32 v[0:1], vcc, v96, s9, 0
	v_mad_u64_u32 v[2:3], vcc, v115, s8, 0
	v_xor_b32_e32 v1, v1, v73
	v_xor_b32_e32 v3, v3, v72
	v_xor_b32_e32 v1, v74, v1
	v_xor_b32_e32 v3, v97, v3
	v_mad_u64_u32 v[86:87], vcc, v1, s8, 0
	v_mad_u64_u32 v[84:85], vcc, v3, s9, 0
	v_xor_b32_e32 v1, v98, v87
	v_xor_b32_e32 v1, v1, v2
	v_xor_b32_e32 v2, v99, v85
	v_xor_b32_e32 v2, v2, v0
	;; [unrolled: 6-line block ×10, first 2 shown]
	v_mov_b32_e32 v15, 0
	v_mov_b32_e32 v1, v86
	;; [unrolled: 1-line block ×5, first 2 shown]
.LBB98_28:                              ;   in Loop: Header=BB98_21 Depth=2
	s_or_b64 exec, exec, s[0:1]
	v_add_u32_e32 v116, 1, v15
	v_cmp_eq_u32_e32 vcc, 4, v116
	s_and_saveexec_b64 s[0:1], vcc
	s_cbranch_execz .LBB98_30
; %bb.29:                               ;   in Loop: Header=BB98_21 Depth=2
	v_add_co_u32_e32 v96, vcc, 1, v96
	v_cndmask_b32_e64 v84, 0, 1, vcc
	v_addc_co_u32_e32 v97, vcc, 0, v97, vcc
	v_cmp_eq_u32_e32 vcc, 0, v97
	v_cndmask_b32_e32 v84, 0, v84, vcc
	v_add_u32_e32 v115, v84, v115
	v_cmp_eq_u32_e32 vcc, 0, v115
	v_cndmask_b32_e32 v84, 0, v84, vcc
	v_add_u32_e32 v74, v84, v74
	v_mad_u64_u32 v[84:85], vcc, v96, s9, 0
	v_mad_u64_u32 v[86:87], vcc, v115, s8, 0
	v_xor_b32_e32 v85, v85, v73
	v_xor_b32_e32 v87, v87, v72
	v_xor_b32_e32 v85, v74, v85
	v_xor_b32_e32 v87, v97, v87
	v_mad_u64_u32 v[120:121], vcc, v85, s8, 0
	v_mad_u64_u32 v[118:119], vcc, v87, s9, 0
	v_xor_b32_e32 v85, v98, v121
	v_xor_b32_e32 v85, v85, v86
	v_xor_b32_e32 v86, v99, v119
	v_xor_b32_e32 v86, v86, v84
	;; [unrolled: 6-line block ×9, first 2 shown]
	v_mad_u64_u32 v[84:85], vcc, v84, s9, 0
	v_mad_u64_u32 v[86:87], vcc, v86, s8, 0
	v_xor_b32_e32 v87, v87, v124
	v_xor_b32_e32 v85, v85, v122
	v_mov_b32_e32 v116, 0
	v_xor_b32_e32 v87, v104, v87
	v_xor_b32_e32 v85, v95, v85
.LBB98_30:                              ;   in Loop: Header=BB98_21 Depth=2
	s_or_b64 exec, exec, s[0:1]
	v_cmp_eq_u32_e32 vcc, 1, v117
	v_cndmask_b32_e32 v4, v4, v5, vcc
	v_cmp_eq_u32_e32 vcc, 2, v117
	v_cndmask_b32_e32 v4, v4, v6, vcc
	;; [unrolled: 2-line block ×6, first 2 shown]
	v_lshrrev_b32_e32 v0, 11, v0
	v_cvt_f64_u32_e32 v[0:1], v0
	v_ldexp_f64 v[0:1], v[0:1], 32
	v_cvt_f64_u32_e32 v[2:3], v4
	v_add_f64 v[0:1], v[0:1], v[2:3]
	v_mov_b32_e32 v2, 0
	v_mov_b32_e32 v3, 0x3ca00000
	v_fma_f64 v[4:5], -v[76:77], v[10:11], v[78:79]
	v_fmac_f64_e32 v[2:3], 0x3ca00000, v[0:1]
	v_mul_f64 v[0:1], v[4:5], s[58:59]
	v_rndne_f64_e32 v[0:1], v[0:1]
	s_mov_b32 s60, s52
	v_fma_f64 v[6:7], s[60:61], v[0:1], v[4:5]
	s_mov_b32 s62, s54
	v_fmac_f64_e32 v[6:7], s[62:63], v[0:1]
	v_pk_mov_b32 v[10:11], v[30:31], v[30:31] op_sel:[0,1]
	v_fmac_f64_e32 v[10:11], s[66:67], v[6:7]
	v_pk_mov_b32 v[118:119], v[32:33], v[32:33] op_sel:[0,1]
	;; [unrolled: 2-line block ×9, first 2 shown]
	v_fmac_f64_e32 v[10:11], v[6:7], v[118:119]
	v_fma_f64 v[10:11], v[6:7], v[10:11], 1.0
	v_fma_f64 v[6:7], v[6:7], v[10:11], 1.0
	v_cvt_i32_f64_e32 v0, v[0:1]
	v_ldexp_f64 v[0:1], v[6:7], v0
	v_add_f64 v[0:1], v[0:1], 1.0
	v_cmp_nlt_f64_e32 vcc, s[68:69], v[4:5]
	v_cmp_ngt_f64_e64 s[0:1], s[70:71], v[4:5]
	v_cndmask_b32_e32 v1, v93, v1, vcc
	s_and_b64 vcc, s[0:1], vcc
	v_cndmask_b32_e64 v1, v90, v1, s[0:1]
	v_cndmask_b32_e32 v0, 0, v0, vcc
	v_mul_f64 v[0:1], v[0:1], v[0:1]
	v_div_scale_f64 v[6:7], s[0:1], v[0:1], v[0:1], v[2:3]
	v_rcp_f64_e32 v[10:11], v[6:7]
	s_mov_b32 s51, s37
	v_fma_f64 v[118:119], -v[6:7], v[10:11], 1.0
	v_fmac_f64_e32 v[10:11], v[10:11], v[118:119]
	v_fma_f64 v[118:119], -v[6:7], v[10:11], 1.0
	v_fmac_f64_e32 v[10:11], v[10:11], v[118:119]
	v_div_scale_f64 v[118:119], vcc, v[2:3], v[0:1], v[2:3]
	v_mul_f64 v[120:121], v[118:119], v[10:11]
	v_fma_f64 v[6:7], -v[6:7], v[120:121], v[118:119]
	s_nop 1
	v_div_fmas_f64 v[6:7], v[6:7], v[10:11], v[120:121]
	v_div_fixup_f64 v[2:3], v[6:7], v[0:1], v[2:3]
	v_frexp_mant_f64_e32 v[0:1], v[2:3]
	v_cmp_gt_f64_e32 vcc, s[36:37], v[0:1]
	v_cndmask_b32_e64 v15, v90, 2.0, vcc
	v_frexp_exp_i32_f64_e32 v6, v[2:3]
	v_mul_f64 v[0:1], v[0:1], v[14:15]
	v_subbrev_co_u32_e32 v15, vcc, 0, v6, vcc
	v_add_f64 v[6:7], v[0:1], 1.0
	v_rcp_f64_e32 v[10:11], v[6:7]
	v_add_f64 v[120:121], v[6:7], -1.0
	v_add_f64 v[118:119], v[0:1], -1.0
	v_add_f64 v[0:1], v[0:1], -v[120:121]
	v_fma_f64 v[120:121], -v[6:7], v[10:11], 1.0
	v_fmac_f64_e32 v[10:11], v[120:121], v[10:11]
	v_fma_f64 v[120:121], -v[6:7], v[10:11], 1.0
	v_fmac_f64_e32 v[10:11], v[120:121], v[10:11]
	v_mul_f64 v[120:121], v[118:119], v[10:11]
	v_mul_f64 v[122:123], v[6:7], v[120:121]
	v_fma_f64 v[6:7], v[120:121], v[6:7], -v[122:123]
	v_fmac_f64_e32 v[6:7], v[120:121], v[0:1]
	v_add_f64 v[0:1], v[122:123], v[6:7]
	v_add_f64 v[124:125], v[118:119], -v[0:1]
	v_add_f64 v[122:123], v[0:1], -v[122:123]
	;; [unrolled: 1-line block ×5, first 2 shown]
	v_add_f64 v[0:1], v[6:7], v[0:1]
	v_add_f64 v[0:1], v[124:125], v[0:1]
	v_mul_f64 v[0:1], v[10:11], v[0:1]
	v_add_f64 v[6:7], v[120:121], v[0:1]
	v_add_f64 v[10:11], v[6:7], -v[120:121]
	v_add_f64 v[10:11], v[0:1], -v[10:11]
	v_mul_f64 v[118:119], v[6:7], v[6:7]
	v_pk_mov_b32 v[0:1], s[38:39], s[38:39] op_sel:[0,1]
	v_fma_f64 v[120:121], s[40:41], v[118:119], v[0:1]
	v_fma_f64 v[120:121], v[118:119], v[120:121], s[42:43]
	;; [unrolled: 1-line block ×6, first 2 shown]
	v_ldexp_f64 v[122:123], v[6:7], 1
	v_mul_f64 v[6:7], v[6:7], v[118:119]
	v_mul_f64 v[6:7], v[6:7], v[120:121]
	v_add_f64 v[118:119], v[122:123], v[6:7]
	v_add_f64 v[120:121], v[118:119], -v[122:123]
	v_ldexp_f64 v[10:11], v[10:11], 1
	v_add_f64 v[6:7], v[6:7], -v[120:121]
	v_add_f64 v[6:7], v[10:11], v[6:7]
	v_add_f64 v[10:11], v[118:119], v[6:7]
	v_add_f64 v[118:119], v[10:11], -v[118:119]
	v_add_f64 v[6:7], v[6:7], -v[118:119]
	v_cvt_f64_i32_e32 v[118:119], v15
	v_mul_f64 v[120:121], v[118:119], s[52:53]
	v_fma_f64 v[122:123], v[118:119], s[52:53], -v[120:121]
	v_fmac_f64_e32 v[122:123], s[54:55], v[118:119]
	v_add_f64 v[118:119], v[120:121], v[122:123]
	v_add_f64 v[120:121], v[118:119], -v[120:121]
	v_add_f64 v[120:121], v[122:123], -v[120:121]
	v_add_f64 v[122:123], v[118:119], v[10:11]
	v_add_f64 v[124:125], v[122:123], -v[118:119]
	v_add_f64 v[126:127], v[122:123], -v[124:125]
	;; [unrolled: 1-line block ×4, first 2 shown]
	v_add_f64 v[10:11], v[10:11], v[118:119]
	v_add_f64 v[118:119], v[120:121], v[6:7]
	v_add_f64 v[124:125], v[118:119], -v[120:121]
	v_add_f64 v[126:127], v[118:119], -v[124:125]
	v_add_f64 v[10:11], v[118:119], v[10:11]
	v_add_f64 v[120:121], v[120:121], -v[126:127]
	v_add_f64 v[6:7], v[6:7], -v[124:125]
	v_add_f64 v[118:119], v[122:123], v[10:11]
	v_add_f64 v[6:7], v[6:7], v[120:121]
	v_add_f64 v[120:121], v[118:119], -v[122:123]
	v_add_f64 v[10:11], v[10:11], -v[120:121]
	v_add_f64 v[6:7], v[6:7], v[10:11]
	v_add_f64 v[6:7], v[118:119], v[6:7]
	v_cmp_class_f64_e64 vcc, v[2:3], s10
	v_cndmask_b32_e32 v15, v6, v2, vcc
	v_cndmask_b32_e32 v6, v7, v3, vcc
	v_cmp_neq_f64_e32 vcc, 0, v[2:3]
	v_cndmask_b32_e32 v3, v92, v6, vcc
	v_add_f64 v[6:7], v[8:9], 1.0
	v_add_f64 v[6:7], v[6:7], -1.0
	v_add_f64 v[118:119], v[6:7], s[72:73]
	v_div_scale_f64 v[10:11], s[0:1], v[118:119], v[118:119], s[74:75]
	v_rcp_f64_e32 v[120:121], v[10:11]
	v_cndmask_b32_e32 v2, 0, v15, vcc
	v_add_f64 v[2:3], v[4:5], v[2:3]
	v_fma_f64 v[4:5], v[82:83], v[8:9], v[80:81]
	v_fma_f64 v[122:123], -v[10:11], v[120:121], 1.0
	v_fmac_f64_e32 v[120:121], v[120:121], v[122:123]
	v_fma_f64 v[122:123], -v[10:11], v[120:121], 1.0
	v_fmac_f64_e32 v[120:121], v[120:121], v[122:123]
	v_div_scale_f64 v[122:123], vcc, s[74:75], v[118:119], s[74:75]
	v_mul_f64 v[124:125], v[122:123], v[120:121]
	v_fma_f64 v[122:123], -v[10:11], v[124:125], v[122:123]
	v_add_f64 v[10:11], v[6:7], s[76:77]
	v_div_scale_f64 v[126:127], s[0:1], v[10:11], v[10:11], s[78:79]
	v_rcp_f64_e32 v[128:129], v[126:127]
	v_div_fmas_f64 v[120:121], v[122:123], v[120:121], v[124:125]
	v_div_fixup_f64 v[118:119], v[120:121], v[118:119], s[74:75]
	v_add_f64 v[124:125], v[6:7], s[80:81]
	v_fma_f64 v[120:121], -v[126:127], v[128:129], 1.0
	v_fmac_f64_e32 v[128:129], v[128:129], v[120:121]
	v_fma_f64 v[120:121], -v[126:127], v[128:129], 1.0
	v_fmac_f64_e32 v[128:129], v[128:129], v[120:121]
	v_div_scale_f64 v[120:121], vcc, s[78:79], v[10:11], s[78:79]
	v_mul_f64 v[122:123], v[120:121], v[128:129]
	v_fma_f64 v[120:121], -v[126:127], v[122:123], v[120:121]
	v_div_scale_f64 v[126:127], s[0:1], v[124:125], v[124:125], s[82:83]
	v_rcp_f64_e32 v[130:131], v[126:127]
	v_div_fmas_f64 v[120:121], v[120:121], v[128:129], v[122:123]
	v_add_f64 v[118:119], v[118:119], 0
	v_div_fixup_f64 v[120:121], v[120:121], v[10:11], s[78:79]
	v_add_f64 v[118:119], v[120:121], v[118:119]
	v_fma_f64 v[120:121], -v[126:127], v[130:131], 1.0
	v_fmac_f64_e32 v[130:131], v[130:131], v[120:121]
	v_fma_f64 v[120:121], -v[126:127], v[130:131], 1.0
	v_fmac_f64_e32 v[130:131], v[130:131], v[120:121]
	v_div_scale_f64 v[120:121], vcc, s[82:83], v[124:125], s[82:83]
	v_mul_f64 v[122:123], v[120:121], v[130:131]
	v_fma_f64 v[120:121], -v[126:127], v[122:123], v[120:121]
	v_add_f64 v[126:127], v[6:7], s[84:85]
	v_div_scale_f64 v[128:129], s[0:1], v[126:127], v[126:127], s[86:87]
	v_rcp_f64_e32 v[132:133], v[128:129]
	v_div_fmas_f64 v[120:121], v[120:121], v[130:131], v[122:123]
	v_div_fixup_f64 v[120:121], v[120:121], v[124:125], s[82:83]
	v_add_f64 v[118:119], v[118:119], v[120:121]
	v_fma_f64 v[120:121], -v[128:129], v[132:133], 1.0
	v_fmac_f64_e32 v[132:133], v[132:133], v[120:121]
	v_fma_f64 v[120:121], -v[128:129], v[132:133], 1.0
	v_fmac_f64_e32 v[132:133], v[132:133], v[120:121]
	v_div_scale_f64 v[120:121], vcc, s[86:87], v[126:127], s[86:87]
	v_mul_f64 v[122:123], v[120:121], v[132:133]
	v_add_f64 v[124:125], v[6:7], 4.0
	v_fma_f64 v[120:121], -v[128:129], v[122:123], v[120:121]
	v_div_scale_f64 v[128:129], s[0:1], v[124:125], v[124:125], s[88:89]
	v_rcp_f64_e32 v[130:131], v[128:129]
	v_div_fmas_f64 v[120:121], v[120:121], v[132:133], v[122:123]
	v_div_fixup_f64 v[120:121], v[120:121], v[126:127], s[86:87]
	v_add_f64 v[118:119], v[120:121], v[118:119]
	v_fma_f64 v[120:121], -v[128:129], v[130:131], 1.0
	v_fmac_f64_e32 v[130:131], v[130:131], v[120:121]
	v_fma_f64 v[120:121], -v[128:129], v[130:131], 1.0
	v_fmac_f64_e32 v[130:131], v[130:131], v[120:121]
	v_div_scale_f64 v[120:121], vcc, s[88:89], v[124:125], s[88:89]
	v_mul_f64 v[122:123], v[120:121], v[130:131]
	v_add_f64 v[126:127], v[6:7], s[28:29]
	v_fma_f64 v[120:121], -v[128:129], v[122:123], v[120:121]
	v_div_scale_f64 v[128:129], s[0:1], v[126:127], v[126:127], s[90:91]
	v_rcp_f64_e32 v[132:133], v[128:129]
	v_div_fmas_f64 v[120:121], v[120:121], v[130:131], v[122:123]
	v_div_fixup_f64 v[120:121], v[120:121], v[124:125], s[88:89]
	v_add_f64 v[118:119], v[118:119], v[120:121]
	v_fma_f64 v[120:121], -v[128:129], v[132:133], 1.0
	v_fmac_f64_e32 v[132:133], v[132:133], v[120:121]
	v_fma_f64 v[120:121], -v[128:129], v[132:133], 1.0
	v_fmac_f64_e32 v[132:133], v[132:133], v[120:121]
	v_div_scale_f64 v[120:121], vcc, s[90:91], v[126:127], s[90:91]
	v_mul_f64 v[122:123], v[120:121], v[132:133]
	v_add_f64 v[124:125], v[6:7], 2.0
	v_fma_f64 v[120:121], -v[128:129], v[122:123], v[120:121]
	v_div_scale_f64 v[128:129], s[0:1], v[124:125], v[124:125], s[92:93]
	v_rcp_f64_e32 v[130:131], v[128:129]
	v_div_fmas_f64 v[120:121], v[120:121], v[132:133], v[122:123]
	v_div_fixup_f64 v[120:121], v[120:121], v[126:127], s[90:91]
	v_add_f64 v[118:119], v[120:121], v[118:119]
	v_fma_f64 v[120:121], -v[128:129], v[130:131], 1.0
	v_fmac_f64_e32 v[130:131], v[130:131], v[120:121]
	v_fma_f64 v[120:121], -v[128:129], v[130:131], 1.0
	v_fmac_f64_e32 v[130:131], v[130:131], v[120:121]
	v_div_scale_f64 v[120:121], vcc, s[92:93], v[124:125], s[92:93]
	v_mul_f64 v[122:123], v[120:121], v[130:131]
	v_add_f64 v[126:127], v[6:7], 1.0
	v_fma_f64 v[120:121], -v[128:129], v[122:123], v[120:121]
	v_div_scale_f64 v[128:129], s[0:1], v[126:127], v[126:127], s[94:95]
	v_rcp_f64_e32 v[132:133], v[128:129]
	v_div_fmas_f64 v[120:121], v[120:121], v[130:131], v[122:123]
	v_div_fixup_f64 v[120:121], v[120:121], v[124:125], s[92:93]
	v_add_f64 v[118:119], v[118:119], v[120:121]
	v_fma_f64 v[120:121], -v[128:129], v[132:133], 1.0
	v_fmac_f64_e32 v[132:133], v[132:133], v[120:121]
	v_fma_f64 v[120:121], -v[128:129], v[132:133], 1.0
	v_fmac_f64_e32 v[132:133], v[132:133], v[120:121]
	v_div_scale_f64 v[120:121], vcc, s[94:95], v[126:127], s[94:95]
	v_mul_f64 v[122:123], v[120:121], v[132:133]
	v_fma_f64 v[120:121], -v[128:129], v[122:123], v[120:121]
	v_add_f64 v[10:11], v[10:11], 0.5
	s_nop 0
	v_div_fmas_f64 v[120:121], v[120:121], v[132:133], v[122:123]
	v_div_fixup_f64 v[120:121], v[120:121], v[126:127], s[94:95]
	v_add_f64 v[118:119], v[120:121], v[118:119]
	v_add_f64 v[118:119], v[118:119], s[26:27]
	v_frexp_mant_f64_e32 v[120:121], v[118:119]
	v_cmp_gt_f64_e32 vcc, s[36:37], v[120:121]
	v_cndmask_b32_e64 v15, v90, 2.0, vcc
	v_mul_f64 v[120:121], v[120:121], v[14:15]
	v_add_f64 v[122:123], v[120:121], 1.0
	v_rcp_f64_e32 v[124:125], v[122:123]
	v_add_f64 v[128:129], v[122:123], -1.0
	v_add_f64 v[126:127], v[120:121], -1.0
	v_add_f64 v[120:121], v[120:121], -v[128:129]
	v_fma_f64 v[128:129], -v[122:123], v[124:125], 1.0
	v_fmac_f64_e32 v[124:125], v[128:129], v[124:125]
	v_fma_f64 v[128:129], -v[122:123], v[124:125], 1.0
	v_fmac_f64_e32 v[124:125], v[128:129], v[124:125]
	v_mul_f64 v[128:129], v[126:127], v[124:125]
	v_mul_f64 v[130:131], v[122:123], v[128:129]
	v_fma_f64 v[122:123], v[128:129], v[122:123], -v[130:131]
	v_fmac_f64_e32 v[122:123], v[128:129], v[120:121]
	v_add_f64 v[120:121], v[130:131], v[122:123]
	v_add_f64 v[132:133], v[126:127], -v[120:121]
	v_add_f64 v[130:131], v[120:121], -v[130:131]
	;; [unrolled: 1-line block ×5, first 2 shown]
	v_add_f64 v[120:121], v[122:123], v[120:121]
	v_add_f64 v[120:121], v[132:133], v[120:121]
	v_mul_f64 v[120:121], v[124:125], v[120:121]
	v_add_f64 v[122:123], v[128:129], v[120:121]
	v_add_f64 v[124:125], v[122:123], -v[128:129]
	v_add_f64 v[120:121], v[120:121], -v[124:125]
	v_mul_f64 v[124:125], v[122:123], v[122:123]
	v_fma_f64 v[126:127], s[40:41], v[124:125], v[0:1]
	v_fma_f64 v[126:127], v[124:125], v[126:127], s[42:43]
	;; [unrolled: 1-line block ×6, first 2 shown]
	v_ldexp_f64 v[128:129], v[122:123], 1
	v_mul_f64 v[122:123], v[122:123], v[124:125]
	v_mul_f64 v[122:123], v[122:123], v[126:127]
	v_add_f64 v[124:125], v[128:129], v[122:123]
	v_add_f64 v[126:127], v[124:125], -v[128:129]
	v_ldexp_f64 v[120:121], v[120:121], 1
	v_add_f64 v[122:123], v[122:123], -v[126:127]
	v_add_f64 v[120:121], v[120:121], v[122:123]
	v_frexp_exp_i32_f64_e32 v117, v[118:119]
	v_add_f64 v[122:123], v[124:125], v[120:121]
	v_subbrev_co_u32_e32 v15, vcc, 0, v117, vcc
	v_add_f64 v[124:125], v[122:123], -v[124:125]
	v_add_f64 v[120:121], v[120:121], -v[124:125]
	v_cvt_f64_i32_e32 v[124:125], v15
	v_mul_f64 v[126:127], v[124:125], s[52:53]
	v_fma_f64 v[128:129], v[124:125], s[52:53], -v[126:127]
	v_fmac_f64_e32 v[128:129], s[54:55], v[124:125]
	v_add_f64 v[124:125], v[126:127], v[128:129]
	v_add_f64 v[126:127], v[124:125], -v[126:127]
	v_add_f64 v[126:127], v[128:129], -v[126:127]
	v_add_f64 v[128:129], v[124:125], v[122:123]
	v_add_f64 v[130:131], v[128:129], -v[124:125]
	v_add_f64 v[132:133], v[128:129], -v[130:131]
	;; [unrolled: 1-line block ×4, first 2 shown]
	v_add_f64 v[122:123], v[122:123], v[124:125]
	v_add_f64 v[124:125], v[126:127], v[120:121]
	v_add_f64 v[130:131], v[124:125], -v[126:127]
	v_add_f64 v[132:133], v[124:125], -v[130:131]
	v_add_f64 v[122:123], v[124:125], v[122:123]
	v_add_f64 v[126:127], v[126:127], -v[132:133]
	v_add_f64 v[120:121], v[120:121], -v[130:131]
	v_add_f64 v[124:125], v[128:129], v[122:123]
	v_add_f64 v[120:121], v[120:121], v[126:127]
	v_add_f64 v[126:127], v[124:125], -v[128:129]
	v_add_f64 v[122:123], v[122:123], -v[126:127]
	v_add_f64 v[120:121], v[120:121], v[122:123]
	v_add_f64 v[120:121], v[124:125], v[120:121]
	v_cmp_class_f64_e64 vcc, v[118:119], s10
	v_div_scale_f64 v[122:123], s[0:1], s[2:3], s[2:3], v[10:11]
	v_cndmask_b32_e32 v121, v121, v119, vcc
	v_cndmask_b32_e32 v120, v120, v118, vcc
	v_rcp_f64_e32 v[124:125], v[122:123]
	v_add_f64 v[120:121], v[120:121], s[24:25]
	v_add_f64 v[120:121], v[120:121], s[30:31]
	v_cmp_ngt_f64_e32 vcc, 0, v[118:119]
	v_cndmask_b32_e32 v15, v91, v121, vcc
	v_cmp_nge_f64_e32 vcc, 0, v[118:119]
	v_cndmask_b32_e32 v120, 0, v120, vcc
	v_cmp_neq_f64_e32 vcc, 0, v[118:119]
	v_fma_f64 v[118:119], -v[122:123], v[124:125], 1.0
	v_fmac_f64_e32 v[124:125], v[124:125], v[118:119]
	v_fma_f64 v[118:119], -v[122:123], v[124:125], 1.0
	v_cndmask_b32_e32 v121, v92, v15, vcc
	v_fmac_f64_e32 v[124:125], v[124:125], v[118:119]
	v_div_scale_f64 v[118:119], vcc, v[10:11], s[2:3], v[10:11]
	v_mul_f64 v[126:127], v[118:119], v[124:125]
	v_fma_f64 v[118:119], -v[122:123], v[126:127], v[118:119]
	v_add_f64 v[6:7], v[6:7], 0.5
	s_nop 0
	v_div_fmas_f64 v[118:119], v[118:119], v[124:125], v[126:127]
	v_div_fixup_f64 v[10:11], v[118:119], s[2:3], v[10:11]
	v_frexp_mant_f64_e32 v[118:119], v[10:11]
	v_cmp_gt_f64_e32 vcc, s[36:37], v[118:119]
	v_cndmask_b32_e64 v15, v90, 2.0, vcc
	v_mul_f64 v[118:119], v[118:119], v[14:15]
	v_add_f64 v[122:123], v[118:119], 1.0
	v_rcp_f64_e32 v[124:125], v[122:123]
	v_add_f64 v[128:129], v[122:123], -1.0
	v_add_f64 v[126:127], v[118:119], -1.0
	v_add_f64 v[118:119], v[118:119], -v[128:129]
	v_fma_f64 v[128:129], -v[122:123], v[124:125], 1.0
	v_fmac_f64_e32 v[124:125], v[128:129], v[124:125]
	v_fma_f64 v[128:129], -v[122:123], v[124:125], 1.0
	v_fmac_f64_e32 v[124:125], v[128:129], v[124:125]
	v_mul_f64 v[128:129], v[126:127], v[124:125]
	v_mul_f64 v[130:131], v[122:123], v[128:129]
	v_fma_f64 v[122:123], v[128:129], v[122:123], -v[130:131]
	v_fmac_f64_e32 v[122:123], v[128:129], v[118:119]
	v_add_f64 v[118:119], v[130:131], v[122:123]
	v_add_f64 v[132:133], v[126:127], -v[118:119]
	v_add_f64 v[130:131], v[118:119], -v[130:131]
	;; [unrolled: 1-line block ×5, first 2 shown]
	v_add_f64 v[118:119], v[122:123], v[118:119]
	v_add_f64 v[118:119], v[132:133], v[118:119]
	v_mul_f64 v[118:119], v[124:125], v[118:119]
	v_add_f64 v[122:123], v[128:129], v[118:119]
	v_add_f64 v[124:125], v[122:123], -v[128:129]
	v_add_f64 v[118:119], v[118:119], -v[124:125]
	v_mul_f64 v[124:125], v[122:123], v[122:123]
	v_fmac_f64_e32 v[0:1], s[40:41], v[124:125]
	v_fma_f64 v[0:1], v[124:125], v[0:1], s[42:43]
	v_fma_f64 v[0:1], v[124:125], v[0:1], s[44:45]
	;; [unrolled: 1-line block ×5, first 2 shown]
	v_ldexp_f64 v[126:127], v[122:123], 1
	v_mul_f64 v[122:123], v[122:123], v[124:125]
	v_mul_f64 v[0:1], v[122:123], v[0:1]
	v_add_f64 v[122:123], v[126:127], v[0:1]
	v_add_f64 v[124:125], v[122:123], -v[126:127]
	v_ldexp_f64 v[118:119], v[118:119], 1
	v_add_f64 v[0:1], v[0:1], -v[124:125]
	v_add_f64 v[0:1], v[118:119], v[0:1]
	v_frexp_exp_i32_f64_e32 v117, v[10:11]
	v_add_f64 v[118:119], v[122:123], v[0:1]
	v_subbrev_co_u32_e32 v15, vcc, 0, v117, vcc
	v_add_f64 v[122:123], v[118:119], -v[122:123]
	v_add_f64 v[0:1], v[0:1], -v[122:123]
	v_cvt_f64_i32_e32 v[122:123], v15
	v_mul_f64 v[124:125], v[122:123], s[52:53]
	v_fma_f64 v[126:127], v[122:123], s[52:53], -v[124:125]
	v_fmac_f64_e32 v[126:127], s[54:55], v[122:123]
	v_add_f64 v[122:123], v[124:125], v[126:127]
	v_add_f64 v[124:125], v[122:123], -v[124:125]
	v_add_f64 v[124:125], v[126:127], -v[124:125]
	v_add_f64 v[126:127], v[122:123], v[118:119]
	v_add_f64 v[128:129], v[126:127], -v[122:123]
	v_add_f64 v[130:131], v[126:127], -v[128:129]
	;; [unrolled: 1-line block ×4, first 2 shown]
	v_add_f64 v[118:119], v[118:119], v[122:123]
	v_add_f64 v[122:123], v[124:125], v[0:1]
	v_add_f64 v[128:129], v[122:123], -v[124:125]
	v_add_f64 v[130:131], v[122:123], -v[128:129]
	v_add_f64 v[118:119], v[122:123], v[118:119]
	v_add_f64 v[124:125], v[124:125], -v[130:131]
	v_add_f64 v[0:1], v[0:1], -v[128:129]
	v_add_f64 v[122:123], v[126:127], v[118:119]
	v_add_f64 v[0:1], v[0:1], v[124:125]
	v_add_f64 v[124:125], v[122:123], -v[126:127]
	v_add_f64 v[118:119], v[118:119], -v[124:125]
	v_add_f64 v[0:1], v[0:1], v[118:119]
	v_add_f64 v[0:1], v[122:123], v[0:1]
	v_cmp_class_f64_e64 vcc, v[10:11], s10
	v_cndmask_b32_e32 v0, v0, v10, vcc
	v_cndmask_b32_e32 v1, v1, v11, vcc
	v_cmp_ngt_f64_e32 vcc, 0, v[10:11]
	v_cndmask_b32_e32 v1, v91, v1, vcc
	v_cmp_nge_f64_e32 vcc, 0, v[10:11]
	v_cndmask_b32_e32 v0, 0, v0, vcc
	v_cmp_neq_f64_e32 vcc, 0, v[10:11]
	v_cndmask_b32_e32 v1, v92, v1, vcc
	v_fmac_f64_e32 v[120:121], v[6:7], v[0:1]
	v_add_f64 v[0:1], v[4:5], -v[120:121]
	v_cvt_u32_f64_e32 v4, v[8:9]
	v_cmp_le_f64_e32 vcc, v[2:3], v[0:1]
	v_cndmask_b32_e64 v118, 0, 1, vcc
	v_cndmask_b32_e32 v75, v75, v4, vcc
	v_mov_b32_e32 v117, v116
.LBB98_31:                              ;   in Loop: Header=BB98_21 Depth=2
	s_or_b64 exec, exec, s[20:21]
	v_cmp_gt_i32_e32 vcc, 2, v118
	s_or_b64 s[14:15], vcc, s[14:15]
	v_mov_b32_e32 v15, v117
	v_mov_b32_e32 v0, v87
	;; [unrolled: 1-line block ×5, first 2 shown]
	s_andn2_b64 exec, exec, s[14:15]
	s_cbranch_execnz .LBB98_21
; %bb.32:                               ;   in Loop: Header=BB98_21 Depth=2
	s_or_b64 exec, exec, s[14:15]
	v_cmp_ne_u32_e32 vcc, 0, v118
	s_or_b64 s[12:13], vcc, s[12:13]
	s_mov_b64 s[14:15], 0
	v_mov_b32_e32 v15, v117
	v_mov_b32_e32 v0, v87
	;; [unrolled: 1-line block ×5, first 2 shown]
	s_andn2_b64 exec, exec, s[12:13]
	s_cbranch_execnz .LBB98_21
; %bb.33:                               ;   in Loop: Header=BB98_5 Depth=1
	s_or_b64 exec, exec, s[12:13]
	v_readlane_b32 s20, v134, 22
	v_readlane_b32 s21, v134, 23
                                        ; implicit-def: $vgpr72_vgpr73
                                        ; implicit-def: $vgpr15
                                        ; implicit-def: $vgpr96
                                        ; implicit-def: $vgpr97
                                        ; implicit-def: $vgpr104
                                        ; implicit-def: $vgpr95
                                        ; implicit-def: $vgpr3
                                        ; implicit-def: $vgpr4_vgpr5
                                        ; implicit-def: $vgpr98
                                        ; implicit-def: $vgpr99
                                        ; implicit-def: $vgpr100
                                        ; implicit-def: $vgpr101
                                        ; implicit-def: $vgpr103
                                        ; implicit-def: $vgpr105
                                        ; implicit-def: $vgpr106
                                        ; implicit-def: $vgpr107
                                        ; implicit-def: $vgpr108
                                        ; implicit-def: $vgpr109
                                        ; implicit-def: $vgpr110
                                        ; implicit-def: $vgpr111
                                        ; implicit-def: $vgpr112
                                        ; implicit-def: $vgpr113
                                        ; implicit-def: $vgpr102
                                        ; implicit-def: $vgpr114
.LBB98_34:                              ;   in Loop: Header=BB98_5 Depth=1
	s_andn2_saveexec_b64 s[6:7], s[6:7]
	s_cbranch_execz .LBB98_46
; %bb.35:                               ;   in Loop: Header=BB98_5 Depth=1
	v_add_co_u32_e32 v6, vcc, 1, v96
	v_cndmask_b32_e64 v7, 0, 1, vcc
	v_addc_co_u32_e32 v10, vcc, 0, v97, vcc
	v_cmp_eq_u32_e32 vcc, 0, v10
	v_cndmask_b32_e32 v7, 0, v7, vcc
	v_add_u32_e32 v8, v7, v17
	v_cmp_eq_u32_e32 vcc, 0, v8
	v_cndmask_b32_e32 v11, 0, v7, vcc
	v_mad_u64_u32 v[6:7], s[0:1], v6, s9, 0
	v_mad_u64_u32 v[8:9], s[0:1], v8, s8, 0
	v_xor_b32_e32 v7, v7, v73
	v_xor_b32_e32 v9, v9, v72
	v_xor_b32_e32 v7, v11, v7
	v_xor_b32_e32 v9, v10, v9
	v_mad_u64_u32 v[72:73], s[0:1], v7, s8, 0
	v_mad_u64_u32 v[10:11], s[0:1], v9, s9, 0
	v_xor_b32_e32 v7, v98, v73
	v_xor_b32_e32 v7, v7, v8
	v_xor_b32_e32 v8, v99, v11
	v_xor_b32_e32 v8, v8, v6
	;; [unrolled: 6-line block ×8, first 2 shown]
	v_mad_u64_u32 v[74:75], s[0:1], v7, s9, 0
	v_mad_u64_u32 v[8:9], s[0:1], v6, s8, 0
	v_xor_b32_e32 v6, v114, v75
	v_xor_b32_e32 v6, v6, v10
	v_mad_u64_u32 v[6:7], s[0:1], v6, s8, 0
	v_xor_b32_e32 v7, v7, v8
	v_xor_b32_e32 v10, v104, v7
	v_cmp_lt_i32_e32 vcc, 1, v15
                                        ; implicit-def: $vgpr8
	s_and_saveexec_b64 s[0:1], vcc
	s_xor_b64 s[0:1], exec, s[0:1]
	s_cbranch_execz .LBB98_41
; %bb.36:                               ;   in Loop: Header=BB98_5 Depth=1
	v_cmp_lt_i32_e32 vcc, 2, v15
                                        ; implicit-def: $vgpr8
	s_and_saveexec_b64 s[12:13], vcc
	s_xor_b64 s[12:13], exec, s[12:13]
; %bb.37:                               ;   in Loop: Header=BB98_5 Depth=1
	v_xor_b32_e32 v0, v102, v9
	v_xor_b32_e32 v0, v0, v72
	v_mul_hi_u32 v0, v0, s9
	v_xor_b32_e32 v0, v0, v74
	v_xor_b32_e32 v8, v95, v0
; %bb.38:                               ;   in Loop: Header=BB98_5 Depth=1
	s_andn2_saveexec_b64 s[12:13], s[12:13]
; %bb.39:                               ;   in Loop: Header=BB98_5 Depth=1
	v_mov_b32_e32 v8, v6
	v_mov_b32_e32 v6, v10
	;; [unrolled: 1-line block ×4, first 2 shown]
; %bb.40:                               ;   in Loop: Header=BB98_5 Depth=1
	s_or_b64 exec, exec, s[12:13]
                                        ; implicit-def: $vgpr15
.LBB98_41:                              ;   in Loop: Header=BB98_5 Depth=1
	s_andn2_saveexec_b64 s[0:1], s[0:1]
	s_cbranch_execz .LBB98_45
; %bb.42:                               ;   in Loop: Header=BB98_5 Depth=1
	v_cmp_eq_u32_e32 vcc, 1, v15
	v_mov_b32_e32 v8, v3
	v_mov_b32_e32 v6, v2
	;; [unrolled: 1-line block ×3, first 2 shown]
	s_and_saveexec_b64 s[12:13], vcc
; %bb.43:                               ;   in Loop: Header=BB98_5 Depth=1
	v_mov_b32_e32 v8, v10
	v_mov_b32_e32 v6, v3
	;; [unrolled: 1-line block ×4, first 2 shown]
; %bb.44:                               ;   in Loop: Header=BB98_5 Depth=1
	s_or_b64 exec, exec, s[12:13]
	v_mov_b32_e32 v3, v0
	v_mov_b32_e32 v10, v7
.LBB98_45:                              ;   in Loop: Header=BB98_5 Depth=1
	s_or_b64 exec, exec, s[0:1]
	v_mov_b32_e32 v11, v14
	v_lshlrev_b64 v[0:1], 21, v[10:11]
	v_xor_b32_e32 v2, v0, v3
	v_cvt_f64_u32_e32 v[0:1], v1
	v_ldexp_f64 v[0:1], v[0:1], 32
	v_cvt_f64_u32_e32 v[2:3], v2
	v_add_f64 v[0:1], v[0:1], v[2:3]
	v_mov_b32_e32 v2, 0
	v_mov_b32_e32 v3, 0x3ca00000
	v_fmac_f64_e32 v[2:3], 0x3ca00000, v[0:1]
	v_mov_b32_e32 v9, v14
	v_lshlrev_b64 v[0:1], 21, v[8:9]
	v_frexp_mant_f64_e32 v[8:9], v[2:3]
	v_cmp_gt_f64_e32 vcc, s[36:37], v[8:9]
	v_cndmask_b32_e64 v15, v90, 2.0, vcc
	v_frexp_exp_i32_f64_e32 v10, v[2:3]
	v_mul_f64 v[8:9], v[8:9], v[14:15]
	v_subbrev_co_u32_e32 v15, vcc, 0, v10, vcc
	v_add_f64 v[10:11], v[8:9], 1.0
	v_rcp_f64_e32 v[72:73], v[10:11]
	v_add_f64 v[76:77], v[10:11], -1.0
	v_add_f64 v[74:75], v[8:9], -1.0
	v_add_f64 v[8:9], v[8:9], -v[76:77]
	v_fma_f64 v[76:77], -v[10:11], v[72:73], 1.0
	v_fmac_f64_e32 v[72:73], v[76:77], v[72:73]
	v_fma_f64 v[76:77], -v[10:11], v[72:73], 1.0
	v_fmac_f64_e32 v[72:73], v[76:77], v[72:73]
	v_mul_f64 v[76:77], v[74:75], v[72:73]
	v_mul_f64 v[78:79], v[10:11], v[76:77]
	v_fma_f64 v[10:11], v[76:77], v[10:11], -v[78:79]
	v_fmac_f64_e32 v[10:11], v[76:77], v[8:9]
	v_add_f64 v[8:9], v[78:79], v[10:11]
	v_add_f64 v[80:81], v[74:75], -v[8:9]
	v_add_f64 v[78:79], v[8:9], -v[78:79]
	;; [unrolled: 1-line block ×5, first 2 shown]
	v_add_f64 v[8:9], v[10:11], v[8:9]
	v_add_f64 v[8:9], v[80:81], v[8:9]
	v_mul_f64 v[8:9], v[72:73], v[8:9]
	v_add_f64 v[10:11], v[76:77], v[8:9]
	v_add_f64 v[72:73], v[10:11], -v[76:77]
	v_add_f64 v[8:9], v[8:9], -v[72:73]
	v_mul_f64 v[72:73], v[10:11], v[10:11]
	v_pk_mov_b32 v[74:75], v[18:19], v[18:19] op_sel:[0,1]
	v_fmac_f64_e32 v[74:75], s[40:41], v[72:73]
	v_pk_mov_b32 v[76:77], v[20:21], v[20:21] op_sel:[0,1]
	v_fmac_f64_e32 v[76:77], v[72:73], v[74:75]
	;; [unrolled: 2-line block ×6, first 2 shown]
	v_ldexp_f64 v[74:75], v[10:11], 1
	v_mul_f64 v[10:11], v[10:11], v[72:73]
	v_mul_f64 v[10:11], v[10:11], v[76:77]
	v_add_f64 v[72:73], v[74:75], v[10:11]
	v_add_f64 v[74:75], v[72:73], -v[74:75]
	v_ldexp_f64 v[8:9], v[8:9], 1
	v_add_f64 v[10:11], v[10:11], -v[74:75]
	v_add_f64 v[8:9], v[8:9], v[10:11]
	v_add_f64 v[10:11], v[72:73], v[8:9]
	v_add_f64 v[72:73], v[10:11], -v[72:73]
	v_add_f64 v[8:9], v[8:9], -v[72:73]
	v_cvt_f64_i32_e32 v[72:73], v15
	v_mul_f64 v[74:75], v[72:73], s[52:53]
	v_fma_f64 v[76:77], v[72:73], s[52:53], -v[74:75]
	v_fmac_f64_e32 v[76:77], s[54:55], v[72:73]
	v_add_f64 v[72:73], v[74:75], v[76:77]
	v_add_f64 v[74:75], v[72:73], -v[74:75]
	v_add_f64 v[74:75], v[76:77], -v[74:75]
	v_add_f64 v[76:77], v[72:73], v[10:11]
	v_add_f64 v[78:79], v[76:77], -v[72:73]
	v_add_f64 v[80:81], v[76:77], -v[78:79]
	;; [unrolled: 1-line block ×4, first 2 shown]
	v_add_f64 v[10:11], v[10:11], v[72:73]
	v_add_f64 v[72:73], v[74:75], v[8:9]
	v_add_f64 v[78:79], v[72:73], -v[74:75]
	v_add_f64 v[80:81], v[72:73], -v[78:79]
	v_add_f64 v[10:11], v[72:73], v[10:11]
	v_add_f64 v[74:75], v[74:75], -v[80:81]
	v_add_f64 v[8:9], v[8:9], -v[78:79]
	v_add_f64 v[72:73], v[76:77], v[10:11]
	v_add_f64 v[8:9], v[8:9], v[74:75]
	v_add_f64 v[74:75], v[72:73], -v[76:77]
	v_add_f64 v[10:11], v[10:11], -v[74:75]
	s_mov_b32 s14, 0
	v_add_f64 v[8:9], v[8:9], v[10:11]
	s_mov_b32 s15, 0x7ff00000
	v_add_f64 v[8:9], v[72:73], v[8:9]
	v_cmp_eq_f64_e32 vcc, s[14:15], v[2:3]
	v_cndmask_b32_e32 v9, v9, v3, vcc
	v_cndmask_b32_e32 v8, v8, v2, vcc
	v_mul_f64 v[8:9], v[8:9], -2.0
	v_cmp_neq_f64_e32 vcc, 0, v[2:3]
	s_mov_b32 s0, 0
	v_cndmask_b32_e32 v3, v93, v9, vcc
	v_cndmask_b32_e32 v2, 0, v8, vcc
	s_brev_b32 s1, 8
	v_cmp_gt_f64_e32 vcc, s[0:1], v[2:3]
	v_cndmask_b32_e64 v8, 0, 1, vcc
	v_lshlrev_b32_e32 v8, 8, v8
	v_ldexp_f64 v[2:3], v[2:3], v8
	v_xor_b32_e32 v6, v0, v6
	v_cvt_f64_u32_e32 v[0:1], v1
	v_rsq_f64_e32 v[8:9], v[2:3]
	v_ldexp_f64 v[0:1], v[0:1], 32
	v_cvt_f64_u32_e32 v[6:7], v6
	v_add_f64 v[0:1], v[0:1], v[6:7]
	v_mov_b32_e32 v6, 0
	v_mov_b32_e32 v7, 0x3cb00000
	v_fmac_f64_e32 v[6:7], 0x3cb00000, v[0:1]
	v_mul_f64 v[0:1], v[2:3], v[8:9]
	v_mul_f64 v[8:9], v[8:9], 0.5
	v_fma_f64 v[10:11], -v[8:9], v[0:1], 0.5
	v_fmac_f64_e32 v[0:1], v[0:1], v[10:11]
	v_fma_f64 v[72:73], -v[0:1], v[0:1], v[2:3]
	v_fmac_f64_e32 v[8:9], v[8:9], v[10:11]
	v_fmac_f64_e32 v[0:1], v[72:73], v[8:9]
	v_fma_f64 v[10:11], -v[0:1], v[0:1], v[2:3]
	v_fmac_f64_e32 v[0:1], v[10:11], v[8:9]
	v_cndmask_b32_e32 v8, 0, v89, vcc
	v_ldexp_f64 v[0:1], v[0:1], v8
	v_cmp_class_f64_e32 vcc, v[2:3], v88
	v_cndmask_b32_e32 v1, v1, v3, vcc
	v_cndmask_b32_e32 v0, v0, v2, vcc
	v_mul_f64 v[2:3], v[6:7], 0.5
	v_fract_f64_e32 v[8:9], v[2:3]
	v_add_f64 v[8:9], v[8:9], v[8:9]
	v_cmp_neq_f64_e32 vcc, s[14:15], v[2:3]
	v_cndmask_b32_e32 v2, 0, v8, vcc
	v_cndmask_b32_e32 v3, 0, v9, vcc
	v_cmp_lt_f64_e32 vcc, 1.0, v[6:7]
	v_cndmask_b32_e32 v3, v7, v3, vcc
	v_cndmask_b32_e32 v2, v6, v2, vcc
	v_add_f64 v[8:9], v[2:3], v[2:3]
	v_rndne_f64_e32 v[8:9], v[8:9]
	v_fmac_f64_e32 v[2:3], -0.5, v[8:9]
	s_mov_b32 s12, 0xf99eb0bb
	v_cvt_i32_f64_e32 v15, v[8:9]
	v_mul_f64 v[8:9], v[2:3], v[2:3]
	v_pk_mov_b32 v[10:11], v[48:49], v[48:49] op_sel:[0,1]
	s_mov_b32 s13, 0x3f3e357e
	v_fmac_f64_e32 v[10:11], s[12:13], v[8:9]
	v_pk_mov_b32 v[72:73], v[50:51], v[50:51] op_sel:[0,1]
	v_fmac_f64_e32 v[72:73], v[8:9], v[10:11]
	v_pk_mov_b32 v[10:11], v[52:53], v[52:53] op_sel:[0,1]
	v_fmac_f64_e32 v[10:11], v[8:9], v[72:73]
	v_pk_mov_b32 v[72:73], v[54:55], v[54:55] op_sel:[0,1]
	v_fmac_f64_e32 v[72:73], v[8:9], v[10:11]
	v_pk_mov_b32 v[10:11], v[56:57], v[56:57] op_sel:[0,1]
	v_fmac_f64_e32 v[10:11], v[8:9], v[72:73]
	v_mul_f64 v[72:73], v[2:3], v[8:9]
	s_mov_b32 s12, 0x54442d18
	v_mul_f64 v[10:11], v[72:73], v[10:11]
	s_mov_b32 s13, 0x400921fb
	v_fmac_f64_e32 v[10:11], s[12:13], v[2:3]
	s_mov_b32 s12, 0x2e21c33
	v_pk_mov_b32 v[2:3], v[58:59], v[58:59] op_sel:[0,1]
	s_mov_b32 s13, 0xbf1b1673
	v_fmac_f64_e32 v[2:3], s[12:13], v[8:9]
	v_pk_mov_b32 v[72:73], v[60:61], v[60:61] op_sel:[0,1]
	v_fmac_f64_e32 v[72:73], v[8:9], v[2:3]
	v_pk_mov_b32 v[2:3], v[62:63], v[62:63] op_sel:[0,1]
	;; [unrolled: 2-line block ×5, first 2 shown]
	v_fmac_f64_e32 v[72:73], v[8:9], v[2:3]
	v_fma_f64 v[2:3], v[8:9], v[72:73], 1.0
	v_and_b32_e32 v9, 1, v15
	v_lshlrev_b32_e32 v8, 30, v15
	v_cmp_eq_u32_e32 vcc, 0, v9
	v_cndmask_b32_e32 v10, v2, v10, vcc
	v_cndmask_b32_e32 v2, v3, v11, vcc
	v_xor_b32_e32 v3, v8, v7
	v_and_b32_e32 v3, 0x80000000, v3
	v_cmp_gt_f64_e32 vcc, s[0:1], v[4:5]
	v_xor_b32_e32 v11, v2, v3
	v_cndmask_b32_e64 v2, 0, 1, vcc
	v_lshlrev_b32_e32 v2, 8, v2
	v_ldexp_f64 v[2:3], v[4:5], v2
	v_rsq_f64_e32 v[8:9], v[2:3]
	v_cmp_lg_f64_e64 s[0:1], s[14:15], v[6:7]
	v_cndmask_b32_e64 v6, 0, v10, s[0:1]
	v_cndmask_b32_e64 v7, v91, v11, s[0:1]
	v_mul_f64 v[0:1], v[0:1], v[6:7]
	v_mul_f64 v[6:7], v[2:3], v[8:9]
	v_mul_f64 v[8:9], v[8:9], 0.5
	v_fma_f64 v[10:11], -v[8:9], v[6:7], 0.5
	v_fmac_f64_e32 v[6:7], v[6:7], v[10:11]
	v_fma_f64 v[72:73], -v[6:7], v[6:7], v[2:3]
	v_fmac_f64_e32 v[8:9], v[8:9], v[10:11]
	v_fmac_f64_e32 v[6:7], v[72:73], v[8:9]
	v_fma_f64 v[10:11], -v[6:7], v[6:7], v[2:3]
	v_fmac_f64_e32 v[6:7], v[10:11], v[8:9]
	v_cndmask_b32_e32 v8, 0, v89, vcc
	v_ldexp_f64 v[6:7], v[6:7], v8
	v_cmp_class_f64_e32 vcc, v[2:3], v88
	v_cndmask_b32_e32 v3, v7, v3, vcc
	v_cndmask_b32_e32 v2, v6, v2, vcc
	v_fmac_f64_e32 v[4:5], v[2:3], v[0:1]
	v_trunc_f64_e32 v[0:1], v[4:5]
	v_add_f64 v[2:3], v[4:5], -v[0:1]
	v_cmp_ge_f64_e64 vcc, |v[2:3]|, 0.5
	v_cndmask_b32_e32 v2, 0, v90, vcc
	s_brev_b32 s0, -2
	v_bfi_b32 v15, s0, v2, v5
	v_add_f64 v[0:1], v[0:1], v[14:15]
	v_cvt_u32_f64_e32 v75, v[0:1]
.LBB98_46:                              ;   in Loop: Header=BB98_5 Depth=1
	s_or_b64 exec, exec, s[6:7]
                                        ; implicit-def: $vgpr6
                                        ; implicit-def: $vgpr72_vgpr73
                                        ; implicit-def: $vgpr15
                                        ; implicit-def: $vgpr96
                                        ; implicit-def: $vgpr97
                                        ; implicit-def: $vgpr104
                                        ; implicit-def: $vgpr95
                                        ; implicit-def: $vgpr3
                                        ; implicit-def: $vgpr4_vgpr5
                                        ; implicit-def: $vgpr98
                                        ; implicit-def: $vgpr99
                                        ; implicit-def: $vgpr100
                                        ; implicit-def: $vgpr101
                                        ; implicit-def: $vgpr103
                                        ; implicit-def: $vgpr105
                                        ; implicit-def: $vgpr106
                                        ; implicit-def: $vgpr107
                                        ; implicit-def: $vgpr108
                                        ; implicit-def: $vgpr109
                                        ; implicit-def: $vgpr110
                                        ; implicit-def: $vgpr111
                                        ; implicit-def: $vgpr112
                                        ; implicit-def: $vgpr113
                                        ; implicit-def: $vgpr102
                                        ; implicit-def: $vgpr114
.LBB98_47:                              ;   in Loop: Header=BB98_5 Depth=1
	s_andn2_saveexec_b64 s[6:7], s[16:17]
	s_cbranch_execz .LBB98_3
; %bb.48:                               ;   in Loop: Header=BB98_5 Depth=1
	v_readlane_b32 s0, v134, 20
	v_readlane_b32 s1, v134, 21
	s_mov_b32 s0, s58
	v_mul_f64 v[8:9], v[4:5], s[0:1]
	v_rndne_f64_e32 v[10:11], v[8:9]
	s_mov_b32 s60, s52
	v_fma_f64 v[4:5], v[10:11], s[60:61], -v[4:5]
	s_mov_b32 s62, s54
	v_fmac_f64_e32 v[4:5], s[62:63], v[10:11]
	v_pk_mov_b32 v[8:9], v[30:31], v[30:31] op_sel:[0,1]
	v_fmac_f64_e32 v[8:9], s[66:67], v[4:5]
	v_pk_mov_b32 v[74:75], v[32:33], v[32:33] op_sel:[0,1]
	;; [unrolled: 2-line block ×9, first 2 shown]
	v_fmac_f64_e32 v[76:77], v[4:5], v[74:75]
	v_fma_f64 v[74:75], v[4:5], v[76:77], 1.0
	s_mov_b32 s0, 0xc4800000
	v_fma_f64 v[4:5], v[4:5], v[74:75], 1.0
	v_cvt_i32_f64_e32 v7, v[10:11]
	v_cmp_ngt_f32_e32 vcc, s0, v6
	s_mov_b32 s0, 0x44866000
	s_mov_b32 s13, s1
	v_ldexp_f64 v[4:5], v[4:5], v7
	v_cmp_nlt_f32_e64 s[0:1], s0, v6
	v_mov_b32_e32 v8, 0
	v_cndmask_b32_e32 v5, v93, v5, vcc
	s_and_b64 vcc, s[0:1], vcc
	v_writelane_b32 v134, s12, 20
	v_mov_b32_e32 v9, 0x3ff00000
	v_mov_b32_e32 v78, 0
	v_cndmask_b32_e64 v11, 0, v5, s[0:1]
	v_cndmask_b32_e32 v10, 0, v4, vcc
	s_mov_b32 s14, -1
	s_mov_b64 s[0:1], 0
	v_mov_b32_e32 v79, v17
	v_writelane_b32 v134, s13, 21
	s_branch .LBB98_50
.LBB98_49:                              ;   in Loop: Header=BB98_50 Depth=2
	s_or_b64 exec, exec, s[12:13]
	v_cmp_eq_u32_e32 vcc, 1, v15
	v_cndmask_b32_e32 v0, v0, v1, vcc
	v_cmp_eq_u32_e32 vcc, 2, v15
	v_cndmask_b32_e32 v0, v0, v2, vcc
	;; [unrolled: 2-line block ×6, first 2 shown]
	v_lshrrev_b32_e32 v0, 11, v0
	v_cvt_f64_u32_e32 v[0:1], v0
	v_ldexp_f64 v[0:1], v[0:1], 32
	v_cvt_f64_u32_e32 v[2:3], v2
	v_add_f64 v[0:1], v[0:1], v[2:3]
	v_mov_b32_e32 v2, 0
	v_mov_b32_e32 v3, 0x3ca00000
	v_fmac_f64_e32 v[2:3], 0x3ca00000, v[0:1]
	v_mul_f64 v[8:9], v[8:9], v[2:3]
	v_cmp_ngt_f64_e32 vcc, v[8:9], v[10:11]
	s_add_i32 s14, s14, 1
	s_or_b64 s[0:1], vcc, s[0:1]
	v_mov_b32_e32 v75, s14
	v_mov_b32_e32 v15, v81
	;; [unrolled: 1-line block ×6, first 2 shown]
	s_andn2_b64 exec, exec, s[0:1]
	s_cbranch_execz .LBB98_2
.LBB98_50:                              ;   Parent Loop BB98_5 Depth=1
                                        ; =>  This Inner Loop Header: Depth=2
	v_add_u32_e32 v80, 1, v15
	v_pk_mov_b32 v[6:7], v[2:3], v[2:3] op_sel:[0,1]
	v_cmp_eq_u32_e32 vcc, 4, v80
	v_pk_mov_b32 v[4:5], v[0:1], v[0:1] op_sel:[0,1]
	v_mov_b32_e32 v77, v0
	v_mov_b32_e32 v76, v1
	;; [unrolled: 1-line block ×4, first 2 shown]
	s_and_saveexec_b64 s[12:13], vcc
	s_cbranch_execz .LBB98_52
; %bb.51:                               ;   in Loop: Header=BB98_50 Depth=2
	v_add_co_u32_e32 v96, vcc, 1, v96
	v_cndmask_b32_e64 v4, 0, 1, vcc
	v_addc_co_u32_e32 v97, vcc, 0, v97, vcc
	v_cmp_eq_u32_e32 vcc, 0, v97
	v_cndmask_b32_e32 v4, 0, v4, vcc
	v_add_u32_e32 v79, v4, v79
	v_cmp_eq_u32_e32 vcc, 0, v79
	v_cndmask_b32_e32 v4, 0, v4, vcc
	v_add_u32_e32 v78, v4, v78
	v_mad_u64_u32 v[4:5], s[16:17], v96, s9, 0
	v_mad_u64_u32 v[6:7], s[16:17], v79, s8, 0
	v_xor_b32_e32 v5, v5, v73
	v_xor_b32_e32 v7, v7, v72
	v_xor_b32_e32 v5, v78, v5
	v_xor_b32_e32 v7, v97, v7
	v_mad_u64_u32 v[76:77], s[16:17], v5, s8, 0
	v_mad_u64_u32 v[74:75], s[16:17], v7, s9, 0
	v_xor_b32_e32 v5, v98, v77
	v_xor_b32_e32 v5, v5, v6
	v_xor_b32_e32 v6, v99, v75
	v_xor_b32_e32 v6, v6, v4
	;; [unrolled: 6-line block ×10, first 2 shown]
	v_mov_b32_e32 v80, 0
	v_mov_b32_e32 v5, v76
	;; [unrolled: 1-line block ×5, first 2 shown]
.LBB98_52:                              ;   in Loop: Header=BB98_50 Depth=2
	s_or_b64 exec, exec, s[12:13]
	v_add_u32_e32 v81, 1, v80
	v_cmp_eq_u32_e32 vcc, 4, v81
	s_and_saveexec_b64 s[12:13], vcc
	s_cbranch_execz .LBB98_49
; %bb.53:                               ;   in Loop: Header=BB98_50 Depth=2
	v_add_co_u32_e32 v96, vcc, 1, v96
	v_cndmask_b32_e64 v74, 0, 1, vcc
	v_addc_co_u32_e32 v97, vcc, 0, v97, vcc
	v_cmp_eq_u32_e32 vcc, 0, v97
	v_cndmask_b32_e32 v74, 0, v74, vcc
	v_add_u32_e32 v79, v74, v79
	v_cmp_eq_u32_e32 vcc, 0, v79
	v_cndmask_b32_e32 v74, 0, v74, vcc
	v_add_u32_e32 v78, v74, v78
	v_mad_u64_u32 v[74:75], s[16:17], v96, s9, 0
	v_mad_u64_u32 v[76:77], s[16:17], v79, s8, 0
	v_xor_b32_e32 v75, v75, v73
	v_xor_b32_e32 v77, v77, v72
	v_xor_b32_e32 v75, v78, v75
	v_xor_b32_e32 v77, v97, v77
	v_mad_u64_u32 v[84:85], s[16:17], v75, s8, 0
	v_mad_u64_u32 v[82:83], s[16:17], v77, s9, 0
	v_xor_b32_e32 v75, v98, v85
	v_xor_b32_e32 v75, v75, v76
	v_xor_b32_e32 v76, v99, v83
	v_xor_b32_e32 v76, v76, v74
	;; [unrolled: 6-line block ×9, first 2 shown]
	v_mad_u64_u32 v[74:75], s[16:17], v74, s9, 0
	v_mad_u64_u32 v[76:77], s[16:17], v76, s8, 0
	v_xor_b32_e32 v77, v77, v116
	v_xor_b32_e32 v75, v75, v86
	v_mov_b32_e32 v81, 0
	v_xor_b32_e32 v77, v104, v77
	v_xor_b32_e32 v82, v95, v75
	s_branch .LBB98_49
.LBB98_54:
	s_or_b64 exec, exec, s[18:19]
	s_and_saveexec_b64 s[0:1], s[34:35]
	s_xor_b64 s[0:1], exec, s[0:1]
	s_cbranch_execnz .LBB98_56
.LBB98_55:
	s_endpgm
.LBB98_56:
	s_trap 2
	; divergent unreachable
	s_endpgm
	.section	.rodata,"a",@progbits
	.p2align	6, 0x0
	.amdhsa_kernel _ZN2at4cuda12_GLOBAL__N_121kernelPointwiseApply2IZN12_GLOBAL__N_119poisson_cuda_kernelIN3c108BFloat16EEEvRKNS_10TensorBaseES9_NS_15PhiloxCudaStateEEUlRS6_RKS6_E_S6_S6_jLin1ELin1ELi1ELi512ELi2EEEvNS0_6detail10TensorInfoIT0_T2_EENSG_IT1_SI_EESI_T_
		.amdhsa_group_segment_fixed_size 0
		.amdhsa_private_segment_fixed_size 0
		.amdhsa_kernarg_size 728
		.amdhsa_user_sgpr_count 6
		.amdhsa_user_sgpr_private_segment_buffer 1
		.amdhsa_user_sgpr_dispatch_ptr 0
		.amdhsa_user_sgpr_queue_ptr 0
		.amdhsa_user_sgpr_kernarg_segment_ptr 1
		.amdhsa_user_sgpr_dispatch_id 0
		.amdhsa_user_sgpr_flat_scratch_init 0
		.amdhsa_user_sgpr_kernarg_preload_length 0
		.amdhsa_user_sgpr_kernarg_preload_offset 0
		.amdhsa_user_sgpr_private_segment_size 0
		.amdhsa_uses_dynamic_stack 0
		.amdhsa_system_sgpr_private_segment_wavefront_offset 0
		.amdhsa_system_sgpr_workgroup_id_x 1
		.amdhsa_system_sgpr_workgroup_id_y 0
		.amdhsa_system_sgpr_workgroup_id_z 0
		.amdhsa_system_sgpr_workgroup_info 0
		.amdhsa_system_vgpr_workitem_id 0
		.amdhsa_next_free_vgpr 135
		.amdhsa_next_free_sgpr 96
		.amdhsa_accum_offset 136
		.amdhsa_reserve_vcc 1
		.amdhsa_reserve_flat_scratch 0
		.amdhsa_float_round_mode_32 0
		.amdhsa_float_round_mode_16_64 0
		.amdhsa_float_denorm_mode_32 3
		.amdhsa_float_denorm_mode_16_64 3
		.amdhsa_dx10_clamp 1
		.amdhsa_ieee_mode 1
		.amdhsa_fp16_overflow 0
		.amdhsa_tg_split 0
		.amdhsa_exception_fp_ieee_invalid_op 0
		.amdhsa_exception_fp_denorm_src 0
		.amdhsa_exception_fp_ieee_div_zero 0
		.amdhsa_exception_fp_ieee_overflow 0
		.amdhsa_exception_fp_ieee_underflow 0
		.amdhsa_exception_fp_ieee_inexact 0
		.amdhsa_exception_int_div_zero 0
	.end_amdhsa_kernel
	.section	.text._ZN2at4cuda12_GLOBAL__N_121kernelPointwiseApply2IZN12_GLOBAL__N_119poisson_cuda_kernelIN3c108BFloat16EEEvRKNS_10TensorBaseES9_NS_15PhiloxCudaStateEEUlRS6_RKS6_E_S6_S6_jLin1ELin1ELi1ELi512ELi2EEEvNS0_6detail10TensorInfoIT0_T2_EENSG_IT1_SI_EESI_T_,"axG",@progbits,_ZN2at4cuda12_GLOBAL__N_121kernelPointwiseApply2IZN12_GLOBAL__N_119poisson_cuda_kernelIN3c108BFloat16EEEvRKNS_10TensorBaseES9_NS_15PhiloxCudaStateEEUlRS6_RKS6_E_S6_S6_jLin1ELin1ELi1ELi512ELi2EEEvNS0_6detail10TensorInfoIT0_T2_EENSG_IT1_SI_EESI_T_,comdat
.Lfunc_end98:
	.size	_ZN2at4cuda12_GLOBAL__N_121kernelPointwiseApply2IZN12_GLOBAL__N_119poisson_cuda_kernelIN3c108BFloat16EEEvRKNS_10TensorBaseES9_NS_15PhiloxCudaStateEEUlRS6_RKS6_E_S6_S6_jLin1ELin1ELi1ELi512ELi2EEEvNS0_6detail10TensorInfoIT0_T2_EENSG_IT1_SI_EESI_T_, .Lfunc_end98-_ZN2at4cuda12_GLOBAL__N_121kernelPointwiseApply2IZN12_GLOBAL__N_119poisson_cuda_kernelIN3c108BFloat16EEEvRKNS_10TensorBaseES9_NS_15PhiloxCudaStateEEUlRS6_RKS6_E_S6_S6_jLin1ELin1ELi1ELi512ELi2EEEvNS0_6detail10TensorInfoIT0_T2_EENSG_IT1_SI_EESI_T_
                                        ; -- End function
	.section	.AMDGPU.csdata,"",@progbits
; Kernel info:
; codeLenInByte = 13964
; NumSgprs: 100
; NumVgprs: 135
; NumAgprs: 0
; TotalNumVgprs: 135
; ScratchSize: 0
; MemoryBound: 0
; FloatMode: 240
; IeeeMode: 1
; LDSByteSize: 0 bytes/workgroup (compile time only)
; SGPRBlocks: 12
; VGPRBlocks: 16
; NumSGPRsForWavesPerEU: 100
; NumVGPRsForWavesPerEU: 135
; AccumOffset: 136
; Occupancy: 3
; WaveLimiterHint : 1
; COMPUTE_PGM_RSRC2:SCRATCH_EN: 0
; COMPUTE_PGM_RSRC2:USER_SGPR: 6
; COMPUTE_PGM_RSRC2:TRAP_HANDLER: 0
; COMPUTE_PGM_RSRC2:TGID_X_EN: 1
; COMPUTE_PGM_RSRC2:TGID_Y_EN: 0
; COMPUTE_PGM_RSRC2:TGID_Z_EN: 0
; COMPUTE_PGM_RSRC2:TIDIG_COMP_CNT: 0
; COMPUTE_PGM_RSRC3_GFX90A:ACCUM_OFFSET: 33
; COMPUTE_PGM_RSRC3_GFX90A:TG_SPLIT: 0
	.section	.text._ZN2at4cuda12_GLOBAL__N_121kernelPointwiseApply2IZN12_GLOBAL__N_119poisson_cuda_kernelIN3c108BFloat16EEEvRKNS_10TensorBaseES9_NS_15PhiloxCudaStateEEUlRS6_RKS6_E_S6_S6_mLi1ELi1ELi1ELi512ELi2EEEvNS0_6detail10TensorInfoIT0_T2_EENSG_IT1_SI_EESI_T_,"axG",@progbits,_ZN2at4cuda12_GLOBAL__N_121kernelPointwiseApply2IZN12_GLOBAL__N_119poisson_cuda_kernelIN3c108BFloat16EEEvRKNS_10TensorBaseES9_NS_15PhiloxCudaStateEEUlRS6_RKS6_E_S6_S6_mLi1ELi1ELi1ELi512ELi2EEEvNS0_6detail10TensorInfoIT0_T2_EENSG_IT1_SI_EESI_T_,comdat
	.globl	_ZN2at4cuda12_GLOBAL__N_121kernelPointwiseApply2IZN12_GLOBAL__N_119poisson_cuda_kernelIN3c108BFloat16EEEvRKNS_10TensorBaseES9_NS_15PhiloxCudaStateEEUlRS6_RKS6_E_S6_S6_mLi1ELi1ELi1ELi512ELi2EEEvNS0_6detail10TensorInfoIT0_T2_EENSG_IT1_SI_EESI_T_ ; -- Begin function _ZN2at4cuda12_GLOBAL__N_121kernelPointwiseApply2IZN12_GLOBAL__N_119poisson_cuda_kernelIN3c108BFloat16EEEvRKNS_10TensorBaseES9_NS_15PhiloxCudaStateEEUlRS6_RKS6_E_S6_S6_mLi1ELi1ELi1ELi512ELi2EEEvNS0_6detail10TensorInfoIT0_T2_EENSG_IT1_SI_EESI_T_
	.p2align	8
	.type	_ZN2at4cuda12_GLOBAL__N_121kernelPointwiseApply2IZN12_GLOBAL__N_119poisson_cuda_kernelIN3c108BFloat16EEEvRKNS_10TensorBaseES9_NS_15PhiloxCudaStateEEUlRS6_RKS6_E_S6_S6_mLi1ELi1ELi1ELi512ELi2EEEvNS0_6detail10TensorInfoIT0_T2_EENSG_IT1_SI_EESI_T_,@function
_ZN2at4cuda12_GLOBAL__N_121kernelPointwiseApply2IZN12_GLOBAL__N_119poisson_cuda_kernelIN3c108BFloat16EEEvRKNS_10TensorBaseES9_NS_15PhiloxCudaStateEEUlRS6_RKS6_E_S6_S6_mLi1ELi1ELi1ELi512ELi2EEEvNS0_6detail10TensorInfoIT0_T2_EENSG_IT1_SI_EESI_T_: ; @_ZN2at4cuda12_GLOBAL__N_121kernelPointwiseApply2IZN12_GLOBAL__N_119poisson_cuda_kernelIN3c108BFloat16EEEvRKNS_10TensorBaseES9_NS_15PhiloxCudaStateEEUlRS6_RKS6_E_S6_S6_mLi1ELi1ELi1ELi512ELi2EEEvNS0_6detail10TensorInfoIT0_T2_EENSG_IT1_SI_EESI_T_
; %bb.0:
	s_load_dword s2, s[4:5], 0x374
	s_load_dwordx8 s[8:15], s[4:5], 0x340
                                        ; implicit-def: $vgpr132 : SGPR spill to VGPR lane
	s_add_u32 s0, s4, 0x368
	s_addc_u32 s1, s5, 0
	v_mov_b32_e32 v13, 0
	s_waitcnt lgkmcnt(0)
	s_and_b32 s2, s2, 0xffff
	v_writelane_b32 v132, s8, 0
	v_writelane_b32 v132, s9, 1
	;; [unrolled: 1-line block ×4, first 2 shown]
	s_mul_i32 s6, s6, s2
	v_writelane_b32 v132, s12, 4
	v_add_u32_e32 v12, s6, v0
	v_writelane_b32 v132, s13, 5
	v_writelane_b32 v132, s14, 6
	v_cmp_gt_u64_e32 vcc, s[8:9], v[12:13]
	v_writelane_b32 v132, s15, 7
	s_and_saveexec_b64 s[6:7], vcc
	s_cbranch_execz .LBB99_46
; %bb.1:
	s_getpc_b64 s[6:7]
	s_add_u32 s6, s6, .str@rel32@lo+4
	s_addc_u32 s7, s7, .str@rel32@hi+12
	s_cmp_eq_u64 s[6:7], 0
	s_mov_b64 s[6:7], 0
	s_cbranch_scc1 .LBB99_47
; %bb.2:
	s_load_dword s3, s[4:5], 0x360
	s_load_dwordx2 s[8:9], s[4:5], 0x0
	s_mov_b32 s33, 0xcd9e8d57
                                        ; kill: killed $sgpr0 killed $sgpr1
	s_mov_b32 s14, 0
	s_mov_b32 s36, 0x55555555
	s_waitcnt lgkmcnt(0)
	s_bitcmp1_b32 s3, 0
	v_writelane_b32 v132, s8, 8
	v_writelane_b32 v132, s9, 9
	s_load_dwordx2 s[8:9], s[4:5], 0xd0
	s_mov_b32 s38, 0x6b47b09a
	s_mov_b32 s40, 0xbf559e2b
	;; [unrolled: 1-line block ×4, first 2 shown]
	s_waitcnt lgkmcnt(0)
	v_writelane_b32 v132, s8, 10
	v_writelane_b32 v132, s9, 11
	s_load_dwordx2 s[12:13], s[4:5], 0x1a0
	s_load_dwordx2 s[8:9], s[4:5], 0x270
	s_mov_b32 s46, 0x9b27acf1
	s_mov_b32 s48, 0x998ef7b6
	;; [unrolled: 1-line block ×4, first 2 shown]
	s_waitcnt lgkmcnt(0)
	v_writelane_b32 v132, s8, 12
	v_writelane_b32 v132, s9, 13
	s_load_dword s8, s[0:1], 0x0
	v_mad_u64_u32 v[14:15], s[0:1], v12, s33, 0
	s_mov_b32 s58, 0x652b82fe
	s_mov_b32 s64, 0x6a5dcb37
	s_waitcnt lgkmcnt(0)
	s_mul_i32 s0, s8, s2
	v_writelane_b32 v132, s0, 14
	s_cselect_b64 s[0:1], -1, 0
	v_cndmask_b32_e64 v0, 0, 1, s[0:1]
	v_cmp_ne_u32_e64 s[0:1], 1, v0
	v_writelane_b32 v132, s0, 15
	v_writelane_b32 v132, s1, 16
	;; [unrolled: 1-line block ×3, first 2 shown]
	s_mov_b32 s70, 0
	s_mov_b32 s72, 0x8f3faeef
	s_mov_b32 s74, 0
	v_pk_mov_b32 v[72:73], v[12:13], v[12:13] op_sel:[0,1]
	v_writelane_b32 v132, s13, 18
	v_mov_b32_e32 v13, s13
	s_mov_b32 s76, 0x4e4e324f
	s_mov_b32 s78, 0
	;; [unrolled: 1-line block ×9, first 2 shown]
	s_movk_i32 s12, 0xf950
	s_mov_b32 s66, 0xc864beb5
	s_mov_b32 s68, 0
	;; [unrolled: 1-line block ×4, first 2 shown]
	v_mov_b32_e32 v16, 0
	v_mov_b32_e32 v18, v15
	s_mov_b32 s8, 0xd2511f53
	s_mov_b32 s15, 0x40080000
	;; [unrolled: 1-line block ×12, first 2 shown]
	s_movk_i32 s11, 0x204
	s_mov_b32 s59, 0x3ff71547
	s_mov_b32 s61, 0xbfe62e42
	;; [unrolled: 1-line block ×7, first 2 shown]
	v_mov_b32_e32 v20, 0x6b47b09a
	v_mov_b32_e32 v22, 0xd7f4df2e
	;; [unrolled: 1-line block ×29, first 2 shown]
	s_mov_b32 s9, 0x5384540f
	v_mov_b32_e32 v91, 0x7ff80000
	v_mov_b32_e32 v92, 0xfff00000
	;; [unrolled: 1-line block ×29, first 2 shown]
	s_mov_b32 s10, 0xdb3d7428
	s_mov_b32 s77, 0x3ee4f051
	;; [unrolled: 1-line block ×14, first 2 shown]
	v_writelane_b32 v132, s0, 19
                                        ; kill: killed $sgpr4 killed $sgpr5
	v_writelane_b32 v132, s1, 20
                                        ; implicit-def: $sgpr94_sgpr95
                                        ; implicit-def: $sgpr20_sgpr21
                                        ; implicit-def: $sgpr16_sgpr17
	s_branch .LBB99_6
.LBB99_3:                               ;   in Loop: Header=BB99_6 Depth=1
	s_or_b64 exec, exec, s[18:19]
.LBB99_4:                               ;   in Loop: Header=BB99_6 Depth=1
	s_or_b64 exec, exec, s[4:5]
	v_readlane_b32 s4, v132, 10
	v_readlane_b32 s5, v132, 11
	v_mul_lo_u32 v2, v73, s4
	v_mul_lo_u32 v3, v72, s5
	v_mad_u64_u32 v[0:1], s[4:5], v72, s4, 0
	v_add3_u32 v1, v1, v3, v2
	v_cvt_f32_u32_e32 v3, v77
	v_cndmask_b32_e64 v1, 0, v1, s[2:3]
	v_cndmask_b32_e64 v0, 0, v0, s[2:3]
	v_readlane_b32 s2, v132, 8
	v_lshlrev_b64 v[0:1], 1, v[0:1]
	v_readlane_b32 s3, v132, 9
	v_mov_b32_e32 v2, s3
	v_add_co_u32_e32 v0, vcc, s2, v0
	v_addc_co_u32_e32 v1, vcc, v2, v1, vcc
	v_bfe_u32 v2, v3, 16, 1
	s_movk_i32 s2, 0x7fff
	v_add3_u32 v2, v3, v2, s2
	s_mov_b32 s2, 0
	global_store_short_d16_hi v[0:1], v2, off
	v_mov_b32_e32 v0, s2
	v_readlane_b32 s2, v132, 14
	v_add_co_u32_e32 v72, vcc, s2, v72
	v_readlane_b32 s24, v132, 0
	v_addc_co_u32_e32 v73, vcc, v73, v0, vcc
	v_readlane_b32 s25, v132, 1
	v_cmp_le_u64_e32 vcc, s[24:25], v[72:73]
	s_andn2_b64 s[2:3], s[20:21], exec
	s_and_b64 s[4:5], vcc, exec
	s_andn2_b64 s[16:17], s[16:17], exec
	s_or_b64 s[20:21], s[2:3], s[4:5]
	v_readlane_b32 s26, v132, 2
	v_readlane_b32 s27, v132, 3
	v_readlane_b32 s28, v132, 4
	v_readlane_b32 s29, v132, 5
	v_readlane_b32 s30, v132, 6
	v_readlane_b32 s31, v132, 7
.LBB99_5:                               ;   in Loop: Header=BB99_6 Depth=1
	s_or_b64 exec, exec, s[0:1]
	s_and_b64 s[0:1], exec, s[20:21]
	s_or_b64 s[6:7], s[0:1], s[6:7]
	s_andn2_b64 s[0:1], s[94:95], exec
	s_and_b64 s[2:3], s[16:17], exec
	s_or_b64 s[94:95], s[0:1], s[2:3]
	s_andn2_b64 exec, exec, s[6:7]
	s_cbranch_execz .LBB99_45
.LBB99_6:                               ; =>This Loop Header: Depth=1
                                        ;     Child Loop BB99_12 Depth 2
                                        ;     Child Loop BB99_41 Depth 2
	v_readlane_b32 s0, v132, 12
	v_readlane_b32 s24, v132, 0
	;; [unrolled: 1-line block ×3, first 2 shown]
	v_sub_u32_e32 v2, s24, v72
	v_mul_lo_u32 v3, v73, s0
	v_mul_lo_u32 v4, v72, s1
	v_mad_u64_u32 v[0:1], s[0:1], v72, s0, 0
	v_add3_u32 v1, v1, v4, v3
	v_cmp_lt_i32_e64 s[2:3], 0, v2
	v_cndmask_b32_e64 v1, 0, v1, s[2:3]
	v_cndmask_b32_e64 v0, 0, v0, s[2:3]
	v_lshlrev_b64 v[0:1], 1, v[0:1]
	v_readlane_b32 s0, v132, 17
	v_add_co_u32_e32 v0, vcc, s0, v0
	v_addc_co_u32_e32 v1, vcc, v13, v1, vcc
	global_load_ushort v0, v[0:1], off
	v_readlane_b32 s1, v132, 18
	s_or_b64 s[16:17], s[16:17], exec
	s_or_b64 s[20:21], s[20:21], exec
	v_readlane_b32 s25, v132, 1
	v_readlane_b32 s26, v132, 2
	;; [unrolled: 1-line block ×7, first 2 shown]
	s_waitcnt vmcnt(0)
	v_lshlrev_b32_e32 v6, 16, v0
	v_cmp_le_f32_e32 vcc, 0, v6
	s_and_saveexec_b64 s[0:1], vcc
	s_cbranch_execz .LBB99_5
; %bb.7:                                ;   in Loop: Header=BB99_6 Depth=1
	v_readlane_b32 s4, v132, 15
	v_readlane_b32 s24, v132, 0
	v_readlane_b32 s5, v132, 16
	v_readlane_b32 s26, v132, 2
	v_readlane_b32 s27, v132, 3
	v_readlane_b32 s28, v132, 4
	v_readlane_b32 s29, v132, 5
	s_and_b64 vcc, exec, s[4:5]
	v_pk_mov_b32 v[0:1], s[28:29], s[28:29] op_sel:[0,1]
	v_pk_mov_b32 v[74:75], s[26:27], s[26:27] op_sel:[0,1]
	v_readlane_b32 s25, v132, 1
	v_readlane_b32 s30, v132, 6
	;; [unrolled: 1-line block ×3, first 2 shown]
	s_cbranch_vccnz .LBB99_9
; %bb.8:                                ;   in Loop: Header=BB99_6 Depth=1
	v_readlane_b32 s24, v132, 0
	v_readlane_b32 s28, v132, 4
	;; [unrolled: 1-line block ×3, first 2 shown]
	v_pk_mov_b32 v[0:1], s[28:29], s[28:29] op_sel:[0,1]
	v_readlane_b32 s26, v132, 2
	v_readlane_b32 s27, v132, 3
	flat_load_dwordx2 v[0:1], v[0:1]
	v_pk_mov_b32 v[2:3], s[26:27], s[26:27] op_sel:[0,1]
	flat_load_dwordx2 v[74:75], v[2:3]
	v_readlane_b32 s30, v132, 6
	v_readlane_b32 s31, v132, 7
	v_mov_b32_e32 v2, s31
	v_readlane_b32 s25, v132, 1
	s_waitcnt vmcnt(0) lgkmcnt(0)
	v_add_co_u32_e32 v0, vcc, s30, v0
	v_addc_co_u32_e32 v1, vcc, v1, v2, vcc
.LBB99_9:                               ;   in Loop: Header=BB99_6 Depth=1
	v_alignbit_b32 v95, v1, v0, 2
	v_and_b32_e32 v17, 3, v0
	v_lshrrev_b32_e32 v96, 2, v1
	v_mad_u64_u32 v[0:1], s[4:5], v95, s8, 0
	v_xor_b32_e32 v3, v18, v74
	v_mov_b32_e32 v2, v75
	v_xor_b32_e32 v1, v1, v75
	s_mov_b32 s4, 0xbb67ae85
	v_xor_b32_e32 v3, v3, v96
	v_add_co_u32_e32 v98, vcc, s4, v2
	v_mad_u64_u32 v[4:5], s[4:5], v3, s8, 0
	v_mad_u64_u32 v[8:9], s[4:5], v1, s33, 0
	v_add_co_u32_e32 v97, vcc, 0x9e3779b9, v74
	v_xor_b32_e32 v1, v14, v9
	v_xor_b32_e32 v3, v98, v5
	s_mov_b32 s4, 0x3c6ef372
	v_xor_b32_e32 v1, v1, v97
	v_xor_b32_e32 v3, v3, v0
	v_add_co_u32_e32 v99, vcc, s4, v74
	s_mov_b32 s4, 0x76cf5d0a
	v_add_co_u32_e32 v100, vcc, s4, v2
	v_mad_u64_u32 v[0:1], s[4:5], v1, s8, 0
	v_mad_u64_u32 v[10:11], s[4:5], v3, s33, 0
	v_xor_b32_e32 v3, v99, v11
	v_xor_b32_e32 v1, v100, v1
	s_mov_b32 s4, 0xdaa66d2b
	v_xor_b32_e32 v3, v3, v8
	v_xor_b32_e32 v1, v1, v4
	v_add_co_u32_e32 v102, vcc, s4, v74
	s_mov_b32 s4, 0x32370b8f
	v_add_co_u32_e32 v104, vcc, s4, v2
	v_mad_u64_u32 v[4:5], s[4:5], v3, s8, 0
	v_mad_u64_u32 v[8:9], s[4:5], v1, s33, 0
	;; [unrolled: 10-line block ×5, first 2 shown]
	v_xor_b32_e32 v3, v109, v11
	v_xor_b32_e32 v1, v110, v1
	v_xor_b32_e32 v3, v3, v8
	v_xor_b32_e32 v1, v1, v4
	s_mov_b32 s4, 0x1fd5c5a3
	v_add_co_u32_e32 v111, vcc, s9, v74
	v_add_co_u32_e32 v112, vcc, s4, v2
	v_mad_u64_u32 v[4:5], s[4:5], v3, s8, 0
	v_mad_u64_u32 v[8:9], s[4:5], v1, s33, 0
	v_xor_b32_e32 v1, v111, v9
	v_xor_b32_e32 v3, v112, v5
	;; [unrolled: 1-line block ×4, first 2 shown]
	s_mov_b32 s4, 0xf1bbcdc8
	v_add_co_u32_e32 v101, vcc, s4, v74
	v_add_co_u32_e32 v113, vcc, s10, v2
	v_mad_u64_u32 v[2:3], s[4:5], v1, s8, 0
	v_mad_u64_u32 v[0:1], s[4:5], v0, s33, 0
	v_xor_b32_e32 v1, v101, v1
	v_xor_b32_e32 v3, v113, v3
	;; [unrolled: 1-line block ×4, first 2 shown]
	v_mad_u64_u32 v[4:5], s[4:5], v1, s8, 0
	v_mad_u64_u32 v[8:9], s[4:5], v7, s33, 0
	v_add_u32_e32 v103, 0x8ff34781, v74
	v_add_u32_e32 v94, 0x96a522ad, v75
	v_xor_b32_e32 v0, v9, v0
	v_xor_b32_e32 v2, v5, v2
	s_mov_b32 s4, 0x42800000
	v_mov_b32_e32 v3, v4
	v_mov_b32_e32 v1, v8
	v_xor_b32_e32 v0, v103, v0
	v_xor_b32_e32 v2, v94, v2
	v_cvt_f64_f32_e32 v[4:5], v6
	v_cmp_ngt_f32_e32 vcc, s4, v6
                                        ; implicit-def: $vgpr77
	s_and_saveexec_b64 s[4:5], vcc
	s_xor_b64 s[26:27], exec, s[4:5]
	s_cbranch_execz .LBB99_38
; %bb.10:                               ;   in Loop: Header=BB99_6 Depth=1
	s_mov_b32 s4, 0x457a0000
	v_cmp_ge_f32_e32 vcc, s4, v6
                                        ; implicit-def: $vgpr77
	s_and_saveexec_b64 s[4:5], vcc
	s_xor_b64 s[24:25], exec, s[4:5]
	s_cbranch_execz .LBB99_25
; %bb.11:                               ;   in Loop: Header=BB99_6 Depth=1
	s_mov_b32 s18, 0xae147ae1
	s_mov_b32 s19, 0xc00ae147
	v_div_scale_f64 v[6:7], s[4:5], v[4:5], v[4:5], s[18:19]
	v_rcp_f64_e32 v[8:9], v[6:7]
	s_mov_b32 s4, 0
	v_mul_f64 v[78:79], v[4:5], s[14:15]
	s_brev_b32 s5, 8
	v_cmp_gt_f64_e64 s[4:5], s[4:5], v[78:79]
	v_cndmask_b32_e64 v80, 0, 1, s[4:5]
	v_fma_f64 v[76:77], -v[6:7], v[8:9], 1.0
	v_lshlrev_b32_e32 v80, 8, v80
	v_fmac_f64_e32 v[8:9], v[8:9], v[76:77]
	v_ldexp_f64 v[78:79], v[78:79], v80
	v_fma_f64 v[76:77], -v[6:7], v[8:9], 1.0
	v_rsq_f64_e32 v[80:81], v[78:79]
	v_div_scale_f64 v[10:11], vcc, s[18:19], v[4:5], s[18:19]
	v_fmac_f64_e32 v[8:9], v[8:9], v[76:77]
	v_mul_f64 v[76:77], v[10:11], v[8:9]
	v_fma_f64 v[6:7], -v[6:7], v[76:77], v[10:11]
	s_nop 0
	v_div_fmas_f64 v[6:7], v[6:7], v[8:9], v[76:77]
	v_mul_f64 v[8:9], v[78:79], v[80:81]
	v_mul_f64 v[10:11], v[80:81], 0.5
	v_fma_f64 v[76:77], -v[10:11], v[8:9], 0.5
	v_fmac_f64_e32 v[8:9], v[8:9], v[76:77]
	v_fma_f64 v[80:81], -v[8:9], v[8:9], v[78:79]
	v_fmac_f64_e32 v[10:11], v[10:11], v[76:77]
	v_fmac_f64_e32 v[8:9], v[80:81], v[10:11]
	v_fma_f64 v[76:77], -v[8:9], v[8:9], v[78:79]
	v_fmac_f64_e32 v[8:9], v[76:77], v[10:11]
	v_cndmask_b32_e64 v10, 0, v19, s[4:5]
	v_ldexp_f64 v[8:9], v[8:9], v10
	v_cmp_class_f64_e32 vcc, v[78:79], v15
	s_mov_b32 s22, 0x54442d18
	v_cndmask_b32_e32 v9, v9, v79, vcc
	v_cndmask_b32_e32 v8, v8, v78, vcc
	s_mov_b32 s23, 0x400921fb
	v_div_scale_f64 v[10:11], s[4:5], v[8:9], v[8:9], s[22:23]
	v_rcp_f64_e32 v[78:79], v[10:11]
	s_mov_b32 s4, 0x95810625
	v_div_fixup_f64 v[6:7], v[6:7], v[4:5], s[18:19]
	s_mov_b32 s5, 0x3fe88b43
	v_fma_f64 v[80:81], -v[10:11], v[78:79], 1.0
	v_fmac_f64_e32 v[78:79], v[78:79], v[80:81]
	v_fma_f64 v[80:81], -v[10:11], v[78:79], 1.0
	v_fmac_f64_e32 v[78:79], v[78:79], v[80:81]
	v_div_scale_f64 v[80:81], vcc, s[22:23], v[8:9], s[22:23]
	v_mul_f64 v[82:83], v[80:81], v[78:79]
	v_fma_f64 v[10:11], -v[10:11], v[82:83], v[80:81]
	v_add_f64 v[6:7], v[6:7], s[4:5]
	s_nop 0
	v_div_fmas_f64 v[10:11], v[10:11], v[78:79], v[82:83]
	v_div_fixup_f64 v[78:79], v[10:11], v[8:9], s[22:23]
	v_frexp_mant_f64_e32 v[8:9], v[6:7]
	v_cmp_gt_f64_e32 vcc, s[36:37], v[8:9]
	v_mov_b32_e32 v76, 0
	v_cndmask_b32_e64 v77, v90, 2.0, vcc
	v_frexp_exp_i32_f64_e32 v10, v[6:7]
	v_mul_f64 v[8:9], v[8:9], v[76:77]
	v_subbrev_co_u32_e32 v77, vcc, 0, v10, vcc
	v_add_f64 v[10:11], v[8:9], 1.0
	v_rcp_f64_e32 v[82:83], v[10:11]
	v_add_f64 v[86:87], v[10:11], -1.0
	v_add_f64 v[84:85], v[8:9], -1.0
	v_add_f64 v[8:9], v[8:9], -v[86:87]
	v_fma_f64 v[86:87], -v[10:11], v[82:83], 1.0
	v_fmac_f64_e32 v[82:83], v[86:87], v[82:83]
	v_fma_f64 v[86:87], -v[10:11], v[82:83], 1.0
	v_fmac_f64_e32 v[82:83], v[86:87], v[82:83]
	v_mul_f64 v[86:87], v[84:85], v[82:83]
	v_mul_f64 v[88:89], v[10:11], v[86:87]
	v_fma_f64 v[10:11], v[86:87], v[10:11], -v[88:89]
	v_fmac_f64_e32 v[10:11], v[86:87], v[8:9]
	v_add_f64 v[8:9], v[88:89], v[10:11]
	v_add_f64 v[114:115], v[84:85], -v[8:9]
	v_add_f64 v[88:89], v[8:9], -v[88:89]
	;; [unrolled: 1-line block ×5, first 2 shown]
	v_add_f64 v[8:9], v[10:11], v[8:9]
	v_add_f64 v[8:9], v[114:115], v[8:9]
	v_mul_f64 v[8:9], v[82:83], v[8:9]
	v_add_f64 v[10:11], v[86:87], v[8:9]
	v_add_f64 v[82:83], v[10:11], -v[86:87]
	v_add_f64 v[8:9], v[8:9], -v[82:83]
	v_mul_f64 v[82:83], v[10:11], v[10:11]
	v_pk_mov_b32 v[84:85], s[38:39], s[38:39] op_sel:[0,1]
	v_fma_f64 v[86:87], s[40:41], v[82:83], v[84:85]
	v_fma_f64 v[86:87], v[82:83], v[86:87], s[42:43]
	;; [unrolled: 1-line block ×5, first 2 shown]
	s_mov_b32 s51, s37
	v_fma_f64 v[86:87], v[82:83], v[86:87], s[50:51]
	v_ldexp_f64 v[88:89], v[10:11], 1
	v_mul_f64 v[10:11], v[10:11], v[82:83]
	v_mul_f64 v[10:11], v[10:11], v[86:87]
	v_add_f64 v[82:83], v[88:89], v[10:11]
	v_add_f64 v[86:87], v[82:83], -v[88:89]
	v_ldexp_f64 v[8:9], v[8:9], 1
	v_add_f64 v[10:11], v[10:11], -v[86:87]
	v_add_f64 v[8:9], v[8:9], v[10:11]
	v_add_f64 v[10:11], v[82:83], v[8:9]
	v_add_f64 v[82:83], v[10:11], -v[82:83]
	v_add_f64 v[8:9], v[8:9], -v[82:83]
	v_cvt_f64_i32_e32 v[82:83], v77
	v_mul_f64 v[86:87], v[82:83], s[52:53]
	v_fma_f64 v[88:89], v[82:83], s[52:53], -v[86:87]
	v_fmac_f64_e32 v[88:89], s[54:55], v[82:83]
	v_add_f64 v[82:83], v[86:87], v[88:89]
	v_add_f64 v[86:87], v[82:83], -v[86:87]
	v_add_f64 v[86:87], v[88:89], -v[86:87]
	v_add_f64 v[88:89], v[82:83], v[10:11]
	v_add_f64 v[114:115], v[88:89], -v[82:83]
	v_add_f64 v[116:117], v[88:89], -v[114:115]
	;; [unrolled: 1-line block ×4, first 2 shown]
	v_add_f64 v[10:11], v[10:11], v[82:83]
	v_add_f64 v[82:83], v[86:87], v[8:9]
	v_add_f64 v[114:115], v[82:83], -v[86:87]
	v_add_f64 v[116:117], v[82:83], -v[114:115]
	v_add_f64 v[10:11], v[82:83], v[10:11]
	v_add_f64 v[86:87], v[86:87], -v[116:117]
	v_add_f64 v[8:9], v[8:9], -v[114:115]
	v_add_f64 v[82:83], v[88:89], v[10:11]
	v_add_f64 v[8:9], v[8:9], v[86:87]
	v_add_f64 v[86:87], v[82:83], -v[88:89]
	v_add_f64 v[10:11], v[10:11], -v[86:87]
	v_add_f64 v[8:9], v[8:9], v[10:11]
	v_add_f64 v[8:9], v[82:83], v[8:9]
	v_cmp_class_f64_e64 vcc, v[6:7], s11
	v_cndmask_b32_e32 v8, v8, v6, vcc
	v_cndmask_b32_e32 v9, v9, v7, vcc
	v_cmp_ngt_f64_e32 vcc, 0, v[6:7]
	v_cndmask_b32_e32 v9, v91, v9, vcc
	v_cmp_nge_f64_e32 vcc, 0, v[6:7]
	v_cndmask_b32_e32 v8, 0, v8, vcc
	v_cmp_neq_f64_e32 vcc, 0, v[6:7]
	v_cndmask_b32_e32 v9, v92, v9, vcc
	v_add_f64 v[6:7], v[8:9], -v[4:5]
	v_frexp_mant_f64_e32 v[8:9], v[78:79]
	v_cmp_gt_f64_e32 vcc, s[36:37], v[8:9]
	v_cndmask_b32_e64 v77, v90, 2.0, vcc
	v_frexp_exp_i32_f64_e32 v10, v[78:79]
	v_mul_f64 v[8:9], v[8:9], v[76:77]
	v_subbrev_co_u32_e32 v77, vcc, 0, v10, vcc
	v_add_f64 v[10:11], v[8:9], 1.0
	v_rcp_f64_e32 v[82:83], v[10:11]
	v_add_f64 v[88:89], v[10:11], -1.0
	v_add_f64 v[86:87], v[8:9], -1.0
	v_add_f64 v[8:9], v[8:9], -v[88:89]
	v_fma_f64 v[88:89], -v[10:11], v[82:83], 1.0
	v_fmac_f64_e32 v[82:83], v[88:89], v[82:83]
	v_fma_f64 v[88:89], -v[10:11], v[82:83], 1.0
	v_fmac_f64_e32 v[82:83], v[88:89], v[82:83]
	v_mul_f64 v[88:89], v[86:87], v[82:83]
	v_mul_f64 v[114:115], v[10:11], v[88:89]
	v_fma_f64 v[10:11], v[88:89], v[10:11], -v[114:115]
	v_fmac_f64_e32 v[10:11], v[88:89], v[8:9]
	v_add_f64 v[8:9], v[114:115], v[10:11]
	v_add_f64 v[116:117], v[86:87], -v[8:9]
	v_add_f64 v[114:115], v[8:9], -v[114:115]
	v_add_f64 v[86:87], v[86:87], -v[116:117]
	v_add_f64 v[8:9], v[86:87], -v[8:9]
	v_add_f64 v[10:11], v[114:115], -v[10:11]
	v_add_f64 v[8:9], v[10:11], v[8:9]
	v_add_f64 v[8:9], v[116:117], v[8:9]
	v_mul_f64 v[8:9], v[82:83], v[8:9]
	v_add_f64 v[10:11], v[88:89], v[8:9]
	v_add_f64 v[82:83], v[10:11], -v[88:89]
	v_add_f64 v[8:9], v[8:9], -v[82:83]
	v_mul_f64 v[82:83], v[10:11], v[10:11]
	v_fma_f64 v[86:87], s[40:41], v[82:83], v[84:85]
	v_fma_f64 v[86:87], v[82:83], v[86:87], s[42:43]
	;; [unrolled: 1-line block ×6, first 2 shown]
	v_ldexp_f64 v[88:89], v[10:11], 1
	v_mul_f64 v[10:11], v[10:11], v[82:83]
	v_mul_f64 v[10:11], v[10:11], v[86:87]
	v_add_f64 v[82:83], v[88:89], v[10:11]
	v_add_f64 v[86:87], v[82:83], -v[88:89]
	v_ldexp_f64 v[8:9], v[8:9], 1
	v_add_f64 v[10:11], v[10:11], -v[86:87]
	v_add_f64 v[8:9], v[8:9], v[10:11]
	v_add_f64 v[10:11], v[82:83], v[8:9]
	v_add_f64 v[82:83], v[10:11], -v[82:83]
	v_add_f64 v[8:9], v[8:9], -v[82:83]
	v_cvt_f64_i32_e32 v[82:83], v77
	v_mul_f64 v[86:87], v[82:83], s[52:53]
	v_fma_f64 v[88:89], v[82:83], s[52:53], -v[86:87]
	v_fmac_f64_e32 v[88:89], s[54:55], v[82:83]
	v_add_f64 v[82:83], v[86:87], v[88:89]
	v_add_f64 v[86:87], v[82:83], -v[86:87]
	v_add_f64 v[86:87], v[88:89], -v[86:87]
	v_add_f64 v[88:89], v[82:83], v[10:11]
	v_add_f64 v[114:115], v[88:89], -v[82:83]
	v_add_f64 v[116:117], v[88:89], -v[114:115]
	;; [unrolled: 1-line block ×4, first 2 shown]
	v_add_f64 v[10:11], v[10:11], v[82:83]
	v_add_f64 v[82:83], v[86:87], v[8:9]
	v_add_f64 v[114:115], v[82:83], -v[86:87]
	v_add_f64 v[116:117], v[82:83], -v[114:115]
	v_add_f64 v[10:11], v[82:83], v[10:11]
	v_add_f64 v[86:87], v[86:87], -v[116:117]
	v_add_f64 v[8:9], v[8:9], -v[114:115]
	v_add_f64 v[82:83], v[88:89], v[10:11]
	v_add_f64 v[8:9], v[8:9], v[86:87]
	v_add_f64 v[86:87], v[82:83], -v[88:89]
	v_add_f64 v[10:11], v[10:11], -v[86:87]
	s_mov_b32 s4, 0
	v_add_f64 v[8:9], v[8:9], v[10:11]
	s_mov_b32 s5, 0x7ff00000
	v_add_f64 v[8:9], v[82:83], v[8:9]
	v_cmp_eq_f64_e32 vcc, s[4:5], v[78:79]
	v_cndmask_b32_e32 v8, v8, v78, vcc
	v_cndmask_b32_e32 v9, v9, v79, vcc
	v_cmp_neq_f64_e32 vcc, 0, v[78:79]
	v_cndmask_b32_e32 v9, v92, v9, vcc
	v_cndmask_b32_e32 v8, 0, v8, vcc
	v_mul_f64 v[80:81], v[78:79], v[4:5]
	v_add_f64 v[82:83], v[6:7], -v[8:9]
	v_frexp_exp_i32_f64_e32 v6, v[4:5]
	v_frexp_mant_f64_e32 v[4:5], v[4:5]
	v_cmp_gt_f64_e32 vcc, s[36:37], v[4:5]
	v_cndmask_b32_e64 v77, v90, 2.0, vcc
	v_mul_f64 v[4:5], v[4:5], v[76:77]
	v_subbrev_co_u32_e32 v77, vcc, 0, v6, vcc
	v_add_f64 v[6:7], v[4:5], 1.0
	v_rcp_f64_e32 v[8:9], v[6:7]
	v_add_f64 v[86:87], v[6:7], -1.0
	v_add_f64 v[10:11], v[4:5], -1.0
	v_add_f64 v[4:5], v[4:5], -v[86:87]
	v_fma_f64 v[86:87], -v[6:7], v[8:9], 1.0
	v_fmac_f64_e32 v[8:9], v[86:87], v[8:9]
	v_fma_f64 v[86:87], -v[6:7], v[8:9], 1.0
	v_fmac_f64_e32 v[8:9], v[86:87], v[8:9]
	v_mul_f64 v[86:87], v[10:11], v[8:9]
	v_mul_f64 v[88:89], v[6:7], v[86:87]
	v_fma_f64 v[6:7], v[86:87], v[6:7], -v[88:89]
	v_fmac_f64_e32 v[6:7], v[86:87], v[4:5]
	v_add_f64 v[4:5], v[88:89], v[6:7]
	v_add_f64 v[114:115], v[10:11], -v[4:5]
	v_add_f64 v[88:89], v[4:5], -v[88:89]
	;; [unrolled: 1-line block ×5, first 2 shown]
	v_add_f64 v[4:5], v[6:7], v[4:5]
	v_add_f64 v[4:5], v[114:115], v[4:5]
	v_mul_f64 v[4:5], v[8:9], v[4:5]
	v_add_f64 v[6:7], v[86:87], v[4:5]
	v_add_f64 v[8:9], v[6:7], -v[86:87]
	v_add_f64 v[4:5], v[4:5], -v[8:9]
	v_mul_f64 v[8:9], v[6:7], v[6:7]
	v_fmac_f64_e32 v[84:85], s[40:41], v[8:9]
	v_fma_f64 v[10:11], v[8:9], v[84:85], s[42:43]
	v_fma_f64 v[10:11], v[8:9], v[10:11], s[44:45]
	;; [unrolled: 1-line block ×5, first 2 shown]
	v_ldexp_f64 v[84:85], v[6:7], 1
	v_mul_f64 v[6:7], v[6:7], v[8:9]
	v_mul_f64 v[6:7], v[6:7], v[10:11]
	v_add_f64 v[8:9], v[84:85], v[6:7]
	v_add_f64 v[10:11], v[8:9], -v[84:85]
	v_ldexp_f64 v[4:5], v[4:5], 1
	v_add_f64 v[6:7], v[6:7], -v[10:11]
	v_add_f64 v[4:5], v[4:5], v[6:7]
	v_add_f64 v[6:7], v[8:9], v[4:5]
	v_add_f64 v[8:9], v[6:7], -v[8:9]
	v_add_f64 v[4:5], v[4:5], -v[8:9]
	v_cvt_f64_i32_e32 v[8:9], v77
	v_mul_f64 v[10:11], v[8:9], s[52:53]
	v_fma_f64 v[84:85], v[8:9], s[52:53], -v[10:11]
	v_fmac_f64_e32 v[84:85], s[54:55], v[8:9]
	v_add_f64 v[8:9], v[10:11], v[84:85]
	v_add_f64 v[10:11], v[8:9], -v[10:11]
	v_add_f64 v[10:11], v[84:85], -v[10:11]
	v_add_f64 v[84:85], v[8:9], v[6:7]
	v_add_f64 v[86:87], v[84:85], -v[8:9]
	v_add_f64 v[88:89], v[84:85], -v[86:87]
	;; [unrolled: 1-line block ×4, first 2 shown]
	v_add_f64 v[6:7], v[6:7], v[8:9]
	v_add_f64 v[8:9], v[10:11], v[4:5]
	v_add_f64 v[86:87], v[8:9], -v[10:11]
	v_add_f64 v[88:89], v[8:9], -v[86:87]
	v_add_f64 v[6:7], v[8:9], v[6:7]
	v_add_f64 v[10:11], v[10:11], -v[88:89]
	v_add_f64 v[4:5], v[4:5], -v[86:87]
	v_add_f64 v[8:9], v[84:85], v[6:7]
	v_add_f64 v[4:5], v[4:5], v[10:11]
	v_add_f64 v[10:11], v[8:9], -v[84:85]
	v_add_f64 v[6:7], v[6:7], -v[10:11]
	v_add_f64 v[4:5], v[4:5], v[6:7]
	v_add_f64 v[84:85], v[8:9], v[4:5]
	s_mov_b64 s[56:57], 0
	s_mov_b64 s[18:19], 0
	v_mov_b32_e32 v114, v12
                                        ; implicit-def: $vgpr77
.LBB99_12:                              ;   Parent Loop BB99_6 Depth=1
                                        ; =>  This Inner Loop Header: Depth=2
	v_add_u32_e32 v115, 1, v17
	v_pk_mov_b32 v[10:11], v[2:3], v[2:3] op_sel:[0,1]
	v_cmp_eq_u32_e32 vcc, 4, v115
	v_pk_mov_b32 v[8:9], v[0:1], v[0:1] op_sel:[0,1]
	v_mov_b32_e32 v89, v0
	v_mov_b32_e32 v88, v1
	v_mov_b32_e32 v87, v2
	v_mov_b32_e32 v86, v3
	s_and_saveexec_b64 s[4:5], vcc
	s_cbranch_execz .LBB99_14
; %bb.13:                               ;   in Loop: Header=BB99_12 Depth=2
	v_add_co_u32_e32 v95, vcc, 1, v95
	v_cndmask_b32_e64 v4, 0, 1, vcc
	v_addc_co_u32_e32 v96, vcc, 0, v96, vcc
	v_cmp_eq_u32_e32 vcc, 0, v96
	v_cndmask_b32_e32 v4, 0, v4, vcc
	v_add_u32_e32 v114, v4, v114
	v_cmp_eq_u32_e32 vcc, 0, v114
	v_cndmask_b32_e32 v4, 0, v4, vcc
	v_add_u32_e32 v76, v4, v76
	v_mad_u64_u32 v[4:5], s[22:23], v95, s8, 0
	v_mad_u64_u32 v[6:7], s[22:23], v114, s33, 0
	v_xor_b32_e32 v5, v5, v75
	v_xor_b32_e32 v7, v7, v74
	v_xor_b32_e32 v5, v76, v5
	v_xor_b32_e32 v7, v96, v7
	v_mad_u64_u32 v[10:11], s[22:23], v5, s33, 0
	v_mad_u64_u32 v[8:9], s[22:23], v7, s8, 0
	v_xor_b32_e32 v5, v97, v11
	v_xor_b32_e32 v5, v5, v6
	v_xor_b32_e32 v6, v98, v9
	v_xor_b32_e32 v6, v6, v4
	;; [unrolled: 6-line block ×10, first 2 shown]
	v_mov_b32_e32 v115, 0
	v_mov_b32_e32 v9, v88
	;; [unrolled: 1-line block ×5, first 2 shown]
.LBB99_14:                              ;   in Loop: Header=BB99_12 Depth=2
	s_or_b64 exec, exec, s[4:5]
	v_add_u32_e32 v116, 1, v115
	v_pk_mov_b32 v[4:5], v[8:9], v[8:9] op_sel:[0,1]
	v_cmp_eq_u32_e32 vcc, 4, v116
	v_pk_mov_b32 v[6:7], v[10:11], v[10:11] op_sel:[0,1]
	s_and_saveexec_b64 s[4:5], vcc
	s_cbranch_execz .LBB99_16
; %bb.15:                               ;   in Loop: Header=BB99_12 Depth=2
	v_add_co_u32_e32 v95, vcc, 1, v95
	v_cndmask_b32_e64 v4, 0, 1, vcc
	v_addc_co_u32_e32 v96, vcc, 0, v96, vcc
	v_cmp_eq_u32_e32 vcc, 0, v96
	v_cndmask_b32_e32 v4, 0, v4, vcc
	v_add_u32_e32 v114, v4, v114
	v_cmp_eq_u32_e32 vcc, 0, v114
	v_cndmask_b32_e32 v4, 0, v4, vcc
	v_add_u32_e32 v76, v4, v76
	v_mad_u64_u32 v[4:5], s[22:23], v95, s8, 0
	v_mad_u64_u32 v[6:7], s[22:23], v114, s33, 0
	v_xor_b32_e32 v5, v5, v75
	v_xor_b32_e32 v7, v7, v74
	v_xor_b32_e32 v5, v76, v5
	v_xor_b32_e32 v7, v96, v7
	v_mad_u64_u32 v[88:89], s[22:23], v5, s33, 0
	v_mad_u64_u32 v[86:87], s[22:23], v7, s8, 0
	v_xor_b32_e32 v5, v97, v89
	v_xor_b32_e32 v5, v5, v6
	v_xor_b32_e32 v6, v98, v87
	v_xor_b32_e32 v6, v6, v4
	;; [unrolled: 6-line block ×10, first 2 shown]
	v_mov_b32_e32 v116, 0
	v_mov_b32_e32 v5, v88
	;; [unrolled: 1-line block ×5, first 2 shown]
.LBB99_16:                              ;   in Loop: Header=BB99_12 Depth=2
	s_or_b64 exec, exec, s[4:5]
	v_cmp_eq_u32_e32 vcc, 1, v17
	v_cndmask_b32_e32 v0, v0, v1, vcc
	v_cmp_eq_u32_e32 vcc, 2, v17
	v_cndmask_b32_e32 v0, v0, v2, vcc
	;; [unrolled: 2-line block ×6, first 2 shown]
	v_lshrrev_b32_e32 v0, 11, v0
	v_cvt_f64_u32_e32 v[0:1], v0
	v_ldexp_f64 v[0:1], v[0:1], 32
	v_cvt_f64_u32_e32 v[2:3], v2
	v_add_f64 v[0:1], v[0:1], v[2:3]
	v_mov_b32_e32 v2, 0
	v_mov_b32_e32 v3, 0x3ca00000
	v_fmac_f64_e32 v[2:3], 0x3ca00000, v[0:1]
	v_add_f64 v[0:1], -v[2:3], 1.0
	v_div_scale_f64 v[8:9], s[4:5], v[2:3], v[2:3], v[0:1]
	v_rcp_f64_e32 v[10:11], v[8:9]
	v_mov_b32_e32 v117, 2
	v_fma_f64 v[118:119], -v[8:9], v[10:11], 1.0
	v_fmac_f64_e32 v[10:11], v[10:11], v[118:119]
	v_fma_f64 v[118:119], -v[8:9], v[10:11], 1.0
	v_fmac_f64_e32 v[10:11], v[10:11], v[118:119]
	v_div_scale_f64 v[118:119], vcc, v[0:1], v[2:3], v[0:1]
	v_mul_f64 v[120:121], v[118:119], v[10:11]
	v_fma_f64 v[8:9], -v[8:9], v[120:121], v[118:119]
	s_nop 1
	v_div_fmas_f64 v[8:9], v[8:9], v[10:11], v[120:121]
	v_div_fixup_f64 v[0:1], v[8:9], v[2:3], v[0:1]
	v_frexp_mant_f64_e32 v[2:3], v[0:1]
	v_cmp_gt_f64_e32 vcc, s[36:37], v[2:3]
	v_cndmask_b32_e64 v17, v90, 2.0, vcc
	v_frexp_exp_i32_f64_e32 v8, v[0:1]
	v_mul_f64 v[2:3], v[2:3], v[16:17]
	v_subbrev_co_u32_e32 v17, vcc, 0, v8, vcc
	v_add_f64 v[8:9], v[2:3], 1.0
	v_rcp_f64_e32 v[10:11], v[8:9]
	v_add_f64 v[120:121], v[8:9], -1.0
	v_add_f64 v[118:119], v[2:3], -1.0
	v_add_f64 v[2:3], v[2:3], -v[120:121]
	v_fma_f64 v[120:121], -v[8:9], v[10:11], 1.0
	v_fmac_f64_e32 v[10:11], v[120:121], v[10:11]
	v_fma_f64 v[120:121], -v[8:9], v[10:11], 1.0
	v_fmac_f64_e32 v[10:11], v[120:121], v[10:11]
	v_mul_f64 v[120:121], v[118:119], v[10:11]
	v_mul_f64 v[122:123], v[8:9], v[120:121]
	v_fma_f64 v[8:9], v[120:121], v[8:9], -v[122:123]
	v_fmac_f64_e32 v[8:9], v[120:121], v[2:3]
	v_add_f64 v[2:3], v[122:123], v[8:9]
	v_add_f64 v[124:125], v[118:119], -v[2:3]
	v_add_f64 v[122:123], v[2:3], -v[122:123]
	;; [unrolled: 1-line block ×5, first 2 shown]
	v_add_f64 v[2:3], v[8:9], v[2:3]
	v_add_f64 v[2:3], v[124:125], v[2:3]
	v_mul_f64 v[2:3], v[10:11], v[2:3]
	v_add_f64 v[8:9], v[120:121], v[2:3]
	v_add_f64 v[10:11], v[8:9], -v[120:121]
	v_add_f64 v[2:3], v[2:3], -v[10:11]
	v_mul_f64 v[10:11], v[8:9], v[8:9]
	v_pk_mov_b32 v[118:119], v[20:21], v[20:21] op_sel:[0,1]
	v_fmac_f64_e32 v[118:119], s[40:41], v[10:11]
	v_pk_mov_b32 v[120:121], v[22:23], v[22:23] op_sel:[0,1]
	v_fmac_f64_e32 v[120:121], v[10:11], v[118:119]
	;; [unrolled: 2-line block ×6, first 2 shown]
	v_ldexp_f64 v[118:119], v[8:9], 1
	v_mul_f64 v[8:9], v[8:9], v[10:11]
	v_mul_f64 v[8:9], v[8:9], v[120:121]
	v_add_f64 v[10:11], v[118:119], v[8:9]
	v_add_f64 v[118:119], v[10:11], -v[118:119]
	v_ldexp_f64 v[2:3], v[2:3], 1
	v_add_f64 v[8:9], v[8:9], -v[118:119]
	v_add_f64 v[2:3], v[2:3], v[8:9]
	v_add_f64 v[8:9], v[10:11], v[2:3]
	v_add_f64 v[10:11], v[8:9], -v[10:11]
	v_add_f64 v[2:3], v[2:3], -v[10:11]
	v_cvt_f64_i32_e32 v[10:11], v17
	v_mul_f64 v[118:119], v[10:11], s[52:53]
	v_fma_f64 v[120:121], v[10:11], s[52:53], -v[118:119]
	v_fmac_f64_e32 v[120:121], s[54:55], v[10:11]
	v_add_f64 v[10:11], v[118:119], v[120:121]
	v_add_f64 v[118:119], v[10:11], -v[118:119]
	v_add_f64 v[118:119], v[120:121], -v[118:119]
	v_add_f64 v[120:121], v[10:11], v[8:9]
	v_add_f64 v[122:123], v[120:121], -v[10:11]
	v_add_f64 v[124:125], v[120:121], -v[122:123]
	;; [unrolled: 1-line block ×4, first 2 shown]
	v_add_f64 v[8:9], v[8:9], v[10:11]
	v_add_f64 v[10:11], v[118:119], v[2:3]
	v_add_f64 v[122:123], v[10:11], -v[118:119]
	v_add_f64 v[124:125], v[10:11], -v[122:123]
	v_add_f64 v[8:9], v[10:11], v[8:9]
	v_add_f64 v[118:119], v[118:119], -v[124:125]
	v_add_f64 v[2:3], v[2:3], -v[122:123]
	v_add_f64 v[10:11], v[120:121], v[8:9]
	v_add_f64 v[2:3], v[2:3], v[118:119]
	v_add_f64 v[118:119], v[10:11], -v[120:121]
	v_add_f64 v[8:9], v[8:9], -v[118:119]
	v_add_f64 v[2:3], v[2:3], v[8:9]
	v_add_f64 v[2:3], v[10:11], v[2:3]
	v_cmp_class_f64_e64 vcc, v[0:1], s11
	v_cndmask_b32_e32 v2, v2, v0, vcc
	v_cndmask_b32_e32 v3, v3, v1, vcc
	v_cmp_ngt_f64_e32 vcc, 0, v[0:1]
	v_cndmask_b32_e32 v3, v91, v3, vcc
	v_cmp_nge_f64_e32 vcc, 0, v[0:1]
	v_cndmask_b32_e32 v2, 0, v2, vcc
	v_cmp_neq_f64_e32 vcc, 0, v[0:1]
	v_cndmask_b32_e32 v3, v92, v3, vcc
	v_add_f64 v[0:1], v[80:81], -v[2:3]
	v_div_scale_f64 v[2:3], s[4:5], v[78:79], v[78:79], v[0:1]
	v_rcp_f64_e32 v[8:9], v[2:3]
	v_fma_f64 v[10:11], -v[2:3], v[8:9], 1.0
	v_fmac_f64_e32 v[8:9], v[8:9], v[10:11]
	v_fma_f64 v[10:11], -v[2:3], v[8:9], 1.0
	v_fmac_f64_e32 v[8:9], v[8:9], v[10:11]
	v_div_scale_f64 v[10:11], vcc, v[0:1], v[78:79], v[0:1]
	v_mul_f64 v[118:119], v[10:11], v[8:9]
	v_fma_f64 v[2:3], -v[2:3], v[118:119], v[10:11]
	s_nop 1
	v_div_fmas_f64 v[2:3], v[2:3], v[8:9], v[118:119]
	v_div_fixup_f64 v[10:11], v[2:3], v[78:79], v[0:1]
	v_add_f64 v[0:1], v[10:11], 0.5
	v_floor_f64_e32 v[8:9], v[0:1]
	v_cmp_ngt_f64_e32 vcc, 0, v[8:9]
	s_and_saveexec_b64 s[22:23], vcc
	s_cbranch_execz .LBB99_22
; %bb.17:                               ;   in Loop: Header=BB99_12 Depth=2
	v_add_u32_e32 v17, 1, v116
	v_pk_mov_b32 v[0:1], v[4:5], v[4:5] op_sel:[0,1]
	v_cmp_eq_u32_e32 vcc, 4, v17
	v_pk_mov_b32 v[2:3], v[6:7], v[6:7] op_sel:[0,1]
	s_and_saveexec_b64 s[4:5], vcc
	s_cbranch_execz .LBB99_19
; %bb.18:                               ;   in Loop: Header=BB99_12 Depth=2
	v_add_co_u32_e32 v95, vcc, 1, v95
	v_cndmask_b32_e64 v0, 0, 1, vcc
	v_addc_co_u32_e32 v96, vcc, 0, v96, vcc
	v_cmp_eq_u32_e32 vcc, 0, v96
	v_cndmask_b32_e32 v0, 0, v0, vcc
	v_add_u32_e32 v114, v0, v114
	v_cmp_eq_u32_e32 vcc, 0, v114
	v_cndmask_b32_e32 v0, 0, v0, vcc
	v_add_u32_e32 v76, v0, v76
	v_mad_u64_u32 v[0:1], vcc, v95, s8, 0
	v_mad_u64_u32 v[2:3], vcc, v114, s33, 0
	v_xor_b32_e32 v1, v1, v75
	v_xor_b32_e32 v3, v3, v74
	v_xor_b32_e32 v1, v76, v1
	v_xor_b32_e32 v3, v96, v3
	v_mad_u64_u32 v[88:89], vcc, v1, s33, 0
	v_mad_u64_u32 v[86:87], vcc, v3, s8, 0
	v_xor_b32_e32 v1, v97, v89
	v_xor_b32_e32 v1, v1, v2
	v_xor_b32_e32 v2, v98, v87
	v_xor_b32_e32 v2, v2, v0
	v_mad_u64_u32 v[0:1], vcc, v1, s8, 0
	v_mad_u64_u32 v[2:3], vcc, v2, s33, 0
	v_xor_b32_e32 v1, v100, v1
	v_xor_b32_e32 v3, v99, v3
	v_xor_b32_e32 v1, v1, v86
	v_xor_b32_e32 v3, v3, v88
	v_mad_u64_u32 v[88:89], vcc, v1, s33, 0
	v_mad_u64_u32 v[86:87], vcc, v3, s8, 0
	v_xor_b32_e32 v1, v102, v89
	v_xor_b32_e32 v1, v1, v2
	v_xor_b32_e32 v2, v104, v87
	v_xor_b32_e32 v2, v2, v0
	v_mad_u64_u32 v[0:1], vcc, v1, s8, 0
	v_mad_u64_u32 v[2:3], vcc, v2, s33, 0
	v_xor_b32_e32 v1, v106, v1
	v_xor_b32_e32 v3, v105, v3
	v_xor_b32_e32 v1, v1, v86
	v_xor_b32_e32 v3, v3, v88
	v_mad_u64_u32 v[88:89], vcc, v1, s33, 0
	v_mad_u64_u32 v[86:87], vcc, v3, s8, 0
	v_xor_b32_e32 v1, v107, v89
	v_xor_b32_e32 v1, v1, v2
	v_xor_b32_e32 v2, v108, v87
	v_xor_b32_e32 v2, v2, v0
	v_mad_u64_u32 v[0:1], vcc, v1, s8, 0
	v_mad_u64_u32 v[2:3], vcc, v2, s33, 0
	v_xor_b32_e32 v1, v110, v1
	v_xor_b32_e32 v3, v109, v3
	v_xor_b32_e32 v1, v1, v86
	v_xor_b32_e32 v3, v3, v88
	v_mad_u64_u32 v[88:89], vcc, v1, s33, 0
	v_mad_u64_u32 v[86:87], vcc, v3, s8, 0
	v_xor_b32_e32 v1, v111, v89
	v_xor_b32_e32 v1, v1, v2
	v_xor_b32_e32 v2, v112, v87
	v_xor_b32_e32 v0, v2, v0
	v_mad_u64_u32 v[2:3], vcc, v1, s8, 0
	v_mad_u64_u32 v[0:1], vcc, v0, s33, 0
	v_xor_b32_e32 v1, v101, v1
	v_xor_b32_e32 v3, v113, v3
	v_xor_b32_e32 v1, v1, v88
	v_xor_b32_e32 v3, v3, v86
	v_mad_u64_u32 v[86:87], vcc, v1, s8, 0
	v_mad_u64_u32 v[88:89], vcc, v3, s33, 0
	v_xor_b32_e32 v0, v89, v0
	v_xor_b32_e32 v1, v87, v2
	v_xor_b32_e32 v0, v103, v0
	v_xor_b32_e32 v2, v94, v1
	v_mov_b32_e32 v17, 0
	v_mov_b32_e32 v1, v88
	;; [unrolled: 1-line block ×5, first 2 shown]
.LBB99_19:                              ;   in Loop: Header=BB99_12 Depth=2
	s_or_b64 exec, exec, s[4:5]
	v_add_u32_e32 v115, 1, v17
	v_cmp_eq_u32_e32 vcc, 4, v115
	s_and_saveexec_b64 s[4:5], vcc
	s_cbranch_execz .LBB99_21
; %bb.20:                               ;   in Loop: Header=BB99_12 Depth=2
	v_add_co_u32_e32 v95, vcc, 1, v95
	v_cndmask_b32_e64 v86, 0, 1, vcc
	v_addc_co_u32_e32 v96, vcc, 0, v96, vcc
	v_cmp_eq_u32_e32 vcc, 0, v96
	v_cndmask_b32_e32 v86, 0, v86, vcc
	v_add_u32_e32 v114, v86, v114
	v_cmp_eq_u32_e32 vcc, 0, v114
	v_cndmask_b32_e32 v86, 0, v86, vcc
	v_add_u32_e32 v76, v86, v76
	v_mad_u64_u32 v[86:87], vcc, v95, s8, 0
	v_mad_u64_u32 v[88:89], vcc, v114, s33, 0
	v_xor_b32_e32 v87, v87, v75
	v_xor_b32_e32 v89, v89, v74
	v_xor_b32_e32 v87, v76, v87
	v_xor_b32_e32 v89, v96, v89
	v_mad_u64_u32 v[120:121], vcc, v87, s33, 0
	v_mad_u64_u32 v[118:119], vcc, v89, s8, 0
	v_xor_b32_e32 v87, v97, v121
	v_xor_b32_e32 v87, v87, v88
	v_xor_b32_e32 v88, v98, v119
	v_xor_b32_e32 v88, v88, v86
	;; [unrolled: 6-line block ×9, first 2 shown]
	v_mad_u64_u32 v[86:87], vcc, v86, s8, 0
	v_mad_u64_u32 v[88:89], vcc, v88, s33, 0
	v_xor_b32_e32 v89, v89, v124
	v_xor_b32_e32 v87, v87, v122
	v_mov_b32_e32 v115, 0
	v_xor_b32_e32 v89, v103, v89
	v_xor_b32_e32 v87, v94, v87
.LBB99_21:                              ;   in Loop: Header=BB99_12 Depth=2
	s_or_b64 exec, exec, s[4:5]
	v_cmp_eq_u32_e32 vcc, 1, v116
	v_cndmask_b32_e32 v4, v4, v5, vcc
	v_cmp_eq_u32_e32 vcc, 2, v116
	v_cndmask_b32_e32 v4, v4, v6, vcc
	;; [unrolled: 2-line block ×6, first 2 shown]
	v_lshrrev_b32_e32 v0, 11, v0
	v_cvt_f64_u32_e32 v[0:1], v0
	v_ldexp_f64 v[0:1], v[0:1], 32
	v_cvt_f64_u32_e32 v[2:3], v4
	v_add_f64 v[0:1], v[0:1], v[2:3]
	v_mov_b32_e32 v2, 0
	v_mov_b32_e32 v3, 0x3ca00000
	v_fma_f64 v[4:5], -v[78:79], v[10:11], v[80:81]
	v_fmac_f64_e32 v[2:3], 0x3ca00000, v[0:1]
	v_mul_f64 v[0:1], v[4:5], s[58:59]
	v_rndne_f64_e32 v[0:1], v[0:1]
	s_mov_b32 s60, s52
	v_fma_f64 v[6:7], s[60:61], v[0:1], v[4:5]
	s_mov_b32 s62, s54
	v_fmac_f64_e32 v[6:7], s[62:63], v[0:1]
	v_pk_mov_b32 v[10:11], v[32:33], v[32:33] op_sel:[0,1]
	v_fmac_f64_e32 v[10:11], s[64:65], v[6:7]
	v_pk_mov_b32 v[116:117], v[34:35], v[34:35] op_sel:[0,1]
	;; [unrolled: 2-line block ×9, first 2 shown]
	v_fmac_f64_e32 v[10:11], v[6:7], v[116:117]
	s_mov_b32 s4, 0
	v_fma_f64 v[10:11], v[6:7], v[10:11], 1.0
	s_mov_b32 s5, 0x40900000
	v_fma_f64 v[6:7], v[6:7], v[10:11], 1.0
	v_cvt_i32_f64_e32 v0, v[0:1]
	v_cmp_nlt_f64_e32 vcc, s[4:5], v[4:5]
	s_mov_b32 s4, 0
	v_ldexp_f64 v[0:1], v[6:7], v0
	s_mov_b32 s5, 0xc090cc00
	v_add_f64 v[0:1], v[0:1], 1.0
	v_cmp_ngt_f64_e64 s[4:5], s[4:5], v[4:5]
	v_cndmask_b32_e32 v1, v93, v1, vcc
	s_and_b64 vcc, s[4:5], vcc
	v_cndmask_b32_e64 v1, v90, v1, s[4:5]
	v_cndmask_b32_e32 v0, 0, v0, vcc
	v_mul_f64 v[0:1], v[0:1], v[0:1]
	v_div_scale_f64 v[6:7], s[4:5], v[0:1], v[0:1], v[2:3]
	v_rcp_f64_e32 v[10:11], v[6:7]
	s_mov_b32 s51, s37
	v_fma_f64 v[116:117], -v[6:7], v[10:11], 1.0
	v_fmac_f64_e32 v[10:11], v[10:11], v[116:117]
	v_fma_f64 v[116:117], -v[6:7], v[10:11], 1.0
	v_fmac_f64_e32 v[10:11], v[10:11], v[116:117]
	v_div_scale_f64 v[116:117], vcc, v[2:3], v[0:1], v[2:3]
	v_mul_f64 v[118:119], v[116:117], v[10:11]
	v_fma_f64 v[6:7], -v[6:7], v[118:119], v[116:117]
	s_nop 1
	v_div_fmas_f64 v[6:7], v[6:7], v[10:11], v[118:119]
	v_div_fixup_f64 v[2:3], v[6:7], v[0:1], v[2:3]
	v_frexp_mant_f64_e32 v[0:1], v[2:3]
	v_cmp_gt_f64_e32 vcc, s[36:37], v[0:1]
	v_cndmask_b32_e64 v17, v90, 2.0, vcc
	v_frexp_exp_i32_f64_e32 v6, v[2:3]
	v_mul_f64 v[0:1], v[0:1], v[16:17]
	v_subbrev_co_u32_e32 v17, vcc, 0, v6, vcc
	v_add_f64 v[6:7], v[0:1], 1.0
	v_rcp_f64_e32 v[10:11], v[6:7]
	v_add_f64 v[118:119], v[6:7], -1.0
	v_add_f64 v[116:117], v[0:1], -1.0
	v_add_f64 v[0:1], v[0:1], -v[118:119]
	v_fma_f64 v[118:119], -v[6:7], v[10:11], 1.0
	v_fmac_f64_e32 v[10:11], v[118:119], v[10:11]
	v_fma_f64 v[118:119], -v[6:7], v[10:11], 1.0
	v_fmac_f64_e32 v[10:11], v[118:119], v[10:11]
	v_mul_f64 v[118:119], v[116:117], v[10:11]
	v_mul_f64 v[120:121], v[6:7], v[118:119]
	v_fma_f64 v[6:7], v[118:119], v[6:7], -v[120:121]
	v_fmac_f64_e32 v[6:7], v[118:119], v[0:1]
	v_add_f64 v[0:1], v[120:121], v[6:7]
	v_add_f64 v[122:123], v[116:117], -v[0:1]
	v_add_f64 v[120:121], v[0:1], -v[120:121]
	;; [unrolled: 1-line block ×5, first 2 shown]
	v_add_f64 v[0:1], v[6:7], v[0:1]
	v_add_f64 v[0:1], v[122:123], v[0:1]
	v_mul_f64 v[0:1], v[10:11], v[0:1]
	v_add_f64 v[6:7], v[118:119], v[0:1]
	v_add_f64 v[10:11], v[6:7], -v[118:119]
	v_add_f64 v[10:11], v[0:1], -v[10:11]
	v_mul_f64 v[116:117], v[6:7], v[6:7]
	v_pk_mov_b32 v[0:1], s[38:39], s[38:39] op_sel:[0,1]
	v_fma_f64 v[118:119], s[40:41], v[116:117], v[0:1]
	v_fma_f64 v[118:119], v[116:117], v[118:119], s[42:43]
	;; [unrolled: 1-line block ×6, first 2 shown]
	v_ldexp_f64 v[120:121], v[6:7], 1
	v_mul_f64 v[6:7], v[6:7], v[116:117]
	v_mul_f64 v[6:7], v[6:7], v[118:119]
	v_add_f64 v[116:117], v[120:121], v[6:7]
	v_add_f64 v[118:119], v[116:117], -v[120:121]
	v_ldexp_f64 v[10:11], v[10:11], 1
	v_add_f64 v[6:7], v[6:7], -v[118:119]
	v_add_f64 v[6:7], v[10:11], v[6:7]
	v_add_f64 v[10:11], v[116:117], v[6:7]
	v_add_f64 v[116:117], v[10:11], -v[116:117]
	v_add_f64 v[6:7], v[6:7], -v[116:117]
	v_cvt_f64_i32_e32 v[116:117], v17
	v_mul_f64 v[118:119], v[116:117], s[52:53]
	v_fma_f64 v[120:121], v[116:117], s[52:53], -v[118:119]
	v_fmac_f64_e32 v[120:121], s[54:55], v[116:117]
	v_add_f64 v[116:117], v[118:119], v[120:121]
	v_add_f64 v[118:119], v[116:117], -v[118:119]
	v_add_f64 v[118:119], v[120:121], -v[118:119]
	v_add_f64 v[120:121], v[116:117], v[10:11]
	v_add_f64 v[122:123], v[120:121], -v[116:117]
	v_add_f64 v[124:125], v[120:121], -v[122:123]
	;; [unrolled: 1-line block ×4, first 2 shown]
	v_add_f64 v[10:11], v[10:11], v[116:117]
	v_add_f64 v[116:117], v[118:119], v[6:7]
	v_add_f64 v[122:123], v[116:117], -v[118:119]
	v_add_f64 v[124:125], v[116:117], -v[122:123]
	v_add_f64 v[10:11], v[116:117], v[10:11]
	v_add_f64 v[118:119], v[118:119], -v[124:125]
	v_add_f64 v[6:7], v[6:7], -v[122:123]
	v_add_f64 v[116:117], v[120:121], v[10:11]
	v_add_f64 v[6:7], v[6:7], v[118:119]
	v_add_f64 v[118:119], v[116:117], -v[120:121]
	v_add_f64 v[10:11], v[10:11], -v[118:119]
	v_add_f64 v[6:7], v[6:7], v[10:11]
	v_add_f64 v[6:7], v[116:117], v[6:7]
	v_cmp_class_f64_e64 vcc, v[2:3], s11
	v_cndmask_b32_e32 v17, v6, v2, vcc
	v_cndmask_b32_e32 v6, v7, v3, vcc
	v_cmp_neq_f64_e32 vcc, 0, v[2:3]
	v_cndmask_b32_e32 v3, v92, v6, vcc
	v_add_f64 v[6:7], v[8:9], 1.0
	v_add_f64 v[6:7], v[6:7], -1.0
	v_add_f64 v[116:117], v[6:7], s[70:71]
	v_div_scale_f64 v[10:11], s[4:5], v[116:117], v[116:117], s[72:73]
	v_rcp_f64_e32 v[118:119], v[10:11]
	v_cndmask_b32_e32 v2, 0, v17, vcc
	v_add_f64 v[2:3], v[4:5], v[2:3]
	v_fma_f64 v[4:5], v[84:85], v[8:9], v[82:83]
	v_fma_f64 v[120:121], -v[10:11], v[118:119], 1.0
	v_fmac_f64_e32 v[118:119], v[118:119], v[120:121]
	v_fma_f64 v[120:121], -v[10:11], v[118:119], 1.0
	v_fmac_f64_e32 v[118:119], v[118:119], v[120:121]
	v_div_scale_f64 v[120:121], vcc, s[72:73], v[116:117], s[72:73]
	v_mul_f64 v[122:123], v[120:121], v[118:119]
	v_fma_f64 v[120:121], -v[10:11], v[122:123], v[120:121]
	v_add_f64 v[10:11], v[6:7], s[74:75]
	v_div_scale_f64 v[124:125], s[4:5], v[10:11], v[10:11], s[76:77]
	v_rcp_f64_e32 v[126:127], v[124:125]
	v_div_fmas_f64 v[118:119], v[120:121], v[118:119], v[122:123]
	v_div_fixup_f64 v[116:117], v[118:119], v[116:117], s[72:73]
	v_add_f64 v[122:123], v[6:7], s[78:79]
	v_fma_f64 v[118:119], -v[124:125], v[126:127], 1.0
	v_fmac_f64_e32 v[126:127], v[126:127], v[118:119]
	v_fma_f64 v[118:119], -v[124:125], v[126:127], 1.0
	v_fmac_f64_e32 v[126:127], v[126:127], v[118:119]
	v_div_scale_f64 v[118:119], vcc, s[76:77], v[10:11], s[76:77]
	v_mul_f64 v[120:121], v[118:119], v[126:127]
	v_fma_f64 v[118:119], -v[124:125], v[120:121], v[118:119]
	v_div_scale_f64 v[124:125], s[4:5], v[122:123], v[122:123], s[80:81]
	v_rcp_f64_e32 v[128:129], v[124:125]
	v_div_fmas_f64 v[118:119], v[118:119], v[126:127], v[120:121]
	v_add_f64 v[116:117], v[116:117], 0
	v_div_fixup_f64 v[118:119], v[118:119], v[10:11], s[76:77]
	v_add_f64 v[116:117], v[118:119], v[116:117]
	v_fma_f64 v[118:119], -v[124:125], v[128:129], 1.0
	v_fmac_f64_e32 v[128:129], v[128:129], v[118:119]
	v_fma_f64 v[118:119], -v[124:125], v[128:129], 1.0
	v_fmac_f64_e32 v[128:129], v[128:129], v[118:119]
	v_div_scale_f64 v[118:119], vcc, s[80:81], v[122:123], s[80:81]
	v_mul_f64 v[120:121], v[118:119], v[128:129]
	v_fma_f64 v[118:119], -v[124:125], v[120:121], v[118:119]
	v_add_f64 v[124:125], v[6:7], s[82:83]
	v_div_scale_f64 v[126:127], s[4:5], v[124:125], v[124:125], s[84:85]
	v_rcp_f64_e32 v[130:131], v[126:127]
	v_div_fmas_f64 v[118:119], v[118:119], v[128:129], v[120:121]
	v_div_fixup_f64 v[118:119], v[118:119], v[122:123], s[80:81]
	v_add_f64 v[116:117], v[116:117], v[118:119]
	v_fma_f64 v[118:119], -v[126:127], v[130:131], 1.0
	v_fmac_f64_e32 v[130:131], v[130:131], v[118:119]
	v_fma_f64 v[118:119], -v[126:127], v[130:131], 1.0
	v_fmac_f64_e32 v[130:131], v[130:131], v[118:119]
	v_div_scale_f64 v[118:119], vcc, s[84:85], v[124:125], s[84:85]
	v_mul_f64 v[120:121], v[118:119], v[130:131]
	v_add_f64 v[122:123], v[6:7], 4.0
	v_fma_f64 v[118:119], -v[126:127], v[120:121], v[118:119]
	v_div_scale_f64 v[126:127], s[4:5], v[122:123], v[122:123], s[86:87]
	v_rcp_f64_e32 v[128:129], v[126:127]
	v_div_fmas_f64 v[118:119], v[118:119], v[130:131], v[120:121]
	v_div_fixup_f64 v[118:119], v[118:119], v[124:125], s[84:85]
	v_add_f64 v[116:117], v[118:119], v[116:117]
	v_fma_f64 v[118:119], -v[126:127], v[128:129], 1.0
	v_fmac_f64_e32 v[128:129], v[128:129], v[118:119]
	v_fma_f64 v[118:119], -v[126:127], v[128:129], 1.0
	v_fmac_f64_e32 v[128:129], v[128:129], v[118:119]
	v_div_scale_f64 v[118:119], vcc, s[86:87], v[122:123], s[86:87]
	v_mul_f64 v[120:121], v[118:119], v[128:129]
	v_add_f64 v[124:125], v[6:7], s[14:15]
	v_fma_f64 v[118:119], -v[126:127], v[120:121], v[118:119]
	v_div_scale_f64 v[126:127], s[4:5], v[124:125], v[124:125], s[88:89]
	v_rcp_f64_e32 v[130:131], v[126:127]
	v_div_fmas_f64 v[118:119], v[118:119], v[128:129], v[120:121]
	v_div_fixup_f64 v[118:119], v[118:119], v[122:123], s[86:87]
	v_add_f64 v[116:117], v[116:117], v[118:119]
	v_fma_f64 v[118:119], -v[126:127], v[130:131], 1.0
	v_fmac_f64_e32 v[130:131], v[130:131], v[118:119]
	v_fma_f64 v[118:119], -v[126:127], v[130:131], 1.0
	v_fmac_f64_e32 v[130:131], v[130:131], v[118:119]
	v_div_scale_f64 v[118:119], vcc, s[88:89], v[124:125], s[88:89]
	v_mul_f64 v[120:121], v[118:119], v[130:131]
	v_add_f64 v[122:123], v[6:7], 2.0
	v_fma_f64 v[118:119], -v[126:127], v[120:121], v[118:119]
	v_div_scale_f64 v[126:127], s[4:5], v[122:123], v[122:123], s[90:91]
	v_rcp_f64_e32 v[128:129], v[126:127]
	v_div_fmas_f64 v[118:119], v[118:119], v[130:131], v[120:121]
	v_div_fixup_f64 v[118:119], v[118:119], v[124:125], s[88:89]
	v_add_f64 v[116:117], v[118:119], v[116:117]
	v_fma_f64 v[118:119], -v[126:127], v[128:129], 1.0
	v_fmac_f64_e32 v[128:129], v[128:129], v[118:119]
	v_fma_f64 v[118:119], -v[126:127], v[128:129], 1.0
	v_fmac_f64_e32 v[128:129], v[128:129], v[118:119]
	v_div_scale_f64 v[118:119], vcc, s[90:91], v[122:123], s[90:91]
	v_mul_f64 v[120:121], v[118:119], v[128:129]
	v_add_f64 v[124:125], v[6:7], 1.0
	v_fma_f64 v[118:119], -v[126:127], v[120:121], v[118:119]
	v_div_scale_f64 v[126:127], s[4:5], v[124:125], v[124:125], s[92:93]
	v_rcp_f64_e32 v[130:131], v[126:127]
	v_div_fmas_f64 v[118:119], v[118:119], v[128:129], v[120:121]
	v_div_fixup_f64 v[118:119], v[118:119], v[122:123], s[90:91]
	v_add_f64 v[116:117], v[116:117], v[118:119]
	v_fma_f64 v[118:119], -v[126:127], v[130:131], 1.0
	v_fmac_f64_e32 v[130:131], v[130:131], v[118:119]
	v_fma_f64 v[118:119], -v[126:127], v[130:131], 1.0
	v_fmac_f64_e32 v[130:131], v[130:131], v[118:119]
	v_div_scale_f64 v[118:119], vcc, s[92:93], v[124:125], s[92:93]
	v_mul_f64 v[120:121], v[118:119], v[130:131]
	v_fma_f64 v[118:119], -v[126:127], v[120:121], v[118:119]
	v_add_f64 v[10:11], v[10:11], 0.5
	s_nop 0
	v_div_fmas_f64 v[118:119], v[118:119], v[130:131], v[120:121]
	v_div_fixup_f64 v[118:119], v[118:119], v[124:125], s[92:93]
	v_add_f64 v[116:117], v[118:119], v[116:117]
	v_add_f64 v[116:117], v[116:117], s[12:13]
	v_frexp_mant_f64_e32 v[118:119], v[116:117]
	v_cmp_gt_f64_e32 vcc, s[36:37], v[118:119]
	v_cndmask_b32_e64 v17, v90, 2.0, vcc
	v_frexp_exp_i32_f64_e32 v120, v[116:117]
	v_mul_f64 v[118:119], v[118:119], v[16:17]
	v_subbrev_co_u32_e32 v17, vcc, 0, v120, vcc
	v_add_f64 v[120:121], v[118:119], 1.0
	v_rcp_f64_e32 v[122:123], v[120:121]
	v_add_f64 v[126:127], v[120:121], -1.0
	v_add_f64 v[124:125], v[118:119], -1.0
	v_add_f64 v[118:119], v[118:119], -v[126:127]
	v_fma_f64 v[126:127], -v[120:121], v[122:123], 1.0
	v_fmac_f64_e32 v[122:123], v[126:127], v[122:123]
	v_fma_f64 v[126:127], -v[120:121], v[122:123], 1.0
	v_fmac_f64_e32 v[122:123], v[126:127], v[122:123]
	v_mul_f64 v[126:127], v[124:125], v[122:123]
	v_mul_f64 v[128:129], v[120:121], v[126:127]
	v_fma_f64 v[120:121], v[126:127], v[120:121], -v[128:129]
	v_fmac_f64_e32 v[120:121], v[126:127], v[118:119]
	v_add_f64 v[118:119], v[128:129], v[120:121]
	v_add_f64 v[130:131], v[124:125], -v[118:119]
	v_add_f64 v[128:129], v[118:119], -v[128:129]
	;; [unrolled: 1-line block ×5, first 2 shown]
	v_add_f64 v[118:119], v[120:121], v[118:119]
	v_add_f64 v[118:119], v[130:131], v[118:119]
	v_mul_f64 v[118:119], v[122:123], v[118:119]
	v_add_f64 v[120:121], v[126:127], v[118:119]
	v_add_f64 v[122:123], v[120:121], -v[126:127]
	v_add_f64 v[118:119], v[118:119], -v[122:123]
	v_mul_f64 v[122:123], v[120:121], v[120:121]
	v_fma_f64 v[124:125], s[40:41], v[122:123], v[0:1]
	v_fma_f64 v[124:125], v[122:123], v[124:125], s[42:43]
	;; [unrolled: 1-line block ×6, first 2 shown]
	v_ldexp_f64 v[126:127], v[120:121], 1
	v_mul_f64 v[120:121], v[120:121], v[122:123]
	v_mul_f64 v[120:121], v[120:121], v[124:125]
	v_add_f64 v[122:123], v[126:127], v[120:121]
	v_add_f64 v[124:125], v[122:123], -v[126:127]
	v_ldexp_f64 v[118:119], v[118:119], 1
	v_add_f64 v[120:121], v[120:121], -v[124:125]
	v_add_f64 v[118:119], v[118:119], v[120:121]
	v_add_f64 v[120:121], v[122:123], v[118:119]
	v_add_f64 v[122:123], v[120:121], -v[122:123]
	v_add_f64 v[118:119], v[118:119], -v[122:123]
	v_cvt_f64_i32_e32 v[122:123], v17
	v_mul_f64 v[124:125], v[122:123], s[52:53]
	v_fma_f64 v[126:127], v[122:123], s[52:53], -v[124:125]
	v_fmac_f64_e32 v[126:127], s[54:55], v[122:123]
	v_add_f64 v[122:123], v[124:125], v[126:127]
	v_add_f64 v[124:125], v[122:123], -v[124:125]
	v_add_f64 v[124:125], v[126:127], -v[124:125]
	v_add_f64 v[126:127], v[122:123], v[120:121]
	v_add_f64 v[128:129], v[126:127], -v[122:123]
	v_add_f64 v[130:131], v[126:127], -v[128:129]
	;; [unrolled: 1-line block ×4, first 2 shown]
	v_add_f64 v[120:121], v[120:121], v[122:123]
	v_add_f64 v[122:123], v[124:125], v[118:119]
	v_add_f64 v[128:129], v[122:123], -v[124:125]
	v_add_f64 v[130:131], v[122:123], -v[128:129]
	v_add_f64 v[120:121], v[122:123], v[120:121]
	v_add_f64 v[124:125], v[124:125], -v[130:131]
	v_add_f64 v[118:119], v[118:119], -v[128:129]
	v_add_f64 v[122:123], v[126:127], v[120:121]
	v_add_f64 v[118:119], v[118:119], v[124:125]
	v_add_f64 v[124:125], v[122:123], -v[126:127]
	v_add_f64 v[120:121], v[120:121], -v[124:125]
	v_add_f64 v[118:119], v[118:119], v[120:121]
	v_add_f64 v[118:119], v[122:123], v[118:119]
	v_cmp_class_f64_e64 vcc, v[116:117], s11
	v_div_scale_f64 v[120:121], s[4:5], s[34:35], s[34:35], v[10:11]
	v_cndmask_b32_e32 v119, v119, v117, vcc
	v_cndmask_b32_e32 v118, v118, v116, vcc
	v_rcp_f64_e32 v[122:123], v[120:121]
	v_add_f64 v[118:119], v[118:119], s[66:67]
	v_add_f64 v[118:119], v[118:119], s[68:69]
	v_cmp_ngt_f64_e32 vcc, 0, v[116:117]
	v_cndmask_b32_e32 v17, v91, v119, vcc
	v_cmp_nge_f64_e32 vcc, 0, v[116:117]
	v_cndmask_b32_e32 v118, 0, v118, vcc
	v_cmp_neq_f64_e32 vcc, 0, v[116:117]
	v_fma_f64 v[116:117], -v[120:121], v[122:123], 1.0
	v_fmac_f64_e32 v[122:123], v[122:123], v[116:117]
	v_fma_f64 v[116:117], -v[120:121], v[122:123], 1.0
	v_cndmask_b32_e32 v119, v92, v17, vcc
	v_fmac_f64_e32 v[122:123], v[122:123], v[116:117]
	v_div_scale_f64 v[116:117], vcc, v[10:11], s[34:35], v[10:11]
	v_mul_f64 v[124:125], v[116:117], v[122:123]
	v_fma_f64 v[116:117], -v[120:121], v[124:125], v[116:117]
	v_add_f64 v[6:7], v[6:7], 0.5
	s_nop 0
	v_div_fmas_f64 v[116:117], v[116:117], v[122:123], v[124:125]
	v_div_fixup_f64 v[10:11], v[116:117], s[34:35], v[10:11]
	v_frexp_mant_f64_e32 v[116:117], v[10:11]
	v_cmp_gt_f64_e32 vcc, s[36:37], v[116:117]
	v_cndmask_b32_e64 v17, v90, 2.0, vcc
	v_frexp_exp_i32_f64_e32 v120, v[10:11]
	v_mul_f64 v[116:117], v[116:117], v[16:17]
	v_subbrev_co_u32_e32 v17, vcc, 0, v120, vcc
	v_add_f64 v[120:121], v[116:117], 1.0
	v_rcp_f64_e32 v[122:123], v[120:121]
	v_add_f64 v[126:127], v[120:121], -1.0
	v_add_f64 v[124:125], v[116:117], -1.0
	v_add_f64 v[116:117], v[116:117], -v[126:127]
	v_fma_f64 v[126:127], -v[120:121], v[122:123], 1.0
	v_fmac_f64_e32 v[122:123], v[126:127], v[122:123]
	v_fma_f64 v[126:127], -v[120:121], v[122:123], 1.0
	v_fmac_f64_e32 v[122:123], v[126:127], v[122:123]
	v_mul_f64 v[126:127], v[124:125], v[122:123]
	v_mul_f64 v[128:129], v[120:121], v[126:127]
	v_fma_f64 v[120:121], v[126:127], v[120:121], -v[128:129]
	v_fmac_f64_e32 v[120:121], v[126:127], v[116:117]
	v_add_f64 v[116:117], v[128:129], v[120:121]
	v_add_f64 v[130:131], v[124:125], -v[116:117]
	v_add_f64 v[128:129], v[116:117], -v[128:129]
	;; [unrolled: 1-line block ×5, first 2 shown]
	v_add_f64 v[116:117], v[120:121], v[116:117]
	v_add_f64 v[116:117], v[130:131], v[116:117]
	v_mul_f64 v[116:117], v[122:123], v[116:117]
	v_add_f64 v[120:121], v[126:127], v[116:117]
	v_add_f64 v[122:123], v[120:121], -v[126:127]
	v_add_f64 v[116:117], v[116:117], -v[122:123]
	v_mul_f64 v[122:123], v[120:121], v[120:121]
	v_fmac_f64_e32 v[0:1], s[40:41], v[122:123]
	v_fma_f64 v[0:1], v[122:123], v[0:1], s[42:43]
	v_fma_f64 v[0:1], v[122:123], v[0:1], s[44:45]
	;; [unrolled: 1-line block ×5, first 2 shown]
	v_ldexp_f64 v[124:125], v[120:121], 1
	v_mul_f64 v[120:121], v[120:121], v[122:123]
	v_mul_f64 v[0:1], v[120:121], v[0:1]
	v_add_f64 v[120:121], v[124:125], v[0:1]
	v_add_f64 v[122:123], v[120:121], -v[124:125]
	v_ldexp_f64 v[116:117], v[116:117], 1
	v_add_f64 v[0:1], v[0:1], -v[122:123]
	v_add_f64 v[0:1], v[116:117], v[0:1]
	v_add_f64 v[116:117], v[120:121], v[0:1]
	v_add_f64 v[120:121], v[116:117], -v[120:121]
	v_add_f64 v[0:1], v[0:1], -v[120:121]
	v_cvt_f64_i32_e32 v[120:121], v17
	v_mul_f64 v[122:123], v[120:121], s[52:53]
	v_fma_f64 v[124:125], v[120:121], s[52:53], -v[122:123]
	v_fmac_f64_e32 v[124:125], s[54:55], v[120:121]
	v_add_f64 v[120:121], v[122:123], v[124:125]
	v_add_f64 v[122:123], v[120:121], -v[122:123]
	v_add_f64 v[122:123], v[124:125], -v[122:123]
	v_add_f64 v[124:125], v[120:121], v[116:117]
	v_add_f64 v[126:127], v[124:125], -v[120:121]
	v_add_f64 v[128:129], v[124:125], -v[126:127]
	;; [unrolled: 1-line block ×4, first 2 shown]
	v_add_f64 v[116:117], v[116:117], v[120:121]
	v_add_f64 v[120:121], v[122:123], v[0:1]
	v_add_f64 v[126:127], v[120:121], -v[122:123]
	v_add_f64 v[128:129], v[120:121], -v[126:127]
	v_add_f64 v[116:117], v[120:121], v[116:117]
	v_add_f64 v[122:123], v[122:123], -v[128:129]
	v_add_f64 v[0:1], v[0:1], -v[126:127]
	v_add_f64 v[120:121], v[124:125], v[116:117]
	v_add_f64 v[0:1], v[0:1], v[122:123]
	v_add_f64 v[122:123], v[120:121], -v[124:125]
	v_add_f64 v[116:117], v[116:117], -v[122:123]
	v_add_f64 v[0:1], v[0:1], v[116:117]
	v_add_f64 v[0:1], v[120:121], v[0:1]
	v_cmp_class_f64_e64 vcc, v[10:11], s11
	v_cndmask_b32_e32 v0, v0, v10, vcc
	v_cndmask_b32_e32 v1, v1, v11, vcc
	v_cmp_ngt_f64_e32 vcc, 0, v[10:11]
	v_cndmask_b32_e32 v1, v91, v1, vcc
	v_cmp_nge_f64_e32 vcc, 0, v[10:11]
	v_cndmask_b32_e32 v0, 0, v0, vcc
	v_cmp_neq_f64_e32 vcc, 0, v[10:11]
	v_cndmask_b32_e32 v1, v92, v1, vcc
	v_fmac_f64_e32 v[118:119], v[6:7], v[0:1]
	v_add_f64 v[0:1], v[4:5], -v[118:119]
	v_cvt_u32_f64_e32 v4, v[8:9]
	v_cmp_le_f64_e32 vcc, v[2:3], v[0:1]
	v_cndmask_b32_e64 v117, 0, 1, vcc
	v_cndmask_b32_e32 v77, v77, v4, vcc
	v_mov_b32_e32 v116, v115
.LBB99_22:                              ;   in Loop: Header=BB99_12 Depth=2
	s_or_b64 exec, exec, s[22:23]
	v_cmp_gt_i32_e32 vcc, 2, v117
	s_or_b64 s[18:19], vcc, s[18:19]
	v_mov_b32_e32 v17, v116
	v_mov_b32_e32 v0, v89
	;; [unrolled: 1-line block ×5, first 2 shown]
	s_andn2_b64 exec, exec, s[18:19]
	s_cbranch_execnz .LBB99_12
; %bb.23:                               ;   in Loop: Header=BB99_12 Depth=2
	s_or_b64 exec, exec, s[18:19]
	v_cmp_ne_u32_e32 vcc, 0, v117
	s_or_b64 s[56:57], vcc, s[56:57]
	s_mov_b64 s[18:19], 0
	v_mov_b32_e32 v17, v116
	v_mov_b32_e32 v0, v89
	;; [unrolled: 1-line block ×5, first 2 shown]
	s_andn2_b64 exec, exec, s[56:57]
	s_cbranch_execnz .LBB99_12
; %bb.24:                               ;   in Loop: Header=BB99_6 Depth=1
	s_or_b64 exec, exec, s[56:57]
                                        ; implicit-def: $vgpr74_vgpr75
                                        ; implicit-def: $vgpr17
                                        ; implicit-def: $vgpr95
                                        ; implicit-def: $vgpr96
                                        ; implicit-def: $vgpr103
                                        ; implicit-def: $vgpr94
                                        ; implicit-def: $vgpr3
                                        ; implicit-def: $vgpr4_vgpr5
                                        ; implicit-def: $vgpr97
                                        ; implicit-def: $vgpr98
                                        ; implicit-def: $vgpr99
                                        ; implicit-def: $vgpr100
                                        ; implicit-def: $vgpr102
                                        ; implicit-def: $vgpr104
                                        ; implicit-def: $vgpr105
                                        ; implicit-def: $vgpr106
                                        ; implicit-def: $vgpr107
                                        ; implicit-def: $vgpr108
                                        ; implicit-def: $vgpr109
                                        ; implicit-def: $vgpr110
                                        ; implicit-def: $vgpr111
                                        ; implicit-def: $vgpr112
                                        ; implicit-def: $vgpr101
                                        ; implicit-def: $vgpr113
.LBB99_25:                              ;   in Loop: Header=BB99_6 Depth=1
	s_andn2_saveexec_b64 s[18:19], s[24:25]
	s_cbranch_execz .LBB99_37
; %bb.26:                               ;   in Loop: Header=BB99_6 Depth=1
	v_add_co_u32_e32 v6, vcc, 1, v95
	v_cndmask_b32_e64 v7, 0, 1, vcc
	v_addc_co_u32_e32 v10, vcc, 0, v96, vcc
	v_cmp_eq_u32_e32 vcc, 0, v10
	v_cndmask_b32_e32 v7, 0, v7, vcc
	v_add_u32_e32 v8, v7, v12
	v_cmp_eq_u32_e32 vcc, 0, v8
	v_cndmask_b32_e32 v11, 0, v7, vcc
	v_mad_u64_u32 v[6:7], s[4:5], v6, s8, 0
	v_mad_u64_u32 v[8:9], s[4:5], v8, s33, 0
	v_xor_b32_e32 v7, v7, v75
	v_xor_b32_e32 v9, v9, v74
	v_xor_b32_e32 v7, v11, v7
	v_xor_b32_e32 v9, v10, v9
	v_mad_u64_u32 v[74:75], s[4:5], v7, s33, 0
	v_mad_u64_u32 v[10:11], s[4:5], v9, s8, 0
	v_xor_b32_e32 v7, v97, v75
	v_xor_b32_e32 v7, v7, v8
	v_xor_b32_e32 v8, v98, v11
	v_xor_b32_e32 v8, v8, v6
	;; [unrolled: 6-line block ×8, first 2 shown]
	v_mad_u64_u32 v[76:77], s[4:5], v7, s8, 0
	v_mad_u64_u32 v[8:9], s[4:5], v6, s33, 0
	v_xor_b32_e32 v6, v113, v77
	v_xor_b32_e32 v6, v6, v10
	v_mad_u64_u32 v[6:7], s[4:5], v6, s33, 0
	v_xor_b32_e32 v7, v7, v8
	v_xor_b32_e32 v10, v103, v7
	v_cmp_lt_i32_e32 vcc, 1, v17
                                        ; implicit-def: $vgpr8
	s_and_saveexec_b64 s[4:5], vcc
	s_xor_b64 s[4:5], exec, s[4:5]
	s_cbranch_execz .LBB99_32
; %bb.27:                               ;   in Loop: Header=BB99_6 Depth=1
	v_cmp_lt_i32_e32 vcc, 2, v17
                                        ; implicit-def: $vgpr8
	s_and_saveexec_b64 s[22:23], vcc
	s_xor_b64 s[22:23], exec, s[22:23]
; %bb.28:                               ;   in Loop: Header=BB99_6 Depth=1
	v_xor_b32_e32 v0, v101, v9
	v_xor_b32_e32 v0, v0, v74
	v_mul_hi_u32 v0, v0, s8
	v_xor_b32_e32 v0, v0, v76
	v_xor_b32_e32 v8, v94, v0
; %bb.29:                               ;   in Loop: Header=BB99_6 Depth=1
	s_andn2_saveexec_b64 s[22:23], s[22:23]
; %bb.30:                               ;   in Loop: Header=BB99_6 Depth=1
	v_mov_b32_e32 v8, v6
	v_mov_b32_e32 v6, v10
	;; [unrolled: 1-line block ×4, first 2 shown]
; %bb.31:                               ;   in Loop: Header=BB99_6 Depth=1
	s_or_b64 exec, exec, s[22:23]
                                        ; implicit-def: $vgpr17
.LBB99_32:                              ;   in Loop: Header=BB99_6 Depth=1
	s_andn2_saveexec_b64 s[4:5], s[4:5]
	s_cbranch_execz .LBB99_36
; %bb.33:                               ;   in Loop: Header=BB99_6 Depth=1
	v_cmp_eq_u32_e32 vcc, 1, v17
	v_mov_b32_e32 v8, v3
	v_mov_b32_e32 v6, v2
	;; [unrolled: 1-line block ×3, first 2 shown]
	s_and_saveexec_b64 s[22:23], vcc
; %bb.34:                               ;   in Loop: Header=BB99_6 Depth=1
	v_mov_b32_e32 v8, v10
	v_mov_b32_e32 v6, v3
	;; [unrolled: 1-line block ×4, first 2 shown]
; %bb.35:                               ;   in Loop: Header=BB99_6 Depth=1
	s_or_b64 exec, exec, s[22:23]
	v_mov_b32_e32 v3, v0
	v_mov_b32_e32 v10, v7
.LBB99_36:                              ;   in Loop: Header=BB99_6 Depth=1
	s_or_b64 exec, exec, s[4:5]
	v_mov_b32_e32 v11, v16
	v_lshlrev_b64 v[0:1], 21, v[10:11]
	v_xor_b32_e32 v2, v0, v3
	v_cvt_f64_u32_e32 v[0:1], v1
	v_ldexp_f64 v[0:1], v[0:1], 32
	v_cvt_f64_u32_e32 v[2:3], v2
	v_add_f64 v[0:1], v[0:1], v[2:3]
	v_mov_b32_e32 v2, 0
	v_mov_b32_e32 v3, 0x3ca00000
	v_fmac_f64_e32 v[2:3], 0x3ca00000, v[0:1]
	v_mov_b32_e32 v9, v16
	v_lshlrev_b64 v[0:1], 21, v[8:9]
	v_frexp_mant_f64_e32 v[8:9], v[2:3]
	v_cmp_gt_f64_e32 vcc, s[36:37], v[8:9]
	v_cndmask_b32_e64 v17, v90, 2.0, vcc
	v_frexp_exp_i32_f64_e32 v10, v[2:3]
	v_mul_f64 v[8:9], v[8:9], v[16:17]
	v_subbrev_co_u32_e32 v17, vcc, 0, v10, vcc
	v_add_f64 v[10:11], v[8:9], 1.0
	v_rcp_f64_e32 v[74:75], v[10:11]
	v_add_f64 v[78:79], v[10:11], -1.0
	v_add_f64 v[76:77], v[8:9], -1.0
	v_add_f64 v[8:9], v[8:9], -v[78:79]
	v_fma_f64 v[78:79], -v[10:11], v[74:75], 1.0
	v_fmac_f64_e32 v[74:75], v[78:79], v[74:75]
	v_fma_f64 v[78:79], -v[10:11], v[74:75], 1.0
	v_fmac_f64_e32 v[74:75], v[78:79], v[74:75]
	v_mul_f64 v[78:79], v[76:77], v[74:75]
	v_mul_f64 v[80:81], v[10:11], v[78:79]
	v_fma_f64 v[10:11], v[78:79], v[10:11], -v[80:81]
	v_fmac_f64_e32 v[10:11], v[78:79], v[8:9]
	v_add_f64 v[8:9], v[80:81], v[10:11]
	v_add_f64 v[82:83], v[76:77], -v[8:9]
	v_add_f64 v[80:81], v[8:9], -v[80:81]
	;; [unrolled: 1-line block ×5, first 2 shown]
	v_add_f64 v[8:9], v[10:11], v[8:9]
	v_add_f64 v[8:9], v[82:83], v[8:9]
	v_mul_f64 v[8:9], v[74:75], v[8:9]
	v_add_f64 v[10:11], v[78:79], v[8:9]
	v_add_f64 v[74:75], v[10:11], -v[78:79]
	v_add_f64 v[8:9], v[8:9], -v[74:75]
	v_mul_f64 v[74:75], v[10:11], v[10:11]
	v_pk_mov_b32 v[76:77], v[20:21], v[20:21] op_sel:[0,1]
	v_fmac_f64_e32 v[76:77], s[40:41], v[74:75]
	v_pk_mov_b32 v[78:79], v[22:23], v[22:23] op_sel:[0,1]
	v_fmac_f64_e32 v[78:79], v[74:75], v[76:77]
	;; [unrolled: 2-line block ×6, first 2 shown]
	v_ldexp_f64 v[76:77], v[10:11], 1
	v_mul_f64 v[10:11], v[10:11], v[74:75]
	v_mul_f64 v[10:11], v[10:11], v[78:79]
	v_add_f64 v[74:75], v[76:77], v[10:11]
	v_add_f64 v[76:77], v[74:75], -v[76:77]
	v_ldexp_f64 v[8:9], v[8:9], 1
	v_add_f64 v[10:11], v[10:11], -v[76:77]
	v_add_f64 v[8:9], v[8:9], v[10:11]
	v_add_f64 v[10:11], v[74:75], v[8:9]
	v_add_f64 v[74:75], v[10:11], -v[74:75]
	v_add_f64 v[8:9], v[8:9], -v[74:75]
	v_cvt_f64_i32_e32 v[74:75], v17
	v_mul_f64 v[76:77], v[74:75], s[52:53]
	v_fma_f64 v[78:79], v[74:75], s[52:53], -v[76:77]
	v_fmac_f64_e32 v[78:79], s[54:55], v[74:75]
	v_add_f64 v[74:75], v[76:77], v[78:79]
	v_add_f64 v[76:77], v[74:75], -v[76:77]
	v_add_f64 v[76:77], v[78:79], -v[76:77]
	v_add_f64 v[78:79], v[74:75], v[10:11]
	v_add_f64 v[80:81], v[78:79], -v[74:75]
	v_add_f64 v[82:83], v[78:79], -v[80:81]
	;; [unrolled: 1-line block ×4, first 2 shown]
	v_add_f64 v[10:11], v[10:11], v[74:75]
	v_add_f64 v[74:75], v[76:77], v[8:9]
	v_add_f64 v[80:81], v[74:75], -v[76:77]
	v_add_f64 v[82:83], v[74:75], -v[80:81]
	v_add_f64 v[10:11], v[74:75], v[10:11]
	v_add_f64 v[76:77], v[76:77], -v[82:83]
	v_add_f64 v[8:9], v[8:9], -v[80:81]
	v_add_f64 v[74:75], v[78:79], v[10:11]
	v_add_f64 v[8:9], v[8:9], v[76:77]
	v_add_f64 v[76:77], v[74:75], -v[78:79]
	v_add_f64 v[10:11], v[10:11], -v[76:77]
	s_mov_b32 s24, 0
	v_add_f64 v[8:9], v[8:9], v[10:11]
	s_mov_b32 s25, 0x7ff00000
	v_add_f64 v[8:9], v[74:75], v[8:9]
	v_cmp_eq_f64_e32 vcc, s[24:25], v[2:3]
	v_cndmask_b32_e32 v9, v9, v3, vcc
	v_cndmask_b32_e32 v8, v8, v2, vcc
	v_mul_f64 v[8:9], v[8:9], -2.0
	v_cmp_neq_f64_e32 vcc, 0, v[2:3]
	s_mov_b32 s4, 0
	v_cndmask_b32_e32 v3, v93, v9, vcc
	v_cndmask_b32_e32 v2, 0, v8, vcc
	s_brev_b32 s5, 8
	v_cmp_gt_f64_e32 vcc, s[4:5], v[2:3]
	v_cndmask_b32_e64 v8, 0, 1, vcc
	v_lshlrev_b32_e32 v8, 8, v8
	v_ldexp_f64 v[2:3], v[2:3], v8
	v_xor_b32_e32 v6, v0, v6
	v_cvt_f64_u32_e32 v[0:1], v1
	v_rsq_f64_e32 v[8:9], v[2:3]
	v_ldexp_f64 v[0:1], v[0:1], 32
	v_cvt_f64_u32_e32 v[6:7], v6
	v_add_f64 v[0:1], v[0:1], v[6:7]
	v_mov_b32_e32 v6, 0
	v_mov_b32_e32 v7, 0x3cb00000
	v_fmac_f64_e32 v[6:7], 0x3cb00000, v[0:1]
	v_mul_f64 v[0:1], v[2:3], v[8:9]
	v_mul_f64 v[8:9], v[8:9], 0.5
	v_fma_f64 v[10:11], -v[8:9], v[0:1], 0.5
	v_fmac_f64_e32 v[0:1], v[0:1], v[10:11]
	v_fma_f64 v[74:75], -v[0:1], v[0:1], v[2:3]
	v_fmac_f64_e32 v[8:9], v[8:9], v[10:11]
	v_fmac_f64_e32 v[0:1], v[74:75], v[8:9]
	v_fma_f64 v[10:11], -v[0:1], v[0:1], v[2:3]
	v_fmac_f64_e32 v[0:1], v[10:11], v[8:9]
	v_cndmask_b32_e32 v8, 0, v19, vcc
	v_ldexp_f64 v[0:1], v[0:1], v8
	v_cmp_class_f64_e32 vcc, v[2:3], v15
	v_cndmask_b32_e32 v1, v1, v3, vcc
	v_cndmask_b32_e32 v0, v0, v2, vcc
	v_mul_f64 v[2:3], v[6:7], 0.5
	v_fract_f64_e32 v[8:9], v[2:3]
	v_add_f64 v[8:9], v[8:9], v[8:9]
	v_cmp_neq_f64_e32 vcc, s[24:25], v[2:3]
	v_cndmask_b32_e32 v2, 0, v8, vcc
	v_cndmask_b32_e32 v3, 0, v9, vcc
	v_cmp_lt_f64_e32 vcc, 1.0, v[6:7]
	v_cndmask_b32_e32 v3, v7, v3, vcc
	v_cndmask_b32_e32 v2, v6, v2, vcc
	v_add_f64 v[8:9], v[2:3], v[2:3]
	v_rndne_f64_e32 v[8:9], v[8:9]
	v_fmac_f64_e32 v[2:3], -0.5, v[8:9]
	s_mov_b32 s22, 0xf99eb0bb
	v_cvt_i32_f64_e32 v17, v[8:9]
	v_mul_f64 v[8:9], v[2:3], v[2:3]
	v_pk_mov_b32 v[10:11], v[50:51], v[50:51] op_sel:[0,1]
	s_mov_b32 s23, 0x3f3e357e
	v_fmac_f64_e32 v[10:11], s[22:23], v[8:9]
	v_pk_mov_b32 v[74:75], v[52:53], v[52:53] op_sel:[0,1]
	v_fmac_f64_e32 v[74:75], v[8:9], v[10:11]
	v_pk_mov_b32 v[10:11], v[54:55], v[54:55] op_sel:[0,1]
	;; [unrolled: 2-line block ×4, first 2 shown]
	v_fmac_f64_e32 v[10:11], v[8:9], v[74:75]
	v_mul_f64 v[74:75], v[2:3], v[8:9]
	s_mov_b32 s22, 0x54442d18
	v_mul_f64 v[10:11], v[74:75], v[10:11]
	s_mov_b32 s23, 0x400921fb
	v_fmac_f64_e32 v[10:11], s[22:23], v[2:3]
	s_mov_b32 s22, 0x2e21c33
	v_pk_mov_b32 v[2:3], v[60:61], v[60:61] op_sel:[0,1]
	s_mov_b32 s23, 0xbf1b1673
	v_fmac_f64_e32 v[2:3], s[22:23], v[8:9]
	v_pk_mov_b32 v[74:75], v[62:63], v[62:63] op_sel:[0,1]
	v_fmac_f64_e32 v[74:75], v[8:9], v[2:3]
	v_pk_mov_b32 v[2:3], v[64:65], v[64:65] op_sel:[0,1]
	;; [unrolled: 2-line block ×5, first 2 shown]
	v_fmac_f64_e32 v[74:75], v[8:9], v[2:3]
	v_fma_f64 v[2:3], v[8:9], v[74:75], 1.0
	v_and_b32_e32 v9, 1, v17
	v_lshlrev_b32_e32 v8, 30, v17
	v_cmp_eq_u32_e32 vcc, 0, v9
	v_cndmask_b32_e32 v10, v2, v10, vcc
	v_cndmask_b32_e32 v2, v3, v11, vcc
	v_xor_b32_e32 v3, v8, v7
	v_and_b32_e32 v3, 0x80000000, v3
	v_cmp_gt_f64_e32 vcc, s[4:5], v[4:5]
	v_xor_b32_e32 v11, v2, v3
	v_cndmask_b32_e64 v2, 0, 1, vcc
	v_lshlrev_b32_e32 v2, 8, v2
	v_ldexp_f64 v[2:3], v[4:5], v2
	v_rsq_f64_e32 v[8:9], v[2:3]
	v_cmp_lg_f64_e64 s[4:5], s[24:25], v[6:7]
	v_cndmask_b32_e64 v6, 0, v10, s[4:5]
	v_cndmask_b32_e64 v7, v91, v11, s[4:5]
	v_mul_f64 v[0:1], v[0:1], v[6:7]
	v_mul_f64 v[6:7], v[2:3], v[8:9]
	v_mul_f64 v[8:9], v[8:9], 0.5
	v_fma_f64 v[10:11], -v[8:9], v[6:7], 0.5
	v_fmac_f64_e32 v[6:7], v[6:7], v[10:11]
	v_fma_f64 v[74:75], -v[6:7], v[6:7], v[2:3]
	v_fmac_f64_e32 v[8:9], v[8:9], v[10:11]
	v_fmac_f64_e32 v[6:7], v[74:75], v[8:9]
	v_fma_f64 v[10:11], -v[6:7], v[6:7], v[2:3]
	v_fmac_f64_e32 v[6:7], v[10:11], v[8:9]
	v_cndmask_b32_e32 v8, 0, v19, vcc
	v_ldexp_f64 v[6:7], v[6:7], v8
	v_cmp_class_f64_e32 vcc, v[2:3], v15
	v_cndmask_b32_e32 v3, v7, v3, vcc
	v_cndmask_b32_e32 v2, v6, v2, vcc
	v_fmac_f64_e32 v[4:5], v[2:3], v[0:1]
	v_trunc_f64_e32 v[0:1], v[4:5]
	v_add_f64 v[2:3], v[4:5], -v[0:1]
	v_cmp_ge_f64_e64 vcc, |v[2:3]|, 0.5
	v_cndmask_b32_e32 v2, 0, v90, vcc
	s_brev_b32 s4, -2
	v_bfi_b32 v17, s4, v2, v5
	v_add_f64 v[0:1], v[0:1], v[16:17]
	v_cvt_u32_f64_e32 v77, v[0:1]
.LBB99_37:                              ;   in Loop: Header=BB99_6 Depth=1
	s_or_b64 exec, exec, s[18:19]
                                        ; implicit-def: $vgpr6
                                        ; implicit-def: $vgpr74_vgpr75
                                        ; implicit-def: $vgpr17
                                        ; implicit-def: $vgpr95
                                        ; implicit-def: $vgpr96
                                        ; implicit-def: $vgpr103
                                        ; implicit-def: $vgpr94
                                        ; implicit-def: $vgpr3
                                        ; implicit-def: $vgpr4_vgpr5
                                        ; implicit-def: $vgpr97
                                        ; implicit-def: $vgpr98
                                        ; implicit-def: $vgpr99
                                        ; implicit-def: $vgpr100
                                        ; implicit-def: $vgpr102
                                        ; implicit-def: $vgpr104
                                        ; implicit-def: $vgpr105
                                        ; implicit-def: $vgpr106
                                        ; implicit-def: $vgpr107
                                        ; implicit-def: $vgpr108
                                        ; implicit-def: $vgpr109
                                        ; implicit-def: $vgpr110
                                        ; implicit-def: $vgpr111
                                        ; implicit-def: $vgpr112
                                        ; implicit-def: $vgpr101
                                        ; implicit-def: $vgpr113
.LBB99_38:                              ;   in Loop: Header=BB99_6 Depth=1
	s_andn2_saveexec_b64 s[4:5], s[26:27]
	s_cbranch_execz .LBB99_4
; %bb.39:                               ;   in Loop: Header=BB99_6 Depth=1
	v_readlane_b32 s18, v132, 19
	v_readlane_b32 s19, v132, 20
	s_mov_b32 s18, s58
	v_mul_f64 v[8:9], v[4:5], s[18:19]
	v_rndne_f64_e32 v[10:11], v[8:9]
	s_mov_b32 s60, s52
	v_fma_f64 v[4:5], v[10:11], s[60:61], -v[4:5]
	s_mov_b32 s62, s54
	v_fmac_f64_e32 v[4:5], s[62:63], v[10:11]
	v_pk_mov_b32 v[8:9], v[32:33], v[32:33] op_sel:[0,1]
	v_fmac_f64_e32 v[8:9], s[64:65], v[4:5]
	v_pk_mov_b32 v[76:77], v[34:35], v[34:35] op_sel:[0,1]
	;; [unrolled: 2-line block ×9, first 2 shown]
	v_fmac_f64_e32 v[78:79], v[4:5], v[76:77]
	v_fma_f64 v[76:77], v[4:5], v[78:79], 1.0
	v_fma_f64 v[4:5], v[4:5], v[76:77], 1.0
	v_cvt_i32_f64_e32 v7, v[10:11]
	s_mov_b32 s18, 0x44866000
	s_mov_b32 s23, s19
	v_mov_b32_e32 v8, 0
	v_ldexp_f64 v[4:5], v[4:5], v7
	v_cmp_nlt_f32_e32 vcc, s18, v6
	v_writelane_b32 v132, s22, 19
	v_mov_b32_e32 v9, 0x3ff00000
	v_mov_b32_e32 v80, 0
	v_cndmask_b32_e32 v11, 0, v5, vcc
	v_cndmask_b32_e32 v10, 0, v4, vcc
	s_mov_b32 s51, -1
	s_mov_b64 s[18:19], 0
	v_mov_b32_e32 v81, v12
	v_writelane_b32 v132, s23, 20
	s_branch .LBB99_41
.LBB99_40:                              ;   in Loop: Header=BB99_41 Depth=2
	s_or_b64 exec, exec, s[22:23]
	v_cmp_eq_u32_e32 vcc, 1, v17
	v_cndmask_b32_e32 v0, v0, v1, vcc
	v_cmp_eq_u32_e32 vcc, 2, v17
	v_cndmask_b32_e32 v0, v0, v2, vcc
	;; [unrolled: 2-line block ×6, first 2 shown]
	v_lshrrev_b32_e32 v0, 11, v0
	v_cvt_f64_u32_e32 v[0:1], v0
	v_ldexp_f64 v[0:1], v[0:1], 32
	v_cvt_f64_u32_e32 v[2:3], v2
	v_add_f64 v[0:1], v[0:1], v[2:3]
	v_mov_b32_e32 v2, 0
	v_mov_b32_e32 v3, 0x3ca00000
	v_fmac_f64_e32 v[2:3], 0x3ca00000, v[0:1]
	v_mul_f64 v[8:9], v[8:9], v[2:3]
	v_cmp_ngt_f64_e32 vcc, v[8:9], v[10:11]
	s_add_i32 s51, s51, 1
	s_or_b64 s[18:19], vcc, s[18:19]
	v_mov_b32_e32 v77, s51
	v_mov_b32_e32 v17, v83
	;; [unrolled: 1-line block ×6, first 2 shown]
	s_andn2_b64 exec, exec, s[18:19]
	s_cbranch_execz .LBB99_3
.LBB99_41:                              ;   Parent Loop BB99_6 Depth=1
                                        ; =>  This Inner Loop Header: Depth=2
	v_add_u32_e32 v82, 1, v17
	v_pk_mov_b32 v[6:7], v[2:3], v[2:3] op_sel:[0,1]
	v_cmp_eq_u32_e32 vcc, 4, v82
	v_pk_mov_b32 v[4:5], v[0:1], v[0:1] op_sel:[0,1]
	v_mov_b32_e32 v79, v0
	v_mov_b32_e32 v78, v1
	;; [unrolled: 1-line block ×4, first 2 shown]
	s_and_saveexec_b64 s[22:23], vcc
	s_cbranch_execz .LBB99_43
; %bb.42:                               ;   in Loop: Header=BB99_41 Depth=2
	v_add_co_u32_e32 v95, vcc, 1, v95
	v_cndmask_b32_e64 v4, 0, 1, vcc
	v_addc_co_u32_e32 v96, vcc, 0, v96, vcc
	v_cmp_eq_u32_e32 vcc, 0, v96
	v_cndmask_b32_e32 v4, 0, v4, vcc
	v_add_u32_e32 v81, v4, v81
	v_cmp_eq_u32_e32 vcc, 0, v81
	v_cndmask_b32_e32 v4, 0, v4, vcc
	v_add_u32_e32 v80, v4, v80
	v_mad_u64_u32 v[4:5], s[56:57], v95, s8, 0
	v_mad_u64_u32 v[6:7], s[56:57], v81, s33, 0
	v_xor_b32_e32 v5, v5, v75
	v_xor_b32_e32 v7, v7, v74
	v_xor_b32_e32 v5, v80, v5
	v_xor_b32_e32 v7, v96, v7
	v_mad_u64_u32 v[78:79], s[56:57], v5, s33, 0
	v_mad_u64_u32 v[76:77], s[56:57], v7, s8, 0
	v_xor_b32_e32 v5, v97, v79
	v_xor_b32_e32 v5, v5, v6
	v_xor_b32_e32 v6, v98, v77
	v_xor_b32_e32 v6, v6, v4
	;; [unrolled: 6-line block ×10, first 2 shown]
	v_mov_b32_e32 v82, 0
	v_mov_b32_e32 v5, v78
	;; [unrolled: 1-line block ×5, first 2 shown]
.LBB99_43:                              ;   in Loop: Header=BB99_41 Depth=2
	s_or_b64 exec, exec, s[22:23]
	v_add_u32_e32 v83, 1, v82
	v_cmp_eq_u32_e32 vcc, 4, v83
	s_and_saveexec_b64 s[22:23], vcc
	s_cbranch_execz .LBB99_40
; %bb.44:                               ;   in Loop: Header=BB99_41 Depth=2
	v_add_co_u32_e32 v95, vcc, 1, v95
	v_cndmask_b32_e64 v76, 0, 1, vcc
	v_addc_co_u32_e32 v96, vcc, 0, v96, vcc
	v_cmp_eq_u32_e32 vcc, 0, v96
	v_cndmask_b32_e32 v76, 0, v76, vcc
	v_add_u32_e32 v81, v76, v81
	v_cmp_eq_u32_e32 vcc, 0, v81
	v_cndmask_b32_e32 v76, 0, v76, vcc
	v_add_u32_e32 v80, v76, v80
	v_mad_u64_u32 v[76:77], s[56:57], v95, s8, 0
	v_mad_u64_u32 v[78:79], s[56:57], v81, s33, 0
	v_xor_b32_e32 v77, v77, v75
	v_xor_b32_e32 v79, v79, v74
	v_xor_b32_e32 v77, v80, v77
	v_xor_b32_e32 v79, v96, v79
	v_mad_u64_u32 v[86:87], s[56:57], v77, s33, 0
	v_mad_u64_u32 v[84:85], s[56:57], v79, s8, 0
	v_xor_b32_e32 v77, v97, v87
	v_xor_b32_e32 v77, v77, v78
	v_xor_b32_e32 v78, v98, v85
	v_xor_b32_e32 v78, v78, v76
	;; [unrolled: 6-line block ×9, first 2 shown]
	v_mad_u64_u32 v[76:77], s[56:57], v76, s8, 0
	v_mad_u64_u32 v[78:79], s[56:57], v78, s33, 0
	v_xor_b32_e32 v79, v79, v114
	v_xor_b32_e32 v77, v77, v88
	v_mov_b32_e32 v83, 0
	v_xor_b32_e32 v79, v103, v79
	v_xor_b32_e32 v84, v94, v77
	s_branch .LBB99_40
.LBB99_45:
	s_or_b64 exec, exec, s[6:7]
	s_and_b64 exec, exec, s[94:95]
	s_cbranch_execnz .LBB99_48
.LBB99_46:
	s_endpgm
.LBB99_47:
	s_mov_b64 s[94:95], -1
	s_and_b64 exec, exec, s[94:95]
	s_cbranch_execz .LBB99_46
.LBB99_48:
	s_trap 2
	; divergent unreachable
	s_endpgm
	.section	.rodata,"a",@progbits
	.p2align	6, 0x0
	.amdhsa_kernel _ZN2at4cuda12_GLOBAL__N_121kernelPointwiseApply2IZN12_GLOBAL__N_119poisson_cuda_kernelIN3c108BFloat16EEEvRKNS_10TensorBaseES9_NS_15PhiloxCudaStateEEUlRS6_RKS6_E_S6_S6_mLi1ELi1ELi1ELi512ELi2EEEvNS0_6detail10TensorInfoIT0_T2_EENSG_IT1_SI_EESI_T_
		.amdhsa_group_segment_fixed_size 0
		.amdhsa_private_segment_fixed_size 0
		.amdhsa_kernarg_size 1128
		.amdhsa_user_sgpr_count 6
		.amdhsa_user_sgpr_private_segment_buffer 1
		.amdhsa_user_sgpr_dispatch_ptr 0
		.amdhsa_user_sgpr_queue_ptr 0
		.amdhsa_user_sgpr_kernarg_segment_ptr 1
		.amdhsa_user_sgpr_dispatch_id 0
		.amdhsa_user_sgpr_flat_scratch_init 0
		.amdhsa_user_sgpr_kernarg_preload_length 0
		.amdhsa_user_sgpr_kernarg_preload_offset 0
		.amdhsa_user_sgpr_private_segment_size 0
		.amdhsa_uses_dynamic_stack 0
		.amdhsa_system_sgpr_private_segment_wavefront_offset 0
		.amdhsa_system_sgpr_workgroup_id_x 1
		.amdhsa_system_sgpr_workgroup_id_y 0
		.amdhsa_system_sgpr_workgroup_id_z 0
		.amdhsa_system_sgpr_workgroup_info 0
		.amdhsa_system_vgpr_workitem_id 0
		.amdhsa_next_free_vgpr 133
		.amdhsa_next_free_sgpr 96
		.amdhsa_accum_offset 136
		.amdhsa_reserve_vcc 1
		.amdhsa_reserve_flat_scratch 0
		.amdhsa_float_round_mode_32 0
		.amdhsa_float_round_mode_16_64 0
		.amdhsa_float_denorm_mode_32 3
		.amdhsa_float_denorm_mode_16_64 3
		.amdhsa_dx10_clamp 1
		.amdhsa_ieee_mode 1
		.amdhsa_fp16_overflow 0
		.amdhsa_tg_split 0
		.amdhsa_exception_fp_ieee_invalid_op 0
		.amdhsa_exception_fp_denorm_src 0
		.amdhsa_exception_fp_ieee_div_zero 0
		.amdhsa_exception_fp_ieee_overflow 0
		.amdhsa_exception_fp_ieee_underflow 0
		.amdhsa_exception_fp_ieee_inexact 0
		.amdhsa_exception_int_div_zero 0
	.end_amdhsa_kernel
	.section	.text._ZN2at4cuda12_GLOBAL__N_121kernelPointwiseApply2IZN12_GLOBAL__N_119poisson_cuda_kernelIN3c108BFloat16EEEvRKNS_10TensorBaseES9_NS_15PhiloxCudaStateEEUlRS6_RKS6_E_S6_S6_mLi1ELi1ELi1ELi512ELi2EEEvNS0_6detail10TensorInfoIT0_T2_EENSG_IT1_SI_EESI_T_,"axG",@progbits,_ZN2at4cuda12_GLOBAL__N_121kernelPointwiseApply2IZN12_GLOBAL__N_119poisson_cuda_kernelIN3c108BFloat16EEEvRKNS_10TensorBaseES9_NS_15PhiloxCudaStateEEUlRS6_RKS6_E_S6_S6_mLi1ELi1ELi1ELi512ELi2EEEvNS0_6detail10TensorInfoIT0_T2_EENSG_IT1_SI_EESI_T_,comdat
.Lfunc_end99:
	.size	_ZN2at4cuda12_GLOBAL__N_121kernelPointwiseApply2IZN12_GLOBAL__N_119poisson_cuda_kernelIN3c108BFloat16EEEvRKNS_10TensorBaseES9_NS_15PhiloxCudaStateEEUlRS6_RKS6_E_S6_S6_mLi1ELi1ELi1ELi512ELi2EEEvNS0_6detail10TensorInfoIT0_T2_EENSG_IT1_SI_EESI_T_, .Lfunc_end99-_ZN2at4cuda12_GLOBAL__N_121kernelPointwiseApply2IZN12_GLOBAL__N_119poisson_cuda_kernelIN3c108BFloat16EEEvRKNS_10TensorBaseES9_NS_15PhiloxCudaStateEEUlRS6_RKS6_E_S6_S6_mLi1ELi1ELi1ELi512ELi2EEEvNS0_6detail10TensorInfoIT0_T2_EENSG_IT1_SI_EESI_T_
                                        ; -- End function
	.section	.AMDGPU.csdata,"",@progbits
; Kernel info:
; codeLenInByte = 13636
; NumSgprs: 100
; NumVgprs: 133
; NumAgprs: 0
; TotalNumVgprs: 133
; ScratchSize: 0
; MemoryBound: 0
; FloatMode: 240
; IeeeMode: 1
; LDSByteSize: 0 bytes/workgroup (compile time only)
; SGPRBlocks: 12
; VGPRBlocks: 16
; NumSGPRsForWavesPerEU: 100
; NumVGPRsForWavesPerEU: 133
; AccumOffset: 136
; Occupancy: 3
; WaveLimiterHint : 1
; COMPUTE_PGM_RSRC2:SCRATCH_EN: 0
; COMPUTE_PGM_RSRC2:USER_SGPR: 6
; COMPUTE_PGM_RSRC2:TRAP_HANDLER: 0
; COMPUTE_PGM_RSRC2:TGID_X_EN: 1
; COMPUTE_PGM_RSRC2:TGID_Y_EN: 0
; COMPUTE_PGM_RSRC2:TGID_Z_EN: 0
; COMPUTE_PGM_RSRC2:TIDIG_COMP_CNT: 0
; COMPUTE_PGM_RSRC3_GFX90A:ACCUM_OFFSET: 33
; COMPUTE_PGM_RSRC3_GFX90A:TG_SPLIT: 0
	.section	.text._ZN2at4cuda12_GLOBAL__N_121kernelPointwiseApply2IZN12_GLOBAL__N_119poisson_cuda_kernelIN3c108BFloat16EEEvRKNS_10TensorBaseES9_NS_15PhiloxCudaStateEEUlRS6_RKS6_E_S6_S6_mLin1ELin1ELi1ELi512ELi2EEEvNS0_6detail10TensorInfoIT0_T2_EENSG_IT1_SI_EESI_T_,"axG",@progbits,_ZN2at4cuda12_GLOBAL__N_121kernelPointwiseApply2IZN12_GLOBAL__N_119poisson_cuda_kernelIN3c108BFloat16EEEvRKNS_10TensorBaseES9_NS_15PhiloxCudaStateEEUlRS6_RKS6_E_S6_S6_mLin1ELin1ELi1ELi512ELi2EEEvNS0_6detail10TensorInfoIT0_T2_EENSG_IT1_SI_EESI_T_,comdat
	.globl	_ZN2at4cuda12_GLOBAL__N_121kernelPointwiseApply2IZN12_GLOBAL__N_119poisson_cuda_kernelIN3c108BFloat16EEEvRKNS_10TensorBaseES9_NS_15PhiloxCudaStateEEUlRS6_RKS6_E_S6_S6_mLin1ELin1ELi1ELi512ELi2EEEvNS0_6detail10TensorInfoIT0_T2_EENSG_IT1_SI_EESI_T_ ; -- Begin function _ZN2at4cuda12_GLOBAL__N_121kernelPointwiseApply2IZN12_GLOBAL__N_119poisson_cuda_kernelIN3c108BFloat16EEEvRKNS_10TensorBaseES9_NS_15PhiloxCudaStateEEUlRS6_RKS6_E_S6_S6_mLin1ELin1ELi1ELi512ELi2EEEvNS0_6detail10TensorInfoIT0_T2_EENSG_IT1_SI_EESI_T_
	.p2align	8
	.type	_ZN2at4cuda12_GLOBAL__N_121kernelPointwiseApply2IZN12_GLOBAL__N_119poisson_cuda_kernelIN3c108BFloat16EEEvRKNS_10TensorBaseES9_NS_15PhiloxCudaStateEEUlRS6_RKS6_E_S6_S6_mLin1ELin1ELi1ELi512ELi2EEEvNS0_6detail10TensorInfoIT0_T2_EENSG_IT1_SI_EESI_T_,@function
_ZN2at4cuda12_GLOBAL__N_121kernelPointwiseApply2IZN12_GLOBAL__N_119poisson_cuda_kernelIN3c108BFloat16EEEvRKNS_10TensorBaseES9_NS_15PhiloxCudaStateEEUlRS6_RKS6_E_S6_S6_mLin1ELin1ELi1ELi512ELi2EEEvNS0_6detail10TensorInfoIT0_T2_EENSG_IT1_SI_EESI_T_: ; @_ZN2at4cuda12_GLOBAL__N_121kernelPointwiseApply2IZN12_GLOBAL__N_119poisson_cuda_kernelIN3c108BFloat16EEEvRKNS_10TensorBaseES9_NS_15PhiloxCudaStateEEUlRS6_RKS6_E_S6_S6_mLin1ELin1ELi1ELi512ELi2EEEvNS0_6detail10TensorInfoIT0_T2_EENSG_IT1_SI_EESI_T_
; %bb.0:
	s_load_dword s2, s[4:5], 0x374
	s_load_dwordx8 s[8:15], s[4:5], 0x340
	s_add_u32 s0, s4, 0x368
	s_addc_u32 s1, s5, 0
	v_mov_b32_e32 v14, 0
	s_waitcnt lgkmcnt(0)
	s_and_b32 s2, s2, 0xffff
	s_mul_i32 s6, s6, s2
	v_add_u32_e32 v12, s6, v0
	v_mov_b32_e32 v13, v14
	v_cmp_gt_u64_e32 vcc, s[8:9], v[12:13]
	s_and_saveexec_b64 s[6:7], vcc
	s_cbranch_execz .LBB100_63
; %bb.1:
	s_load_dword s3, s[0:1], 0x0
	s_load_dword s18, s[4:5], 0x198
	;; [unrolled: 1-line block ×4, first 2 shown]
	s_load_dwordx2 s[20:21], s[4:5], 0x1a0
                                        ; implicit-def: $vgpr134 : SGPR spill to VGPR lane
	s_add_u32 s16, s4, 0x1a0
	s_addc_u32 s17, s5, 0
	s_waitcnt lgkmcnt(0)
	s_cmp_gt_i32 s18, 1
                                        ; kill: killed $sgpr0 killed $sgpr1
	s_cselect_b64 s[0:1], -1, 0
	v_writelane_b32 v134, s20, 0
	v_writelane_b32 v134, s21, 1
	s_load_dwordx2 s[20:21], s[4:5], 0xd0
	s_cmp_gt_i32 s19, 1
	s_mov_b32 s33, 0xcd9e8d57
	s_mul_i32 s2, s3, s2
	s_mov_b32 s38, 0
	s_waitcnt lgkmcnt(0)
	v_writelane_b32 v134, s20, 2
	v_writelane_b32 v134, s21, 3
	;; [unrolled: 1-line block ×4, first 2 shown]
	s_load_dwordx2 s[0:1], s[4:5], 0x270
	s_mov_b32 s44, 0x55555555
	s_mov_b32 s46, 0x6b47b09a
	;; [unrolled: 1-line block ×4, first 2 shown]
	s_waitcnt lgkmcnt(0)
	v_writelane_b32 v134, s0, 6
	v_writelane_b32 v134, s1, 7
	s_cselect_b64 s[0:1], -1, 0
	v_writelane_b32 v134, s0, 8
	v_writelane_b32 v134, s1, 9
	s_load_dwordx2 s[0:1], s[4:5], 0x0
	s_mov_b32 s52, 0x16291751
	s_mov_b32 s54, 0x9b27acf1
	s_mov_b32 s56, 0x998ef7b6
	s_mov_b32 s60, 0xfefa39ef
	s_waitcnt lgkmcnt(0)
	v_writelane_b32 v134, s0, 10
	v_writelane_b32 v134, s1, 11
	s_getpc_b64 s[0:1]
	s_add_u32 s0, s0, .str@rel32@lo+4
	s_addc_u32 s1, s1, .str@rel32@hi+12
	s_cmp_eq_u64 s[0:1], 0
	s_cselect_b64 s[0:1], -1, 0
	s_bitcmp1_b32 s6, 0
	s_cselect_b64 s[6:7], -1, 0
	v_writelane_b32 v134, s6, 12
	v_writelane_b32 v134, s7, 13
	v_mad_u64_u32 v[16:17], s[6:7], v12, s33, 0
	v_writelane_b32 v134, s2, 14
	s_mov_b32 s6, 0
	s_add_i32 s2, s18, 1
	v_writelane_b32 v134, s2, 15
	s_add_i32 s2, s18, -1
	s_mov_b32 s3, s6
	s_lshl_b64 s[2:3], s[2:3], 3
	s_add_u32 s2, s2, s4
	s_addc_u32 s3, s3, s5
	s_add_u32 s2, s2, 8
	s_addc_u32 s3, s3, 0
	v_writelane_b32 v134, s2, 16
	v_writelane_b32 v134, s3, 17
	s_add_i32 s2, s19, 1
	v_writelane_b32 v134, s2, 18
	s_add_i32 s2, s19, -1
	s_mov_b32 s3, s6
	s_lshl_b64 s[2:3], s[2:3], 3
	s_add_u32 s2, s2, s16
	s_addc_u32 s3, s3, s17
	s_add_u32 s2, s2, 8
	s_addc_u32 s3, s3, 0
	v_writelane_b32 v134, s2, 19
	v_writelane_b32 v134, s3, 20
	s_xor_b64 s[0:1], s[0:1], -1
	v_writelane_b32 v134, s0, 21
	s_mov_b32 s62, 0x3b39803f
	s_mov_b32 s66, 0x652b82fe
	v_writelane_b32 v134, s1, 22
	s_mov_b32 s74, 0x6a5dcb37
	s_mov_b32 s76, 0
	;; [unrolled: 1-line block ×15, first 2 shown]
	s_movk_i32 s64, 0xf950
	s_mov_b32 s24, 0xc864beb5
	s_mov_b32 s18, 0
	s_mov_b32 s22, 0x8b145769
	s_mov_b32 s1, 0xbff71547
	s_mov_b64 s[26:27], 0
	v_mov_b32_e32 v18, v17
	s_mov_b32 s70, 0xd2511f53
	s_mov_b32 s39, 0x40080000
	;; [unrolled: 1-line block ×12, first 2 shown]
	s_movk_i32 s71, 0x204
	s_mov_b32 s67, 0x3ff71547
	s_mov_b32 s69, 0xbfe62e42
	v_mov_b32_e32 v20, 0x6b47b09a
	v_mov_b32_e32 v22, 0xd7f4df2e
	;; [unrolled: 1-line block ×26, first 2 shown]
	v_pk_mov_b32 v[72:73], v[12:13], v[12:13] op_sel:[0,1]
	v_mov_b32_e32 v13, 0x260
	v_mov_b32_e32 v17, 0xffffff80
	;; [unrolled: 1-line block ×32, first 2 shown]
	s_mov_b32 s73, 0xbc7abc9e
	s_mov_b32 s75, 0x3e5ade15
	;; [unrolled: 1-line block ×20, first 2 shown]
	v_writelane_b32 v134, s0, 23
	v_writelane_b32 v134, s1, 24
                                        ; implicit-def: $sgpr28_sgpr29
                                        ; implicit-def: $sgpr30_sgpr31
	s_branch .LBB100_5
.LBB100_2:                              ;   in Loop: Header=BB100_5 Depth=1
	s_or_b64 exec, exec, s[0:1]
.LBB100_3:                              ;   in Loop: Header=BB100_5 Depth=1
	s_or_b64 exec, exec, s[4:5]
	v_cvt_f32_u32_e32 v3, v79
	v_readlane_b32 s0, v134, 10
	v_lshlrev_b64 v[0:1], 1, v[74:75]
	v_readlane_b32 s1, v134, 11
	v_mov_b32_e32 v2, s1
	v_add_co_u32_e32 v0, vcc, s0, v0
	v_addc_co_u32_e32 v1, vcc, v2, v1, vcc
	v_bfe_u32 v2, v3, 16, 1
	s_movk_i32 s0, 0x7fff
	v_add3_u32 v2, v3, v2, s0
	s_mov_b32 s0, 0
	global_store_short_d16_hi v[0:1], v2, off
	v_mov_b32_e32 v0, s0
	v_readlane_b32 s0, v134, 14
	v_add_co_u32_e32 v72, vcc, s0, v72
	v_addc_co_u32_e32 v73, vcc, v73, v0, vcc
	v_cmp_le_u64_e32 vcc, s[8:9], v[72:73]
	s_andn2_b64 s[30:31], s[30:31], exec
	s_orn2_b64 s[0:1], vcc, exec
.LBB100_4:                              ;   in Loop: Header=BB100_5 Depth=1
	s_or_b64 exec, exec, s[2:3]
	s_and_b64 s[0:1], exec, s[0:1]
	s_or_b64 s[26:27], s[0:1], s[26:27]
	s_andn2_b64 s[0:1], s[28:29], exec
	s_and_b64 s[2:3], s[30:31], exec
	s_or_b64 s[28:29], s[0:1], s[2:3]
	s_andn2_b64 exec, exec, s[26:27]
	s_cbranch_execz .LBB100_62
.LBB100_5:                              ; =>This Loop Header: Depth=1
                                        ;     Child Loop BB100_7 Depth 2
                                        ;     Child Loop BB100_16 Depth 2
	;; [unrolled: 1-line block ×4, first 2 shown]
	v_sub_u32_e32 v0, s8, v72
	v_cmp_lt_i32_e64 s[0:1], 0, v0
	v_pk_mov_b32 v[74:75], 0, 0
	s_and_saveexec_b64 s[4:5], s[0:1]
	s_cbranch_execz .LBB100_14
; %bb.6:                                ;   in Loop: Header=BB100_5 Depth=1
	v_readlane_b32 s2, v134, 4
	v_readlane_b32 s3, v134, 5
	;; [unrolled: 1-line block ×3, first 2 shown]
	s_andn2_b64 vcc, exec, s[2:3]
	v_pk_mov_b32 v[0:1], 0, 0
	v_readlane_b32 s7, v134, 17
	v_readlane_b32 s59, v134, 15
	v_pk_mov_b32 v[2:3], v[72:73], v[72:73] op_sel:[0,1]
	v_pk_mov_b32 v[4:5], v[72:73], v[72:73] op_sel:[0,1]
	s_cbranch_vccnz .LBB100_13
.LBB100_7:                              ;   Parent Loop BB100_5 Depth=1
                                        ; =>  This Inner Loop Header: Depth=2
	s_load_dwordx2 s[16:17], s[6:7], 0x0
                                        ; implicit-def: $vgpr4_vgpr5
	s_waitcnt lgkmcnt(0)
	v_or_b32_e32 v15, s17, v3
	v_cmp_ne_u64_e32 vcc, 0, v[14:15]
	s_and_saveexec_b64 s[2:3], vcc
	s_xor_b64 s[20:21], exec, s[2:3]
	s_cbranch_execz .LBB100_9
; %bb.8:                                ;   in Loop: Header=BB100_7 Depth=2
	v_cvt_f32_u32_e32 v4, s16
	v_cvt_f32_u32_e32 v5, s17
	s_sub_u32 s2, 0, s16
	s_subb_u32 s3, 0, s17
	v_mac_f32_e32 v4, 0x4f800000, v5
	v_rcp_f32_e32 v4, v4
	v_mul_f32_e32 v4, 0x5f7ffffc, v4
	v_mul_f32_e32 v5, 0x2f800000, v4
	v_trunc_f32_e32 v5, v5
	v_mac_f32_e32 v4, 0xcf800000, v5
	v_cvt_u32_f32_e32 v5, v5
	v_cvt_u32_f32_e32 v4, v4
	v_mul_lo_u32 v6, s2, v5
	v_mul_hi_u32 v8, s2, v4
	v_mul_lo_u32 v7, s3, v4
	v_add_u32_e32 v6, v8, v6
	v_mul_lo_u32 v9, s2, v4
	v_add_u32_e32 v6, v6, v7
	v_mul_hi_u32 v8, v4, v9
	v_mul_lo_u32 v10, v4, v6
	v_mul_hi_u32 v7, v4, v6
	v_add_co_u32_e32 v8, vcc, v8, v10
	v_addc_co_u32_e32 v7, vcc, 0, v7, vcc
	v_mul_hi_u32 v11, v5, v9
	v_mul_lo_u32 v9, v5, v9
	v_add_co_u32_e32 v8, vcc, v8, v9
	v_mul_hi_u32 v10, v5, v6
	v_addc_co_u32_e32 v7, vcc, v7, v11, vcc
	v_addc_co_u32_e32 v8, vcc, 0, v10, vcc
	v_mul_lo_u32 v6, v5, v6
	v_add_co_u32_e32 v6, vcc, v7, v6
	v_addc_co_u32_e32 v7, vcc, 0, v8, vcc
	v_add_co_u32_e32 v4, vcc, v4, v6
	v_addc_co_u32_e32 v5, vcc, v5, v7, vcc
	v_mul_lo_u32 v6, s2, v5
	v_mul_hi_u32 v7, s2, v4
	v_add_u32_e32 v6, v7, v6
	v_mul_lo_u32 v7, s3, v4
	v_add_u32_e32 v6, v6, v7
	v_mul_lo_u32 v8, s2, v4
	v_mul_hi_u32 v9, v5, v8
	v_mul_lo_u32 v10, v5, v8
	v_mul_lo_u32 v15, v4, v6
	v_mul_hi_u32 v8, v4, v8
	v_mul_hi_u32 v11, v4, v6
	v_add_co_u32_e32 v8, vcc, v8, v15
	v_addc_co_u32_e32 v11, vcc, 0, v11, vcc
	v_add_co_u32_e32 v8, vcc, v8, v10
	v_mul_hi_u32 v7, v5, v6
	v_addc_co_u32_e32 v8, vcc, v11, v9, vcc
	v_addc_co_u32_e32 v7, vcc, 0, v7, vcc
	v_mul_lo_u32 v6, v5, v6
	v_add_co_u32_e32 v6, vcc, v8, v6
	v_addc_co_u32_e32 v7, vcc, 0, v7, vcc
	v_add_co_u32_e32 v6, vcc, v4, v6
	v_addc_co_u32_e32 v7, vcc, v5, v7, vcc
	v_mad_u64_u32 v[4:5], s[2:3], v2, v7, 0
	v_mul_hi_u32 v8, v2, v6
	v_add_co_u32_e32 v8, vcc, v8, v4
	v_addc_co_u32_e32 v9, vcc, 0, v5, vcc
	v_mad_u64_u32 v[4:5], s[2:3], v3, v7, 0
	v_mad_u64_u32 v[6:7], s[2:3], v3, v6, 0
	v_add_co_u32_e32 v6, vcc, v8, v6
	v_addc_co_u32_e32 v6, vcc, v9, v7, vcc
	v_addc_co_u32_e32 v5, vcc, 0, v5, vcc
	v_add_co_u32_e32 v6, vcc, v6, v4
	v_addc_co_u32_e32 v7, vcc, 0, v5, vcc
	v_mul_lo_u32 v8, s17, v6
	v_mul_lo_u32 v9, s16, v7
	v_mad_u64_u32 v[4:5], s[2:3], s16, v6, 0
	v_add3_u32 v5, v5, v9, v8
	v_sub_u32_e32 v8, v3, v5
	v_mov_b32_e32 v9, s17
	v_sub_co_u32_e32 v4, vcc, v2, v4
	v_subb_co_u32_e64 v8, s[2:3], v8, v9, vcc
	v_subrev_co_u32_e64 v9, s[2:3], s16, v4
	v_subbrev_co_u32_e64 v8, s[2:3], 0, v8, s[2:3]
	v_cmp_le_u32_e64 s[2:3], s17, v8
	v_cndmask_b32_e64 v10, 0, -1, s[2:3]
	v_cmp_le_u32_e64 s[2:3], s16, v9
	v_cndmask_b32_e64 v9, 0, -1, s[2:3]
	v_cmp_eq_u32_e64 s[2:3], s17, v8
	v_cndmask_b32_e64 v8, v10, v9, s[2:3]
	v_add_co_u32_e64 v9, s[2:3], 2, v6
	v_addc_co_u32_e64 v10, s[2:3], 0, v7, s[2:3]
	v_add_co_u32_e64 v11, s[2:3], 1, v6
	v_addc_co_u32_e64 v15, s[2:3], 0, v7, s[2:3]
	v_subb_co_u32_e32 v5, vcc, v3, v5, vcc
	v_cmp_ne_u32_e64 s[2:3], 0, v8
	v_cmp_le_u32_e32 vcc, s17, v5
	v_cndmask_b32_e64 v8, v15, v10, s[2:3]
	v_cndmask_b32_e64 v10, 0, -1, vcc
	v_cmp_le_u32_e32 vcc, s16, v4
	v_cndmask_b32_e64 v4, 0, -1, vcc
	v_cmp_eq_u32_e32 vcc, s17, v5
	v_cndmask_b32_e32 v4, v10, v4, vcc
	v_cmp_ne_u32_e32 vcc, 0, v4
	v_cndmask_b32_e64 v4, v11, v9, s[2:3]
	v_cndmask_b32_e32 v5, v7, v8, vcc
	v_cndmask_b32_e32 v4, v6, v4, vcc
.LBB100_9:                              ;   in Loop: Header=BB100_7 Depth=2
	s_andn2_saveexec_b64 s[2:3], s[20:21]
	s_cbranch_execz .LBB100_11
; %bb.10:                               ;   in Loop: Header=BB100_7 Depth=2
	v_cvt_f32_u32_e32 v4, s16
	s_sub_i32 s20, 0, s16
	v_rcp_iflag_f32_e32 v4, v4
	v_mul_f32_e32 v4, 0x4f7ffffe, v4
	v_cvt_u32_f32_e32 v4, v4
	v_mul_lo_u32 v5, s20, v4
	v_mul_hi_u32 v5, v4, v5
	v_add_u32_e32 v4, v4, v5
	v_mul_hi_u32 v4, v2, v4
	v_mul_lo_u32 v5, v4, s16
	v_sub_u32_e32 v5, v2, v5
	v_add_u32_e32 v6, 1, v4
	v_subrev_u32_e32 v7, s16, v5
	v_cmp_le_u32_e32 vcc, s16, v5
	v_cndmask_b32_e32 v5, v5, v7, vcc
	v_cndmask_b32_e32 v4, v4, v6, vcc
	v_add_u32_e32 v6, 1, v4
	v_cmp_le_u32_e32 vcc, s16, v5
	v_cndmask_b32_e32 v4, v4, v6, vcc
	v_mov_b32_e32 v5, v14
.LBB100_11:                             ;   in Loop: Header=BB100_7 Depth=2
	s_or_b64 exec, exec, s[2:3]
	v_mad_u64_u32 v[6:7], s[2:3], v4, s16, 0
	s_load_dwordx2 s[2:3], s[6:7], 0xc8
	v_mul_lo_u32 v8, v5, s16
	v_mul_lo_u32 v9, v4, s17
	v_add3_u32 v7, v7, v9, v8
	v_sub_co_u32_e32 v2, vcc, v2, v6
	s_add_i32 s59, s59, -1
	v_subb_co_u32_e32 v3, vcc, v3, v7, vcc
	s_add_u32 s6, s6, -8
	s_waitcnt lgkmcnt(0)
	v_mul_lo_u32 v3, s2, v3
	v_mul_lo_u32 v6, s3, v2
	v_mad_u64_u32 v[0:1], s[2:3], s2, v2, v[0:1]
	s_addc_u32 s7, s7, -1
	s_cmp_gt_u32 s59, 2
	v_add3_u32 v1, v6, v1, v3
	s_cbranch_scc0 .LBB100_13
; %bb.12:                               ;   in Loop: Header=BB100_7 Depth=2
	v_pk_mov_b32 v[2:3], v[4:5], v[4:5] op_sel:[0,1]
	s_branch .LBB100_7
.LBB100_13:                             ;   in Loop: Header=BB100_5 Depth=1
	v_readlane_b32 s6, v134, 2
	v_readlane_b32 s7, v134, 3
	v_mad_u64_u32 v[74:75], s[2:3], s6, v4, v[0:1]
	v_mul_lo_u32 v0, s6, v5
	v_mul_lo_u32 v1, s7, v4
	v_add3_u32 v75, v1, v75, v0
.LBB100_14:                             ;   in Loop: Header=BB100_5 Depth=1
	s_or_b64 exec, exec, s[4:5]
	v_pk_mov_b32 v[0:1], 0, 0
	s_and_saveexec_b64 s[2:3], s[0:1]
	s_cbranch_execz .LBB100_23
; %bb.15:                               ;   in Loop: Header=BB100_5 Depth=1
	v_readlane_b32 s0, v134, 8
	v_readlane_b32 s1, v134, 9
	;; [unrolled: 1-line block ×3, first 2 shown]
	s_andn2_b64 vcc, exec, s[0:1]
	v_pk_mov_b32 v[0:1], 0, 0
	v_readlane_b32 s5, v134, 20
	v_readlane_b32 s20, v134, 18
	v_pk_mov_b32 v[2:3], v[72:73], v[72:73] op_sel:[0,1]
	v_pk_mov_b32 v[4:5], v[72:73], v[72:73] op_sel:[0,1]
	s_cbranch_vccnz .LBB100_22
.LBB100_16:                             ;   Parent Loop BB100_5 Depth=1
                                        ; =>  This Inner Loop Header: Depth=2
	s_load_dwordx2 s[6:7], s[4:5], 0x0
                                        ; implicit-def: $vgpr4_vgpr5
	s_waitcnt lgkmcnt(0)
	v_or_b32_e32 v15, s7, v3
	v_cmp_ne_u64_e32 vcc, 0, v[14:15]
	s_and_saveexec_b64 s[0:1], vcc
	s_xor_b64 s[16:17], exec, s[0:1]
	s_cbranch_execz .LBB100_18
; %bb.17:                               ;   in Loop: Header=BB100_16 Depth=2
	v_cvt_f32_u32_e32 v4, s6
	v_cvt_f32_u32_e32 v5, s7
	s_sub_u32 s0, 0, s6
	s_subb_u32 s1, 0, s7
	v_mac_f32_e32 v4, 0x4f800000, v5
	v_rcp_f32_e32 v4, v4
	v_mul_f32_e32 v4, 0x5f7ffffc, v4
	v_mul_f32_e32 v5, 0x2f800000, v4
	v_trunc_f32_e32 v5, v5
	v_mac_f32_e32 v4, 0xcf800000, v5
	v_cvt_u32_f32_e32 v5, v5
	v_cvt_u32_f32_e32 v4, v4
	v_mul_lo_u32 v6, s0, v5
	v_mul_hi_u32 v8, s0, v4
	v_mul_lo_u32 v7, s1, v4
	v_add_u32_e32 v6, v8, v6
	v_mul_lo_u32 v9, s0, v4
	v_add_u32_e32 v6, v6, v7
	v_mul_hi_u32 v8, v4, v9
	v_mul_lo_u32 v10, v4, v6
	v_mul_hi_u32 v7, v4, v6
	v_add_co_u32_e32 v8, vcc, v8, v10
	v_addc_co_u32_e32 v7, vcc, 0, v7, vcc
	v_mul_hi_u32 v11, v5, v9
	v_mul_lo_u32 v9, v5, v9
	v_add_co_u32_e32 v8, vcc, v8, v9
	v_mul_hi_u32 v10, v5, v6
	v_addc_co_u32_e32 v7, vcc, v7, v11, vcc
	v_addc_co_u32_e32 v8, vcc, 0, v10, vcc
	v_mul_lo_u32 v6, v5, v6
	v_add_co_u32_e32 v6, vcc, v7, v6
	v_addc_co_u32_e32 v7, vcc, 0, v8, vcc
	v_add_co_u32_e32 v4, vcc, v4, v6
	v_addc_co_u32_e32 v5, vcc, v5, v7, vcc
	v_mul_lo_u32 v6, s0, v5
	v_mul_hi_u32 v7, s0, v4
	v_add_u32_e32 v6, v7, v6
	v_mul_lo_u32 v7, s1, v4
	v_add_u32_e32 v6, v6, v7
	v_mul_lo_u32 v8, s0, v4
	v_mul_hi_u32 v9, v5, v8
	v_mul_lo_u32 v10, v5, v8
	v_mul_lo_u32 v15, v4, v6
	v_mul_hi_u32 v8, v4, v8
	v_mul_hi_u32 v11, v4, v6
	v_add_co_u32_e32 v8, vcc, v8, v15
	v_addc_co_u32_e32 v11, vcc, 0, v11, vcc
	v_add_co_u32_e32 v8, vcc, v8, v10
	v_mul_hi_u32 v7, v5, v6
	v_addc_co_u32_e32 v8, vcc, v11, v9, vcc
	v_addc_co_u32_e32 v7, vcc, 0, v7, vcc
	v_mul_lo_u32 v6, v5, v6
	v_add_co_u32_e32 v6, vcc, v8, v6
	v_addc_co_u32_e32 v7, vcc, 0, v7, vcc
	v_add_co_u32_e32 v6, vcc, v4, v6
	v_addc_co_u32_e32 v7, vcc, v5, v7, vcc
	v_mad_u64_u32 v[4:5], s[0:1], v2, v7, 0
	v_mul_hi_u32 v8, v2, v6
	v_add_co_u32_e32 v8, vcc, v8, v4
	v_addc_co_u32_e32 v9, vcc, 0, v5, vcc
	v_mad_u64_u32 v[4:5], s[0:1], v3, v7, 0
	v_mad_u64_u32 v[6:7], s[0:1], v3, v6, 0
	v_add_co_u32_e32 v6, vcc, v8, v6
	v_addc_co_u32_e32 v6, vcc, v9, v7, vcc
	v_addc_co_u32_e32 v5, vcc, 0, v5, vcc
	v_add_co_u32_e32 v6, vcc, v6, v4
	v_addc_co_u32_e32 v7, vcc, 0, v5, vcc
	v_mul_lo_u32 v8, s7, v6
	v_mul_lo_u32 v9, s6, v7
	v_mad_u64_u32 v[4:5], s[0:1], s6, v6, 0
	v_add3_u32 v5, v5, v9, v8
	v_sub_u32_e32 v8, v3, v5
	v_mov_b32_e32 v9, s7
	v_sub_co_u32_e32 v4, vcc, v2, v4
	v_subb_co_u32_e64 v8, s[0:1], v8, v9, vcc
	v_subrev_co_u32_e64 v9, s[0:1], s6, v4
	v_subbrev_co_u32_e64 v8, s[0:1], 0, v8, s[0:1]
	v_cmp_le_u32_e64 s[0:1], s7, v8
	v_cndmask_b32_e64 v10, 0, -1, s[0:1]
	v_cmp_le_u32_e64 s[0:1], s6, v9
	v_cndmask_b32_e64 v9, 0, -1, s[0:1]
	v_cmp_eq_u32_e64 s[0:1], s7, v8
	v_cndmask_b32_e64 v8, v10, v9, s[0:1]
	v_add_co_u32_e64 v9, s[0:1], 2, v6
	v_addc_co_u32_e64 v10, s[0:1], 0, v7, s[0:1]
	v_add_co_u32_e64 v11, s[0:1], 1, v6
	v_addc_co_u32_e64 v15, s[0:1], 0, v7, s[0:1]
	v_subb_co_u32_e32 v5, vcc, v3, v5, vcc
	v_cmp_ne_u32_e64 s[0:1], 0, v8
	v_cmp_le_u32_e32 vcc, s7, v5
	v_cndmask_b32_e64 v8, v15, v10, s[0:1]
	v_cndmask_b32_e64 v10, 0, -1, vcc
	v_cmp_le_u32_e32 vcc, s6, v4
	v_cndmask_b32_e64 v4, 0, -1, vcc
	v_cmp_eq_u32_e32 vcc, s7, v5
	v_cndmask_b32_e32 v4, v10, v4, vcc
	v_cmp_ne_u32_e32 vcc, 0, v4
	v_cndmask_b32_e64 v4, v11, v9, s[0:1]
	v_cndmask_b32_e32 v5, v7, v8, vcc
	v_cndmask_b32_e32 v4, v6, v4, vcc
.LBB100_18:                             ;   in Loop: Header=BB100_16 Depth=2
	s_andn2_saveexec_b64 s[0:1], s[16:17]
	s_cbranch_execz .LBB100_20
; %bb.19:                               ;   in Loop: Header=BB100_16 Depth=2
	v_cvt_f32_u32_e32 v4, s6
	s_sub_i32 s16, 0, s6
	v_rcp_iflag_f32_e32 v4, v4
	v_mul_f32_e32 v4, 0x4f7ffffe, v4
	v_cvt_u32_f32_e32 v4, v4
	v_mul_lo_u32 v5, s16, v4
	v_mul_hi_u32 v5, v4, v5
	v_add_u32_e32 v4, v4, v5
	v_mul_hi_u32 v4, v2, v4
	v_mul_lo_u32 v5, v4, s6
	v_sub_u32_e32 v5, v2, v5
	v_add_u32_e32 v6, 1, v4
	v_subrev_u32_e32 v7, s6, v5
	v_cmp_le_u32_e32 vcc, s6, v5
	v_cndmask_b32_e32 v5, v5, v7, vcc
	v_cndmask_b32_e32 v4, v4, v6, vcc
	v_add_u32_e32 v6, 1, v4
	v_cmp_le_u32_e32 vcc, s6, v5
	v_cndmask_b32_e32 v4, v4, v6, vcc
	v_mov_b32_e32 v5, v14
.LBB100_20:                             ;   in Loop: Header=BB100_16 Depth=2
	s_or_b64 exec, exec, s[0:1]
	v_mad_u64_u32 v[6:7], s[0:1], v4, s6, 0
	s_load_dwordx2 s[0:1], s[4:5], 0xc8
	v_mul_lo_u32 v8, v5, s6
	v_mul_lo_u32 v9, v4, s7
	v_add3_u32 v7, v7, v9, v8
	v_sub_co_u32_e32 v2, vcc, v2, v6
	s_add_i32 s20, s20, -1
	v_subb_co_u32_e32 v3, vcc, v3, v7, vcc
	s_add_u32 s4, s4, -8
	s_waitcnt lgkmcnt(0)
	v_mul_lo_u32 v3, s0, v3
	v_mul_lo_u32 v6, s1, v2
	v_mad_u64_u32 v[0:1], s[0:1], s0, v2, v[0:1]
	s_addc_u32 s5, s5, -1
	s_cmp_gt_u32 s20, 2
	v_add3_u32 v1, v6, v1, v3
	s_cbranch_scc0 .LBB100_22
; %bb.21:                               ;   in Loop: Header=BB100_16 Depth=2
	v_pk_mov_b32 v[2:3], v[4:5], v[4:5] op_sel:[0,1]
	s_branch .LBB100_16
.LBB100_22:                             ;   in Loop: Header=BB100_5 Depth=1
	v_readlane_b32 s4, v134, 6
	v_readlane_b32 s5, v134, 7
	v_mad_u64_u32 v[0:1], s[0:1], s4, v4, v[0:1]
	v_mul_lo_u32 v2, s4, v5
	v_mul_lo_u32 v3, s5, v4
	v_add3_u32 v1, v3, v1, v2
.LBB100_23:                             ;   in Loop: Header=BB100_5 Depth=1
	s_or_b64 exec, exec, s[2:3]
	v_readlane_b32 s0, v134, 0
	v_lshlrev_b64 v[0:1], 1, v[0:1]
	v_readlane_b32 s1, v134, 1
	v_mov_b32_e32 v2, s1
	v_add_co_u32_e32 v0, vcc, s0, v0
	v_addc_co_u32_e32 v1, vcc, v2, v1, vcc
	global_load_ushort v0, v[0:1], off
	v_readlane_b32 s2, v134, 21
	v_readlane_b32 s3, v134, 22
	s_mov_b64 s[0:1], -1
	s_or_b64 s[30:31], s[30:31], exec
	s_waitcnt vmcnt(0)
	v_lshlrev_b32_e32 v6, 16, v0
	v_cmp_le_f32_e32 vcc, 0, v6
	s_and_b64 s[4:5], s[2:3], vcc
	s_and_saveexec_b64 s[2:3], s[4:5]
	s_cbranch_execz .LBB100_4
; %bb.24:                               ;   in Loop: Header=BB100_5 Depth=1
	v_readlane_b32 s0, v134, 12
	v_readlane_b32 s1, v134, 13
	s_andn2_b64 vcc, exec, s[0:1]
	v_pk_mov_b32 v[0:1], s[12:13], s[12:13] op_sel:[0,1]
	v_pk_mov_b32 v[76:77], s[10:11], s[10:11] op_sel:[0,1]
	s_cbranch_vccnz .LBB100_26
; %bb.25:                               ;   in Loop: Header=BB100_5 Depth=1
	v_pk_mov_b32 v[0:1], s[12:13], s[12:13] op_sel:[0,1]
	flat_load_dwordx2 v[0:1], v[0:1]
	v_pk_mov_b32 v[2:3], s[10:11], s[10:11] op_sel:[0,1]
	flat_load_dwordx2 v[76:77], v[2:3]
	v_mov_b32_e32 v2, s15
	s_waitcnt vmcnt(0) lgkmcnt(0)
	v_add_co_u32_e32 v0, vcc, s14, v0
	v_addc_co_u32_e32 v1, vcc, v1, v2, vcc
.LBB100_26:                             ;   in Loop: Header=BB100_5 Depth=1
	v_alignbit_b32 v96, v1, v0, 2
	v_and_b32_e32 v15, 3, v0
	v_lshrrev_b32_e32 v97, 2, v1
	v_mad_u64_u32 v[0:1], s[0:1], v96, s70, 0
	v_xor_b32_e32 v3, v18, v76
	v_mov_b32_e32 v2, v77
	v_xor_b32_e32 v1, v1, v77
	s_mov_b32 s0, 0xbb67ae85
	v_xor_b32_e32 v3, v3, v97
	v_add_co_u32_e32 v99, vcc, s0, v2
	v_mad_u64_u32 v[4:5], s[0:1], v3, s70, 0
	v_mad_u64_u32 v[8:9], s[0:1], v1, s33, 0
	v_add_co_u32_e32 v98, vcc, 0x9e3779b9, v76
	v_xor_b32_e32 v1, v16, v9
	v_xor_b32_e32 v3, v99, v5
	s_mov_b32 s0, 0x3c6ef372
	v_xor_b32_e32 v1, v1, v98
	v_xor_b32_e32 v3, v3, v0
	v_add_co_u32_e32 v100, vcc, s0, v76
	s_mov_b32 s0, 0x76cf5d0a
	v_add_co_u32_e32 v101, vcc, s0, v2
	v_mad_u64_u32 v[0:1], s[0:1], v1, s70, 0
	v_mad_u64_u32 v[10:11], s[0:1], v3, s33, 0
	v_xor_b32_e32 v3, v100, v11
	v_xor_b32_e32 v1, v101, v1
	s_mov_b32 s0, 0xdaa66d2b
	v_xor_b32_e32 v3, v3, v8
	v_xor_b32_e32 v1, v1, v4
	v_add_co_u32_e32 v103, vcc, s0, v76
	s_mov_b32 s0, 0x32370b8f
	v_add_co_u32_e32 v104, vcc, s0, v2
	v_mad_u64_u32 v[4:5], s[0:1], v3, s70, 0
	v_mad_u64_u32 v[8:9], s[0:1], v1, s33, 0
	;; [unrolled: 10-line block ×7, first 2 shown]
	v_xor_b32_e32 v1, v102, v1
	v_xor_b32_e32 v3, v114, v3
	;; [unrolled: 1-line block ×4, first 2 shown]
	v_mad_u64_u32 v[4:5], s[0:1], v1, s70, 0
	v_mad_u64_u32 v[8:9], s[0:1], v7, s33, 0
	v_add_u32_e32 v105, 0x8ff34781, v76
	v_add_u32_e32 v95, 0x96a522ad, v77
	v_xor_b32_e32 v0, v9, v0
	v_xor_b32_e32 v2, v5, v2
	s_mov_b32 s0, 0x42800000
	v_mov_b32_e32 v3, v4
	v_mov_b32_e32 v1, v8
	v_xor_b32_e32 v0, v105, v0
	v_xor_b32_e32 v2, v95, v2
	v_cvt_f64_f32_e32 v[4:5], v6
	v_cmp_ngt_f32_e32 vcc, s0, v6
                                        ; implicit-def: $vgpr79
	s_and_saveexec_b64 s[0:1], vcc
	s_xor_b64 s[16:17], exec, s[0:1]
	s_cbranch_execz .LBB100_55
; %bb.27:                               ;   in Loop: Header=BB100_5 Depth=1
	s_mov_b32 s0, 0x457a0000
	v_cmp_ge_f32_e32 vcc, s0, v6
                                        ; implicit-def: $vgpr79
	s_and_saveexec_b64 s[0:1], vcc
	s_xor_b64 s[0:1], exec, s[0:1]
	s_cbranch_execz .LBB100_42
; %bb.28:                               ;   in Loop: Header=BB100_5 Depth=1
	s_mov_b32 s4, 0xae147ae1
	v_writelane_b32 v134, s0, 25
	s_mov_b32 s5, 0xc00ae147
	v_writelane_b32 v134, s1, 26
	v_div_scale_f64 v[6:7], s[0:1], v[4:5], v[4:5], s[4:5]
	v_rcp_f64_e32 v[8:9], v[6:7]
	s_mov_b32 s0, 0
	v_mul_f64 v[80:81], v[4:5], s[38:39]
	s_brev_b32 s1, 8
	v_cmp_gt_f64_e64 s[0:1], s[0:1], v[80:81]
	v_cndmask_b32_e64 v82, 0, 1, s[0:1]
	v_fma_f64 v[78:79], -v[6:7], v[8:9], 1.0
	v_lshlrev_b32_e32 v82, 8, v82
	v_fmac_f64_e32 v[8:9], v[8:9], v[78:79]
	v_ldexp_f64 v[80:81], v[80:81], v82
	v_fma_f64 v[78:79], -v[6:7], v[8:9], 1.0
	v_rsq_f64_e32 v[82:83], v[80:81]
	v_div_scale_f64 v[10:11], vcc, s[4:5], v[4:5], s[4:5]
	v_fmac_f64_e32 v[8:9], v[8:9], v[78:79]
	v_mul_f64 v[78:79], v[10:11], v[8:9]
	v_fma_f64 v[6:7], -v[6:7], v[78:79], v[10:11]
	s_nop 0
	v_div_fmas_f64 v[6:7], v[6:7], v[8:9], v[78:79]
	v_mul_f64 v[8:9], v[80:81], v[82:83]
	v_mul_f64 v[10:11], v[82:83], 0.5
	v_fma_f64 v[78:79], -v[10:11], v[8:9], 0.5
	v_fmac_f64_e32 v[8:9], v[8:9], v[78:79]
	v_fma_f64 v[82:83], -v[8:9], v[8:9], v[80:81]
	v_fmac_f64_e32 v[10:11], v[10:11], v[78:79]
	v_fmac_f64_e32 v[8:9], v[82:83], v[10:11]
	v_fma_f64 v[78:79], -v[8:9], v[8:9], v[80:81]
	v_fmac_f64_e32 v[8:9], v[78:79], v[10:11]
	v_cndmask_b32_e64 v10, 0, v17, s[0:1]
	v_ldexp_f64 v[8:9], v[8:9], v10
	v_cmp_class_f64_e32 vcc, v[80:81], v13
	s_mov_b32 s6, 0x54442d18
	v_cndmask_b32_e32 v9, v9, v81, vcc
	v_cndmask_b32_e32 v8, v8, v80, vcc
	s_mov_b32 s7, 0x400921fb
	v_div_scale_f64 v[10:11], s[0:1], v[8:9], v[8:9], s[6:7]
	v_rcp_f64_e32 v[80:81], v[10:11]
	s_mov_b32 s0, 0x95810625
	v_div_fixup_f64 v[6:7], v[6:7], v[4:5], s[4:5]
	s_mov_b32 s1, 0x3fe88b43
	v_fma_f64 v[82:83], -v[10:11], v[80:81], 1.0
	v_fmac_f64_e32 v[80:81], v[80:81], v[82:83]
	v_fma_f64 v[82:83], -v[10:11], v[80:81], 1.0
	v_fmac_f64_e32 v[80:81], v[80:81], v[82:83]
	v_div_scale_f64 v[82:83], vcc, s[6:7], v[8:9], s[6:7]
	v_mul_f64 v[84:85], v[82:83], v[80:81]
	v_fma_f64 v[10:11], -v[10:11], v[84:85], v[82:83]
	v_add_f64 v[6:7], v[6:7], s[0:1]
	s_nop 0
	v_div_fmas_f64 v[10:11], v[10:11], v[80:81], v[84:85]
	v_div_fixup_f64 v[80:81], v[10:11], v[8:9], s[6:7]
	v_frexp_mant_f64_e32 v[8:9], v[6:7]
	v_cmp_gt_f64_e32 vcc, s[44:45], v[8:9]
	v_mov_b32_e32 v78, 0
	v_cndmask_b32_e64 v79, v19, 2.0, vcc
	v_frexp_exp_i32_f64_e32 v10, v[6:7]
	v_mul_f64 v[8:9], v[8:9], v[78:79]
	v_subbrev_co_u32_e32 v79, vcc, 0, v10, vcc
	v_add_f64 v[10:11], v[8:9], 1.0
	v_rcp_f64_e32 v[84:85], v[10:11]
	v_add_f64 v[88:89], v[10:11], -1.0
	v_add_f64 v[86:87], v[8:9], -1.0
	v_add_f64 v[8:9], v[8:9], -v[88:89]
	v_fma_f64 v[88:89], -v[10:11], v[84:85], 1.0
	v_fmac_f64_e32 v[84:85], v[88:89], v[84:85]
	v_fma_f64 v[88:89], -v[10:11], v[84:85], 1.0
	v_fmac_f64_e32 v[84:85], v[88:89], v[84:85]
	v_mul_f64 v[88:89], v[86:87], v[84:85]
	v_mul_f64 v[90:91], v[10:11], v[88:89]
	v_fma_f64 v[10:11], v[88:89], v[10:11], -v[90:91]
	v_fmac_f64_e32 v[10:11], v[88:89], v[8:9]
	v_add_f64 v[8:9], v[90:91], v[10:11]
	v_add_f64 v[116:117], v[86:87], -v[8:9]
	v_add_f64 v[90:91], v[8:9], -v[90:91]
	;; [unrolled: 1-line block ×5, first 2 shown]
	v_add_f64 v[8:9], v[10:11], v[8:9]
	v_add_f64 v[8:9], v[116:117], v[8:9]
	v_mul_f64 v[8:9], v[84:85], v[8:9]
	v_add_f64 v[10:11], v[88:89], v[8:9]
	v_add_f64 v[84:85], v[10:11], -v[88:89]
	v_add_f64 v[8:9], v[8:9], -v[84:85]
	v_mul_f64 v[84:85], v[10:11], v[10:11]
	v_pk_mov_b32 v[86:87], s[46:47], s[46:47] op_sel:[0,1]
	v_fma_f64 v[88:89], s[48:49], v[84:85], v[86:87]
	v_fma_f64 v[88:89], v[84:85], v[88:89], s[50:51]
	;; [unrolled: 1-line block ×5, first 2 shown]
	s_mov_b32 s59, s45
	v_fma_f64 v[88:89], v[84:85], v[88:89], s[58:59]
	v_ldexp_f64 v[90:91], v[10:11], 1
	v_mul_f64 v[10:11], v[10:11], v[84:85]
	v_mul_f64 v[10:11], v[10:11], v[88:89]
	v_add_f64 v[84:85], v[90:91], v[10:11]
	v_add_f64 v[88:89], v[84:85], -v[90:91]
	v_ldexp_f64 v[8:9], v[8:9], 1
	v_add_f64 v[10:11], v[10:11], -v[88:89]
	v_add_f64 v[8:9], v[8:9], v[10:11]
	v_add_f64 v[10:11], v[84:85], v[8:9]
	v_add_f64 v[84:85], v[10:11], -v[84:85]
	v_add_f64 v[8:9], v[8:9], -v[84:85]
	v_cvt_f64_i32_e32 v[84:85], v79
	v_mul_f64 v[88:89], v[84:85], s[60:61]
	v_fma_f64 v[90:91], v[84:85], s[60:61], -v[88:89]
	v_fmac_f64_e32 v[90:91], s[62:63], v[84:85]
	v_add_f64 v[84:85], v[88:89], v[90:91]
	v_add_f64 v[88:89], v[84:85], -v[88:89]
	v_add_f64 v[88:89], v[90:91], -v[88:89]
	v_add_f64 v[90:91], v[84:85], v[10:11]
	v_add_f64 v[116:117], v[90:91], -v[84:85]
	v_add_f64 v[118:119], v[90:91], -v[116:117]
	;; [unrolled: 1-line block ×4, first 2 shown]
	v_add_f64 v[10:11], v[10:11], v[84:85]
	v_add_f64 v[84:85], v[88:89], v[8:9]
	v_add_f64 v[116:117], v[84:85], -v[88:89]
	v_add_f64 v[118:119], v[84:85], -v[116:117]
	v_add_f64 v[10:11], v[84:85], v[10:11]
	v_add_f64 v[88:89], v[88:89], -v[118:119]
	v_add_f64 v[8:9], v[8:9], -v[116:117]
	v_add_f64 v[84:85], v[90:91], v[10:11]
	v_add_f64 v[8:9], v[8:9], v[88:89]
	v_add_f64 v[88:89], v[84:85], -v[90:91]
	v_add_f64 v[10:11], v[10:11], -v[88:89]
	v_add_f64 v[8:9], v[8:9], v[10:11]
	v_add_f64 v[8:9], v[84:85], v[8:9]
	v_cmp_class_f64_e64 vcc, v[6:7], s71
	v_cndmask_b32_e32 v8, v8, v6, vcc
	v_cndmask_b32_e32 v9, v9, v7, vcc
	v_cmp_ngt_f64_e32 vcc, 0, v[6:7]
	v_cndmask_b32_e32 v9, v92, v9, vcc
	v_cmp_nge_f64_e32 vcc, 0, v[6:7]
	v_cndmask_b32_e32 v8, 0, v8, vcc
	v_cmp_neq_f64_e32 vcc, 0, v[6:7]
	v_cndmask_b32_e32 v9, v93, v9, vcc
	v_add_f64 v[6:7], v[8:9], -v[4:5]
	v_frexp_mant_f64_e32 v[8:9], v[80:81]
	v_cmp_gt_f64_e32 vcc, s[44:45], v[8:9]
	v_cndmask_b32_e64 v79, v19, 2.0, vcc
	v_frexp_exp_i32_f64_e32 v10, v[80:81]
	v_mul_f64 v[8:9], v[8:9], v[78:79]
	v_subbrev_co_u32_e32 v79, vcc, 0, v10, vcc
	v_add_f64 v[10:11], v[8:9], 1.0
	v_rcp_f64_e32 v[84:85], v[10:11]
	v_add_f64 v[90:91], v[10:11], -1.0
	v_add_f64 v[88:89], v[8:9], -1.0
	v_add_f64 v[8:9], v[8:9], -v[90:91]
	v_fma_f64 v[90:91], -v[10:11], v[84:85], 1.0
	v_fmac_f64_e32 v[84:85], v[90:91], v[84:85]
	v_fma_f64 v[90:91], -v[10:11], v[84:85], 1.0
	v_fmac_f64_e32 v[84:85], v[90:91], v[84:85]
	v_mul_f64 v[90:91], v[88:89], v[84:85]
	v_mul_f64 v[116:117], v[10:11], v[90:91]
	v_fma_f64 v[10:11], v[90:91], v[10:11], -v[116:117]
	v_fmac_f64_e32 v[10:11], v[90:91], v[8:9]
	v_add_f64 v[8:9], v[116:117], v[10:11]
	v_add_f64 v[118:119], v[88:89], -v[8:9]
	v_add_f64 v[116:117], v[8:9], -v[116:117]
	v_add_f64 v[88:89], v[88:89], -v[118:119]
	v_add_f64 v[8:9], v[88:89], -v[8:9]
	v_add_f64 v[10:11], v[116:117], -v[10:11]
	v_add_f64 v[8:9], v[10:11], v[8:9]
	v_add_f64 v[8:9], v[118:119], v[8:9]
	v_mul_f64 v[8:9], v[84:85], v[8:9]
	v_add_f64 v[10:11], v[90:91], v[8:9]
	v_add_f64 v[84:85], v[10:11], -v[90:91]
	v_add_f64 v[8:9], v[8:9], -v[84:85]
	v_mul_f64 v[84:85], v[10:11], v[10:11]
	v_fma_f64 v[88:89], s[48:49], v[84:85], v[86:87]
	v_fma_f64 v[88:89], v[84:85], v[88:89], s[50:51]
	;; [unrolled: 1-line block ×6, first 2 shown]
	v_ldexp_f64 v[90:91], v[10:11], 1
	v_mul_f64 v[10:11], v[10:11], v[84:85]
	v_mul_f64 v[10:11], v[10:11], v[88:89]
	v_add_f64 v[84:85], v[90:91], v[10:11]
	v_add_f64 v[88:89], v[84:85], -v[90:91]
	v_ldexp_f64 v[8:9], v[8:9], 1
	v_add_f64 v[10:11], v[10:11], -v[88:89]
	v_add_f64 v[8:9], v[8:9], v[10:11]
	v_add_f64 v[10:11], v[84:85], v[8:9]
	v_add_f64 v[84:85], v[10:11], -v[84:85]
	v_add_f64 v[8:9], v[8:9], -v[84:85]
	v_cvt_f64_i32_e32 v[84:85], v79
	v_mul_f64 v[88:89], v[84:85], s[60:61]
	v_fma_f64 v[90:91], v[84:85], s[60:61], -v[88:89]
	v_fmac_f64_e32 v[90:91], s[62:63], v[84:85]
	v_add_f64 v[84:85], v[88:89], v[90:91]
	v_add_f64 v[88:89], v[84:85], -v[88:89]
	v_add_f64 v[88:89], v[90:91], -v[88:89]
	v_add_f64 v[90:91], v[84:85], v[10:11]
	v_add_f64 v[116:117], v[90:91], -v[84:85]
	v_add_f64 v[118:119], v[90:91], -v[116:117]
	;; [unrolled: 1-line block ×4, first 2 shown]
	v_add_f64 v[10:11], v[10:11], v[84:85]
	v_add_f64 v[84:85], v[88:89], v[8:9]
	v_add_f64 v[116:117], v[84:85], -v[88:89]
	v_add_f64 v[118:119], v[84:85], -v[116:117]
	v_add_f64 v[10:11], v[84:85], v[10:11]
	v_add_f64 v[88:89], v[88:89], -v[118:119]
	v_add_f64 v[8:9], v[8:9], -v[116:117]
	v_add_f64 v[84:85], v[90:91], v[10:11]
	v_add_f64 v[8:9], v[8:9], v[88:89]
	v_add_f64 v[88:89], v[84:85], -v[90:91]
	v_add_f64 v[10:11], v[10:11], -v[88:89]
	s_mov_b32 s0, 0
	v_add_f64 v[8:9], v[8:9], v[10:11]
	s_mov_b32 s1, 0x7ff00000
	v_add_f64 v[8:9], v[84:85], v[8:9]
	v_cmp_eq_f64_e32 vcc, s[0:1], v[80:81]
	v_cndmask_b32_e32 v8, v8, v80, vcc
	v_cndmask_b32_e32 v9, v9, v81, vcc
	v_cmp_neq_f64_e32 vcc, 0, v[80:81]
	v_cndmask_b32_e32 v9, v93, v9, vcc
	v_cndmask_b32_e32 v8, 0, v8, vcc
	v_mul_f64 v[82:83], v[80:81], v[4:5]
	v_add_f64 v[84:85], v[6:7], -v[8:9]
	v_frexp_exp_i32_f64_e32 v6, v[4:5]
	v_frexp_mant_f64_e32 v[4:5], v[4:5]
	v_cmp_gt_f64_e32 vcc, s[44:45], v[4:5]
	v_cndmask_b32_e64 v79, v19, 2.0, vcc
	v_mul_f64 v[4:5], v[4:5], v[78:79]
	v_subbrev_co_u32_e32 v79, vcc, 0, v6, vcc
	v_add_f64 v[6:7], v[4:5], 1.0
	v_rcp_f64_e32 v[8:9], v[6:7]
	v_add_f64 v[88:89], v[6:7], -1.0
	v_add_f64 v[10:11], v[4:5], -1.0
	v_add_f64 v[4:5], v[4:5], -v[88:89]
	v_fma_f64 v[88:89], -v[6:7], v[8:9], 1.0
	v_fmac_f64_e32 v[8:9], v[88:89], v[8:9]
	v_fma_f64 v[88:89], -v[6:7], v[8:9], 1.0
	v_fmac_f64_e32 v[8:9], v[88:89], v[8:9]
	v_mul_f64 v[88:89], v[10:11], v[8:9]
	v_mul_f64 v[90:91], v[6:7], v[88:89]
	v_fma_f64 v[6:7], v[88:89], v[6:7], -v[90:91]
	v_fmac_f64_e32 v[6:7], v[88:89], v[4:5]
	v_add_f64 v[4:5], v[90:91], v[6:7]
	v_add_f64 v[116:117], v[10:11], -v[4:5]
	v_add_f64 v[90:91], v[4:5], -v[90:91]
	;; [unrolled: 1-line block ×5, first 2 shown]
	v_add_f64 v[4:5], v[6:7], v[4:5]
	v_add_f64 v[4:5], v[116:117], v[4:5]
	v_mul_f64 v[4:5], v[8:9], v[4:5]
	v_add_f64 v[6:7], v[88:89], v[4:5]
	v_add_f64 v[8:9], v[6:7], -v[88:89]
	v_add_f64 v[4:5], v[4:5], -v[8:9]
	v_mul_f64 v[8:9], v[6:7], v[6:7]
	v_fmac_f64_e32 v[86:87], s[48:49], v[8:9]
	v_fma_f64 v[10:11], v[8:9], v[86:87], s[50:51]
	v_fma_f64 v[10:11], v[8:9], v[10:11], s[52:53]
	;; [unrolled: 1-line block ×5, first 2 shown]
	v_ldexp_f64 v[86:87], v[6:7], 1
	v_mul_f64 v[6:7], v[6:7], v[8:9]
	v_mul_f64 v[6:7], v[6:7], v[10:11]
	v_add_f64 v[8:9], v[86:87], v[6:7]
	v_add_f64 v[10:11], v[8:9], -v[86:87]
	v_ldexp_f64 v[4:5], v[4:5], 1
	v_add_f64 v[6:7], v[6:7], -v[10:11]
	v_add_f64 v[4:5], v[4:5], v[6:7]
	v_add_f64 v[6:7], v[8:9], v[4:5]
	v_add_f64 v[8:9], v[6:7], -v[8:9]
	v_add_f64 v[4:5], v[4:5], -v[8:9]
	v_cvt_f64_i32_e32 v[8:9], v79
	v_mul_f64 v[10:11], v[8:9], s[60:61]
	v_fma_f64 v[86:87], v[8:9], s[60:61], -v[10:11]
	v_fmac_f64_e32 v[86:87], s[62:63], v[8:9]
	v_add_f64 v[8:9], v[10:11], v[86:87]
	v_add_f64 v[10:11], v[8:9], -v[10:11]
	v_add_f64 v[10:11], v[86:87], -v[10:11]
	v_add_f64 v[86:87], v[8:9], v[6:7]
	v_add_f64 v[88:89], v[86:87], -v[8:9]
	v_add_f64 v[90:91], v[86:87], -v[88:89]
	;; [unrolled: 1-line block ×4, first 2 shown]
	v_add_f64 v[6:7], v[6:7], v[8:9]
	v_add_f64 v[8:9], v[10:11], v[4:5]
	v_add_f64 v[88:89], v[8:9], -v[10:11]
	v_add_f64 v[90:91], v[8:9], -v[88:89]
	v_add_f64 v[6:7], v[8:9], v[6:7]
	v_add_f64 v[10:11], v[10:11], -v[90:91]
	v_add_f64 v[4:5], v[4:5], -v[88:89]
	v_add_f64 v[8:9], v[86:87], v[6:7]
	v_add_f64 v[4:5], v[4:5], v[10:11]
	v_add_f64 v[10:11], v[8:9], -v[86:87]
	v_add_f64 v[6:7], v[6:7], -v[10:11]
	v_add_f64 v[4:5], v[4:5], v[6:7]
	v_add_f64 v[86:87], v[8:9], v[4:5]
	s_mov_b64 s[4:5], 0
	s_mov_b64 s[6:7], 0
	v_mov_b32_e32 v115, v12
                                        ; implicit-def: $vgpr79
.LBB100_29:                             ;   Parent Loop BB100_5 Depth=1
                                        ; =>  This Inner Loop Header: Depth=2
	v_add_u32_e32 v116, 1, v15
	v_pk_mov_b32 v[10:11], v[2:3], v[2:3] op_sel:[0,1]
	v_cmp_eq_u32_e32 vcc, 4, v116
	v_pk_mov_b32 v[8:9], v[0:1], v[0:1] op_sel:[0,1]
	v_mov_b32_e32 v91, v0
	v_mov_b32_e32 v90, v1
	;; [unrolled: 1-line block ×4, first 2 shown]
	s_and_saveexec_b64 s[0:1], vcc
	s_cbranch_execz .LBB100_31
; %bb.30:                               ;   in Loop: Header=BB100_29 Depth=2
	v_add_co_u32_e32 v96, vcc, 1, v96
	v_cndmask_b32_e64 v4, 0, 1, vcc
	v_addc_co_u32_e32 v97, vcc, 0, v97, vcc
	v_cmp_eq_u32_e32 vcc, 0, v97
	v_cndmask_b32_e32 v4, 0, v4, vcc
	v_add_u32_e32 v115, v4, v115
	v_cmp_eq_u32_e32 vcc, 0, v115
	v_cndmask_b32_e32 v4, 0, v4, vcc
	v_add_u32_e32 v78, v4, v78
	v_mad_u64_u32 v[4:5], s[20:21], v96, s70, 0
	v_mad_u64_u32 v[6:7], s[20:21], v115, s33, 0
	v_xor_b32_e32 v5, v5, v77
	v_xor_b32_e32 v7, v7, v76
	v_xor_b32_e32 v5, v78, v5
	v_xor_b32_e32 v7, v97, v7
	v_mad_u64_u32 v[10:11], s[20:21], v5, s33, 0
	v_mad_u64_u32 v[8:9], s[20:21], v7, s70, 0
	v_xor_b32_e32 v5, v98, v11
	v_xor_b32_e32 v5, v5, v6
	v_xor_b32_e32 v6, v99, v9
	v_xor_b32_e32 v6, v6, v4
	;; [unrolled: 6-line block ×10, first 2 shown]
	v_mov_b32_e32 v116, 0
	v_mov_b32_e32 v9, v90
	;; [unrolled: 1-line block ×5, first 2 shown]
.LBB100_31:                             ;   in Loop: Header=BB100_29 Depth=2
	s_or_b64 exec, exec, s[0:1]
	v_add_u32_e32 v117, 1, v116
	v_pk_mov_b32 v[4:5], v[8:9], v[8:9] op_sel:[0,1]
	v_cmp_eq_u32_e32 vcc, 4, v117
	v_pk_mov_b32 v[6:7], v[10:11], v[10:11] op_sel:[0,1]
	s_and_saveexec_b64 s[0:1], vcc
	s_cbranch_execz .LBB100_33
; %bb.32:                               ;   in Loop: Header=BB100_29 Depth=2
	v_add_co_u32_e32 v96, vcc, 1, v96
	v_cndmask_b32_e64 v4, 0, 1, vcc
	v_addc_co_u32_e32 v97, vcc, 0, v97, vcc
	v_cmp_eq_u32_e32 vcc, 0, v97
	v_cndmask_b32_e32 v4, 0, v4, vcc
	v_add_u32_e32 v115, v4, v115
	v_cmp_eq_u32_e32 vcc, 0, v115
	v_cndmask_b32_e32 v4, 0, v4, vcc
	v_add_u32_e32 v78, v4, v78
	v_mad_u64_u32 v[4:5], s[20:21], v96, s70, 0
	v_mad_u64_u32 v[6:7], s[20:21], v115, s33, 0
	v_xor_b32_e32 v5, v5, v77
	v_xor_b32_e32 v7, v7, v76
	v_xor_b32_e32 v5, v78, v5
	v_xor_b32_e32 v7, v97, v7
	v_mad_u64_u32 v[90:91], s[20:21], v5, s33, 0
	v_mad_u64_u32 v[88:89], s[20:21], v7, s70, 0
	v_xor_b32_e32 v5, v98, v91
	v_xor_b32_e32 v5, v5, v6
	v_xor_b32_e32 v6, v99, v89
	v_xor_b32_e32 v6, v6, v4
	v_mad_u64_u32 v[4:5], s[20:21], v5, s70, 0
	v_mad_u64_u32 v[6:7], s[20:21], v6, s33, 0
	v_xor_b32_e32 v5, v101, v5
	v_xor_b32_e32 v7, v100, v7
	v_xor_b32_e32 v5, v5, v88
	v_xor_b32_e32 v7, v7, v90
	v_mad_u64_u32 v[90:91], s[20:21], v5, s33, 0
	v_mad_u64_u32 v[88:89], s[20:21], v7, s70, 0
	v_xor_b32_e32 v5, v103, v91
	v_xor_b32_e32 v5, v5, v6
	v_xor_b32_e32 v6, v104, v89
	v_xor_b32_e32 v6, v6, v4
	v_mad_u64_u32 v[4:5], s[20:21], v5, s70, 0
	v_mad_u64_u32 v[6:7], s[20:21], v6, s33, 0
	v_xor_b32_e32 v5, v107, v5
	v_xor_b32_e32 v7, v106, v7
	v_xor_b32_e32 v5, v5, v88
	v_xor_b32_e32 v7, v7, v90
	v_mad_u64_u32 v[90:91], s[20:21], v5, s33, 0
	v_mad_u64_u32 v[88:89], s[20:21], v7, s70, 0
	v_xor_b32_e32 v5, v108, v91
	v_xor_b32_e32 v5, v5, v6
	v_xor_b32_e32 v6, v109, v89
	v_xor_b32_e32 v6, v6, v4
	v_mad_u64_u32 v[4:5], s[20:21], v5, s70, 0
	v_mad_u64_u32 v[6:7], s[20:21], v6, s33, 0
	v_xor_b32_e32 v5, v111, v5
	v_xor_b32_e32 v7, v110, v7
	v_xor_b32_e32 v5, v5, v88
	v_xor_b32_e32 v7, v7, v90
	v_mad_u64_u32 v[90:91], s[20:21], v5, s33, 0
	v_mad_u64_u32 v[88:89], s[20:21], v7, s70, 0
	v_xor_b32_e32 v5, v112, v91
	v_xor_b32_e32 v5, v5, v6
	v_xor_b32_e32 v6, v113, v89
	v_xor_b32_e32 v4, v6, v4
	v_mad_u64_u32 v[6:7], s[20:21], v5, s70, 0
	v_mad_u64_u32 v[4:5], s[20:21], v4, s33, 0
	v_xor_b32_e32 v5, v102, v5
	v_xor_b32_e32 v7, v114, v7
	v_xor_b32_e32 v5, v5, v90
	v_xor_b32_e32 v7, v7, v88
	v_mad_u64_u32 v[88:89], s[20:21], v5, s70, 0
	v_mad_u64_u32 v[90:91], s[20:21], v7, s33, 0
	v_xor_b32_e32 v4, v91, v4
	v_xor_b32_e32 v5, v89, v6
	v_xor_b32_e32 v4, v105, v4
	v_xor_b32_e32 v6, v95, v5
	v_mov_b32_e32 v117, 0
	v_mov_b32_e32 v5, v90
	;; [unrolled: 1-line block ×5, first 2 shown]
.LBB100_33:                             ;   in Loop: Header=BB100_29 Depth=2
	s_or_b64 exec, exec, s[0:1]
	v_cmp_eq_u32_e32 vcc, 1, v15
	v_cndmask_b32_e32 v0, v0, v1, vcc
	v_cmp_eq_u32_e32 vcc, 2, v15
	v_cndmask_b32_e32 v0, v0, v2, vcc
	;; [unrolled: 2-line block ×6, first 2 shown]
	v_lshrrev_b32_e32 v0, 11, v0
	v_cvt_f64_u32_e32 v[0:1], v0
	v_ldexp_f64 v[0:1], v[0:1], 32
	v_cvt_f64_u32_e32 v[2:3], v2
	v_add_f64 v[0:1], v[0:1], v[2:3]
	v_mov_b32_e32 v2, 0
	v_mov_b32_e32 v3, 0x3ca00000
	v_fmac_f64_e32 v[2:3], 0x3ca00000, v[0:1]
	v_add_f64 v[0:1], -v[2:3], 1.0
	v_div_scale_f64 v[8:9], s[0:1], v[2:3], v[2:3], v[0:1]
	v_rcp_f64_e32 v[10:11], v[8:9]
	v_fma_f64 v[118:119], -v[8:9], v[10:11], 1.0
	v_fmac_f64_e32 v[10:11], v[10:11], v[118:119]
	v_fma_f64 v[118:119], -v[8:9], v[10:11], 1.0
	v_fmac_f64_e32 v[10:11], v[10:11], v[118:119]
	v_div_scale_f64 v[118:119], vcc, v[0:1], v[2:3], v[0:1]
	v_mul_f64 v[120:121], v[118:119], v[10:11]
	v_fma_f64 v[8:9], -v[8:9], v[120:121], v[118:119]
	s_nop 1
	v_div_fmas_f64 v[8:9], v[8:9], v[10:11], v[120:121]
	v_div_fixup_f64 v[0:1], v[8:9], v[2:3], v[0:1]
	v_frexp_mant_f64_e32 v[2:3], v[0:1]
	v_cmp_gt_f64_e32 vcc, s[44:45], v[2:3]
	v_cndmask_b32_e64 v15, v19, 2.0, vcc
	v_frexp_exp_i32_f64_e32 v8, v[0:1]
	v_mul_f64 v[2:3], v[2:3], v[14:15]
	v_subbrev_co_u32_e32 v15, vcc, 0, v8, vcc
	v_add_f64 v[8:9], v[2:3], 1.0
	v_rcp_f64_e32 v[10:11], v[8:9]
	v_add_f64 v[120:121], v[8:9], -1.0
	v_add_f64 v[118:119], v[2:3], -1.0
	v_add_f64 v[2:3], v[2:3], -v[120:121]
	v_fma_f64 v[120:121], -v[8:9], v[10:11], 1.0
	v_fmac_f64_e32 v[10:11], v[120:121], v[10:11]
	v_fma_f64 v[120:121], -v[8:9], v[10:11], 1.0
	v_fmac_f64_e32 v[10:11], v[120:121], v[10:11]
	v_mul_f64 v[120:121], v[118:119], v[10:11]
	v_mul_f64 v[122:123], v[8:9], v[120:121]
	v_fma_f64 v[8:9], v[120:121], v[8:9], -v[122:123]
	v_fmac_f64_e32 v[8:9], v[120:121], v[2:3]
	v_add_f64 v[2:3], v[122:123], v[8:9]
	v_add_f64 v[124:125], v[118:119], -v[2:3]
	v_add_f64 v[122:123], v[2:3], -v[122:123]
	;; [unrolled: 1-line block ×5, first 2 shown]
	v_add_f64 v[2:3], v[8:9], v[2:3]
	v_add_f64 v[2:3], v[124:125], v[2:3]
	v_mul_f64 v[2:3], v[10:11], v[2:3]
	v_add_f64 v[8:9], v[120:121], v[2:3]
	v_add_f64 v[10:11], v[8:9], -v[120:121]
	v_add_f64 v[2:3], v[2:3], -v[10:11]
	v_mul_f64 v[10:11], v[8:9], v[8:9]
	v_pk_mov_b32 v[118:119], v[20:21], v[20:21] op_sel:[0,1]
	v_fmac_f64_e32 v[118:119], s[48:49], v[10:11]
	v_pk_mov_b32 v[120:121], v[22:23], v[22:23] op_sel:[0,1]
	v_fmac_f64_e32 v[120:121], v[10:11], v[118:119]
	;; [unrolled: 2-line block ×6, first 2 shown]
	v_ldexp_f64 v[118:119], v[8:9], 1
	v_mul_f64 v[8:9], v[8:9], v[10:11]
	v_mul_f64 v[8:9], v[8:9], v[120:121]
	v_add_f64 v[10:11], v[118:119], v[8:9]
	v_add_f64 v[118:119], v[10:11], -v[118:119]
	v_ldexp_f64 v[2:3], v[2:3], 1
	v_add_f64 v[8:9], v[8:9], -v[118:119]
	v_add_f64 v[2:3], v[2:3], v[8:9]
	v_add_f64 v[8:9], v[10:11], v[2:3]
	v_add_f64 v[10:11], v[8:9], -v[10:11]
	v_add_f64 v[2:3], v[2:3], -v[10:11]
	v_cvt_f64_i32_e32 v[10:11], v15
	v_mul_f64 v[118:119], v[10:11], s[60:61]
	v_fma_f64 v[120:121], v[10:11], s[60:61], -v[118:119]
	v_fmac_f64_e32 v[120:121], s[62:63], v[10:11]
	v_add_f64 v[10:11], v[118:119], v[120:121]
	v_add_f64 v[118:119], v[10:11], -v[118:119]
	v_add_f64 v[118:119], v[120:121], -v[118:119]
	v_add_f64 v[120:121], v[10:11], v[8:9]
	v_add_f64 v[122:123], v[120:121], -v[10:11]
	v_add_f64 v[124:125], v[120:121], -v[122:123]
	;; [unrolled: 1-line block ×4, first 2 shown]
	v_add_f64 v[8:9], v[8:9], v[10:11]
	v_add_f64 v[10:11], v[118:119], v[2:3]
	v_add_f64 v[122:123], v[10:11], -v[118:119]
	v_add_f64 v[124:125], v[10:11], -v[122:123]
	v_add_f64 v[8:9], v[10:11], v[8:9]
	v_add_f64 v[118:119], v[118:119], -v[124:125]
	v_add_f64 v[2:3], v[2:3], -v[122:123]
	v_add_f64 v[10:11], v[120:121], v[8:9]
	v_add_f64 v[2:3], v[2:3], v[118:119]
	v_add_f64 v[118:119], v[10:11], -v[120:121]
	v_add_f64 v[8:9], v[8:9], -v[118:119]
	v_add_f64 v[2:3], v[2:3], v[8:9]
	v_add_f64 v[2:3], v[10:11], v[2:3]
	v_cmp_class_f64_e64 vcc, v[0:1], s71
	v_cndmask_b32_e32 v2, v2, v0, vcc
	v_cndmask_b32_e32 v3, v3, v1, vcc
	v_cmp_ngt_f64_e32 vcc, 0, v[0:1]
	v_cndmask_b32_e32 v3, v92, v3, vcc
	v_cmp_nge_f64_e32 vcc, 0, v[0:1]
	v_cndmask_b32_e32 v2, 0, v2, vcc
	v_cmp_neq_f64_e32 vcc, 0, v[0:1]
	v_cndmask_b32_e32 v3, v93, v3, vcc
	v_add_f64 v[0:1], v[82:83], -v[2:3]
	v_div_scale_f64 v[2:3], s[0:1], v[80:81], v[80:81], v[0:1]
	v_rcp_f64_e32 v[8:9], v[2:3]
	v_fma_f64 v[10:11], -v[2:3], v[8:9], 1.0
	v_fmac_f64_e32 v[8:9], v[8:9], v[10:11]
	v_fma_f64 v[10:11], -v[2:3], v[8:9], 1.0
	v_fmac_f64_e32 v[8:9], v[8:9], v[10:11]
	v_div_scale_f64 v[10:11], vcc, v[0:1], v[80:81], v[0:1]
	v_mul_f64 v[118:119], v[10:11], v[8:9]
	v_fma_f64 v[2:3], -v[2:3], v[118:119], v[10:11]
	s_nop 1
	v_div_fmas_f64 v[2:3], v[2:3], v[8:9], v[118:119]
	v_div_fixup_f64 v[10:11], v[2:3], v[80:81], v[0:1]
	v_add_f64 v[0:1], v[10:11], 0.5
	v_floor_f64_e32 v[8:9], v[0:1]
	v_cmp_ngt_f64_e32 vcc, 0, v[8:9]
	v_mov_b32_e32 v118, 2
	s_and_saveexec_b64 s[20:21], vcc
	s_cbranch_execz .LBB100_39
; %bb.34:                               ;   in Loop: Header=BB100_29 Depth=2
	v_add_u32_e32 v15, 1, v117
	v_pk_mov_b32 v[0:1], v[4:5], v[4:5] op_sel:[0,1]
	v_cmp_eq_u32_e32 vcc, 4, v15
	v_pk_mov_b32 v[2:3], v[6:7], v[6:7] op_sel:[0,1]
	s_and_saveexec_b64 s[0:1], vcc
	s_cbranch_execz .LBB100_36
; %bb.35:                               ;   in Loop: Header=BB100_29 Depth=2
	v_add_co_u32_e32 v96, vcc, 1, v96
	v_cndmask_b32_e64 v0, 0, 1, vcc
	v_addc_co_u32_e32 v97, vcc, 0, v97, vcc
	v_cmp_eq_u32_e32 vcc, 0, v97
	v_cndmask_b32_e32 v0, 0, v0, vcc
	v_add_u32_e32 v115, v0, v115
	v_cmp_eq_u32_e32 vcc, 0, v115
	v_cndmask_b32_e32 v0, 0, v0, vcc
	v_add_u32_e32 v78, v0, v78
	v_mad_u64_u32 v[0:1], vcc, v96, s70, 0
	v_mad_u64_u32 v[2:3], vcc, v115, s33, 0
	v_xor_b32_e32 v1, v1, v77
	v_xor_b32_e32 v3, v3, v76
	v_xor_b32_e32 v1, v78, v1
	v_xor_b32_e32 v3, v97, v3
	v_mad_u64_u32 v[90:91], vcc, v1, s33, 0
	v_mad_u64_u32 v[88:89], vcc, v3, s70, 0
	v_xor_b32_e32 v1, v98, v91
	v_xor_b32_e32 v1, v1, v2
	v_xor_b32_e32 v2, v99, v89
	v_xor_b32_e32 v2, v2, v0
	;; [unrolled: 6-line block ×10, first 2 shown]
	v_mov_b32_e32 v15, 0
	v_mov_b32_e32 v1, v90
	;; [unrolled: 1-line block ×5, first 2 shown]
.LBB100_36:                             ;   in Loop: Header=BB100_29 Depth=2
	s_or_b64 exec, exec, s[0:1]
	v_add_u32_e32 v116, 1, v15
	v_cmp_eq_u32_e32 vcc, 4, v116
	s_and_saveexec_b64 s[0:1], vcc
	s_cbranch_execz .LBB100_38
; %bb.37:                               ;   in Loop: Header=BB100_29 Depth=2
	v_add_co_u32_e32 v96, vcc, 1, v96
	v_cndmask_b32_e64 v88, 0, 1, vcc
	v_addc_co_u32_e32 v97, vcc, 0, v97, vcc
	v_cmp_eq_u32_e32 vcc, 0, v97
	v_cndmask_b32_e32 v88, 0, v88, vcc
	v_add_u32_e32 v115, v88, v115
	v_cmp_eq_u32_e32 vcc, 0, v115
	v_cndmask_b32_e32 v88, 0, v88, vcc
	v_add_u32_e32 v78, v88, v78
	v_mad_u64_u32 v[88:89], vcc, v96, s70, 0
	v_mad_u64_u32 v[90:91], vcc, v115, s33, 0
	v_xor_b32_e32 v89, v89, v77
	v_xor_b32_e32 v91, v91, v76
	v_xor_b32_e32 v89, v78, v89
	v_xor_b32_e32 v91, v97, v91
	v_mad_u64_u32 v[120:121], vcc, v89, s33, 0
	v_mad_u64_u32 v[118:119], vcc, v91, s70, 0
	v_xor_b32_e32 v89, v98, v121
	v_xor_b32_e32 v89, v89, v90
	v_xor_b32_e32 v90, v99, v119
	v_xor_b32_e32 v90, v90, v88
	v_mad_u64_u32 v[88:89], vcc, v89, s70, 0
	v_mad_u64_u32 v[90:91], vcc, v90, s33, 0
	v_xor_b32_e32 v89, v101, v89
	v_xor_b32_e32 v91, v100, v91
	v_xor_b32_e32 v89, v89, v118
	v_xor_b32_e32 v91, v91, v120
	v_mad_u64_u32 v[120:121], vcc, v89, s33, 0
	v_mad_u64_u32 v[118:119], vcc, v91, s70, 0
	v_xor_b32_e32 v89, v103, v121
	v_xor_b32_e32 v89, v89, v90
	v_xor_b32_e32 v90, v104, v119
	v_xor_b32_e32 v90, v90, v88
	v_mad_u64_u32 v[88:89], vcc, v89, s70, 0
	v_mad_u64_u32 v[90:91], vcc, v90, s33, 0
	v_xor_b32_e32 v89, v107, v89
	v_xor_b32_e32 v91, v106, v91
	v_xor_b32_e32 v89, v89, v118
	v_xor_b32_e32 v91, v91, v120
	v_mad_u64_u32 v[120:121], vcc, v89, s33, 0
	v_mad_u64_u32 v[118:119], vcc, v91, s70, 0
	v_xor_b32_e32 v89, v108, v121
	v_xor_b32_e32 v89, v89, v90
	v_xor_b32_e32 v90, v109, v119
	v_xor_b32_e32 v90, v90, v88
	v_mad_u64_u32 v[88:89], vcc, v89, s70, 0
	v_mad_u64_u32 v[90:91], vcc, v90, s33, 0
	v_xor_b32_e32 v89, v111, v89
	v_xor_b32_e32 v91, v110, v91
	v_xor_b32_e32 v89, v89, v118
	v_xor_b32_e32 v91, v91, v120
	v_mad_u64_u32 v[120:121], vcc, v89, s33, 0
	v_mad_u64_u32 v[118:119], vcc, v91, s70, 0
	v_xor_b32_e32 v89, v112, v121
	v_xor_b32_e32 v89, v89, v90
	v_xor_b32_e32 v90, v113, v119
	v_xor_b32_e32 v88, v90, v88
	v_mad_u64_u32 v[122:123], vcc, v89, s70, 0
	v_mad_u64_u32 v[124:125], vcc, v88, s33, 0
	v_xor_b32_e32 v88, v102, v125
	v_xor_b32_e32 v89, v114, v123
	v_xor_b32_e32 v88, v88, v120
	v_xor_b32_e32 v90, v89, v118
	v_mad_u64_u32 v[88:89], vcc, v88, s70, 0
	v_mad_u64_u32 v[90:91], vcc, v90, s33, 0
	v_xor_b32_e32 v91, v91, v124
	v_xor_b32_e32 v89, v89, v122
	v_mov_b32_e32 v116, 0
	v_xor_b32_e32 v91, v105, v91
	v_xor_b32_e32 v89, v95, v89
.LBB100_38:                             ;   in Loop: Header=BB100_29 Depth=2
	s_or_b64 exec, exec, s[0:1]
	v_cmp_eq_u32_e32 vcc, 1, v117
	v_cndmask_b32_e32 v4, v4, v5, vcc
	v_cmp_eq_u32_e32 vcc, 2, v117
	v_cndmask_b32_e32 v4, v4, v6, vcc
	;; [unrolled: 2-line block ×6, first 2 shown]
	v_lshrrev_b32_e32 v0, 11, v0
	v_cvt_f64_u32_e32 v[0:1], v0
	v_ldexp_f64 v[0:1], v[0:1], 32
	v_cvt_f64_u32_e32 v[2:3], v4
	v_add_f64 v[0:1], v[0:1], v[2:3]
	v_mov_b32_e32 v2, 0
	v_mov_b32_e32 v3, 0x3ca00000
	v_fma_f64 v[4:5], -v[80:81], v[10:11], v[82:83]
	v_fmac_f64_e32 v[2:3], 0x3ca00000, v[0:1]
	v_mul_f64 v[0:1], v[4:5], s[66:67]
	v_rndne_f64_e32 v[0:1], v[0:1]
	s_mov_b32 s68, s60
	v_fma_f64 v[6:7], s[68:69], v[0:1], v[4:5]
	s_mov_b32 s72, s62
	v_fmac_f64_e32 v[6:7], s[72:73], v[0:1]
	v_pk_mov_b32 v[10:11], v[32:33], v[32:33] op_sel:[0,1]
	v_fmac_f64_e32 v[10:11], s[74:75], v[6:7]
	v_pk_mov_b32 v[118:119], v[34:35], v[34:35] op_sel:[0,1]
	v_fmac_f64_e32 v[118:119], v[6:7], v[10:11]
	v_pk_mov_b32 v[10:11], v[36:37], v[36:37] op_sel:[0,1]
	v_fmac_f64_e32 v[10:11], v[6:7], v[118:119]
	v_pk_mov_b32 v[118:119], v[38:39], v[38:39] op_sel:[0,1]
	v_fmac_f64_e32 v[118:119], v[6:7], v[10:11]
	v_pk_mov_b32 v[10:11], v[40:41], v[40:41] op_sel:[0,1]
	v_fmac_f64_e32 v[10:11], v[6:7], v[118:119]
	v_pk_mov_b32 v[118:119], v[42:43], v[42:43] op_sel:[0,1]
	v_fmac_f64_e32 v[118:119], v[6:7], v[10:11]
	v_pk_mov_b32 v[10:11], v[44:45], v[44:45] op_sel:[0,1]
	v_fmac_f64_e32 v[10:11], v[6:7], v[118:119]
	v_pk_mov_b32 v[118:119], v[46:47], v[46:47] op_sel:[0,1]
	v_fmac_f64_e32 v[118:119], v[6:7], v[10:11]
	v_pk_mov_b32 v[10:11], v[48:49], v[48:49] op_sel:[0,1]
	v_fmac_f64_e32 v[10:11], v[6:7], v[118:119]
	v_fma_f64 v[10:11], v[6:7], v[10:11], 1.0
	v_fma_f64 v[6:7], v[6:7], v[10:11], 1.0
	v_cvt_i32_f64_e32 v0, v[0:1]
	v_ldexp_f64 v[0:1], v[6:7], v0
	v_add_f64 v[0:1], v[0:1], 1.0
	v_cmp_nlt_f64_e32 vcc, s[76:77], v[4:5]
	v_cmp_ngt_f64_e64 s[0:1], s[78:79], v[4:5]
	v_cndmask_b32_e32 v1, v94, v1, vcc
	s_and_b64 vcc, s[0:1], vcc
	v_cndmask_b32_e64 v1, v19, v1, s[0:1]
	v_cndmask_b32_e32 v0, 0, v0, vcc
	v_mul_f64 v[0:1], v[0:1], v[0:1]
	v_div_scale_f64 v[6:7], s[0:1], v[0:1], v[0:1], v[2:3]
	v_rcp_f64_e32 v[10:11], v[6:7]
	s_mov_b32 s59, s45
	v_fma_f64 v[118:119], -v[6:7], v[10:11], 1.0
	v_fmac_f64_e32 v[10:11], v[10:11], v[118:119]
	v_fma_f64 v[118:119], -v[6:7], v[10:11], 1.0
	v_fmac_f64_e32 v[10:11], v[10:11], v[118:119]
	v_div_scale_f64 v[118:119], vcc, v[2:3], v[0:1], v[2:3]
	v_mul_f64 v[120:121], v[118:119], v[10:11]
	v_fma_f64 v[6:7], -v[6:7], v[120:121], v[118:119]
	s_nop 1
	v_div_fmas_f64 v[6:7], v[6:7], v[10:11], v[120:121]
	v_div_fixup_f64 v[2:3], v[6:7], v[0:1], v[2:3]
	v_frexp_mant_f64_e32 v[0:1], v[2:3]
	v_cmp_gt_f64_e32 vcc, s[44:45], v[0:1]
	v_cndmask_b32_e64 v15, v19, 2.0, vcc
	v_frexp_exp_i32_f64_e32 v6, v[2:3]
	v_mul_f64 v[0:1], v[0:1], v[14:15]
	v_subbrev_co_u32_e32 v15, vcc, 0, v6, vcc
	v_add_f64 v[6:7], v[0:1], 1.0
	v_rcp_f64_e32 v[10:11], v[6:7]
	v_add_f64 v[120:121], v[6:7], -1.0
	v_add_f64 v[118:119], v[0:1], -1.0
	v_add_f64 v[0:1], v[0:1], -v[120:121]
	v_fma_f64 v[120:121], -v[6:7], v[10:11], 1.0
	v_fmac_f64_e32 v[10:11], v[120:121], v[10:11]
	v_fma_f64 v[120:121], -v[6:7], v[10:11], 1.0
	v_fmac_f64_e32 v[10:11], v[120:121], v[10:11]
	v_mul_f64 v[120:121], v[118:119], v[10:11]
	v_mul_f64 v[122:123], v[6:7], v[120:121]
	v_fma_f64 v[6:7], v[120:121], v[6:7], -v[122:123]
	v_fmac_f64_e32 v[6:7], v[120:121], v[0:1]
	v_add_f64 v[0:1], v[122:123], v[6:7]
	v_add_f64 v[124:125], v[118:119], -v[0:1]
	v_add_f64 v[122:123], v[0:1], -v[122:123]
	;; [unrolled: 1-line block ×5, first 2 shown]
	v_add_f64 v[0:1], v[6:7], v[0:1]
	v_add_f64 v[0:1], v[124:125], v[0:1]
	v_mul_f64 v[0:1], v[10:11], v[0:1]
	v_add_f64 v[6:7], v[120:121], v[0:1]
	v_add_f64 v[10:11], v[6:7], -v[120:121]
	v_add_f64 v[10:11], v[0:1], -v[10:11]
	v_mul_f64 v[118:119], v[6:7], v[6:7]
	v_pk_mov_b32 v[0:1], s[46:47], s[46:47] op_sel:[0,1]
	v_fma_f64 v[120:121], s[48:49], v[118:119], v[0:1]
	v_fma_f64 v[120:121], v[118:119], v[120:121], s[50:51]
	;; [unrolled: 1-line block ×6, first 2 shown]
	v_ldexp_f64 v[122:123], v[6:7], 1
	v_mul_f64 v[6:7], v[6:7], v[118:119]
	v_mul_f64 v[6:7], v[6:7], v[120:121]
	v_add_f64 v[118:119], v[122:123], v[6:7]
	v_add_f64 v[120:121], v[118:119], -v[122:123]
	v_ldexp_f64 v[10:11], v[10:11], 1
	v_add_f64 v[6:7], v[6:7], -v[120:121]
	v_add_f64 v[6:7], v[10:11], v[6:7]
	v_add_f64 v[10:11], v[118:119], v[6:7]
	v_add_f64 v[118:119], v[10:11], -v[118:119]
	v_add_f64 v[6:7], v[6:7], -v[118:119]
	v_cvt_f64_i32_e32 v[118:119], v15
	v_mul_f64 v[120:121], v[118:119], s[60:61]
	v_fma_f64 v[122:123], v[118:119], s[60:61], -v[120:121]
	v_fmac_f64_e32 v[122:123], s[62:63], v[118:119]
	v_add_f64 v[118:119], v[120:121], v[122:123]
	v_add_f64 v[120:121], v[118:119], -v[120:121]
	v_add_f64 v[120:121], v[122:123], -v[120:121]
	v_add_f64 v[122:123], v[118:119], v[10:11]
	v_add_f64 v[124:125], v[122:123], -v[118:119]
	v_add_f64 v[126:127], v[122:123], -v[124:125]
	;; [unrolled: 1-line block ×4, first 2 shown]
	v_add_f64 v[10:11], v[10:11], v[118:119]
	v_add_f64 v[118:119], v[120:121], v[6:7]
	v_add_f64 v[124:125], v[118:119], -v[120:121]
	v_add_f64 v[126:127], v[118:119], -v[124:125]
	v_add_f64 v[10:11], v[118:119], v[10:11]
	v_add_f64 v[120:121], v[120:121], -v[126:127]
	v_add_f64 v[6:7], v[6:7], -v[124:125]
	v_add_f64 v[118:119], v[122:123], v[10:11]
	v_add_f64 v[6:7], v[6:7], v[120:121]
	v_add_f64 v[120:121], v[118:119], -v[122:123]
	v_add_f64 v[10:11], v[10:11], -v[120:121]
	v_add_f64 v[6:7], v[6:7], v[10:11]
	v_add_f64 v[6:7], v[118:119], v[6:7]
	v_cmp_class_f64_e64 vcc, v[2:3], s71
	v_cndmask_b32_e32 v15, v6, v2, vcc
	v_cndmask_b32_e32 v6, v7, v3, vcc
	v_cmp_neq_f64_e32 vcc, 0, v[2:3]
	v_cndmask_b32_e32 v3, v93, v6, vcc
	v_add_f64 v[6:7], v[8:9], 1.0
	v_add_f64 v[6:7], v[6:7], -1.0
	v_add_f64 v[118:119], v[6:7], s[80:81]
	v_div_scale_f64 v[10:11], s[0:1], v[118:119], v[118:119], s[82:83]
	v_rcp_f64_e32 v[120:121], v[10:11]
	v_cndmask_b32_e32 v2, 0, v15, vcc
	v_add_f64 v[2:3], v[4:5], v[2:3]
	v_fma_f64 v[4:5], v[86:87], v[8:9], v[84:85]
	v_fma_f64 v[122:123], -v[10:11], v[120:121], 1.0
	v_fmac_f64_e32 v[120:121], v[120:121], v[122:123]
	v_fma_f64 v[122:123], -v[10:11], v[120:121], 1.0
	v_fmac_f64_e32 v[120:121], v[120:121], v[122:123]
	v_div_scale_f64 v[122:123], vcc, s[82:83], v[118:119], s[82:83]
	v_mul_f64 v[124:125], v[122:123], v[120:121]
	v_fma_f64 v[122:123], -v[10:11], v[124:125], v[122:123]
	v_add_f64 v[10:11], v[6:7], s[84:85]
	v_div_scale_f64 v[126:127], s[0:1], v[10:11], v[10:11], s[86:87]
	v_rcp_f64_e32 v[128:129], v[126:127]
	v_div_fmas_f64 v[120:121], v[122:123], v[120:121], v[124:125]
	v_div_fixup_f64 v[118:119], v[120:121], v[118:119], s[82:83]
	v_add_f64 v[124:125], v[6:7], s[88:89]
	v_fma_f64 v[120:121], -v[126:127], v[128:129], 1.0
	v_fmac_f64_e32 v[128:129], v[128:129], v[120:121]
	v_fma_f64 v[120:121], -v[126:127], v[128:129], 1.0
	v_fmac_f64_e32 v[128:129], v[128:129], v[120:121]
	v_div_scale_f64 v[120:121], vcc, s[86:87], v[10:11], s[86:87]
	v_mul_f64 v[122:123], v[120:121], v[128:129]
	v_fma_f64 v[120:121], -v[126:127], v[122:123], v[120:121]
	v_div_scale_f64 v[126:127], s[0:1], v[124:125], v[124:125], s[90:91]
	v_rcp_f64_e32 v[130:131], v[126:127]
	v_div_fmas_f64 v[120:121], v[120:121], v[128:129], v[122:123]
	v_add_f64 v[118:119], v[118:119], 0
	v_div_fixup_f64 v[120:121], v[120:121], v[10:11], s[86:87]
	v_add_f64 v[118:119], v[120:121], v[118:119]
	v_fma_f64 v[120:121], -v[126:127], v[130:131], 1.0
	v_fmac_f64_e32 v[130:131], v[130:131], v[120:121]
	v_fma_f64 v[120:121], -v[126:127], v[130:131], 1.0
	v_fmac_f64_e32 v[130:131], v[130:131], v[120:121]
	v_div_scale_f64 v[120:121], vcc, s[90:91], v[124:125], s[90:91]
	v_mul_f64 v[122:123], v[120:121], v[130:131]
	v_fma_f64 v[120:121], -v[126:127], v[122:123], v[120:121]
	v_add_f64 v[126:127], v[6:7], s[92:93]
	v_div_scale_f64 v[128:129], s[0:1], v[126:127], v[126:127], s[94:95]
	v_rcp_f64_e32 v[132:133], v[128:129]
	v_div_fmas_f64 v[120:121], v[120:121], v[130:131], v[122:123]
	v_div_fixup_f64 v[120:121], v[120:121], v[124:125], s[90:91]
	v_add_f64 v[118:119], v[118:119], v[120:121]
	v_fma_f64 v[120:121], -v[128:129], v[132:133], 1.0
	v_fmac_f64_e32 v[132:133], v[132:133], v[120:121]
	v_fma_f64 v[120:121], -v[128:129], v[132:133], 1.0
	v_fmac_f64_e32 v[132:133], v[132:133], v[120:121]
	v_div_scale_f64 v[120:121], vcc, s[94:95], v[126:127], s[94:95]
	v_mul_f64 v[122:123], v[120:121], v[132:133]
	v_add_f64 v[124:125], v[6:7], 4.0
	v_fma_f64 v[120:121], -v[128:129], v[122:123], v[120:121]
	v_div_scale_f64 v[128:129], s[0:1], v[124:125], v[124:125], s[36:37]
	v_rcp_f64_e32 v[130:131], v[128:129]
	v_div_fmas_f64 v[120:121], v[120:121], v[132:133], v[122:123]
	v_div_fixup_f64 v[120:121], v[120:121], v[126:127], s[94:95]
	v_add_f64 v[118:119], v[120:121], v[118:119]
	v_fma_f64 v[120:121], -v[128:129], v[130:131], 1.0
	v_fmac_f64_e32 v[130:131], v[130:131], v[120:121]
	v_fma_f64 v[120:121], -v[128:129], v[130:131], 1.0
	v_fmac_f64_e32 v[130:131], v[130:131], v[120:121]
	v_div_scale_f64 v[120:121], vcc, s[36:37], v[124:125], s[36:37]
	v_mul_f64 v[122:123], v[120:121], v[130:131]
	v_add_f64 v[126:127], v[6:7], s[38:39]
	v_fma_f64 v[120:121], -v[128:129], v[122:123], v[120:121]
	v_div_scale_f64 v[128:129], s[0:1], v[126:127], v[126:127], s[34:35]
	v_rcp_f64_e32 v[132:133], v[128:129]
	v_div_fmas_f64 v[120:121], v[120:121], v[130:131], v[122:123]
	v_div_fixup_f64 v[120:121], v[120:121], v[124:125], s[36:37]
	v_add_f64 v[118:119], v[118:119], v[120:121]
	v_fma_f64 v[120:121], -v[128:129], v[132:133], 1.0
	v_fmac_f64_e32 v[132:133], v[132:133], v[120:121]
	v_fma_f64 v[120:121], -v[128:129], v[132:133], 1.0
	v_fmac_f64_e32 v[132:133], v[132:133], v[120:121]
	v_div_scale_f64 v[120:121], vcc, s[34:35], v[126:127], s[34:35]
	v_mul_f64 v[122:123], v[120:121], v[132:133]
	v_add_f64 v[124:125], v[6:7], 2.0
	v_fma_f64 v[120:121], -v[128:129], v[122:123], v[120:121]
	v_div_scale_f64 v[128:129], s[0:1], v[124:125], v[124:125], s[40:41]
	v_rcp_f64_e32 v[130:131], v[128:129]
	v_div_fmas_f64 v[120:121], v[120:121], v[132:133], v[122:123]
	v_div_fixup_f64 v[120:121], v[120:121], v[126:127], s[34:35]
	v_add_f64 v[118:119], v[120:121], v[118:119]
	v_fma_f64 v[120:121], -v[128:129], v[130:131], 1.0
	v_fmac_f64_e32 v[130:131], v[130:131], v[120:121]
	v_fma_f64 v[120:121], -v[128:129], v[130:131], 1.0
	v_fmac_f64_e32 v[130:131], v[130:131], v[120:121]
	v_div_scale_f64 v[120:121], vcc, s[40:41], v[124:125], s[40:41]
	v_mul_f64 v[122:123], v[120:121], v[130:131]
	v_add_f64 v[126:127], v[6:7], 1.0
	v_fma_f64 v[120:121], -v[128:129], v[122:123], v[120:121]
	v_div_scale_f64 v[128:129], s[0:1], v[126:127], v[126:127], s[42:43]
	v_rcp_f64_e32 v[132:133], v[128:129]
	v_div_fmas_f64 v[120:121], v[120:121], v[130:131], v[122:123]
	v_div_fixup_f64 v[120:121], v[120:121], v[124:125], s[40:41]
	v_add_f64 v[118:119], v[118:119], v[120:121]
	v_fma_f64 v[120:121], -v[128:129], v[132:133], 1.0
	v_fmac_f64_e32 v[132:133], v[132:133], v[120:121]
	v_fma_f64 v[120:121], -v[128:129], v[132:133], 1.0
	v_fmac_f64_e32 v[132:133], v[132:133], v[120:121]
	v_div_scale_f64 v[120:121], vcc, s[42:43], v[126:127], s[42:43]
	v_mul_f64 v[122:123], v[120:121], v[132:133]
	v_fma_f64 v[120:121], -v[128:129], v[122:123], v[120:121]
	v_add_f64 v[10:11], v[10:11], 0.5
	s_nop 0
	v_div_fmas_f64 v[120:121], v[120:121], v[132:133], v[122:123]
	v_div_fixup_f64 v[120:121], v[120:121], v[126:127], s[42:43]
	v_add_f64 v[118:119], v[120:121], v[118:119]
	v_add_f64 v[118:119], v[118:119], s[64:65]
	v_frexp_mant_f64_e32 v[120:121], v[118:119]
	v_cmp_gt_f64_e32 vcc, s[44:45], v[120:121]
	v_cndmask_b32_e64 v15, v19, 2.0, vcc
	v_mul_f64 v[120:121], v[120:121], v[14:15]
	v_add_f64 v[122:123], v[120:121], 1.0
	v_rcp_f64_e32 v[124:125], v[122:123]
	v_add_f64 v[128:129], v[122:123], -1.0
	v_add_f64 v[126:127], v[120:121], -1.0
	v_add_f64 v[120:121], v[120:121], -v[128:129]
	v_fma_f64 v[128:129], -v[122:123], v[124:125], 1.0
	v_fmac_f64_e32 v[124:125], v[128:129], v[124:125]
	v_fma_f64 v[128:129], -v[122:123], v[124:125], 1.0
	v_fmac_f64_e32 v[124:125], v[128:129], v[124:125]
	v_mul_f64 v[128:129], v[126:127], v[124:125]
	v_mul_f64 v[130:131], v[122:123], v[128:129]
	v_fma_f64 v[122:123], v[128:129], v[122:123], -v[130:131]
	v_fmac_f64_e32 v[122:123], v[128:129], v[120:121]
	v_add_f64 v[120:121], v[130:131], v[122:123]
	v_add_f64 v[132:133], v[126:127], -v[120:121]
	v_add_f64 v[130:131], v[120:121], -v[130:131]
	;; [unrolled: 1-line block ×5, first 2 shown]
	v_add_f64 v[120:121], v[122:123], v[120:121]
	v_add_f64 v[120:121], v[132:133], v[120:121]
	v_mul_f64 v[120:121], v[124:125], v[120:121]
	v_add_f64 v[122:123], v[128:129], v[120:121]
	v_add_f64 v[124:125], v[122:123], -v[128:129]
	v_add_f64 v[120:121], v[120:121], -v[124:125]
	v_mul_f64 v[124:125], v[122:123], v[122:123]
	v_fma_f64 v[126:127], s[48:49], v[124:125], v[0:1]
	v_fma_f64 v[126:127], v[124:125], v[126:127], s[50:51]
	;; [unrolled: 1-line block ×6, first 2 shown]
	v_ldexp_f64 v[128:129], v[122:123], 1
	v_mul_f64 v[122:123], v[122:123], v[124:125]
	v_mul_f64 v[122:123], v[122:123], v[126:127]
	v_add_f64 v[124:125], v[128:129], v[122:123]
	v_add_f64 v[126:127], v[124:125], -v[128:129]
	v_ldexp_f64 v[120:121], v[120:121], 1
	v_add_f64 v[122:123], v[122:123], -v[126:127]
	v_add_f64 v[120:121], v[120:121], v[122:123]
	v_frexp_exp_i32_f64_e32 v117, v[118:119]
	v_add_f64 v[122:123], v[124:125], v[120:121]
	v_subbrev_co_u32_e32 v15, vcc, 0, v117, vcc
	v_add_f64 v[124:125], v[122:123], -v[124:125]
	v_add_f64 v[120:121], v[120:121], -v[124:125]
	v_cvt_f64_i32_e32 v[124:125], v15
	v_mul_f64 v[126:127], v[124:125], s[60:61]
	v_fma_f64 v[128:129], v[124:125], s[60:61], -v[126:127]
	v_fmac_f64_e32 v[128:129], s[62:63], v[124:125]
	v_add_f64 v[124:125], v[126:127], v[128:129]
	v_add_f64 v[126:127], v[124:125], -v[126:127]
	v_add_f64 v[126:127], v[128:129], -v[126:127]
	v_add_f64 v[128:129], v[124:125], v[122:123]
	v_add_f64 v[130:131], v[128:129], -v[124:125]
	v_add_f64 v[132:133], v[128:129], -v[130:131]
	;; [unrolled: 1-line block ×4, first 2 shown]
	v_add_f64 v[122:123], v[122:123], v[124:125]
	v_add_f64 v[124:125], v[126:127], v[120:121]
	v_add_f64 v[130:131], v[124:125], -v[126:127]
	v_add_f64 v[132:133], v[124:125], -v[130:131]
	v_add_f64 v[122:123], v[124:125], v[122:123]
	v_add_f64 v[126:127], v[126:127], -v[132:133]
	v_add_f64 v[120:121], v[120:121], -v[130:131]
	v_add_f64 v[124:125], v[128:129], v[122:123]
	v_add_f64 v[120:121], v[120:121], v[126:127]
	v_add_f64 v[126:127], v[124:125], -v[128:129]
	v_add_f64 v[122:123], v[122:123], -v[126:127]
	v_add_f64 v[120:121], v[120:121], v[122:123]
	v_add_f64 v[120:121], v[124:125], v[120:121]
	v_cmp_class_f64_e64 vcc, v[118:119], s71
	v_div_scale_f64 v[122:123], s[0:1], s[22:23], s[22:23], v[10:11]
	v_cndmask_b32_e32 v121, v121, v119, vcc
	v_cndmask_b32_e32 v120, v120, v118, vcc
	v_rcp_f64_e32 v[124:125], v[122:123]
	v_add_f64 v[120:121], v[120:121], s[24:25]
	v_add_f64 v[120:121], v[120:121], s[18:19]
	v_cmp_ngt_f64_e32 vcc, 0, v[118:119]
	v_cndmask_b32_e32 v15, v92, v121, vcc
	v_cmp_nge_f64_e32 vcc, 0, v[118:119]
	v_cndmask_b32_e32 v120, 0, v120, vcc
	v_cmp_neq_f64_e32 vcc, 0, v[118:119]
	v_fma_f64 v[118:119], -v[122:123], v[124:125], 1.0
	v_fmac_f64_e32 v[124:125], v[124:125], v[118:119]
	v_fma_f64 v[118:119], -v[122:123], v[124:125], 1.0
	v_cndmask_b32_e32 v121, v93, v15, vcc
	v_fmac_f64_e32 v[124:125], v[124:125], v[118:119]
	v_div_scale_f64 v[118:119], vcc, v[10:11], s[22:23], v[10:11]
	v_mul_f64 v[126:127], v[118:119], v[124:125]
	v_fma_f64 v[118:119], -v[122:123], v[126:127], v[118:119]
	v_add_f64 v[6:7], v[6:7], 0.5
	s_nop 0
	v_div_fmas_f64 v[118:119], v[118:119], v[124:125], v[126:127]
	v_div_fixup_f64 v[10:11], v[118:119], s[22:23], v[10:11]
	v_frexp_mant_f64_e32 v[118:119], v[10:11]
	v_cmp_gt_f64_e32 vcc, s[44:45], v[118:119]
	v_cndmask_b32_e64 v15, v19, 2.0, vcc
	v_mul_f64 v[118:119], v[118:119], v[14:15]
	v_add_f64 v[122:123], v[118:119], 1.0
	v_rcp_f64_e32 v[124:125], v[122:123]
	v_add_f64 v[128:129], v[122:123], -1.0
	v_add_f64 v[126:127], v[118:119], -1.0
	v_add_f64 v[118:119], v[118:119], -v[128:129]
	v_fma_f64 v[128:129], -v[122:123], v[124:125], 1.0
	v_fmac_f64_e32 v[124:125], v[128:129], v[124:125]
	v_fma_f64 v[128:129], -v[122:123], v[124:125], 1.0
	v_fmac_f64_e32 v[124:125], v[128:129], v[124:125]
	v_mul_f64 v[128:129], v[126:127], v[124:125]
	v_mul_f64 v[130:131], v[122:123], v[128:129]
	v_fma_f64 v[122:123], v[128:129], v[122:123], -v[130:131]
	v_fmac_f64_e32 v[122:123], v[128:129], v[118:119]
	v_add_f64 v[118:119], v[130:131], v[122:123]
	v_add_f64 v[132:133], v[126:127], -v[118:119]
	v_add_f64 v[130:131], v[118:119], -v[130:131]
	;; [unrolled: 1-line block ×5, first 2 shown]
	v_add_f64 v[118:119], v[122:123], v[118:119]
	v_add_f64 v[118:119], v[132:133], v[118:119]
	v_mul_f64 v[118:119], v[124:125], v[118:119]
	v_add_f64 v[122:123], v[128:129], v[118:119]
	v_add_f64 v[124:125], v[122:123], -v[128:129]
	v_add_f64 v[118:119], v[118:119], -v[124:125]
	v_mul_f64 v[124:125], v[122:123], v[122:123]
	v_fmac_f64_e32 v[0:1], s[48:49], v[124:125]
	v_fma_f64 v[0:1], v[124:125], v[0:1], s[50:51]
	v_fma_f64 v[0:1], v[124:125], v[0:1], s[52:53]
	;; [unrolled: 1-line block ×5, first 2 shown]
	v_ldexp_f64 v[126:127], v[122:123], 1
	v_mul_f64 v[122:123], v[122:123], v[124:125]
	v_mul_f64 v[0:1], v[122:123], v[0:1]
	v_add_f64 v[122:123], v[126:127], v[0:1]
	v_add_f64 v[124:125], v[122:123], -v[126:127]
	v_ldexp_f64 v[118:119], v[118:119], 1
	v_add_f64 v[0:1], v[0:1], -v[124:125]
	v_add_f64 v[0:1], v[118:119], v[0:1]
	v_frexp_exp_i32_f64_e32 v117, v[10:11]
	v_add_f64 v[118:119], v[122:123], v[0:1]
	v_subbrev_co_u32_e32 v15, vcc, 0, v117, vcc
	v_add_f64 v[122:123], v[118:119], -v[122:123]
	v_add_f64 v[0:1], v[0:1], -v[122:123]
	v_cvt_f64_i32_e32 v[122:123], v15
	v_mul_f64 v[124:125], v[122:123], s[60:61]
	v_fma_f64 v[126:127], v[122:123], s[60:61], -v[124:125]
	v_fmac_f64_e32 v[126:127], s[62:63], v[122:123]
	v_add_f64 v[122:123], v[124:125], v[126:127]
	v_add_f64 v[124:125], v[122:123], -v[124:125]
	v_add_f64 v[124:125], v[126:127], -v[124:125]
	v_add_f64 v[126:127], v[122:123], v[118:119]
	v_add_f64 v[128:129], v[126:127], -v[122:123]
	v_add_f64 v[130:131], v[126:127], -v[128:129]
	;; [unrolled: 1-line block ×4, first 2 shown]
	v_add_f64 v[118:119], v[118:119], v[122:123]
	v_add_f64 v[122:123], v[124:125], v[0:1]
	v_add_f64 v[128:129], v[122:123], -v[124:125]
	v_add_f64 v[130:131], v[122:123], -v[128:129]
	v_add_f64 v[118:119], v[122:123], v[118:119]
	v_add_f64 v[124:125], v[124:125], -v[130:131]
	v_add_f64 v[0:1], v[0:1], -v[128:129]
	v_add_f64 v[122:123], v[126:127], v[118:119]
	v_add_f64 v[0:1], v[0:1], v[124:125]
	v_add_f64 v[124:125], v[122:123], -v[126:127]
	v_add_f64 v[118:119], v[118:119], -v[124:125]
	v_add_f64 v[0:1], v[0:1], v[118:119]
	v_add_f64 v[0:1], v[122:123], v[0:1]
	v_cmp_class_f64_e64 vcc, v[10:11], s71
	v_cndmask_b32_e32 v0, v0, v10, vcc
	v_cndmask_b32_e32 v1, v1, v11, vcc
	v_cmp_ngt_f64_e32 vcc, 0, v[10:11]
	v_cndmask_b32_e32 v1, v92, v1, vcc
	v_cmp_nge_f64_e32 vcc, 0, v[10:11]
	v_cndmask_b32_e32 v0, 0, v0, vcc
	v_cmp_neq_f64_e32 vcc, 0, v[10:11]
	v_cndmask_b32_e32 v1, v93, v1, vcc
	v_fmac_f64_e32 v[120:121], v[6:7], v[0:1]
	v_add_f64 v[0:1], v[4:5], -v[120:121]
	v_cvt_u32_f64_e32 v4, v[8:9]
	v_cmp_le_f64_e32 vcc, v[2:3], v[0:1]
	v_cndmask_b32_e64 v118, 0, 1, vcc
	v_cndmask_b32_e32 v79, v79, v4, vcc
	v_mov_b32_e32 v117, v116
.LBB100_39:                             ;   in Loop: Header=BB100_29 Depth=2
	s_or_b64 exec, exec, s[20:21]
	v_cmp_gt_i32_e32 vcc, 2, v118
	s_or_b64 s[6:7], vcc, s[6:7]
	v_mov_b32_e32 v15, v117
	v_mov_b32_e32 v0, v91
	;; [unrolled: 1-line block ×5, first 2 shown]
	s_andn2_b64 exec, exec, s[6:7]
	s_cbranch_execnz .LBB100_29
; %bb.40:                               ;   in Loop: Header=BB100_29 Depth=2
	s_or_b64 exec, exec, s[6:7]
	v_cmp_ne_u32_e32 vcc, 0, v118
	s_or_b64 s[4:5], vcc, s[4:5]
	s_mov_b64 s[6:7], 0
	v_mov_b32_e32 v15, v117
	v_mov_b32_e32 v0, v91
	;; [unrolled: 1-line block ×5, first 2 shown]
	s_andn2_b64 exec, exec, s[4:5]
	s_cbranch_execnz .LBB100_29
; %bb.41:                               ;   in Loop: Header=BB100_5 Depth=1
	s_or_b64 exec, exec, s[4:5]
	v_readlane_b32 s0, v134, 25
	v_readlane_b32 s1, v134, 26
                                        ; implicit-def: $vgpr76_vgpr77
                                        ; implicit-def: $vgpr15
                                        ; implicit-def: $vgpr96
                                        ; implicit-def: $vgpr97
                                        ; implicit-def: $vgpr105
                                        ; implicit-def: $vgpr95
                                        ; implicit-def: $vgpr3
                                        ; implicit-def: $vgpr4_vgpr5
                                        ; implicit-def: $vgpr98
                                        ; implicit-def: $vgpr99
                                        ; implicit-def: $vgpr100
                                        ; implicit-def: $vgpr101
                                        ; implicit-def: $vgpr103
                                        ; implicit-def: $vgpr104
                                        ; implicit-def: $vgpr106
                                        ; implicit-def: $vgpr107
                                        ; implicit-def: $vgpr108
                                        ; implicit-def: $vgpr109
                                        ; implicit-def: $vgpr110
                                        ; implicit-def: $vgpr111
                                        ; implicit-def: $vgpr112
                                        ; implicit-def: $vgpr113
                                        ; implicit-def: $vgpr102
                                        ; implicit-def: $vgpr114
.LBB100_42:                             ;   in Loop: Header=BB100_5 Depth=1
	s_andn2_saveexec_b64 s[4:5], s[0:1]
	s_cbranch_execz .LBB100_54
; %bb.43:                               ;   in Loop: Header=BB100_5 Depth=1
	v_add_co_u32_e32 v6, vcc, 1, v96
	v_cndmask_b32_e64 v7, 0, 1, vcc
	v_addc_co_u32_e32 v10, vcc, 0, v97, vcc
	v_cmp_eq_u32_e32 vcc, 0, v10
	v_cndmask_b32_e32 v7, 0, v7, vcc
	v_add_u32_e32 v8, v7, v12
	v_cmp_eq_u32_e32 vcc, 0, v8
	v_cndmask_b32_e32 v11, 0, v7, vcc
	v_mad_u64_u32 v[6:7], s[0:1], v6, s70, 0
	v_mad_u64_u32 v[8:9], s[0:1], v8, s33, 0
	v_xor_b32_e32 v7, v7, v77
	v_xor_b32_e32 v9, v9, v76
	v_xor_b32_e32 v7, v11, v7
	v_xor_b32_e32 v9, v10, v9
	v_mad_u64_u32 v[76:77], s[0:1], v7, s33, 0
	v_mad_u64_u32 v[10:11], s[0:1], v9, s70, 0
	v_xor_b32_e32 v7, v98, v77
	v_xor_b32_e32 v7, v7, v8
	v_xor_b32_e32 v8, v99, v11
	v_xor_b32_e32 v8, v8, v6
	;; [unrolled: 6-line block ×8, first 2 shown]
	v_mad_u64_u32 v[78:79], s[0:1], v7, s70, 0
	v_mad_u64_u32 v[8:9], s[0:1], v6, s33, 0
	v_xor_b32_e32 v6, v114, v79
	v_xor_b32_e32 v6, v6, v10
	v_mad_u64_u32 v[6:7], s[0:1], v6, s33, 0
	v_xor_b32_e32 v7, v7, v8
	v_xor_b32_e32 v10, v105, v7
	v_cmp_lt_i32_e32 vcc, 1, v15
                                        ; implicit-def: $vgpr8
	s_and_saveexec_b64 s[0:1], vcc
	s_xor_b64 s[0:1], exec, s[0:1]
	s_cbranch_execz .LBB100_49
; %bb.44:                               ;   in Loop: Header=BB100_5 Depth=1
	v_cmp_lt_i32_e32 vcc, 2, v15
                                        ; implicit-def: $vgpr8
	s_and_saveexec_b64 s[6:7], vcc
	s_xor_b64 s[6:7], exec, s[6:7]
; %bb.45:                               ;   in Loop: Header=BB100_5 Depth=1
	v_xor_b32_e32 v0, v102, v9
	v_xor_b32_e32 v0, v0, v76
	v_mul_hi_u32 v0, v0, s70
	v_xor_b32_e32 v0, v0, v78
	v_xor_b32_e32 v8, v95, v0
; %bb.46:                               ;   in Loop: Header=BB100_5 Depth=1
	s_andn2_saveexec_b64 s[6:7], s[6:7]
; %bb.47:                               ;   in Loop: Header=BB100_5 Depth=1
	v_mov_b32_e32 v8, v6
	v_mov_b32_e32 v6, v10
	;; [unrolled: 1-line block ×4, first 2 shown]
; %bb.48:                               ;   in Loop: Header=BB100_5 Depth=1
	s_or_b64 exec, exec, s[6:7]
                                        ; implicit-def: $vgpr15
.LBB100_49:                             ;   in Loop: Header=BB100_5 Depth=1
	s_andn2_saveexec_b64 s[0:1], s[0:1]
	s_cbranch_execz .LBB100_53
; %bb.50:                               ;   in Loop: Header=BB100_5 Depth=1
	v_cmp_eq_u32_e32 vcc, 1, v15
	v_mov_b32_e32 v8, v3
	v_mov_b32_e32 v6, v2
	;; [unrolled: 1-line block ×3, first 2 shown]
	s_and_saveexec_b64 s[6:7], vcc
; %bb.51:                               ;   in Loop: Header=BB100_5 Depth=1
	v_mov_b32_e32 v8, v10
	v_mov_b32_e32 v6, v3
	;; [unrolled: 1-line block ×4, first 2 shown]
; %bb.52:                               ;   in Loop: Header=BB100_5 Depth=1
	s_or_b64 exec, exec, s[6:7]
	v_mov_b32_e32 v3, v0
	v_mov_b32_e32 v10, v7
.LBB100_53:                             ;   in Loop: Header=BB100_5 Depth=1
	s_or_b64 exec, exec, s[0:1]
	v_mov_b32_e32 v11, v14
	v_lshlrev_b64 v[0:1], 21, v[10:11]
	v_xor_b32_e32 v2, v0, v3
	v_cvt_f64_u32_e32 v[0:1], v1
	v_ldexp_f64 v[0:1], v[0:1], 32
	v_cvt_f64_u32_e32 v[2:3], v2
	v_add_f64 v[0:1], v[0:1], v[2:3]
	v_mov_b32_e32 v2, 0
	v_mov_b32_e32 v3, 0x3ca00000
	v_fmac_f64_e32 v[2:3], 0x3ca00000, v[0:1]
	v_mov_b32_e32 v9, v14
	v_lshlrev_b64 v[0:1], 21, v[8:9]
	v_frexp_mant_f64_e32 v[8:9], v[2:3]
	v_cmp_gt_f64_e32 vcc, s[44:45], v[8:9]
	v_cndmask_b32_e64 v15, v19, 2.0, vcc
	v_frexp_exp_i32_f64_e32 v10, v[2:3]
	v_mul_f64 v[8:9], v[8:9], v[14:15]
	v_subbrev_co_u32_e32 v15, vcc, 0, v10, vcc
	v_add_f64 v[10:11], v[8:9], 1.0
	v_rcp_f64_e32 v[76:77], v[10:11]
	v_add_f64 v[80:81], v[10:11], -1.0
	v_add_f64 v[78:79], v[8:9], -1.0
	v_add_f64 v[8:9], v[8:9], -v[80:81]
	v_fma_f64 v[80:81], -v[10:11], v[76:77], 1.0
	v_fmac_f64_e32 v[76:77], v[80:81], v[76:77]
	v_fma_f64 v[80:81], -v[10:11], v[76:77], 1.0
	v_fmac_f64_e32 v[76:77], v[80:81], v[76:77]
	v_mul_f64 v[80:81], v[78:79], v[76:77]
	v_mul_f64 v[82:83], v[10:11], v[80:81]
	v_fma_f64 v[10:11], v[80:81], v[10:11], -v[82:83]
	v_fmac_f64_e32 v[10:11], v[80:81], v[8:9]
	v_add_f64 v[8:9], v[82:83], v[10:11]
	v_add_f64 v[84:85], v[78:79], -v[8:9]
	v_add_f64 v[82:83], v[8:9], -v[82:83]
	v_add_f64 v[78:79], v[78:79], -v[84:85]
	v_add_f64 v[8:9], v[78:79], -v[8:9]
	v_add_f64 v[10:11], v[82:83], -v[10:11]
	v_add_f64 v[8:9], v[10:11], v[8:9]
	v_add_f64 v[8:9], v[84:85], v[8:9]
	v_mul_f64 v[8:9], v[76:77], v[8:9]
	v_add_f64 v[10:11], v[80:81], v[8:9]
	v_add_f64 v[76:77], v[10:11], -v[80:81]
	v_add_f64 v[8:9], v[8:9], -v[76:77]
	v_mul_f64 v[76:77], v[10:11], v[10:11]
	v_pk_mov_b32 v[78:79], v[20:21], v[20:21] op_sel:[0,1]
	v_fmac_f64_e32 v[78:79], s[48:49], v[76:77]
	v_pk_mov_b32 v[80:81], v[22:23], v[22:23] op_sel:[0,1]
	v_fmac_f64_e32 v[80:81], v[76:77], v[78:79]
	;; [unrolled: 2-line block ×6, first 2 shown]
	v_ldexp_f64 v[78:79], v[10:11], 1
	v_mul_f64 v[10:11], v[10:11], v[76:77]
	v_mul_f64 v[10:11], v[10:11], v[80:81]
	v_add_f64 v[76:77], v[78:79], v[10:11]
	v_add_f64 v[78:79], v[76:77], -v[78:79]
	v_ldexp_f64 v[8:9], v[8:9], 1
	v_add_f64 v[10:11], v[10:11], -v[78:79]
	v_add_f64 v[8:9], v[8:9], v[10:11]
	v_add_f64 v[10:11], v[76:77], v[8:9]
	v_add_f64 v[76:77], v[10:11], -v[76:77]
	v_add_f64 v[8:9], v[8:9], -v[76:77]
	v_cvt_f64_i32_e32 v[76:77], v15
	v_mul_f64 v[78:79], v[76:77], s[60:61]
	v_fma_f64 v[80:81], v[76:77], s[60:61], -v[78:79]
	v_fmac_f64_e32 v[80:81], s[62:63], v[76:77]
	v_add_f64 v[76:77], v[78:79], v[80:81]
	v_add_f64 v[78:79], v[76:77], -v[78:79]
	v_add_f64 v[78:79], v[80:81], -v[78:79]
	v_add_f64 v[80:81], v[76:77], v[10:11]
	v_add_f64 v[82:83], v[80:81], -v[76:77]
	v_add_f64 v[84:85], v[80:81], -v[82:83]
	;; [unrolled: 1-line block ×4, first 2 shown]
	v_add_f64 v[10:11], v[10:11], v[76:77]
	v_add_f64 v[76:77], v[78:79], v[8:9]
	v_add_f64 v[82:83], v[76:77], -v[78:79]
	v_add_f64 v[84:85], v[76:77], -v[82:83]
	v_add_f64 v[10:11], v[76:77], v[10:11]
	v_add_f64 v[78:79], v[78:79], -v[84:85]
	v_add_f64 v[8:9], v[8:9], -v[82:83]
	v_add_f64 v[76:77], v[80:81], v[10:11]
	v_add_f64 v[8:9], v[8:9], v[78:79]
	v_add_f64 v[78:79], v[76:77], -v[80:81]
	v_add_f64 v[10:11], v[10:11], -v[78:79]
	s_mov_b32 s20, 0
	v_add_f64 v[8:9], v[8:9], v[10:11]
	s_mov_b32 s21, 0x7ff00000
	v_add_f64 v[8:9], v[76:77], v[8:9]
	v_cmp_eq_f64_e32 vcc, s[20:21], v[2:3]
	v_cndmask_b32_e32 v9, v9, v3, vcc
	v_cndmask_b32_e32 v8, v8, v2, vcc
	v_mul_f64 v[8:9], v[8:9], -2.0
	v_cmp_neq_f64_e32 vcc, 0, v[2:3]
	s_mov_b32 s0, 0
	v_cndmask_b32_e32 v3, v94, v9, vcc
	v_cndmask_b32_e32 v2, 0, v8, vcc
	s_brev_b32 s1, 8
	v_cmp_gt_f64_e32 vcc, s[0:1], v[2:3]
	v_cndmask_b32_e64 v8, 0, 1, vcc
	v_lshlrev_b32_e32 v8, 8, v8
	v_ldexp_f64 v[2:3], v[2:3], v8
	v_xor_b32_e32 v6, v0, v6
	v_cvt_f64_u32_e32 v[0:1], v1
	v_rsq_f64_e32 v[8:9], v[2:3]
	v_ldexp_f64 v[0:1], v[0:1], 32
	v_cvt_f64_u32_e32 v[6:7], v6
	v_add_f64 v[0:1], v[0:1], v[6:7]
	v_mov_b32_e32 v6, 0
	v_mov_b32_e32 v7, 0x3cb00000
	v_fmac_f64_e32 v[6:7], 0x3cb00000, v[0:1]
	v_mul_f64 v[0:1], v[2:3], v[8:9]
	v_mul_f64 v[8:9], v[8:9], 0.5
	v_fma_f64 v[10:11], -v[8:9], v[0:1], 0.5
	v_fmac_f64_e32 v[0:1], v[0:1], v[10:11]
	v_fma_f64 v[76:77], -v[0:1], v[0:1], v[2:3]
	v_fmac_f64_e32 v[8:9], v[8:9], v[10:11]
	v_fmac_f64_e32 v[0:1], v[76:77], v[8:9]
	v_fma_f64 v[10:11], -v[0:1], v[0:1], v[2:3]
	v_fmac_f64_e32 v[0:1], v[10:11], v[8:9]
	v_cndmask_b32_e32 v8, 0, v17, vcc
	v_ldexp_f64 v[0:1], v[0:1], v8
	v_cmp_class_f64_e32 vcc, v[2:3], v13
	v_cndmask_b32_e32 v1, v1, v3, vcc
	v_cndmask_b32_e32 v0, v0, v2, vcc
	v_mul_f64 v[2:3], v[6:7], 0.5
	v_fract_f64_e32 v[8:9], v[2:3]
	v_add_f64 v[8:9], v[8:9], v[8:9]
	v_cmp_neq_f64_e32 vcc, s[20:21], v[2:3]
	v_cndmask_b32_e32 v2, 0, v8, vcc
	v_cndmask_b32_e32 v3, 0, v9, vcc
	v_cmp_lt_f64_e32 vcc, 1.0, v[6:7]
	v_cndmask_b32_e32 v3, v7, v3, vcc
	v_cndmask_b32_e32 v2, v6, v2, vcc
	v_add_f64 v[8:9], v[2:3], v[2:3]
	v_rndne_f64_e32 v[8:9], v[8:9]
	v_fmac_f64_e32 v[2:3], -0.5, v[8:9]
	s_mov_b32 s6, 0xf99eb0bb
	v_cvt_i32_f64_e32 v15, v[8:9]
	v_mul_f64 v[8:9], v[2:3], v[2:3]
	v_pk_mov_b32 v[10:11], v[50:51], v[50:51] op_sel:[0,1]
	s_mov_b32 s7, 0x3f3e357e
	v_fmac_f64_e32 v[10:11], s[6:7], v[8:9]
	v_pk_mov_b32 v[76:77], v[52:53], v[52:53] op_sel:[0,1]
	v_fmac_f64_e32 v[76:77], v[8:9], v[10:11]
	v_pk_mov_b32 v[10:11], v[54:55], v[54:55] op_sel:[0,1]
	;; [unrolled: 2-line block ×4, first 2 shown]
	v_fmac_f64_e32 v[10:11], v[8:9], v[76:77]
	v_mul_f64 v[76:77], v[2:3], v[8:9]
	s_mov_b32 s6, 0x54442d18
	v_mul_f64 v[10:11], v[76:77], v[10:11]
	s_mov_b32 s7, 0x400921fb
	v_fmac_f64_e32 v[10:11], s[6:7], v[2:3]
	s_mov_b32 s6, 0x2e21c33
	v_pk_mov_b32 v[2:3], v[60:61], v[60:61] op_sel:[0,1]
	s_mov_b32 s7, 0xbf1b1673
	v_fmac_f64_e32 v[2:3], s[6:7], v[8:9]
	v_pk_mov_b32 v[76:77], v[62:63], v[62:63] op_sel:[0,1]
	v_fmac_f64_e32 v[76:77], v[8:9], v[2:3]
	v_pk_mov_b32 v[2:3], v[64:65], v[64:65] op_sel:[0,1]
	;; [unrolled: 2-line block ×5, first 2 shown]
	v_fmac_f64_e32 v[76:77], v[8:9], v[2:3]
	v_fma_f64 v[2:3], v[8:9], v[76:77], 1.0
	v_and_b32_e32 v9, 1, v15
	v_lshlrev_b32_e32 v8, 30, v15
	v_cmp_eq_u32_e32 vcc, 0, v9
	v_cndmask_b32_e32 v10, v2, v10, vcc
	v_cndmask_b32_e32 v2, v3, v11, vcc
	v_xor_b32_e32 v3, v8, v7
	v_and_b32_e32 v3, 0x80000000, v3
	v_cmp_gt_f64_e32 vcc, s[0:1], v[4:5]
	v_xor_b32_e32 v11, v2, v3
	v_cndmask_b32_e64 v2, 0, 1, vcc
	v_lshlrev_b32_e32 v2, 8, v2
	v_ldexp_f64 v[2:3], v[4:5], v2
	v_rsq_f64_e32 v[8:9], v[2:3]
	v_cmp_lg_f64_e64 s[0:1], s[20:21], v[6:7]
	v_cndmask_b32_e64 v6, 0, v10, s[0:1]
	v_cndmask_b32_e64 v7, v92, v11, s[0:1]
	v_mul_f64 v[0:1], v[0:1], v[6:7]
	v_mul_f64 v[6:7], v[2:3], v[8:9]
	v_mul_f64 v[8:9], v[8:9], 0.5
	v_fma_f64 v[10:11], -v[8:9], v[6:7], 0.5
	v_fmac_f64_e32 v[6:7], v[6:7], v[10:11]
	v_fma_f64 v[76:77], -v[6:7], v[6:7], v[2:3]
	v_fmac_f64_e32 v[8:9], v[8:9], v[10:11]
	v_fmac_f64_e32 v[6:7], v[76:77], v[8:9]
	v_fma_f64 v[10:11], -v[6:7], v[6:7], v[2:3]
	v_fmac_f64_e32 v[6:7], v[10:11], v[8:9]
	v_cndmask_b32_e32 v8, 0, v17, vcc
	v_ldexp_f64 v[6:7], v[6:7], v8
	v_cmp_class_f64_e32 vcc, v[2:3], v13
	v_cndmask_b32_e32 v3, v7, v3, vcc
	v_cndmask_b32_e32 v2, v6, v2, vcc
	v_fmac_f64_e32 v[4:5], v[2:3], v[0:1]
	v_trunc_f64_e32 v[0:1], v[4:5]
	v_add_f64 v[2:3], v[4:5], -v[0:1]
	v_cmp_ge_f64_e64 vcc, |v[2:3]|, 0.5
	v_cndmask_b32_e32 v2, 0, v19, vcc
	s_brev_b32 s0, -2
	v_bfi_b32 v15, s0, v2, v5
	v_add_f64 v[0:1], v[0:1], v[14:15]
	v_cvt_u32_f64_e32 v79, v[0:1]
.LBB100_54:                             ;   in Loop: Header=BB100_5 Depth=1
	s_or_b64 exec, exec, s[4:5]
                                        ; implicit-def: $vgpr6
                                        ; implicit-def: $vgpr76_vgpr77
                                        ; implicit-def: $vgpr15
                                        ; implicit-def: $vgpr96
                                        ; implicit-def: $vgpr97
                                        ; implicit-def: $vgpr105
                                        ; implicit-def: $vgpr95
                                        ; implicit-def: $vgpr3
                                        ; implicit-def: $vgpr4_vgpr5
                                        ; implicit-def: $vgpr98
                                        ; implicit-def: $vgpr99
                                        ; implicit-def: $vgpr100
                                        ; implicit-def: $vgpr101
                                        ; implicit-def: $vgpr103
                                        ; implicit-def: $vgpr104
                                        ; implicit-def: $vgpr106
                                        ; implicit-def: $vgpr107
                                        ; implicit-def: $vgpr108
                                        ; implicit-def: $vgpr109
                                        ; implicit-def: $vgpr110
                                        ; implicit-def: $vgpr111
                                        ; implicit-def: $vgpr112
                                        ; implicit-def: $vgpr113
                                        ; implicit-def: $vgpr102
                                        ; implicit-def: $vgpr114
.LBB100_55:                             ;   in Loop: Header=BB100_5 Depth=1
	s_andn2_saveexec_b64 s[4:5], s[16:17]
	s_cbranch_execz .LBB100_3
; %bb.56:                               ;   in Loop: Header=BB100_5 Depth=1
	v_readlane_b32 s0, v134, 23
	v_readlane_b32 s1, v134, 24
	s_mov_b32 s0, s66
	v_mul_f64 v[8:9], v[4:5], s[0:1]
	v_rndne_f64_e32 v[10:11], v[8:9]
	s_mov_b32 s68, s60
	v_fma_f64 v[4:5], v[10:11], s[68:69], -v[4:5]
	s_mov_b32 s72, s62
	v_fmac_f64_e32 v[4:5], s[72:73], v[10:11]
	v_pk_mov_b32 v[8:9], v[32:33], v[32:33] op_sel:[0,1]
	v_fmac_f64_e32 v[8:9], s[74:75], v[4:5]
	v_pk_mov_b32 v[78:79], v[34:35], v[34:35] op_sel:[0,1]
	;; [unrolled: 2-line block ×9, first 2 shown]
	v_fmac_f64_e32 v[80:81], v[4:5], v[78:79]
	v_fma_f64 v[78:79], v[4:5], v[80:81], 1.0
	s_mov_b32 s0, 0xc4800000
	v_fma_f64 v[4:5], v[4:5], v[78:79], 1.0
	v_cvt_i32_f64_e32 v7, v[10:11]
	v_cmp_ngt_f32_e32 vcc, s0, v6
	s_mov_b32 s0, 0x44866000
	s_mov_b32 s7, s1
	v_ldexp_f64 v[4:5], v[4:5], v7
	v_cmp_nlt_f32_e64 s[0:1], s0, v6
	v_mov_b32_e32 v8, 0
	v_cndmask_b32_e32 v5, v94, v5, vcc
	s_and_b64 vcc, s[0:1], vcc
	v_writelane_b32 v134, s6, 23
	v_mov_b32_e32 v9, 0x3ff00000
	v_mov_b32_e32 v82, 0
	v_cndmask_b32_e64 v11, 0, v5, s[0:1]
	v_cndmask_b32_e32 v10, 0, v4, vcc
	s_mov_b32 s16, -1
	s_mov_b64 s[0:1], 0
	v_mov_b32_e32 v83, v12
	v_writelane_b32 v134, s7, 24
	s_branch .LBB100_58
.LBB100_57:                             ;   in Loop: Header=BB100_58 Depth=2
	s_or_b64 exec, exec, s[6:7]
	v_cmp_eq_u32_e32 vcc, 1, v15
	v_cndmask_b32_e32 v0, v0, v1, vcc
	v_cmp_eq_u32_e32 vcc, 2, v15
	v_cndmask_b32_e32 v0, v0, v2, vcc
	;; [unrolled: 2-line block ×6, first 2 shown]
	v_lshrrev_b32_e32 v0, 11, v0
	v_cvt_f64_u32_e32 v[0:1], v0
	v_ldexp_f64 v[0:1], v[0:1], 32
	v_cvt_f64_u32_e32 v[2:3], v2
	v_add_f64 v[0:1], v[0:1], v[2:3]
	v_mov_b32_e32 v2, 0
	v_mov_b32_e32 v3, 0x3ca00000
	v_fmac_f64_e32 v[2:3], 0x3ca00000, v[0:1]
	v_mul_f64 v[8:9], v[8:9], v[2:3]
	v_cmp_ngt_f64_e32 vcc, v[8:9], v[10:11]
	s_add_i32 s16, s16, 1
	s_or_b64 s[0:1], vcc, s[0:1]
	v_mov_b32_e32 v79, s16
	v_mov_b32_e32 v15, v85
	;; [unrolled: 1-line block ×6, first 2 shown]
	s_andn2_b64 exec, exec, s[0:1]
	s_cbranch_execz .LBB100_2
.LBB100_58:                             ;   Parent Loop BB100_5 Depth=1
                                        ; =>  This Inner Loop Header: Depth=2
	v_add_u32_e32 v84, 1, v15
	v_pk_mov_b32 v[6:7], v[2:3], v[2:3] op_sel:[0,1]
	v_cmp_eq_u32_e32 vcc, 4, v84
	v_pk_mov_b32 v[4:5], v[0:1], v[0:1] op_sel:[0,1]
	v_mov_b32_e32 v81, v0
	v_mov_b32_e32 v80, v1
	;; [unrolled: 1-line block ×4, first 2 shown]
	s_and_saveexec_b64 s[6:7], vcc
	s_cbranch_execz .LBB100_60
; %bb.59:                               ;   in Loop: Header=BB100_58 Depth=2
	v_add_co_u32_e32 v96, vcc, 1, v96
	v_cndmask_b32_e64 v4, 0, 1, vcc
	v_addc_co_u32_e32 v97, vcc, 0, v97, vcc
	v_cmp_eq_u32_e32 vcc, 0, v97
	v_cndmask_b32_e32 v4, 0, v4, vcc
	v_add_u32_e32 v83, v4, v83
	v_cmp_eq_u32_e32 vcc, 0, v83
	v_cndmask_b32_e32 v4, 0, v4, vcc
	v_add_u32_e32 v82, v4, v82
	v_mad_u64_u32 v[4:5], s[20:21], v96, s70, 0
	v_mad_u64_u32 v[6:7], s[20:21], v83, s33, 0
	v_xor_b32_e32 v5, v5, v77
	v_xor_b32_e32 v7, v7, v76
	v_xor_b32_e32 v5, v82, v5
	v_xor_b32_e32 v7, v97, v7
	v_mad_u64_u32 v[80:81], s[20:21], v5, s33, 0
	v_mad_u64_u32 v[78:79], s[20:21], v7, s70, 0
	v_xor_b32_e32 v5, v98, v81
	v_xor_b32_e32 v5, v5, v6
	v_xor_b32_e32 v6, v99, v79
	v_xor_b32_e32 v6, v6, v4
	;; [unrolled: 6-line block ×10, first 2 shown]
	v_mov_b32_e32 v84, 0
	v_mov_b32_e32 v5, v80
	;; [unrolled: 1-line block ×5, first 2 shown]
.LBB100_60:                             ;   in Loop: Header=BB100_58 Depth=2
	s_or_b64 exec, exec, s[6:7]
	v_add_u32_e32 v85, 1, v84
	v_cmp_eq_u32_e32 vcc, 4, v85
	s_and_saveexec_b64 s[6:7], vcc
	s_cbranch_execz .LBB100_57
; %bb.61:                               ;   in Loop: Header=BB100_58 Depth=2
	v_add_co_u32_e32 v96, vcc, 1, v96
	v_cndmask_b32_e64 v78, 0, 1, vcc
	v_addc_co_u32_e32 v97, vcc, 0, v97, vcc
	v_cmp_eq_u32_e32 vcc, 0, v97
	v_cndmask_b32_e32 v78, 0, v78, vcc
	v_add_u32_e32 v83, v78, v83
	v_cmp_eq_u32_e32 vcc, 0, v83
	v_cndmask_b32_e32 v78, 0, v78, vcc
	v_add_u32_e32 v82, v78, v82
	v_mad_u64_u32 v[78:79], s[20:21], v96, s70, 0
	v_mad_u64_u32 v[80:81], s[20:21], v83, s33, 0
	v_xor_b32_e32 v79, v79, v77
	v_xor_b32_e32 v81, v81, v76
	v_xor_b32_e32 v79, v82, v79
	v_xor_b32_e32 v81, v97, v81
	v_mad_u64_u32 v[88:89], s[20:21], v79, s33, 0
	v_mad_u64_u32 v[86:87], s[20:21], v81, s70, 0
	v_xor_b32_e32 v79, v98, v89
	v_xor_b32_e32 v79, v79, v80
	v_xor_b32_e32 v80, v99, v87
	v_xor_b32_e32 v80, v80, v78
	;; [unrolled: 6-line block ×9, first 2 shown]
	v_mad_u64_u32 v[78:79], s[20:21], v78, s70, 0
	v_mad_u64_u32 v[80:81], s[20:21], v80, s33, 0
	v_xor_b32_e32 v81, v81, v116
	v_xor_b32_e32 v79, v79, v90
	v_mov_b32_e32 v85, 0
	v_xor_b32_e32 v81, v105, v81
	v_xor_b32_e32 v86, v95, v79
	s_branch .LBB100_57
.LBB100_62:
	s_or_b64 exec, exec, s[26:27]
	s_and_saveexec_b64 s[0:1], s[28:29]
	s_xor_b64 s[0:1], exec, s[0:1]
	s_cbranch_execnz .LBB100_64
.LBB100_63:
	s_endpgm
.LBB100_64:
	s_trap 2
	; divergent unreachable
	s_endpgm
	.section	.rodata,"a",@progbits
	.p2align	6, 0x0
	.amdhsa_kernel _ZN2at4cuda12_GLOBAL__N_121kernelPointwiseApply2IZN12_GLOBAL__N_119poisson_cuda_kernelIN3c108BFloat16EEEvRKNS_10TensorBaseES9_NS_15PhiloxCudaStateEEUlRS6_RKS6_E_S6_S6_mLin1ELin1ELi1ELi512ELi2EEEvNS0_6detail10TensorInfoIT0_T2_EENSG_IT1_SI_EESI_T_
		.amdhsa_group_segment_fixed_size 0
		.amdhsa_private_segment_fixed_size 0
		.amdhsa_kernarg_size 1128
		.amdhsa_user_sgpr_count 6
		.amdhsa_user_sgpr_private_segment_buffer 1
		.amdhsa_user_sgpr_dispatch_ptr 0
		.amdhsa_user_sgpr_queue_ptr 0
		.amdhsa_user_sgpr_kernarg_segment_ptr 1
		.amdhsa_user_sgpr_dispatch_id 0
		.amdhsa_user_sgpr_flat_scratch_init 0
		.amdhsa_user_sgpr_kernarg_preload_length 0
		.amdhsa_user_sgpr_kernarg_preload_offset 0
		.amdhsa_user_sgpr_private_segment_size 0
		.amdhsa_uses_dynamic_stack 0
		.amdhsa_system_sgpr_private_segment_wavefront_offset 0
		.amdhsa_system_sgpr_workgroup_id_x 1
		.amdhsa_system_sgpr_workgroup_id_y 0
		.amdhsa_system_sgpr_workgroup_id_z 0
		.amdhsa_system_sgpr_workgroup_info 0
		.amdhsa_system_vgpr_workitem_id 0
		.amdhsa_next_free_vgpr 135
		.amdhsa_next_free_sgpr 96
		.amdhsa_accum_offset 136
		.amdhsa_reserve_vcc 1
		.amdhsa_reserve_flat_scratch 0
		.amdhsa_float_round_mode_32 0
		.amdhsa_float_round_mode_16_64 0
		.amdhsa_float_denorm_mode_32 3
		.amdhsa_float_denorm_mode_16_64 3
		.amdhsa_dx10_clamp 1
		.amdhsa_ieee_mode 1
		.amdhsa_fp16_overflow 0
		.amdhsa_tg_split 0
		.amdhsa_exception_fp_ieee_invalid_op 0
		.amdhsa_exception_fp_denorm_src 0
		.amdhsa_exception_fp_ieee_div_zero 0
		.amdhsa_exception_fp_ieee_overflow 0
		.amdhsa_exception_fp_ieee_underflow 0
		.amdhsa_exception_fp_ieee_inexact 0
		.amdhsa_exception_int_div_zero 0
	.end_amdhsa_kernel
	.section	.text._ZN2at4cuda12_GLOBAL__N_121kernelPointwiseApply2IZN12_GLOBAL__N_119poisson_cuda_kernelIN3c108BFloat16EEEvRKNS_10TensorBaseES9_NS_15PhiloxCudaStateEEUlRS6_RKS6_E_S6_S6_mLin1ELin1ELi1ELi512ELi2EEEvNS0_6detail10TensorInfoIT0_T2_EENSG_IT1_SI_EESI_T_,"axG",@progbits,_ZN2at4cuda12_GLOBAL__N_121kernelPointwiseApply2IZN12_GLOBAL__N_119poisson_cuda_kernelIN3c108BFloat16EEEvRKNS_10TensorBaseES9_NS_15PhiloxCudaStateEEUlRS6_RKS6_E_S6_S6_mLin1ELin1ELi1ELi512ELi2EEEvNS0_6detail10TensorInfoIT0_T2_EENSG_IT1_SI_EESI_T_,comdat
.Lfunc_end100:
	.size	_ZN2at4cuda12_GLOBAL__N_121kernelPointwiseApply2IZN12_GLOBAL__N_119poisson_cuda_kernelIN3c108BFloat16EEEvRKNS_10TensorBaseES9_NS_15PhiloxCudaStateEEUlRS6_RKS6_E_S6_S6_mLin1ELin1ELi1ELi512ELi2EEEvNS0_6detail10TensorInfoIT0_T2_EENSG_IT1_SI_EESI_T_, .Lfunc_end100-_ZN2at4cuda12_GLOBAL__N_121kernelPointwiseApply2IZN12_GLOBAL__N_119poisson_cuda_kernelIN3c108BFloat16EEEvRKNS_10TensorBaseES9_NS_15PhiloxCudaStateEEUlRS6_RKS6_E_S6_S6_mLin1ELin1ELi1ELi512ELi2EEEvNS0_6detail10TensorInfoIT0_T2_EENSG_IT1_SI_EESI_T_
                                        ; -- End function
	.section	.AMDGPU.csdata,"",@progbits
; Kernel info:
; codeLenInByte = 15464
; NumSgprs: 100
; NumVgprs: 135
; NumAgprs: 0
; TotalNumVgprs: 135
; ScratchSize: 0
; MemoryBound: 0
; FloatMode: 240
; IeeeMode: 1
; LDSByteSize: 0 bytes/workgroup (compile time only)
; SGPRBlocks: 12
; VGPRBlocks: 16
; NumSGPRsForWavesPerEU: 100
; NumVGPRsForWavesPerEU: 135
; AccumOffset: 136
; Occupancy: 3
; WaveLimiterHint : 1
; COMPUTE_PGM_RSRC2:SCRATCH_EN: 0
; COMPUTE_PGM_RSRC2:USER_SGPR: 6
; COMPUTE_PGM_RSRC2:TRAP_HANDLER: 0
; COMPUTE_PGM_RSRC2:TGID_X_EN: 1
; COMPUTE_PGM_RSRC2:TGID_Y_EN: 0
; COMPUTE_PGM_RSRC2:TGID_Z_EN: 0
; COMPUTE_PGM_RSRC2:TIDIG_COMP_CNT: 0
; COMPUTE_PGM_RSRC3_GFX90A:ACCUM_OFFSET: 33
; COMPUTE_PGM_RSRC3_GFX90A:TG_SPLIT: 0
	.section	.text._ZN2at6native12_GLOBAL__N_138distribution_binary_elementwise_kernelIZN12_GLOBAL__N_120binomial_cuda_kernelIdEEvRNS_18TensorIteratorBaseENS_15PhiloxCudaStateEEUlR25hiprandStatePhilox4_32_10ddE_23TrivialOffsetCalculatorILi2EjESB_ILi1EjEEEviT_S7_PN15function_traitsISE_E11result_typeEPKNSG_3argILi1EE4typeEPKNSJ_ILi2EE4typeET0_T1_,"axG",@progbits,_ZN2at6native12_GLOBAL__N_138distribution_binary_elementwise_kernelIZN12_GLOBAL__N_120binomial_cuda_kernelIdEEvRNS_18TensorIteratorBaseENS_15PhiloxCudaStateEEUlR25hiprandStatePhilox4_32_10ddE_23TrivialOffsetCalculatorILi2EjESB_ILi1EjEEEviT_S7_PN15function_traitsISE_E11result_typeEPKNSG_3argILi1EE4typeEPKNSJ_ILi2EE4typeET0_T1_,comdat
	.globl	_ZN2at6native12_GLOBAL__N_138distribution_binary_elementwise_kernelIZN12_GLOBAL__N_120binomial_cuda_kernelIdEEvRNS_18TensorIteratorBaseENS_15PhiloxCudaStateEEUlR25hiprandStatePhilox4_32_10ddE_23TrivialOffsetCalculatorILi2EjESB_ILi1EjEEEviT_S7_PN15function_traitsISE_E11result_typeEPKNSG_3argILi1EE4typeEPKNSJ_ILi2EE4typeET0_T1_ ; -- Begin function _ZN2at6native12_GLOBAL__N_138distribution_binary_elementwise_kernelIZN12_GLOBAL__N_120binomial_cuda_kernelIdEEvRNS_18TensorIteratorBaseENS_15PhiloxCudaStateEEUlR25hiprandStatePhilox4_32_10ddE_23TrivialOffsetCalculatorILi2EjESB_ILi1EjEEEviT_S7_PN15function_traitsISE_E11result_typeEPKNSG_3argILi1EE4typeEPKNSJ_ILi2EE4typeET0_T1_
	.p2align	8
	.type	_ZN2at6native12_GLOBAL__N_138distribution_binary_elementwise_kernelIZN12_GLOBAL__N_120binomial_cuda_kernelIdEEvRNS_18TensorIteratorBaseENS_15PhiloxCudaStateEEUlR25hiprandStatePhilox4_32_10ddE_23TrivialOffsetCalculatorILi2EjESB_ILi1EjEEEviT_S7_PN15function_traitsISE_E11result_typeEPKNSG_3argILi1EE4typeEPKNSJ_ILi2EE4typeET0_T1_,@function
_ZN2at6native12_GLOBAL__N_138distribution_binary_elementwise_kernelIZN12_GLOBAL__N_120binomial_cuda_kernelIdEEvRNS_18TensorIteratorBaseENS_15PhiloxCudaStateEEUlR25hiprandStatePhilox4_32_10ddE_23TrivialOffsetCalculatorILi2EjESB_ILi1EjEEEviT_S7_PN15function_traitsISE_E11result_typeEPKNSG_3argILi1EE4typeEPKNSJ_ILi2EE4typeET0_T1_: ; @_ZN2at6native12_GLOBAL__N_138distribution_binary_elementwise_kernelIZN12_GLOBAL__N_120binomial_cuda_kernelIdEEvRNS_18TensorIteratorBaseENS_15PhiloxCudaStateEEUlR25hiprandStatePhilox4_32_10ddE_23TrivialOffsetCalculatorILi2EjESB_ILi1EjEEEviT_S7_PN15function_traitsISE_E11result_typeEPKNSG_3argILi1EE4typeEPKNSJ_ILi2EE4typeET0_T1_
; %bb.0:
	s_mov_b64 s[90:91], s[2:3]
	s_mov_b64 s[88:89], s[0:1]
	s_add_u32 s88, s88, s7
	s_load_dword s7, s[4:5], 0x20
	s_load_dwordx4 s[0:3], s[4:5], 0x8
	s_addc_u32 s89, s89, 0
	s_waitcnt lgkmcnt(0)
	s_bitcmp0_b32 s7, 0
	v_pk_mov_b32 v[70:71], s[2:3], s[2:3] op_sel:[0,1]
	v_pk_mov_b32 v[68:69], s[0:1], s[0:1] op_sel:[0,1]
	s_cbranch_scc1 .LBB101_2
; %bb.1:
	v_pk_mov_b32 v[2:3], s[2:3], s[2:3] op_sel:[0,1]
	flat_load_dwordx2 v[2:3], v[2:3]
	v_pk_mov_b32 v[4:5], s[0:1], s[0:1] op_sel:[0,1]
	flat_load_dwordx2 v[68:69], v[4:5]
	s_load_dwordx2 s[0:1], s[4:5], 0x18
	s_waitcnt lgkmcnt(0)
	v_mov_b32_e32 v1, s1
	s_waitcnt vmcnt(0)
	v_add_co_u32_e32 v70, vcc, s0, v2
	v_addc_co_u32_e32 v71, vcc, v3, v1, vcc
.LBB101_2:
	s_load_dword s0, s[4:5], 0x0
	s_load_dwordx4 s[12:15], s[4:5], 0x28
	s_load_dwordx2 s[16:17], s[4:5], 0x38
	s_load_dword s7, s[4:5], 0x54
	s_lshl_b32 s33, s6, 10
	s_waitcnt lgkmcnt(0)
	s_sub_i32 s0, s0, s33
	s_min_i32 s76, s0, 0x400
	v_cmp_gt_i32_e32 vcc, s0, v0
                                        ; implicit-def: $vgpr18_vgpr19
                                        ; implicit-def: $vgpr8_vgpr9
	s_and_saveexec_b64 s[18:19], vcc
                                        ; implicit-def: $vgpr26_vgpr27_vgpr28_vgpr29_vgpr30_vgpr31_vgpr32_vgpr33
                                        ; implicit-def: $vgpr10_vgpr11_vgpr12_vgpr13_vgpr14_vgpr15_vgpr16_vgpr17
                                        ; implicit-def: $vgpr30_vgpr31_vgpr32_vgpr33_vgpr34_vgpr35_vgpr36_vgpr37
                                        ; implicit-def: $vgpr20_vgpr21_vgpr22_vgpr23_vgpr24_vgpr25_vgpr26_vgpr27
                                        ; implicit-def: $vgpr34_vgpr35_vgpr36_vgpr37_vgpr38_vgpr39_vgpr40_vgpr41
                                        ; implicit-def: $vgpr40_vgpr41_vgpr42_vgpr43_vgpr44_vgpr45_vgpr46_vgpr47
                                        ; implicit-def: $vgpr46_vgpr47_vgpr48_vgpr49_vgpr50_vgpr51_vgpr52_vgpr53
                                        ; implicit-def: $vgpr50_vgpr51_vgpr52_vgpr53_vgpr54_vgpr55_vgpr56_vgpr57
                                        ; implicit-def: $vgpr54_vgpr55_vgpr56_vgpr57_vgpr58_vgpr59_vgpr60_vgpr61
                                        ; implicit-def: $vgpr60_vgpr61_vgpr62_vgpr63_vgpr64_vgpr65_vgpr66_vgpr67
	s_cbranch_execz .LBB101_6
; %bb.3:
                                        ; implicit-def: $vgpr26_vgpr27_vgpr28_vgpr29_vgpr30_vgpr31_vgpr32_vgpr33
	s_mov_b64 s[20:21], 0
                                        ; implicit-def: $vgpr30_vgpr31_vgpr32_vgpr33_vgpr34_vgpr35_vgpr36_vgpr37
	v_mov_b32_e32 v23, 0
                                        ; implicit-def: $vgpr34_vgpr35_vgpr36_vgpr37_vgpr38_vgpr39_vgpr40_vgpr41
	v_mov_b32_e32 v1, s15
                                        ; implicit-def: $vgpr40_vgpr41_vgpr42_vgpr43_vgpr44_vgpr45_vgpr46_vgpr47
	v_mov_b32_e32 v24, s17
                                        ; implicit-def: $vgpr46_vgpr47_vgpr48_vgpr49_vgpr50_vgpr51_vgpr52_vgpr53
	s_mov_b64 s[22:23], 0
                                        ; implicit-def: $vgpr50_vgpr51_vgpr52_vgpr53_vgpr54_vgpr55_vgpr56_vgpr57
	v_mov_b32_e32 v25, v0
                                        ; implicit-def: $vgpr54_vgpr55_vgpr56_vgpr57_vgpr58_vgpr59_vgpr60_vgpr61
                                        ; implicit-def: $vgpr20_vgpr21
                                        ; implicit-def: $vgpr10_vgpr11
                                        ; implicit-def: $vgpr2_vgpr3_vgpr4_vgpr5_vgpr6_vgpr7_vgpr8_vgpr9
                                        ; implicit-def: $vgpr12_vgpr13_vgpr14_vgpr15_vgpr16_vgpr17_vgpr18_vgpr19
                                        ; implicit-def: $vgpr60_vgpr61_vgpr62_vgpr63_vgpr64_vgpr65_vgpr66_vgpr67
.LBB101_4:                              ; =>This Inner Loop Header: Depth=1
	v_add_u32_e32 v22, s33, v25
	v_lshlrev_b64 v[2:3], 3, v[22:23]
	v_add_co_u32_e64 v4, s[0:1], s14, v2
	v_addc_co_u32_e64 v5, s[0:1], v1, v3, s[0:1]
	v_add_co_u32_e64 v2, s[0:1], s16, v2
	v_addc_co_u32_e64 v3, s[0:1], v24, v3, s[0:1]
	global_load_dwordx2 v[6:7], v[4:5], off
	global_load_dwordx2 v[12:13], v[2:3], off
	s_cmp_eq_u32 s22, 0
	s_cselect_b64 s[2:3], -1, 0
	s_cmp_eq_u32 s22, 1
	s_cselect_b64 s[4:5], -1, 0
	;; [unrolled: 2-line block ×3, first 2 shown]
	s_cmp_eq_u32 s22, 3
	v_add_u32_e32 v25, 0x100, v25
	s_cselect_b64 s[10:11], -1, 0
	s_cmp_gt_u32 s22, 2
	v_cmp_le_i32_e64 s[0:1], s76, v25
	s_cselect_b64 s[24:25], -1, 0
	s_or_b64 s[0:1], s[24:25], s[0:1]
	s_add_u32 s22, s22, 1
	s_addc_u32 s23, s23, 0
	s_and_b64 s[0:1], exec, s[0:1]
	s_or_b64 s[20:21], s[0:1], s[20:21]
	s_waitcnt vmcnt(1)
	v_cndmask_b32_e64 v21, v21, v7, s[2:3]
	v_cndmask_b32_e64 v20, v20, v6, s[2:3]
	;; [unrolled: 1-line block ×8, first 2 shown]
	s_waitcnt vmcnt(0)
	v_cndmask_b32_e64 v11, v11, v13, s[2:3]
	v_cndmask_b32_e64 v10, v10, v12, s[2:3]
	;; [unrolled: 1-line block ×8, first 2 shown]
	s_andn2_b64 exec, exec, s[20:21]
	s_cbranch_execnz .LBB101_4
; %bb.5:
	s_or_b64 exec, exec, s[20:21]
.LBB101_6:
	s_or_b64 exec, exec, s[18:19]
	s_and_saveexec_b64 s[0:1], vcc
	s_cbranch_execz .LBB101_77
; %bb.7:
	s_and_b32 s0, 0xffff, s7
	s_mul_i32 s6, s6, s0
	v_add_u32_e32 v2, s6, v0
	v_alignbit_b32 v4, v71, v70, 2
	s_mov_b32 s78, 0xd2511f53
	s_mov_b32 s79, 0xcd9e8d57
	v_mad_u64_u32 v[12:13], s[0:1], v4, s78, 0
	v_mad_u64_u32 v[14:15], s[0:1], v2, s79, 0
	v_lshrrev_b32_e32 v1, 2, v71
	s_mov_b32 s0, 0x9e3779b9
	v_xor_b32_e32 v5, v68, v15
	v_mov_b32_e32 v6, v69
	v_xor_b32_e32 v3, v13, v69
	v_add_co_u32_e32 v78, vcc, s0, v68
	s_mov_b32 s0, 0xbb67ae85
	v_xor_b32_e32 v5, v5, v1
	v_add_co_u32_e32 v79, vcc, s0, v6
	v_mad_u64_u32 v[16:17], s[0:1], v5, s78, 0
	v_mad_u64_u32 v[22:23], s[0:1], v3, s79, 0
	v_xor_b32_e32 v3, v23, v78
	v_xor_b32_e32 v5, v79, v17
	s_mov_b32 s0, 0x3c6ef372
	v_xor_b32_e32 v3, v3, v14
	v_xor_b32_e32 v5, v5, v12
	v_add_co_u32_e32 v80, vcc, s0, v68
	s_mov_b32 s0, 0x76cf5d0a
	v_add_co_u32_e32 v81, vcc, s0, v6
	v_mad_u64_u32 v[12:13], s[0:1], v3, s78, 0
	v_mad_u64_u32 v[14:15], s[0:1], v5, s79, 0
	v_xor_b32_e32 v3, v80, v15
	v_xor_b32_e32 v5, v81, v13
	s_mov_b32 s0, 0xdaa66d2b
	v_xor_b32_e32 v3, v3, v22
	v_xor_b32_e32 v5, v5, v16
	v_add_co_u32_e32 v82, vcc, s0, v68
	s_mov_b32 s0, 0x32370b8f
	;; [unrolled: 10-line block ×6, first 2 shown]
	v_add_co_u32_e32 v49, vcc, s0, v6
	v_mad_u64_u32 v[16:17], s[0:1], v3, s78, 0
	v_mad_u64_u32 v[22:23], s[0:1], v5, s79, 0
	v_xor_b32_e32 v3, v64, v23
	s_mov_b32 s0, 0xf1bbcdc8
	v_xor_b32_e32 v3, v3, v14
	v_xor_b32_e32 v5, v49, v17
	v_add_co_u32_e32 v52, vcc, s0, v68
	s_mov_b32 s0, 0xdb3d7428
	v_xor_b32_e32 v5, v5, v12
	v_add_co_u32_e32 v114, vcc, s0, v6
	v_mad_u64_u32 v[6:7], s[0:1], v3, s78, 0
	v_mad_u64_u32 v[12:13], s[0:1], v5, s79, 0
	v_xor_b32_e32 v5, v114, v7
	v_xor_b32_e32 v3, v52, v13
	;; [unrolled: 1-line block ×4, first 2 shown]
	v_mad_u64_u32 v[22:23], s[0:1], v5, s79, 0
	v_add_u32_e32 v115, 0x8ff34781, v68
	v_mad_u64_u32 v[16:17], s[0:1], v3, s78, 0
	v_xor_b32_e32 v3, v23, v12
	v_xor_b32_e32 v12, v115, v3
	;; [unrolled: 1-line block ×3, first 2 shown]
	v_mov_b32_e32 v6, 0x66666666
	v_mov_b32_e32 v7, 0x3ff26666
	buffer_store_dword v6, off, s[88:91], 0 offset:76 ; 4-byte Folded Spill
	s_nop 0
	buffer_store_dword v7, off, s[88:91], 0 offset:80 ; 4-byte Folded Spill
	v_mov_b32_e32 v6, 0xf4f0d845
	v_mov_b32_e32 v7, 0xbfb6594a
	v_add_u32_e32 v116, 0x96a522ad, v69
	s_mov_b32 s8, 0
	s_mov_b32 s10, 0
	;; [unrolled: 1-line block ×22, first 2 shown]
	buffer_store_dword v6, off, s[88:91], 0 offset:84 ; 4-byte Folded Spill
	s_nop 0
	buffer_store_dword v7, off, s[88:91], 0 offset:88 ; 4-byte Folded Spill
	v_mov_b32_e32 v60, 0
	s_mov_b32 s77, 0
	v_and_b32_e32 v100, 3, v70
	v_xor_b32_e32 v14, v116, v3
	v_mov_b32_e32 v13, v22
	v_mov_b32_e32 v15, v16
	v_add_u32_e32 v117, 0x9e3779b9, v68
	v_add_u32_e32 v118, 0xbb67ae85, v69
	;; [unrolled: 1-line block ×6, first 2 shown]
	s_mov_b64 s[6:7], 0
	s_mov_b32 s9, 0x40240000
	s_brev_b32 s11, 8
	s_mov_b32 s15, 0x40146666
	s_mov_b32 s17, 0x40043d70
	;; [unrolled: 1-line block ×17, first 2 shown]
	s_movk_i32 s80, 0x204
	s_mov_b32 s51, 0x3f4a01a0
	s_mov_b32 s53, 0xbf4a01a0
	;; [unrolled: 1-line block ×4, first 2 shown]
	s_movk_i32 s81, 0xffe0
	s_mov_b32 s59, 0x3fb1eb85
	s_mov_b32 s61, 0xfff00000
	;; [unrolled: 1-line block ×3, first 2 shown]
	v_mov_b32_e32 v26, 0x6b47b09a
	v_mov_b32_e32 v27, 0x3fc38538
	;; [unrolled: 1-line block ×12, first 2 shown]
	v_add_u32_e32 v123, 0x78dde6e4, v68
	v_add_u32_e32 v124, 0xed9eba14, v69
	;; [unrolled: 1-line block ×10, first 2 shown]
	v_mov_b32_e32 v29, 0x3ff00000
	v_mov_b32_e32 v32, 0x7ff80000
	;; [unrolled: 1-line block ×4, first 2 shown]
	buffer_store_dword v78, off, s[88:91], 0 offset:32 ; 4-byte Folded Spill
	buffer_store_dword v79, off, s[88:91], 0 offset:36 ; 4-byte Folded Spill
	;; [unrolled: 1-line block ×11, first 2 shown]
	s_branch .LBB101_14
.LBB101_8:                              ;   in Loop: Header=BB101_14 Depth=1
	s_or_b64 exec, exec, s[2:3]
.LBB101_9:                              ;   in Loop: Header=BB101_14 Depth=1
	s_or_b64 exec, exec, s[0:1]
	v_add_f64 v[88:89], v[62:63], -v[92:93]
	v_mov_b32_e32 v100, v44
.LBB101_10:                             ;   in Loop: Header=BB101_14 Depth=1
	s_or_b64 exec, exec, s[68:69]
	v_mov_b32_e32 v44, v100
.LBB101_11:                             ;   in Loop: Header=BB101_14 Depth=1
	s_or_b64 exec, exec, s[66:67]
	v_pk_mov_b32 v[62:63], v[88:89], v[88:89] op_sel:[0,1]
	v_mov_b32_e32 v100, v44
.LBB101_12:                             ;   in Loop: Header=BB101_14 Depth=1
	s_or_b64 exec, exec, s[64:65]
	v_pk_mov_b32 v[24:25], v[62:63], v[62:63] op_sel:[0,1]
.LBB101_13:                             ;   in Loop: Header=BB101_14 Depth=1
	s_or_b64 exec, exec, s[62:63]
	v_add_u32_e32 v22, s33, v0
	v_mov_b32_e32 v23, v60
	v_lshlrev_b64 v[22:23], 3, v[22:23]
	v_mov_b32_e32 v34, s13
	v_add_co_u32_e32 v22, vcc, s12, v22
	s_add_i32 s2, s77, 1
	v_addc_co_u32_e32 v23, vcc, v34, v23, vcc
	v_add_u32_e32 v0, 0x100, v0
	s_cmp_gt_u32 s77, 2
	s_cselect_b64 s[0:1], -1, 0
	v_cmp_le_i32_e32 vcc, s76, v0
	s_or_b64 s[0:1], s[0:1], vcc
	s_and_b64 s[0:1], exec, s[0:1]
	s_or_b64 s[6:7], s[0:1], s[6:7]
	s_mov_b32 s77, s2
	global_store_dwordx2 v[22:23], v[24:25], off
	s_andn2_b64 exec, exec, s[6:7]
	s_cbranch_execz .LBB101_77
.LBB101_14:                             ; =>This Loop Header: Depth=1
                                        ;     Child Loop BB101_21 Depth 2
                                        ;     Child Loop BB101_43 Depth 2
	;; [unrolled: 1-line block ×4, first 2 shown]
	s_cmp_eq_u32 s77, 1
	s_cselect_b64 vcc, -1, 0
	s_cmp_eq_u32 s77, 2
	v_cndmask_b32_e32 v22, v21, v53, vcc
	s_cselect_b64 s[0:1], -1, 0
	s_cmp_eq_u32 s77, 3
	v_cndmask_b32_e32 v23, v20, v48, vcc
	v_cndmask_b32_e64 v22, v22, v65, s[0:1]
	v_cndmask_b32_e64 v23, v23, v58, s[0:1]
	s_cselect_b64 s[2:3], -1, 0
	v_cndmask_b32_e64 v63, v22, v19, s[2:3]
	v_cndmask_b32_e64 v62, v23, v18, s[2:3]
	v_cndmask_b32_e32 v22, v11, v33, vcc
	v_cndmask_b32_e32 v23, v10, v28, vcc
	v_cndmask_b32_e64 v22, v22, v45, s[0:1]
	v_cndmask_b32_e64 v24, v23, v38, s[0:1]
	;; [unrolled: 1-line block ×4, first 2 shown]
	v_max_f64 v[24:25], v[22:23], v[22:23]
	v_max_f64 v[34:35], v[62:63], v[62:63]
	v_min_f64 v[24:25], v[34:35], v[24:25]
	v_cmp_nge_f64_e32 vcc, 0, v[24:25]
	v_pk_mov_b32 v[24:25], 0, 0
	s_and_saveexec_b64 s[62:63], vcc
	s_cbranch_execz .LBB101_13
; %bb.15:                               ;   in Loop: Header=BB101_14 Depth=1
	v_cmp_nle_f64_e32 vcc, 1.0, v[22:23]
	s_and_saveexec_b64 s[64:65], vcc
	s_cbranch_execz .LBB101_12
; %bb.16:                               ;   in Loop: Header=BB101_14 Depth=1
	v_cmp_ge_f64_e32 vcc, 0.5, v[22:23]
                                        ; implicit-def: $vgpr88_vgpr89
                                        ; implicit-def: $vgpr44
	s_and_saveexec_b64 s[0:1], vcc
	s_xor_b64 s[66:67], exec, s[0:1]
	s_cbranch_execz .LBB101_47
; %bb.17:                               ;   in Loop: Header=BB101_14 Depth=1
	v_mul_f64 v[36:37], v[62:63], v[22:23]
	v_cmp_le_f64_e32 vcc, s[8:9], v[36:37]
                                        ; implicit-def: $vgpr88_vgpr89
                                        ; implicit-def: $vgpr44
	s_and_saveexec_b64 s[0:1], vcc
	s_xor_b64 s[68:69], exec, s[0:1]
	s_cbranch_execz .LBB101_40
; %bb.18:                               ;   in Loop: Header=BB101_14 Depth=1
	v_add_f64 v[24:25], -v[22:23], 1.0
	v_mul_f64 v[34:35], v[36:37], v[24:25]
	v_cmp_gt_f64_e32 vcc, s[10:11], v[34:35]
	v_cndmask_b32_e64 v40, 0, 1, vcc
	v_lshlrev_b32_e32 v40, 8, v40
	v_ldexp_f64 v[34:35], v[34:35], v40
	v_rsq_f64_e32 v[40:41], v[34:35]
	v_add_f64 v[72:73], v[36:37], 0.5
	s_mov_b32 s50, s52
	s_mov_b32 s56, s28
	v_mul_f64 v[42:43], v[34:35], v[40:41]
	v_mul_f64 v[40:41], v[40:41], 0.5
	v_fma_f64 v[66:67], -v[40:41], v[42:43], 0.5
	v_fmac_f64_e32 v[42:43], v[42:43], v[66:67]
	v_fma_f64 v[70:71], -v[42:43], v[42:43], v[34:35]
	v_fmac_f64_e32 v[40:41], v[40:41], v[66:67]
	v_fmac_f64_e32 v[42:43], v[70:71], v[40:41]
	v_fma_f64 v[66:67], -v[42:43], v[42:43], v[34:35]
	v_fmac_f64_e32 v[42:43], v[66:67], v[40:41]
	buffer_load_dword v66, off, s[88:91], 0 offset:76 ; 4-byte Folded Reload
	buffer_load_dword v67, off, s[88:91], 0 offset:80 ; 4-byte Folded Reload
	v_mov_b32_e32 v40, 0xffffff80
	v_cndmask_b32_e32 v40, 0, v40, vcc
	v_ldexp_f64 v[40:41], v[42:43], v40
	v_mov_b32_e32 v42, 0x260
	v_cmp_class_f64_e32 vcc, v[34:35], v42
	v_cndmask_b32_e32 v35, v41, v35, vcc
	v_cndmask_b32_e32 v34, v40, v34, vcc
	buffer_load_dword v70, off, s[88:91], 0 offset:84 ; 4-byte Folded Reload
	buffer_load_dword v71, off, s[88:91], 0 offset:88 ; 4-byte Folded Reload
	s_getpc_b64 s[4:5]
	s_add_u32 s4, s4, _ZZN12_GLOBAL__N_120stirling_approx_tailIdEET_S1_E11kTailValues.const@rel32@lo+4
	s_addc_u32 s5, s5, _ZZN12_GLOBAL__N_120stirling_approx_tailIdEET_S1_E11kTailValues.const@rel32@hi+12
	s_mov_b64 s[72:73], 0
	s_waitcnt vmcnt(2)
	v_fmac_f64_e32 v[66:67], s[16:17], v[34:35]
	v_div_scale_f64 v[36:37], s[0:1], v[66:67], v[66:67], s[22:23]
	v_rcp_f64_e32 v[40:41], v[36:37]
	v_fma_f64 v[42:43], -v[36:37], v[40:41], 1.0
	v_fmac_f64_e32 v[40:41], v[40:41], v[42:43]
	v_fma_f64 v[42:43], -v[36:37], v[40:41], 1.0
	v_fmac_f64_e32 v[40:41], v[40:41], v[42:43]
	v_div_scale_f64 v[42:43], vcc, s[22:23], v[66:67], s[22:23]
	v_mul_f64 v[74:75], v[42:43], v[40:41]
	v_fma_f64 v[36:37], -v[36:37], v[74:75], v[42:43]
	s_waitcnt vmcnt(0)
	v_fmac_f64_e32 v[70:71], s[18:19], v[66:67]
	v_div_fmas_f64 v[36:37], v[36:37], v[40:41], v[74:75]
	v_div_fixup_f64 v[36:37], v[36:37], v[66:67], s[22:23]
	v_add_f64 v[74:75], v[36:37], s[24:25]
	v_div_scale_f64 v[36:37], s[0:1], v[24:25], v[24:25], v[22:23]
	v_rcp_f64_e32 v[40:41], v[36:37]
	v_fmac_f64_e32 v[70:71], s[20:21], v[22:23]
	v_add_f64 v[82:83], v[70:71], v[70:71]
	v_fma_f64 v[42:43], -v[36:37], v[40:41], 1.0
	v_fmac_f64_e32 v[40:41], v[40:41], v[42:43]
	v_fma_f64 v[42:43], -v[36:37], v[40:41], 1.0
	v_fmac_f64_e32 v[40:41], v[40:41], v[42:43]
	v_div_scale_f64 v[42:43], vcc, v[22:23], v[24:25], v[22:23]
	v_mul_f64 v[76:77], v[42:43], v[40:41]
	v_fma_f64 v[36:37], -v[36:37], v[76:77], v[42:43]
	s_nop 1
	v_div_fmas_f64 v[36:37], v[36:37], v[40:41], v[76:77]
	v_div_fixup_f64 v[76:77], v[36:37], v[24:25], v[22:23]
	v_div_scale_f64 v[24:25], s[0:1], v[66:67], v[66:67], s[14:15]
	v_rcp_f64_e32 v[36:37], v[24:25]
	v_fma_f64 v[40:41], -v[24:25], v[36:37], 1.0
	v_fmac_f64_e32 v[36:37], v[36:37], v[40:41]
	v_fma_f64 v[40:41], -v[24:25], v[36:37], 1.0
	v_fmac_f64_e32 v[36:37], v[36:37], v[40:41]
	v_div_scale_f64 v[40:41], vcc, s[14:15], v[66:67], s[14:15]
	v_mul_f64 v[42:43], v[40:41], v[36:37]
	v_fma_f64 v[24:25], -v[24:25], v[42:43], v[40:41]
	s_nop 1
	v_div_fmas_f64 v[24:25], v[24:25], v[36:37], v[42:43]
	v_div_fixup_f64 v[24:25], v[24:25], v[66:67], s[14:15]
	v_add_f64 v[24:25], v[24:25], s[26:27]
	v_mul_f64 v[24:25], v[34:35], v[24:25]
	buffer_store_dword v24, off, s[88:91], 0 offset:8 ; 4-byte Folded Spill
	s_nop 0
	buffer_store_dword v25, off, s[88:91], 0 offset:12 ; 4-byte Folded Spill
	buffer_store_dword v76, off, s[88:91], 0 ; 4-byte Folded Spill
	s_nop 0
	buffer_store_dword v77, off, s[88:91], 0 offset:4 ; 4-byte Folded Spill
	v_add_f64 v[24:25], v[62:63], 1.0
	v_mul_f64 v[22:23], v[22:23], v[24:25]
	v_floor_f64_e32 v[24:25], v[22:23]
	v_add_f64 v[22:23], v[62:63], -v[24:25]
	v_add_f64 v[84:85], v[22:23], 1.0
	v_add_f64 v[34:35], v[24:25], 1.0
	;; [unrolled: 1-line block ×3, first 2 shown]
	v_mul_f64 v[40:41], v[76:77], v[84:85]
	v_div_scale_f64 v[42:43], s[0:1], v[40:41], v[40:41], v[34:35]
	v_rcp_f64_e32 v[86:87], v[42:43]
	v_cmp_gt_f64_e64 s[0:1], s[8:9], v[24:25]
	v_fma_f64 v[88:89], -v[42:43], v[86:87], 1.0
	v_fmac_f64_e32 v[86:87], v[86:87], v[88:89]
	v_fma_f64 v[88:89], -v[42:43], v[86:87], 1.0
	v_fmac_f64_e32 v[86:87], v[86:87], v[88:89]
	v_div_scale_f64 v[88:89], vcc, v[34:35], v[40:41], v[34:35]
	v_mul_f64 v[90:91], v[88:89], v[86:87]
	v_fma_f64 v[42:43], -v[42:43], v[90:91], v[88:89]
	s_nop 1
	v_div_fmas_f64 v[42:43], v[42:43], v[86:87], v[90:91]
	v_div_fixup_f64 v[40:41], v[42:43], v[40:41], v[34:35]
	v_frexp_mant_f64_e32 v[42:43], v[40:41]
	v_cmp_gt_f64_e32 vcc, s[28:29], v[42:43]
	v_cndmask_b32_e64 v61, v29, 2.0, vcc
	v_mul_f64 v[42:43], v[42:43], v[60:61]
	v_add_f64 v[88:89], v[42:43], 1.0
	v_add_f64 v[90:91], v[88:89], -1.0
	v_add_f64 v[86:87], v[42:43], -1.0
	v_add_f64 v[42:43], v[42:43], -v[90:91]
	v_rcp_f64_e32 v[90:91], v[88:89]
	v_frexp_exp_i32_f64_e32 v44, v[40:41]
	v_subbrev_co_u32_e32 v44, vcc, 0, v44, vcc
	v_fma_f64 v[92:93], -v[88:89], v[90:91], 1.0
	v_fmac_f64_e32 v[90:91], v[92:93], v[90:91]
	v_fma_f64 v[92:93], -v[88:89], v[90:91], 1.0
	v_fmac_f64_e32 v[90:91], v[92:93], v[90:91]
	v_mul_f64 v[92:93], v[86:87], v[90:91]
	v_mul_f64 v[94:95], v[88:89], v[92:93]
	v_fma_f64 v[88:89], v[92:93], v[88:89], -v[94:95]
	v_fmac_f64_e32 v[88:89], v[92:93], v[42:43]
	v_add_f64 v[42:43], v[94:95], v[88:89]
	v_add_f64 v[96:97], v[86:87], -v[42:43]
	v_add_f64 v[94:95], v[42:43], -v[94:95]
	;; [unrolled: 1-line block ×5, first 2 shown]
	v_add_f64 v[42:43], v[86:87], v[42:43]
	v_add_f64 v[42:43], v[96:97], v[42:43]
	v_mul_f64 v[42:43], v[90:91], v[42:43]
	v_add_f64 v[86:87], v[92:93], v[42:43]
	v_add_f64 v[88:89], v[86:87], -v[92:93]
	v_add_f64 v[42:43], v[42:43], -v[88:89]
	v_mul_f64 v[88:89], v[86:87], v[86:87]
	v_pk_mov_b32 v[90:91], v[26:27], v[26:27] op_sel:[0,1]
	v_fmac_f64_e32 v[90:91], s[34:35], v[88:89]
	v_pk_mov_b32 v[92:93], v[30:31], v[30:31] op_sel:[0,1]
	v_fmac_f64_e32 v[92:93], v[88:89], v[90:91]
	;; [unrolled: 2-line block ×6, first 2 shown]
	v_ldexp_f64 v[90:91], v[86:87], 1
	v_mul_f64 v[86:87], v[86:87], v[88:89]
	v_mul_f64 v[86:87], v[86:87], v[92:93]
	v_add_f64 v[88:89], v[90:91], v[86:87]
	v_add_f64 v[90:91], v[88:89], -v[90:91]
	v_ldexp_f64 v[42:43], v[42:43], 1
	v_add_f64 v[86:87], v[86:87], -v[90:91]
	v_add_f64 v[42:43], v[42:43], v[86:87]
	v_add_f64 v[86:87], v[88:89], v[42:43]
	v_add_f64 v[88:89], v[86:87], -v[88:89]
	v_add_f64 v[42:43], v[42:43], -v[88:89]
	v_cvt_f64_i32_e32 v[88:89], v44
	v_mul_f64 v[90:91], v[88:89], s[46:47]
	v_fma_f64 v[92:93], v[88:89], s[46:47], -v[90:91]
	v_fmac_f64_e32 v[92:93], s[48:49], v[88:89]
	v_add_f64 v[88:89], v[90:91], v[92:93]
	v_add_f64 v[90:91], v[88:89], -v[90:91]
	v_add_f64 v[90:91], v[92:93], -v[90:91]
	v_add_f64 v[92:93], v[88:89], v[86:87]
	v_add_f64 v[94:95], v[92:93], -v[88:89]
	v_add_f64 v[96:97], v[92:93], -v[94:95]
	;; [unrolled: 1-line block ×4, first 2 shown]
	v_add_f64 v[86:87], v[86:87], v[88:89]
	v_add_f64 v[88:89], v[90:91], v[42:43]
	v_add_f64 v[94:95], v[88:89], -v[90:91]
	v_add_f64 v[96:97], v[88:89], -v[94:95]
	v_add_f64 v[86:87], v[88:89], v[86:87]
	v_add_f64 v[90:91], v[90:91], -v[96:97]
	v_add_f64 v[42:43], v[42:43], -v[94:95]
	v_add_f64 v[88:89], v[92:93], v[86:87]
	v_add_f64 v[42:43], v[42:43], v[90:91]
	v_add_f64 v[90:91], v[88:89], -v[92:93]
	v_add_f64 v[86:87], v[86:87], -v[90:91]
	v_add_f64 v[42:43], v[42:43], v[86:87]
	v_add_f64 v[42:43], v[88:89], v[42:43]
	v_cmp_class_f64_e64 vcc, v[40:41], s80
	v_cndmask_b32_e32 v42, v42, v40, vcc
	v_cndmask_b32_e32 v43, v43, v41, vcc
	v_cmp_ngt_f64_e32 vcc, 0, v[40:41]
	v_cndmask_b32_e32 v43, v32, v43, vcc
	v_cmp_nge_f64_e32 vcc, 0, v[40:41]
	v_cndmask_b32_e32 v42, 0, v42, vcc
	v_cmp_neq_f64_e32 vcc, 0, v[40:41]
	v_cndmask_b32_e32 v43, v39, v43, vcc
	v_mul_f64 v[36:37], v[36:37], v[42:43]
	buffer_store_dword v36, off, s[88:91], 0 offset:16 ; 4-byte Folded Spill
	s_nop 0
	buffer_store_dword v37, off, s[88:91], 0 offset:20 ; 4-byte Folded Spill
	v_mul_f64 v[36:37], v[34:35], v[34:35]
	v_div_scale_f64 v[40:41], s[2:3], v[36:37], v[36:37], s[50:51]
	v_rcp_f64_e32 v[42:43], v[40:41]
	v_mov_b32_e32 v44, s5
	v_fma_f64 v[88:89], -v[40:41], v[42:43], 1.0
	v_fmac_f64_e32 v[42:43], v[42:43], v[88:89]
	v_fma_f64 v[88:89], -v[40:41], v[42:43], 1.0
	v_fmac_f64_e32 v[42:43], v[42:43], v[88:89]
	v_div_scale_f64 v[88:89], vcc, s[50:51], v[36:37], s[50:51]
	v_mul_f64 v[90:91], v[88:89], v[42:43]
	v_fma_f64 v[40:41], -v[40:41], v[90:91], v[88:89]
	s_nop 1
	v_div_fmas_f64 v[40:41], v[40:41], v[42:43], v[90:91]
	v_div_fixup_f64 v[40:41], v[40:41], v[36:37], s[50:51]
	v_add_f64 v[40:41], -v[40:41], s[54:55]
	v_div_scale_f64 v[42:43], s[2:3], v[36:37], v[36:37], v[40:41]
	v_rcp_f64_e32 v[88:89], v[42:43]
	v_fma_f64 v[90:91], -v[42:43], v[88:89], 1.0
	v_fmac_f64_e32 v[88:89], v[88:89], v[90:91]
	v_fma_f64 v[90:91], -v[42:43], v[88:89], 1.0
	v_fmac_f64_e32 v[88:89], v[88:89], v[90:91]
	v_div_scale_f64 v[90:91], vcc, v[40:41], v[36:37], v[40:41]
	v_mul_f64 v[92:93], v[90:91], v[88:89]
	v_fma_f64 v[42:43], -v[42:43], v[92:93], v[90:91]
	s_nop 1
	v_div_fmas_f64 v[42:43], v[42:43], v[88:89], v[92:93]
	v_div_fixup_f64 v[36:37], v[42:43], v[36:37], v[40:41]
	v_add_f64 v[36:37], -v[36:37], s[56:57]
	v_div_scale_f64 v[40:41], s[2:3], v[34:35], v[34:35], v[36:37]
	v_rcp_f64_e32 v[42:43], v[40:41]
	v_cmp_gt_f64_e64 s[2:3], s[8:9], v[22:23]
	v_trunc_f64_e32 v[22:23], v[22:23]
	v_fma_f64 v[88:89], -v[40:41], v[42:43], 1.0
	v_fmac_f64_e32 v[42:43], v[42:43], v[88:89]
	v_fma_f64 v[88:89], -v[40:41], v[42:43], 1.0
	v_fmac_f64_e32 v[42:43], v[42:43], v[88:89]
	v_div_scale_f64 v[88:89], vcc, v[36:37], v[34:35], v[36:37]
	v_mul_f64 v[90:91], v[88:89], v[42:43]
	v_fma_f64 v[40:41], -v[40:41], v[90:91], v[88:89]
	s_nop 1
	v_div_fmas_f64 v[40:41], v[40:41], v[42:43], v[90:91]
	v_div_fixup_f64 v[34:35], v[40:41], v[34:35], v[36:37]
	buffer_store_dword v34, off, s[88:91], 0 offset:24 ; 4-byte Folded Spill
	s_nop 0
	buffer_store_dword v35, off, s[88:91], 0 offset:28 ; 4-byte Folded Spill
	v_ldexp_f64 v[34:35], v[24:25], s81
	v_floor_f64_e32 v[34:35], v[34:35]
	v_fmac_f64_e32 v[24:25], 0xc1f00000, v[34:35]
	v_cvt_u32_f64_e32 v24, v[24:25]
	v_cvt_u32_f64_e32 v25, v[34:35]
	v_lshlrev_b64 v[24:25], 3, v[24:25]
	v_add_co_u32_e32 v92, vcc, s4, v24
	v_addc_co_u32_e32 v93, vcc, v25, v44, vcc
	v_mul_f64 v[24:25], v[84:85], v[84:85]
	v_div_scale_f64 v[34:35], s[70:71], v[24:25], v[24:25], s[50:51]
	v_rcp_f64_e32 v[36:37], v[34:35]
	v_fma_f64 v[40:41], -v[34:35], v[36:37], 1.0
	v_fmac_f64_e32 v[36:37], v[36:37], v[40:41]
	v_fma_f64 v[40:41], -v[34:35], v[36:37], 1.0
	v_fmac_f64_e32 v[36:37], v[36:37], v[40:41]
	v_div_scale_f64 v[40:41], vcc, s[50:51], v[24:25], s[50:51]
	v_mul_f64 v[42:43], v[40:41], v[36:37]
	v_fma_f64 v[34:35], -v[34:35], v[42:43], v[40:41]
	s_nop 1
	v_div_fmas_f64 v[34:35], v[34:35], v[36:37], v[42:43]
	v_div_fixup_f64 v[34:35], v[34:35], v[24:25], s[50:51]
	v_add_f64 v[34:35], -v[34:35], s[54:55]
	v_div_scale_f64 v[36:37], s[70:71], v[24:25], v[24:25], v[34:35]
	v_rcp_f64_e32 v[40:41], v[36:37]
	v_fma_f64 v[42:43], -v[36:37], v[40:41], 1.0
	v_fmac_f64_e32 v[40:41], v[40:41], v[42:43]
	v_fma_f64 v[42:43], -v[36:37], v[40:41], 1.0
	v_fmac_f64_e32 v[40:41], v[40:41], v[42:43]
	v_div_scale_f64 v[42:43], vcc, v[34:35], v[24:25], v[34:35]
	v_mul_f64 v[88:89], v[42:43], v[40:41]
	v_fma_f64 v[36:37], -v[36:37], v[88:89], v[42:43]
	s_nop 1
	v_div_fmas_f64 v[36:37], v[36:37], v[40:41], v[88:89]
	v_div_fixup_f64 v[24:25], v[36:37], v[24:25], v[34:35]
	v_add_f64 v[24:25], -v[24:25], s[56:57]
	v_div_scale_f64 v[34:35], s[70:71], v[84:85], v[84:85], v[24:25]
	v_rcp_f64_e32 v[36:37], v[34:35]
	s_mov_b64 s[70:71], 0
	v_fma_f64 v[40:41], -v[34:35], v[36:37], 1.0
	v_fmac_f64_e32 v[36:37], v[36:37], v[40:41]
	v_fma_f64 v[40:41], -v[34:35], v[36:37], 1.0
	v_fmac_f64_e32 v[36:37], v[36:37], v[40:41]
	v_div_scale_f64 v[40:41], vcc, v[24:25], v[84:85], v[24:25]
	v_mul_f64 v[42:43], v[40:41], v[36:37]
	v_fma_f64 v[34:35], -v[34:35], v[42:43], v[40:41]
	s_nop 1
	v_div_fmas_f64 v[34:35], v[34:35], v[36:37], v[42:43]
	v_div_fixup_f64 v[94:95], v[34:35], v[84:85], v[24:25]
	v_ldexp_f64 v[24:25], v[22:23], s81
	v_floor_f64_e32 v[24:25], v[24:25]
	v_fmac_f64_e32 v[22:23], 0xc1f00000, v[24:25]
	v_cvt_u32_f64_e32 v22, v[22:23]
	v_cvt_u32_f64_e32 v23, v[24:25]
	v_lshlrev_b64 v[22:23], 3, v[22:23]
	v_add_co_u32_e32 v96, vcc, s4, v22
	v_pk_mov_b32 v[36:37], v[14:15], v[14:15] op_sel:[0,1]
	v_addc_co_u32_e32 v97, vcc, v23, v44, vcc
	v_pk_mov_b32 v[34:35], v[12:13], v[12:13] op_sel:[0,1]
	s_branch .LBB101_21
.LBB101_19:                             ;   in Loop: Header=BB101_21 Depth=2
	s_or_b64 exec, exec, s[72:73]
	v_div_scale_f64 v[78:79], s[72:73], v[106:107], v[106:107], v[84:85]
	v_rcp_f64_e32 v[104:105], v[78:79]
	v_div_scale_f64 v[108:109], vcc, v[84:85], v[106:107], v[84:85]
	s_mov_b32 s45, s29
	v_fma_f64 v[110:111], -v[78:79], v[104:105], 1.0
	v_fmac_f64_e32 v[104:105], v[104:105], v[110:111]
	v_fma_f64 v[110:111], -v[78:79], v[104:105], 1.0
	v_fmac_f64_e32 v[104:105], v[104:105], v[110:111]
	v_mul_f64 v[110:111], v[108:109], v[104:105]
	v_fma_f64 v[78:79], -v[78:79], v[110:111], v[108:109]
	v_div_fmas_f64 v[78:79], v[78:79], v[104:105], v[110:111]
	v_div_fixup_f64 v[78:79], v[78:79], v[106:107], v[84:85]
	v_frexp_mant_f64_e32 v[104:105], v[78:79]
	v_cmp_gt_f64_e32 vcc, s[28:29], v[104:105]
	v_cndmask_b32_e64 v61, v29, 2.0, vcc
	v_mul_f64 v[104:105], v[104:105], v[60:61]
	v_add_f64 v[108:109], v[104:105], 1.0
	v_rcp_f64_e32 v[110:111], v[108:109]
	v_frexp_exp_i32_f64_e32 v76, v[78:79]
	v_subbrev_co_u32_e32 v61, vcc, 0, v76, vcc
	v_add_f64 v[76:77], v[108:109], -1.0
	v_add_f64 v[112:113], v[104:105], -1.0
	v_add_f64 v[76:77], v[104:105], -v[76:77]
	v_fma_f64 v[104:105], -v[108:109], v[110:111], 1.0
	v_fmac_f64_e32 v[110:111], v[104:105], v[110:111]
	v_fma_f64 v[104:105], -v[108:109], v[110:111], 1.0
	v_fmac_f64_e32 v[110:111], v[104:105], v[110:111]
	v_mul_f64 v[104:105], v[112:113], v[110:111]
	v_mul_f64 v[80:81], v[108:109], v[104:105]
	v_fma_f64 v[108:109], v[104:105], v[108:109], -v[80:81]
	v_fmac_f64_e32 v[108:109], v[104:105], v[76:77]
	v_add_f64 v[76:77], v[80:81], v[108:109]
	v_add_f64 v[86:87], v[112:113], -v[76:77]
	v_add_f64 v[80:81], v[76:77], -v[80:81]
	;; [unrolled: 1-line block ×5, first 2 shown]
	v_add_f64 v[76:77], v[80:81], v[76:77]
	v_add_f64 v[76:77], v[86:87], v[76:77]
	v_mul_f64 v[76:77], v[110:111], v[76:77]
	v_add_f64 v[80:81], v[104:105], v[76:77]
	v_add_f64 v[86:87], v[80:81], -v[104:105]
	v_add_f64 v[76:77], v[76:77], -v[86:87]
	v_mul_f64 v[86:87], v[80:81], v[80:81]
	v_pk_mov_b32 v[104:105], s[30:31], s[30:31] op_sel:[0,1]
	v_fma_f64 v[108:109], s[34:35], v[86:87], v[104:105]
	v_fma_f64 v[108:109], v[86:87], v[108:109], s[36:37]
	v_fma_f64 v[108:109], v[86:87], v[108:109], s[38:39]
	v_fma_f64 v[108:109], v[86:87], v[108:109], s[40:41]
	v_fma_f64 v[108:109], v[86:87], v[108:109], s[42:43]
	v_fma_f64 v[108:109], v[86:87], v[108:109], s[44:45]
	v_ldexp_f64 v[110:111], v[80:81], 1
	v_mul_f64 v[80:81], v[80:81], v[86:87]
	v_mul_f64 v[80:81], v[80:81], v[108:109]
	v_add_f64 v[86:87], v[110:111], v[80:81]
	v_add_f64 v[108:109], v[86:87], -v[110:111]
	v_ldexp_f64 v[76:77], v[76:77], 1
	v_add_f64 v[80:81], v[80:81], -v[108:109]
	v_add_f64 v[76:77], v[76:77], v[80:81]
	v_add_f64 v[80:81], v[86:87], v[76:77]
	v_add_f64 v[86:87], v[80:81], -v[86:87]
	v_add_f64 v[76:77], v[76:77], -v[86:87]
	v_cvt_f64_i32_e32 v[86:87], v61
	v_mul_f64 v[108:109], v[86:87], s[46:47]
	v_fma_f64 v[110:111], v[86:87], s[46:47], -v[108:109]
	v_fmac_f64_e32 v[110:111], s[48:49], v[86:87]
	v_add_f64 v[86:87], v[108:109], v[110:111]
	v_add_f64 v[108:109], v[86:87], -v[108:109]
	v_add_f64 v[108:109], v[110:111], -v[108:109]
	v_add_f64 v[110:111], v[86:87], v[80:81]
	v_add_f64 v[112:113], v[110:111], -v[86:87]
	v_add_f64 v[90:91], v[110:111], -v[112:113]
	;; [unrolled: 1-line block ×4, first 2 shown]
	v_add_f64 v[80:81], v[80:81], v[86:87]
	v_add_f64 v[86:87], v[108:109], v[76:77]
	v_add_f64 v[90:91], v[86:87], -v[108:109]
	v_add_f64 v[80:81], v[86:87], v[80:81]
	v_add_f64 v[112:113], v[86:87], -v[90:91]
	;; [unrolled: 2-line block ×3, first 2 shown]
	v_add_f64 v[76:77], v[76:77], -v[90:91]
	v_add_f64 v[90:91], v[86:87], -v[110:111]
	v_add_f64 v[76:77], v[76:77], v[108:109]
	v_add_f64 v[80:81], v[80:81], -v[90:91]
	v_add_f64 v[76:77], v[76:77], v[80:81]
	buffer_load_dword v80, off, s[88:91], 0 ; 4-byte Folded Reload
	buffer_load_dword v81, off, s[88:91], 0 offset:4 ; 4-byte Folded Reload
	v_add_f64 v[76:77], v[86:87], v[76:77]
	v_cmp_class_f64_e64 vcc, v[78:79], s80
	v_cndmask_b32_e32 v61, v76, v78, vcc
	v_cndmask_b32_e32 v76, v77, v79, vcc
	v_cmp_ngt_f64_e32 vcc, 0, v[78:79]
	v_cndmask_b32_e32 v77, v32, v76, vcc
	v_cmp_nge_f64_e32 vcc, 0, v[78:79]
	v_cndmask_b32_e32 v76, 0, v61, vcc
	v_cmp_neq_f64_e32 vcc, 0, v[78:79]
	v_cndmask_b32_e32 v77, v39, v77, vcc
	v_add_f64 v[78:79], v[62:63], 1.0
	s_waitcnt vmcnt(0)
	v_mul_f64 v[80:81], v[80:81], v[106:107]
	buffer_load_dword v106, off, s[88:91], 0 offset:16 ; 4-byte Folded Reload
	buffer_load_dword v107, off, s[88:91], 0 offset:20 ; 4-byte Folded Reload
	v_div_scale_f64 v[86:87], s[72:73], v[102:103], v[102:103], v[80:81]
	v_rcp_f64_e32 v[90:91], v[86:87]
	s_waitcnt vmcnt(0)
	v_fma_f64 v[106:107], v[78:79], v[76:77], v[106:107]
	v_fma_f64 v[78:79], -v[86:87], v[90:91], 1.0
	v_fmac_f64_e32 v[90:91], v[90:91], v[78:79]
	v_fma_f64 v[78:79], -v[86:87], v[90:91], 1.0
	v_fmac_f64_e32 v[90:91], v[90:91], v[78:79]
	v_div_scale_f64 v[78:79], vcc, v[80:81], v[102:103], v[80:81]
	v_mul_f64 v[108:109], v[78:79], v[90:91]
	v_fma_f64 v[78:79], -v[86:87], v[108:109], v[78:79]
	v_add_f64 v[76:77], v[88:89], 0.5
	s_nop 0
	v_div_fmas_f64 v[78:79], v[78:79], v[90:91], v[108:109]
	v_div_fixup_f64 v[78:79], v[78:79], v[102:103], v[80:81]
	v_frexp_mant_f64_e32 v[80:81], v[78:79]
	v_cmp_gt_f64_e32 vcc, s[28:29], v[80:81]
	v_cndmask_b32_e64 v61, v29, 2.0, vcc
	v_frexp_exp_i32_f64_e32 v86, v[78:79]
	v_mul_f64 v[80:81], v[80:81], v[60:61]
	v_subbrev_co_u32_e32 v61, vcc, 0, v86, vcc
	v_add_f64 v[86:87], v[80:81], 1.0
	v_rcp_f64_e32 v[90:91], v[86:87]
	v_add_f64 v[108:109], v[86:87], -1.0
	v_add_f64 v[102:103], v[80:81], -1.0
	v_add_f64 v[80:81], v[80:81], -v[108:109]
	v_fma_f64 v[108:109], -v[86:87], v[90:91], 1.0
	v_fmac_f64_e32 v[90:91], v[108:109], v[90:91]
	v_fma_f64 v[108:109], -v[86:87], v[90:91], 1.0
	v_fmac_f64_e32 v[90:91], v[108:109], v[90:91]
	v_mul_f64 v[108:109], v[102:103], v[90:91]
	v_mul_f64 v[110:111], v[86:87], v[108:109]
	v_fma_f64 v[86:87], v[108:109], v[86:87], -v[110:111]
	v_fmac_f64_e32 v[86:87], v[108:109], v[80:81]
	v_add_f64 v[80:81], v[110:111], v[86:87]
	v_add_f64 v[112:113], v[102:103], -v[80:81]
	v_add_f64 v[110:111], v[80:81], -v[110:111]
	;; [unrolled: 1-line block ×5, first 2 shown]
	v_add_f64 v[80:81], v[86:87], v[80:81]
	v_add_f64 v[80:81], v[112:113], v[80:81]
	v_mul_f64 v[80:81], v[90:91], v[80:81]
	v_add_f64 v[86:87], v[108:109], v[80:81]
	v_add_f64 v[90:91], v[86:87], -v[108:109]
	v_add_f64 v[80:81], v[80:81], -v[90:91]
	v_mul_f64 v[90:91], v[86:87], v[86:87]
	v_fma_f64 v[102:103], s[34:35], v[90:91], v[104:105]
	v_fma_f64 v[102:103], v[90:91], v[102:103], s[36:37]
	;; [unrolled: 1-line block ×6, first 2 shown]
	v_ldexp_f64 v[108:109], v[86:87], 1
	v_mul_f64 v[86:87], v[86:87], v[90:91]
	v_mul_f64 v[86:87], v[86:87], v[102:103]
	v_add_f64 v[90:91], v[108:109], v[86:87]
	v_add_f64 v[102:103], v[90:91], -v[108:109]
	v_ldexp_f64 v[80:81], v[80:81], 1
	v_add_f64 v[86:87], v[86:87], -v[102:103]
	v_add_f64 v[80:81], v[80:81], v[86:87]
	v_add_f64 v[86:87], v[90:91], v[80:81]
	v_add_f64 v[90:91], v[86:87], -v[90:91]
	v_add_f64 v[80:81], v[80:81], -v[90:91]
	v_cvt_f64_i32_e32 v[90:91], v61
	v_mul_f64 v[102:103], v[90:91], s[46:47]
	v_fma_f64 v[108:109], v[90:91], s[46:47], -v[102:103]
	v_fmac_f64_e32 v[108:109], s[48:49], v[90:91]
	v_add_f64 v[90:91], v[102:103], v[108:109]
	v_add_f64 v[102:103], v[90:91], -v[102:103]
	v_add_f64 v[102:103], v[108:109], -v[102:103]
	v_add_f64 v[108:109], v[90:91], v[86:87]
	v_add_f64 v[110:111], v[108:109], -v[90:91]
	v_add_f64 v[112:113], v[108:109], -v[110:111]
	;; [unrolled: 1-line block ×4, first 2 shown]
	v_add_f64 v[86:87], v[86:87], v[90:91]
	v_add_f64 v[90:91], v[102:103], v[80:81]
	v_add_f64 v[110:111], v[90:91], -v[102:103]
	v_add_f64 v[112:113], v[90:91], -v[110:111]
	v_add_f64 v[86:87], v[90:91], v[86:87]
	v_add_f64 v[102:103], v[102:103], -v[112:113]
	v_add_f64 v[80:81], v[80:81], -v[110:111]
	v_add_f64 v[90:91], v[108:109], v[86:87]
	v_add_f64 v[80:81], v[80:81], v[102:103]
	v_add_f64 v[102:103], v[90:91], -v[108:109]
	v_add_f64 v[86:87], v[86:87], -v[102:103]
	v_add_f64 v[80:81], v[80:81], v[86:87]
	v_add_f64 v[80:81], v[90:91], v[80:81]
	v_cmp_class_f64_e64 vcc, v[78:79], s80
	v_cndmask_b32_e32 v61, v80, v78, vcc
	v_cndmask_b32_e32 v80, v81, v79, vcc
	v_cmp_ngt_f64_e32 vcc, 0, v[78:79]
	v_cndmask_b32_e32 v81, v32, v80, vcc
	v_cmp_nge_f64_e32 vcc, 0, v[78:79]
	v_cndmask_b32_e32 v80, 0, v61, vcc
	v_cmp_neq_f64_e32 vcc, 0, v[78:79]
	v_cndmask_b32_e32 v81, v39, v81, vcc
	v_fmac_f64_e32 v[106:107], v[76:77], v[80:81]
	buffer_load_dword v76, off, s[88:91], 0 offset:8 ; 4-byte Folded Reload
	buffer_load_dword v77, off, s[88:91], 0 offset:12 ; 4-byte Folded Reload
	v_mul_f64 v[86:87], v[98:99], v[98:99]
	v_div_scale_f64 v[90:91], s[72:73], v[86:87], v[86:87], v[70:71]
	v_rcp_f64_e32 v[98:99], v[90:91]
	v_add_f64 v[36:37], v[106:107], v[36:37]
	v_add_f64 v[36:37], v[36:37], v[40:41]
	v_add_f64 v[36:37], v[36:37], -v[100:101]
	s_waitcnt vmcnt(0)
	v_mul_f64 v[34:35], v[76:77], v[34:35]
	v_fma_f64 v[76:77], -v[90:91], v[98:99], 1.0
	v_fmac_f64_e32 v[98:99], v[98:99], v[76:77]
	v_fma_f64 v[76:77], -v[90:91], v[98:99], 1.0
	v_fmac_f64_e32 v[98:99], v[98:99], v[76:77]
	v_div_scale_f64 v[76:77], vcc, v[70:71], v[86:87], v[70:71]
	v_mul_f64 v[78:79], v[76:77], v[98:99]
	v_fma_f64 v[76:77], -v[90:91], v[78:79], v[76:77]
	s_nop 1
	v_div_fmas_f64 v[76:77], v[76:77], v[98:99], v[78:79]
	v_div_fixup_f64 v[76:77], v[76:77], v[86:87], v[70:71]
	v_add_f64 v[76:77], v[66:67], v[76:77]
	v_div_scale_f64 v[78:79], s[72:73], v[76:77], v[76:77], v[34:35]
	v_rcp_f64_e32 v[80:81], v[78:79]
	v_fma_f64 v[40:41], -v[78:79], v[80:81], 1.0
	v_fmac_f64_e32 v[80:81], v[80:81], v[40:41]
	v_fma_f64 v[40:41], -v[78:79], v[80:81], 1.0
	v_fmac_f64_e32 v[80:81], v[80:81], v[40:41]
	v_div_scale_f64 v[40:41], vcc, v[34:35], v[76:77], v[34:35]
	v_mul_f64 v[86:87], v[40:41], v[80:81]
	v_fma_f64 v[40:41], -v[78:79], v[86:87], v[40:41]
	s_nop 1
	v_div_fmas_f64 v[40:41], v[40:41], v[80:81], v[86:87]
	v_div_fixup_f64 v[34:35], v[40:41], v[76:77], v[34:35]
	v_frexp_mant_f64_e32 v[40:41], v[34:35]
	v_cmp_gt_f64_e32 vcc, s[28:29], v[40:41]
	v_cndmask_b32_e64 v61, v29, 2.0, vcc
	v_frexp_exp_i32_f64_e32 v76, v[34:35]
	v_mul_f64 v[40:41], v[40:41], v[60:61]
	v_subbrev_co_u32_e32 v61, vcc, 0, v76, vcc
	v_add_f64 v[76:77], v[40:41], 1.0
	v_rcp_f64_e32 v[78:79], v[76:77]
	v_add_f64 v[86:87], v[76:77], -1.0
	v_add_f64 v[80:81], v[40:41], -1.0
	v_add_f64 v[40:41], v[40:41], -v[86:87]
	v_fma_f64 v[86:87], -v[76:77], v[78:79], 1.0
	v_fmac_f64_e32 v[78:79], v[86:87], v[78:79]
	v_fma_f64 v[86:87], -v[76:77], v[78:79], 1.0
	v_fmac_f64_e32 v[78:79], v[86:87], v[78:79]
	v_mul_f64 v[86:87], v[80:81], v[78:79]
	v_mul_f64 v[90:91], v[76:77], v[86:87]
	v_fma_f64 v[76:77], v[86:87], v[76:77], -v[90:91]
	v_fmac_f64_e32 v[76:77], v[86:87], v[40:41]
	v_add_f64 v[40:41], v[90:91], v[76:77]
	v_add_f64 v[98:99], v[80:81], -v[40:41]
	v_add_f64 v[90:91], v[40:41], -v[90:91]
	;; [unrolled: 1-line block ×5, first 2 shown]
	v_add_f64 v[40:41], v[76:77], v[40:41]
	v_add_f64 v[40:41], v[98:99], v[40:41]
	v_mul_f64 v[40:41], v[78:79], v[40:41]
	v_add_f64 v[76:77], v[86:87], v[40:41]
	v_add_f64 v[78:79], v[76:77], -v[86:87]
	v_add_f64 v[40:41], v[40:41], -v[78:79]
	v_mul_f64 v[78:79], v[76:77], v[76:77]
	v_fmac_f64_e32 v[104:105], s[34:35], v[78:79]
	v_fma_f64 v[80:81], v[78:79], v[104:105], s[36:37]
	v_fma_f64 v[80:81], v[78:79], v[80:81], s[38:39]
	;; [unrolled: 1-line block ×5, first 2 shown]
	v_ldexp_f64 v[86:87], v[76:77], 1
	v_mul_f64 v[76:77], v[76:77], v[78:79]
	v_mul_f64 v[76:77], v[76:77], v[80:81]
	v_add_f64 v[78:79], v[86:87], v[76:77]
	v_add_f64 v[80:81], v[78:79], -v[86:87]
	v_ldexp_f64 v[40:41], v[40:41], 1
	v_add_f64 v[76:77], v[76:77], -v[80:81]
	v_add_f64 v[40:41], v[40:41], v[76:77]
	v_add_f64 v[76:77], v[78:79], v[40:41]
	v_add_f64 v[78:79], v[76:77], -v[78:79]
	v_add_f64 v[40:41], v[40:41], -v[78:79]
	v_cvt_f64_i32_e32 v[78:79], v61
	v_mul_f64 v[80:81], v[78:79], s[46:47]
	v_fma_f64 v[86:87], v[78:79], s[46:47], -v[80:81]
	v_fmac_f64_e32 v[86:87], s[48:49], v[78:79]
	v_add_f64 v[78:79], v[80:81], v[86:87]
	v_add_f64 v[80:81], v[78:79], -v[80:81]
	v_add_f64 v[80:81], v[86:87], -v[80:81]
	v_add_f64 v[86:87], v[78:79], v[76:77]
	v_add_f64 v[90:91], v[86:87], -v[78:79]
	v_add_f64 v[98:99], v[86:87], -v[90:91]
	v_add_f64 v[78:79], v[78:79], -v[98:99]
	v_add_f64 v[76:77], v[76:77], -v[90:91]
	v_add_f64 v[76:77], v[76:77], v[78:79]
	v_add_f64 v[78:79], v[80:81], v[40:41]
	v_add_f64 v[90:91], v[78:79], -v[80:81]
	v_add_f64 v[98:99], v[78:79], -v[90:91]
	v_add_f64 v[76:77], v[78:79], v[76:77]
	v_add_f64 v[80:81], v[80:81], -v[98:99]
	v_add_f64 v[40:41], v[40:41], -v[90:91]
	v_add_f64 v[78:79], v[86:87], v[76:77]
	v_add_f64 v[40:41], v[40:41], v[80:81]
	v_add_f64 v[80:81], v[78:79], -v[86:87]
	v_add_f64 v[76:77], v[76:77], -v[80:81]
	v_add_f64 v[40:41], v[40:41], v[76:77]
	v_add_f64 v[40:41], v[78:79], v[40:41]
	v_cmp_class_f64_e64 vcc, v[34:35], s80
	v_cndmask_b32_e32 v40, v40, v34, vcc
	v_cndmask_b32_e32 v41, v41, v35, vcc
	v_cmp_ngt_f64_e32 vcc, 0, v[34:35]
	v_cndmask_b32_e32 v41, v32, v41, vcc
	v_cmp_nge_f64_e32 vcc, 0, v[34:35]
	v_cndmask_b32_e32 v40, 0, v40, vcc
	v_cmp_neq_f64_e32 vcc, 0, v[34:35]
	v_cndmask_b32_e32 v41, v39, v41, vcc
	v_add_f64 v[34:35], v[36:37], -v[42:43]
	v_cmp_le_f64_e32 vcc, v[40:41], v[34:35]
	s_orn2_b64 s[72:73], vcc, exec
.LBB101_20:                             ;   in Loop: Header=BB101_21 Depth=2
	s_or_b64 exec, exec, s[4:5]
	s_and_b64 s[4:5], exec, s[72:73]
	v_pk_mov_b32 v[36:37], v[24:25], v[24:25] op_sel:[0,1]
	s_or_b64 s[70:71], s[4:5], s[70:71]
	s_mov_b64 s[72:73], 0
	v_mov_b32_e32 v100, v44
	v_pk_mov_b32 v[34:35], v[22:23], v[22:23] op_sel:[0,1]
	s_andn2_b64 exec, exec, s[70:71]
	s_cbranch_execz .LBB101_39
.LBB101_21:                             ;   Parent Loop BB101_14 Depth=1
                                        ; =>  This Inner Loop Header: Depth=2
	v_add_u32_e32 v61, 1, v100
	v_pk_mov_b32 v[42:43], v[36:37], v[36:37] op_sel:[0,1]
	v_cmp_eq_u32_e32 vcc, 4, v61
	v_pk_mov_b32 v[40:41], v[34:35], v[34:35] op_sel:[0,1]
	s_and_saveexec_b64 s[4:5], vcc
	s_cbranch_execz .LBB101_23
; %bb.22:                               ;   in Loop: Header=BB101_21 Depth=2
	v_add_co_u32_e32 v4, vcc, 1, v4
	v_cndmask_b32_e64 v12, 0, 1, vcc
	v_addc_co_u32_e32 v1, vcc, 0, v1, vcc
	v_cmp_eq_u32_e32 vcc, 0, v1
	v_cndmask_b32_e32 v12, 0, v12, vcc
	v_add_u32_e32 v2, v12, v2
	v_cmp_eq_u32_e32 vcc, 0, v2
	v_cndmask_b32_e32 v12, 0, v12, vcc
	v_add_u32_e32 v3, v12, v3
	v_mad_u64_u32 v[12:13], s[74:75], v4, s78, 0
	v_mad_u64_u32 v[14:15], s[74:75], v2, s79, 0
	v_xor_b32_e32 v15, v15, v68
	v_xor_b32_e32 v13, v13, v69
	v_xor_b32_e32 v15, v1, v15
	v_xor_b32_e32 v13, v3, v13
	v_mad_u64_u32 v[22:23], s[74:75], v15, s78, 0
	v_mad_u64_u32 v[24:25], s[74:75], v13, s79, 0
	v_xor_b32_e32 v13, v25, v14
	v_xor_b32_e32 v12, v23, v12
	v_xor_b32_e32 v13, v117, v13
	v_xor_b32_e32 v14, v118, v12
	;; [unrolled: 6-line block ×9, first 2 shown]
	v_mad_u64_u32 v[22:23], s[74:75], v13, s78, 0
	v_mad_u64_u32 v[24:25], s[74:75], v15, s79, 0
	v_xor_b32_e32 v13, v23, v14
	v_xor_b32_e32 v12, v25, v12
	;; [unrolled: 1-line block ×3, first 2 shown]
	v_mov_b32_e32 v15, v22
	v_xor_b32_e32 v12, v115, v12
	v_mov_b32_e32 v13, v24
	v_pk_mov_b32 v[42:43], v[14:15], v[14:15] op_sel:[0,1]
	v_mov_b32_e32 v61, 0
	v_pk_mov_b32 v[40:41], v[12:13], v[12:13] op_sel:[0,1]
.LBB101_23:                             ;   in Loop: Header=BB101_21 Depth=2
	s_or_b64 exec, exec, s[4:5]
	v_add_u32_e32 v44, 1, v61
	v_pk_mov_b32 v[22:23], v[40:41], v[40:41] op_sel:[0,1]
	v_cmp_eq_u32_e32 vcc, 4, v44
	v_pk_mov_b32 v[24:25], v[42:43], v[42:43] op_sel:[0,1]
	s_and_saveexec_b64 s[4:5], vcc
	s_cbranch_execz .LBB101_25
; %bb.24:                               ;   in Loop: Header=BB101_21 Depth=2
	v_add_co_u32_e32 v4, vcc, 1, v4
	v_cndmask_b32_e64 v12, 0, 1, vcc
	v_addc_co_u32_e32 v1, vcc, 0, v1, vcc
	v_cmp_eq_u32_e32 vcc, 0, v1
	v_cndmask_b32_e32 v12, 0, v12, vcc
	v_add_u32_e32 v2, v12, v2
	v_cmp_eq_u32_e32 vcc, 0, v2
	v_cndmask_b32_e32 v12, 0, v12, vcc
	v_add_u32_e32 v3, v12, v3
	v_mad_u64_u32 v[12:13], s[74:75], v4, s78, 0
	v_mad_u64_u32 v[14:15], s[74:75], v2, s79, 0
	v_xor_b32_e32 v15, v15, v68
	v_xor_b32_e32 v13, v13, v69
	v_xor_b32_e32 v15, v1, v15
	v_xor_b32_e32 v13, v3, v13
	v_mad_u64_u32 v[22:23], s[74:75], v15, s78, 0
	v_mad_u64_u32 v[24:25], s[74:75], v13, s79, 0
	v_xor_b32_e32 v13, v25, v14
	v_xor_b32_e32 v12, v23, v12
	v_xor_b32_e32 v13, v117, v13
	v_xor_b32_e32 v14, v118, v12
	;; [unrolled: 6-line block ×9, first 2 shown]
	v_mad_u64_u32 v[22:23], s[74:75], v13, s78, 0
	v_mad_u64_u32 v[24:25], s[74:75], v15, s79, 0
	v_xor_b32_e32 v13, v23, v14
	v_xor_b32_e32 v12, v25, v12
	;; [unrolled: 1-line block ×3, first 2 shown]
	v_mov_b32_e32 v15, v22
	v_xor_b32_e32 v12, v115, v12
	v_mov_b32_e32 v13, v24
	v_pk_mov_b32 v[24:25], v[14:15], v[14:15] op_sel:[0,1]
	v_mov_b32_e32 v44, 0
	v_pk_mov_b32 v[22:23], v[12:13], v[12:13] op_sel:[0,1]
.LBB101_25:                             ;   in Loop: Header=BB101_21 Depth=2
	s_or_b64 exec, exec, s[4:5]
	v_cmp_eq_u32_e32 vcc, 1, v100
	v_cndmask_b32_e32 v34, v34, v35, vcc
	v_cmp_eq_u32_e32 vcc, 2, v100
	v_cndmask_b32_e32 v34, v34, v36, vcc
	;; [unrolled: 2-line block ×3, first 2 shown]
	v_and_b32_e32 v34, 0xffffff, v34
	v_cvt_f32_u32_e32 v34, v34
	v_mul_f32_e32 v34, 0x33800000, v34
	v_cvt_f64_f32_e32 v[34:35], v34
	v_add_f64 v[34:35], v[34:35], -0.5
	v_add_f64 v[98:99], -|v[34:35]|, 0.5
	v_div_scale_f64 v[36:37], s[4:5], v[98:99], v[98:99], v[82:83]
	v_rcp_f64_e32 v[88:89], v[36:37]
	v_div_scale_f64 v[100:101], vcc, v[82:83], v[98:99], v[82:83]
	v_fma_f64 v[102:103], -v[36:37], v[88:89], 1.0
	v_fmac_f64_e32 v[88:89], v[88:89], v[102:103]
	v_fma_f64 v[102:103], -v[36:37], v[88:89], 1.0
	v_fmac_f64_e32 v[88:89], v[88:89], v[102:103]
	v_mul_f64 v[102:103], v[100:101], v[88:89]
	v_fma_f64 v[36:37], -v[36:37], v[102:103], v[100:101]
	v_div_fmas_f64 v[36:37], v[36:37], v[88:89], v[102:103]
	v_div_fixup_f64 v[36:37], v[36:37], v[98:99], v[82:83]
	v_add_f64 v[36:37], v[66:67], v[36:37]
	v_fma_f64 v[34:35], v[34:35], v[36:37], v[72:73]
	v_floor_f64_e32 v[88:89], v[34:35]
	v_cmp_ngt_f64_e32 vcc, 0, v[88:89]
	v_cmp_ngt_f64_e64 s[4:5], v[88:89], v[62:63]
	s_and_b64 s[4:5], vcc, s[4:5]
	s_and_b64 s[4:5], exec, s[4:5]
	v_pk_mov_b32 v[36:37], v[24:25], v[24:25] op_sel:[0,1]
	s_or_b64 s[72:73], s[4:5], s[72:73]
	v_mov_b32_e32 v100, v44
	v_pk_mov_b32 v[34:35], v[22:23], v[22:23] op_sel:[0,1]
	s_andn2_b64 exec, exec, s[72:73]
	s_cbranch_execnz .LBB101_21
; %bb.26:                               ;   in Loop: Header=BB101_21 Depth=2
	s_or_b64 exec, exec, s[72:73]
	v_cmp_eq_u32_e32 vcc, 1, v61
	v_cndmask_b32_e32 v34, v40, v41, vcc
	v_cmp_eq_u32_e32 vcc, 2, v61
	v_cndmask_b32_e32 v34, v34, v42, vcc
	;; [unrolled: 2-line block ×3, first 2 shown]
	v_and_b32_e32 v34, 0xffffff, v34
	v_cvt_f32_u32_e32 v34, v34
	v_cmp_nle_f64_e32 vcc, s[58:59], v[98:99]
	s_mov_b64 s[72:73], -1
	v_mul_f32_e32 v34, 0x33800000, v34
	v_cvt_f64_f32_e32 v[34:35], v34
	v_cmp_nge_f64_e64 s[4:5], v[74:75], v[34:35]
	s_or_b64 s[74:75], vcc, s[4:5]
	s_and_saveexec_b64 s[4:5], s[74:75]
	s_cbranch_execz .LBB101_20
; %bb.27:                               ;   in Loop: Header=BB101_21 Depth=2
	buffer_load_dword v36, off, s[88:91], 0 offset:24 ; 4-byte Folded Reload
	buffer_load_dword v37, off, s[88:91], 0 offset:28 ; 4-byte Folded Reload
	s_and_saveexec_b64 s[72:73], s[0:1]
	s_cbranch_execz .LBB101_29
; %bb.28:                               ;   in Loop: Header=BB101_21 Depth=2
	global_load_dwordx2 v[36:37], v[92:93], off
.LBB101_29:                             ;   in Loop: Header=BB101_21 Depth=2
	s_or_b64 exec, exec, s[72:73]
	v_pk_mov_b32 v[40:41], v[94:95], v[94:95] op_sel:[0,1]
	s_and_saveexec_b64 s[72:73], s[2:3]
	s_cbranch_execz .LBB101_31
; %bb.30:                               ;   in Loop: Header=BB101_21 Depth=2
	global_load_dwordx2 v[40:41], v[96:97], off
.LBB101_31:                             ;   in Loop: Header=BB101_21 Depth=2
	s_or_b64 exec, exec, s[72:73]
	v_add_f64 v[102:103], v[88:89], 1.0
	v_cmp_ngt_f64_e32 vcc, s[8:9], v[88:89]
                                        ; implicit-def: $vgpr100_vgpr101
	s_and_saveexec_b64 s[72:73], vcc
	s_xor_b64 s[72:73], exec, s[72:73]
	s_cbranch_execz .LBB101_33
; %bb.32:                               ;   in Loop: Header=BB101_21 Depth=2
	v_mul_f64 v[42:43], v[102:103], v[102:103]
	v_div_scale_f64 v[100:101], s[74:75], v[42:43], v[42:43], s[52:53]
	v_rcp_f64_e32 v[104:105], v[100:101]
	v_div_scale_f64 v[106:107], vcc, s[52:53], v[42:43], s[52:53]
	s_mov_b32 s56, s28
	v_fma_f64 v[108:109], -v[100:101], v[104:105], 1.0
	v_fmac_f64_e32 v[104:105], v[104:105], v[108:109]
	v_fma_f64 v[108:109], -v[100:101], v[104:105], 1.0
	v_fmac_f64_e32 v[104:105], v[104:105], v[108:109]
	v_mul_f64 v[108:109], v[106:107], v[104:105]
	v_fma_f64 v[100:101], -v[100:101], v[108:109], v[106:107]
	v_div_fmas_f64 v[100:101], v[100:101], v[104:105], v[108:109]
	v_div_fixup_f64 v[100:101], v[100:101], v[42:43], s[52:53]
	v_add_f64 v[100:101], v[100:101], s[54:55]
	v_div_scale_f64 v[104:105], s[74:75], v[42:43], v[42:43], v[100:101]
	v_rcp_f64_e32 v[106:107], v[104:105]
	v_fma_f64 v[108:109], -v[104:105], v[106:107], 1.0
	v_fmac_f64_e32 v[106:107], v[106:107], v[108:109]
	v_fma_f64 v[108:109], -v[104:105], v[106:107], 1.0
	v_fmac_f64_e32 v[106:107], v[106:107], v[108:109]
	v_div_scale_f64 v[108:109], vcc, v[100:101], v[42:43], v[100:101]
	v_mul_f64 v[110:111], v[108:109], v[106:107]
	v_fma_f64 v[104:105], -v[104:105], v[110:111], v[108:109]
	s_nop 1
	v_div_fmas_f64 v[104:105], v[104:105], v[106:107], v[110:111]
	v_div_fixup_f64 v[42:43], v[104:105], v[42:43], v[100:101]
	v_add_f64 v[42:43], -v[42:43], s[56:57]
	v_div_scale_f64 v[100:101], s[74:75], v[102:103], v[102:103], v[42:43]
	v_rcp_f64_e32 v[104:105], v[100:101]
	v_fma_f64 v[106:107], -v[100:101], v[104:105], 1.0
	v_fmac_f64_e32 v[104:105], v[104:105], v[106:107]
	v_fma_f64 v[106:107], -v[100:101], v[104:105], 1.0
	v_fmac_f64_e32 v[104:105], v[104:105], v[106:107]
	v_div_scale_f64 v[106:107], vcc, v[42:43], v[102:103], v[42:43]
	v_mul_f64 v[108:109], v[106:107], v[104:105]
	v_fma_f64 v[100:101], -v[100:101], v[108:109], v[106:107]
	s_nop 1
	v_div_fmas_f64 v[100:101], v[100:101], v[104:105], v[108:109]
	v_div_fixup_f64 v[100:101], v[100:101], v[102:103], v[42:43]
.LBB101_33:                             ;   in Loop: Header=BB101_21 Depth=2
	s_andn2_saveexec_b64 s[72:73], s[72:73]
	s_cbranch_execz .LBB101_35
; %bb.34:                               ;   in Loop: Header=BB101_21 Depth=2
	v_trunc_f64_e32 v[42:43], v[88:89]
	v_ldexp_f64 v[100:101], v[42:43], s81
	v_floor_f64_e32 v[100:101], v[100:101]
	v_fmac_f64_e32 v[42:43], 0xc1f00000, v[100:101]
	v_cvt_u32_f64_e32 v105, v[100:101]
	v_cvt_u32_f64_e32 v104, v[42:43]
	v_lshlrev_b64 v[42:43], 3, v[104:105]
	s_getpc_b64 s[74:75]
	s_add_u32 s74, s74, _ZZN12_GLOBAL__N_120stirling_approx_tailIdEET_S1_E11kTailValues.const@rel32@lo+4
	s_addc_u32 s75, s75, _ZZN12_GLOBAL__N_120stirling_approx_tailIdEET_S1_E11kTailValues.const@rel32@hi+12
	v_mov_b32_e32 v61, s75
	v_add_co_u32_e32 v42, vcc, s74, v42
	v_addc_co_u32_e32 v43, vcc, v43, v61, vcc
	global_load_dwordx2 v[100:101], v[42:43], off
.LBB101_35:                             ;   in Loop: Header=BB101_21 Depth=2
	s_or_b64 exec, exec, s[72:73]
	v_add_f64 v[104:105], v[62:63], -v[88:89]
	v_add_f64 v[106:107], v[104:105], 1.0
	v_cmp_ngt_f64_e32 vcc, s[8:9], v[104:105]
                                        ; implicit-def: $vgpr42_vgpr43
	s_and_saveexec_b64 s[72:73], vcc
	s_xor_b64 s[72:73], exec, s[72:73]
	s_cbranch_execz .LBB101_37
; %bb.36:                               ;   in Loop: Header=BB101_21 Depth=2
	v_mul_f64 v[42:43], v[106:107], v[106:107]
	v_div_scale_f64 v[104:105], s[74:75], v[42:43], v[42:43], s[52:53]
	v_rcp_f64_e32 v[108:109], v[104:105]
	v_div_scale_f64 v[110:111], vcc, s[52:53], v[42:43], s[52:53]
	s_mov_b32 s56, s28
	v_fma_f64 v[112:113], -v[104:105], v[108:109], 1.0
	v_fmac_f64_e32 v[108:109], v[108:109], v[112:113]
	v_fma_f64 v[112:113], -v[104:105], v[108:109], 1.0
	v_fmac_f64_e32 v[108:109], v[108:109], v[112:113]
	v_mul_f64 v[112:113], v[110:111], v[108:109]
	v_fma_f64 v[104:105], -v[104:105], v[112:113], v[110:111]
	v_div_fmas_f64 v[104:105], v[104:105], v[108:109], v[112:113]
	v_div_fixup_f64 v[104:105], v[104:105], v[42:43], s[52:53]
	v_add_f64 v[104:105], v[104:105], s[54:55]
	v_div_scale_f64 v[108:109], s[74:75], v[42:43], v[42:43], v[104:105]
	v_rcp_f64_e32 v[110:111], v[108:109]
	v_fma_f64 v[112:113], -v[108:109], v[110:111], 1.0
	v_fmac_f64_e32 v[110:111], v[110:111], v[112:113]
	v_fma_f64 v[112:113], -v[108:109], v[110:111], 1.0
	v_fmac_f64_e32 v[110:111], v[110:111], v[112:113]
	v_div_scale_f64 v[112:113], vcc, v[104:105], v[42:43], v[104:105]
	v_mul_f64 v[78:79], v[112:113], v[110:111]
	v_fma_f64 v[108:109], -v[108:109], v[78:79], v[112:113]
	s_nop 1
	v_div_fmas_f64 v[78:79], v[108:109], v[110:111], v[78:79]
	v_div_fixup_f64 v[42:43], v[78:79], v[42:43], v[104:105]
	v_add_f64 v[42:43], -v[42:43], s[56:57]
	v_div_scale_f64 v[78:79], s[74:75], v[106:107], v[106:107], v[42:43]
	v_rcp_f64_e32 v[104:105], v[78:79]
	v_fma_f64 v[108:109], -v[78:79], v[104:105], 1.0
	v_fmac_f64_e32 v[104:105], v[104:105], v[108:109]
	v_fma_f64 v[108:109], -v[78:79], v[104:105], 1.0
	v_fmac_f64_e32 v[104:105], v[104:105], v[108:109]
	v_div_scale_f64 v[108:109], vcc, v[42:43], v[106:107], v[42:43]
	v_mul_f64 v[110:111], v[108:109], v[104:105]
	v_fma_f64 v[78:79], -v[78:79], v[110:111], v[108:109]
	s_nop 1
	v_div_fmas_f64 v[78:79], v[78:79], v[104:105], v[110:111]
	v_div_fixup_f64 v[42:43], v[78:79], v[106:107], v[42:43]
                                        ; implicit-def: $vgpr104_vgpr105
.LBB101_37:                             ;   in Loop: Header=BB101_21 Depth=2
	s_andn2_saveexec_b64 s[72:73], s[72:73]
	s_cbranch_execz .LBB101_19
; %bb.38:                               ;   in Loop: Header=BB101_21 Depth=2
	v_trunc_f64_e32 v[42:43], v[104:105]
	v_ldexp_f64 v[104:105], v[42:43], s81
	v_floor_f64_e32 v[104:105], v[104:105]
	v_fmac_f64_e32 v[42:43], 0xc1f00000, v[104:105]
	v_cvt_u32_f64_e32 v109, v[104:105]
	v_cvt_u32_f64_e32 v108, v[42:43]
	v_lshlrev_b64 v[42:43], 3, v[108:109]
	s_getpc_b64 s[74:75]
	s_add_u32 s74, s74, _ZZN12_GLOBAL__N_120stirling_approx_tailIdEET_S1_E11kTailValues.const@rel32@lo+4
	s_addc_u32 s75, s75, _ZZN12_GLOBAL__N_120stirling_approx_tailIdEET_S1_E11kTailValues.const@rel32@hi+12
	v_mov_b32_e32 v61, s75
	v_add_co_u32_e32 v42, vcc, s74, v42
	v_addc_co_u32_e32 v43, vcc, v43, v61, vcc
	global_load_dwordx2 v[42:43], v[42:43], off
	s_branch .LBB101_19
.LBB101_39:                             ;   in Loop: Header=BB101_14 Depth=1
	s_or_b64 exec, exec, s[70:71]
	buffer_load_dword v78, off, s[88:91], 0 offset:32 ; 4-byte Folded Reload
	buffer_load_dword v79, off, s[88:91], 0 offset:36 ; 4-byte Folded Reload
	;; [unrolled: 1-line block ×11, first 2 shown]
                                        ; implicit-def: $vgpr62_vgpr63
                                        ; implicit-def: $vgpr100
                                        ; implicit-def: $vgpr22_vgpr23
.LBB101_40:                             ;   in Loop: Header=BB101_14 Depth=1
	s_andn2_saveexec_b64 s[0:1], s[68:69]
	s_cbranch_execz .LBB101_46
; %bb.41:                               ;   in Loop: Header=BB101_14 Depth=1
	v_add_f64 v[24:25], -v[22:23], 1.0
	v_add_f64 v[34:35], v[24:25], -1.0
	v_add_f64 v[36:37], v[34:35], -v[24:25]
	v_add_f64 v[36:37], v[36:37], 1.0
	v_add_f64 v[34:35], -v[22:23], -v[34:35]
	v_add_f64 v[34:35], v[34:35], v[36:37]
	v_frexp_mant_f64_e32 v[36:37], v[24:25]
	v_frexp_exp_i32_f64_e32 v40, v[24:25]
	v_cmp_gt_f64_e32 vcc, s[28:29], v[36:37]
	v_subbrev_co_u32_e32 v61, vcc, 0, v40, vcc
	v_sub_u32_e32 v36, 0, v61
	v_ldexp_f64 v[24:25], v[24:25], v36
	v_ldexp_f64 v[34:35], v[34:35], v36
	v_add_f64 v[36:37], v[24:25], -1.0
	v_add_f64 v[66:67], v[24:25], 1.0
	v_add_f64 v[40:41], v[36:37], 1.0
	v_add_f64 v[70:71], v[66:67], -1.0
	v_add_f64 v[40:41], v[24:25], -v[40:41]
	v_add_f64 v[24:25], v[24:25], -v[70:71]
	v_add_f64 v[24:25], v[34:35], v[24:25]
	v_add_f64 v[40:41], v[34:35], v[40:41]
	;; [unrolled: 1-line block ×3, first 2 shown]
	v_rcp_f64_e32 v[70:71], v[34:35]
	v_add_f64 v[42:43], v[36:37], v[40:41]
	v_add_f64 v[36:37], v[42:43], -v[36:37]
	v_add_f64 v[36:37], v[40:41], -v[36:37]
	;; [unrolled: 1-line block ×4, first 2 shown]
	v_fma_f64 v[40:41], -v[34:35], v[70:71], 1.0
	v_fmac_f64_e32 v[70:71], v[40:41], v[70:71]
	v_fma_f64 v[40:41], -v[34:35], v[70:71], 1.0
	v_fmac_f64_e32 v[70:71], v[40:41], v[70:71]
	v_mul_f64 v[40:41], v[42:43], v[70:71]
	v_mul_f64 v[66:67], v[34:35], v[40:41]
	v_fma_f64 v[72:73], v[40:41], v[34:35], -v[66:67]
	v_fmac_f64_e32 v[72:73], v[40:41], v[24:25]
	v_add_f64 v[74:75], v[66:67], v[72:73]
	v_add_f64 v[76:77], v[42:43], -v[74:75]
	v_add_f64 v[42:43], v[42:43], -v[76:77]
	;; [unrolled: 1-line block ×4, first 2 shown]
	v_add_f64 v[36:37], v[36:37], v[42:43]
	v_add_f64 v[42:43], v[66:67], -v[72:73]
	v_add_f64 v[36:37], v[42:43], v[36:37]
	v_add_f64 v[42:43], v[76:77], v[36:37]
	v_add_f64 v[66:67], v[76:77], -v[42:43]
	v_add_f64 v[36:37], v[36:37], v[66:67]
	v_mul_f64 v[66:67], v[70:71], v[42:43]
	v_mul_f64 v[72:73], v[34:35], v[66:67]
	v_fma_f64 v[34:35], v[66:67], v[34:35], -v[72:73]
	v_fmac_f64_e32 v[34:35], v[66:67], v[24:25]
	v_add_f64 v[24:25], v[72:73], v[34:35]
	v_add_f64 v[74:75], v[42:43], -v[24:25]
	v_add_f64 v[42:43], v[42:43], -v[74:75]
	;; [unrolled: 1-line block ×4, first 2 shown]
	v_add_f64 v[24:25], v[36:37], v[24:25]
	v_add_f64 v[34:35], v[72:73], -v[34:35]
	v_add_f64 v[24:25], v[34:35], v[24:25]
	v_add_f64 v[34:35], v[40:41], v[66:67]
	;; [unrolled: 1-line block ×3, first 2 shown]
	v_add_f64 v[36:37], v[34:35], -v[40:41]
	v_mul_f64 v[24:25], v[70:71], v[24:25]
	v_add_f64 v[36:37], v[66:67], -v[36:37]
	v_add_f64 v[24:25], v[36:37], v[24:25]
	v_add_f64 v[36:37], v[34:35], v[24:25]
	v_add_f64 v[34:35], v[36:37], -v[34:35]
	v_add_f64 v[24:25], v[24:25], -v[34:35]
	v_mul_f64 v[34:35], v[36:37], v[36:37]
	v_pk_mov_b32 v[40:41], v[26:27], v[26:27] op_sel:[0,1]
	v_fmac_f64_e32 v[40:41], s[34:35], v[34:35]
	v_pk_mov_b32 v[42:43], v[30:31], v[30:31] op_sel:[0,1]
	v_fmac_f64_e32 v[42:43], v[34:35], v[40:41]
	;; [unrolled: 2-line block ×6, first 2 shown]
	v_cvt_f64_i32_e32 v[40:41], v61
	v_mul_f64 v[66:67], v[40:41], s[46:47]
	v_fma_f64 v[70:71], v[40:41], s[46:47], -v[66:67]
	v_fmac_f64_e32 v[70:71], s[48:49], v[40:41]
	v_add_f64 v[40:41], v[66:67], v[70:71]
	v_add_f64 v[66:67], v[40:41], -v[66:67]
	v_mul_f64 v[34:35], v[36:37], v[34:35]
	v_add_f64 v[66:67], v[70:71], -v[66:67]
	v_ldexp_f64 v[70:71], v[36:37], 1
	v_mul_f64 v[34:35], v[34:35], v[42:43]
	v_add_f64 v[36:37], v[70:71], v[34:35]
	v_add_f64 v[42:43], v[36:37], -v[70:71]
	v_ldexp_f64 v[24:25], v[24:25], 1
	v_add_f64 v[34:35], v[34:35], -v[42:43]
	v_add_f64 v[24:25], v[24:25], v[34:35]
	v_add_f64 v[34:35], v[36:37], v[24:25]
	v_add_f64 v[36:37], v[34:35], -v[36:37]
	v_add_f64 v[24:25], v[24:25], -v[36:37]
	v_add_f64 v[36:37], v[40:41], v[34:35]
	v_add_f64 v[42:43], v[36:37], -v[40:41]
	v_add_f64 v[70:71], v[36:37], -v[42:43]
	;; [unrolled: 1-line block ×4, first 2 shown]
	v_add_f64 v[34:35], v[34:35], v[40:41]
	v_add_f64 v[40:41], v[66:67], v[24:25]
	v_add_f64 v[42:43], v[40:41], -v[66:67]
	v_add_f64 v[34:35], v[40:41], v[34:35]
	v_add_f64 v[70:71], v[40:41], -v[42:43]
	v_add_f64 v[40:41], v[36:37], v[34:35]
	v_add_f64 v[66:67], v[66:67], -v[70:71]
	v_add_f64 v[24:25], v[24:25], -v[42:43]
	v_add_f64 v[36:37], v[40:41], -v[36:37]
	v_add_f64 v[24:25], v[24:25], v[66:67]
	v_add_f64 v[34:35], v[34:35], -v[36:37]
	v_add_f64 v[24:25], v[24:25], v[34:35]
	v_xor_b32_e32 v44, 0x80000000, v23
	v_add_f64 v[24:25], v[40:41], v[24:25]
	v_cmp_eq_f64_e32 vcc, s[60:61], v[22:23]
	v_cndmask_b32_e32 v24, v24, v22, vcc
	v_cndmask_b32_e32 v25, v25, v44, vcc
	v_cmp_nlt_f64_e32 vcc, 1.0, v[22:23]
	v_cndmask_b32_e32 v25, v32, v25, vcc
	v_cmp_nle_f64_e32 vcc, 1.0, v[22:23]
	v_cndmask_b32_e32 v34, 0, v24, vcc
	v_cmp_neq_f64_e32 vcc, 1.0, v[22:23]
	v_cndmask_b32_e32 v35, v39, v25, vcc
	v_pk_mov_b32 v[40:41], 0, 0
	v_pk_mov_b32 v[24:25], v[14:15], v[14:15] op_sel:[0,1]
	s_mov_b64 s[2:3], 0
	v_pk_mov_b32 v[22:23], v[12:13], v[12:13] op_sel:[0,1]
	v_pk_mov_b32 v[36:37], v[40:41], v[40:41] op_sel:[0,1]
	s_branch .LBB101_43
.LBB101_42:                             ;   in Loop: Header=BB101_43 Depth=2
	s_or_b64 exec, exec, s[4:5]
	v_cmp_eq_u32_e32 vcc, 1, v100
	v_cndmask_b32_e32 v22, v22, v23, vcc
	v_cmp_eq_u32_e32 vcc, 2, v100
	v_cndmask_b32_e32 v22, v22, v24, vcc
	;; [unrolled: 2-line block ×3, first 2 shown]
	v_and_b32_e32 v22, 0xffffff, v22
	v_cvt_f32_u32_e32 v22, v22
	v_mov_b32_e32 v100, v44
	v_mul_f32_e32 v76, 0x33800000, v22
	v_cvt_f64_f32_e32 v[22:23], v76
	v_frexp_mant_f64_e32 v[24:25], v[22:23]
	v_cmp_gt_f64_e32 vcc, s[28:29], v[24:25]
	v_cndmask_b32_e64 v61, v29, 2.0, vcc
	v_frexp_exp_i32_f64_e32 v40, v[22:23]
	v_mul_f64 v[24:25], v[24:25], v[60:61]
	v_subbrev_co_u32_e32 v61, vcc, 0, v40, vcc
	v_add_f64 v[40:41], v[24:25], 1.0
	v_rcp_f64_e32 v[42:43], v[40:41]
	v_add_f64 v[70:71], v[40:41], -1.0
	v_add_f64 v[66:67], v[24:25], -1.0
	v_add_f64 v[24:25], v[24:25], -v[70:71]
	v_fma_f64 v[70:71], -v[40:41], v[42:43], 1.0
	v_fmac_f64_e32 v[42:43], v[70:71], v[42:43]
	v_fma_f64 v[70:71], -v[40:41], v[42:43], 1.0
	v_fmac_f64_e32 v[42:43], v[70:71], v[42:43]
	v_mul_f64 v[70:71], v[66:67], v[42:43]
	v_mul_f64 v[72:73], v[40:41], v[70:71]
	v_fma_f64 v[40:41], v[70:71], v[40:41], -v[72:73]
	v_fmac_f64_e32 v[40:41], v[70:71], v[24:25]
	v_add_f64 v[24:25], v[72:73], v[40:41]
	v_add_f64 v[74:75], v[66:67], -v[24:25]
	v_add_f64 v[72:73], v[24:25], -v[72:73]
	;; [unrolled: 1-line block ×5, first 2 shown]
	v_add_f64 v[24:25], v[40:41], v[24:25]
	v_add_f64 v[24:25], v[74:75], v[24:25]
	v_mul_f64 v[24:25], v[42:43], v[24:25]
	v_add_f64 v[40:41], v[70:71], v[24:25]
	v_add_f64 v[42:43], v[40:41], -v[70:71]
	v_add_f64 v[24:25], v[24:25], -v[42:43]
	v_mul_f64 v[42:43], v[40:41], v[40:41]
	v_pk_mov_b32 v[66:67], v[26:27], v[26:27] op_sel:[0,1]
	v_fmac_f64_e32 v[66:67], s[34:35], v[42:43]
	v_pk_mov_b32 v[70:71], v[30:31], v[30:31] op_sel:[0,1]
	v_fmac_f64_e32 v[70:71], v[42:43], v[66:67]
	;; [unrolled: 2-line block ×6, first 2 shown]
	v_ldexp_f64 v[66:67], v[40:41], 1
	v_mul_f64 v[40:41], v[40:41], v[42:43]
	v_mul_f64 v[40:41], v[40:41], v[70:71]
	v_add_f64 v[42:43], v[66:67], v[40:41]
	v_add_f64 v[66:67], v[42:43], -v[66:67]
	v_ldexp_f64 v[24:25], v[24:25], 1
	v_add_f64 v[40:41], v[40:41], -v[66:67]
	v_add_f64 v[24:25], v[24:25], v[40:41]
	v_add_f64 v[40:41], v[42:43], v[24:25]
	v_add_f64 v[42:43], v[40:41], -v[42:43]
	v_add_f64 v[24:25], v[24:25], -v[42:43]
	v_cvt_f64_i32_e32 v[42:43], v61
	v_mul_f64 v[66:67], v[42:43], s[46:47]
	v_fma_f64 v[70:71], v[42:43], s[46:47], -v[66:67]
	v_fmac_f64_e32 v[70:71], s[48:49], v[42:43]
	v_add_f64 v[42:43], v[66:67], v[70:71]
	v_add_f64 v[66:67], v[42:43], -v[66:67]
	v_add_f64 v[66:67], v[70:71], -v[66:67]
	v_add_f64 v[70:71], v[42:43], v[40:41]
	v_add_f64 v[72:73], v[70:71], -v[42:43]
	v_add_f64 v[74:75], v[70:71], -v[72:73]
	;; [unrolled: 1-line block ×4, first 2 shown]
	v_add_f64 v[40:41], v[40:41], v[42:43]
	v_add_f64 v[42:43], v[66:67], v[24:25]
	v_add_f64 v[72:73], v[42:43], -v[66:67]
	v_add_f64 v[74:75], v[42:43], -v[72:73]
	v_add_f64 v[40:41], v[42:43], v[40:41]
	v_add_f64 v[66:67], v[66:67], -v[74:75]
	v_add_f64 v[24:25], v[24:25], -v[72:73]
	v_add_f64 v[42:43], v[70:71], v[40:41]
	v_add_f64 v[24:25], v[24:25], v[66:67]
	v_add_f64 v[66:67], v[42:43], -v[70:71]
	v_add_f64 v[40:41], v[40:41], -v[66:67]
	v_add_f64 v[24:25], v[24:25], v[40:41]
	v_add_f64 v[24:25], v[42:43], v[24:25]
	v_cmp_eq_f32_e32 vcc, s82, v76
	v_cndmask_b32_e32 v22, v24, v22, vcc
	v_cndmask_b32_e32 v23, v25, v23, vcc
	v_cmp_neq_f32_e32 vcc, 0, v76
	v_cndmask_b32_e32 v23, v39, v23, vcc
	v_cndmask_b32_e32 v22, 0, v22, vcc
	v_div_scale_f64 v[24:25], s[4:5], v[34:35], v[34:35], v[22:23]
	v_rcp_f64_e32 v[40:41], v[24:25]
	v_fma_f64 v[42:43], -v[24:25], v[40:41], 1.0
	v_fmac_f64_e32 v[40:41], v[40:41], v[42:43]
	v_fma_f64 v[42:43], -v[24:25], v[40:41], 1.0
	v_fmac_f64_e32 v[40:41], v[40:41], v[42:43]
	v_div_scale_f64 v[42:43], vcc, v[22:23], v[34:35], v[22:23]
	v_mul_f64 v[66:67], v[42:43], v[40:41]
	v_fma_f64 v[24:25], -v[24:25], v[66:67], v[42:43]
	s_nop 1
	v_div_fmas_f64 v[24:25], v[24:25], v[40:41], v[66:67]
	v_div_fixup_f64 v[22:23], v[24:25], v[34:35], v[22:23]
	v_ceil_f64_e32 v[22:23], v[22:23]
	v_add_f64 v[36:37], v[36:37], v[22:23]
	v_cmp_gt_f64_e32 vcc, v[36:37], v[62:63]
	v_pk_mov_b32 v[24:25], v[14:15], v[14:15] op_sel:[0,1]
	v_add_f64 v[40:41], v[88:89], 1.0
	s_or_b64 s[2:3], vcc, s[2:3]
	v_pk_mov_b32 v[22:23], v[12:13], v[12:13] op_sel:[0,1]
	s_andn2_b64 exec, exec, s[2:3]
	s_cbranch_execz .LBB101_45
.LBB101_43:                             ;   Parent Loop BB101_14 Depth=1
                                        ; =>  This Inner Loop Header: Depth=2
	v_add_u32_e32 v44, 1, v100
	v_pk_mov_b32 v[88:89], v[40:41], v[40:41] op_sel:[0,1]
	v_cmp_eq_u32_e32 vcc, 4, v44
	s_and_saveexec_b64 s[4:5], vcc
	s_cbranch_execz .LBB101_42
; %bb.44:                               ;   in Loop: Header=BB101_43 Depth=2
	v_add_co_u32_e32 v4, vcc, 1, v4
	v_cndmask_b32_e64 v12, 0, 1, vcc
	v_addc_co_u32_e32 v1, vcc, 0, v1, vcc
	v_cmp_eq_u32_e32 vcc, 0, v1
	v_cndmask_b32_e32 v12, 0, v12, vcc
	v_add_u32_e32 v2, v12, v2
	v_cmp_eq_u32_e32 vcc, 0, v2
	v_cndmask_b32_e32 v12, 0, v12, vcc
	v_add_u32_e32 v3, v12, v3
	v_mad_u64_u32 v[12:13], s[68:69], v4, s78, 0
	v_mad_u64_u32 v[14:15], s[68:69], v2, s79, 0
	v_xor_b32_e32 v13, v13, v69
	v_xor_b32_e32 v15, v15, v68
	v_xor_b32_e32 v13, v3, v13
	v_xor_b32_e32 v15, v1, v15
	v_mad_u64_u32 v[42:43], s[68:69], v13, s79, 0
	v_mad_u64_u32 v[40:41], s[68:69], v15, s78, 0
	s_waitcnt vmcnt(10)
	v_xor_b32_e32 v13, v78, v43
	v_xor_b32_e32 v13, v13, v14
	s_waitcnt vmcnt(9)
	v_xor_b32_e32 v14, v79, v41
	v_xor_b32_e32 v14, v14, v12
	v_mad_u64_u32 v[12:13], s[68:69], v13, s78, 0
	v_mad_u64_u32 v[14:15], s[68:69], v14, s79, 0
	s_waitcnt vmcnt(7)
	v_xor_b32_e32 v13, v81, v13
	v_xor_b32_e32 v15, v80, v15
	;; [unrolled: 1-line block ×4, first 2 shown]
	v_mad_u64_u32 v[42:43], s[68:69], v13, s79, 0
	v_mad_u64_u32 v[40:41], s[68:69], v15, s78, 0
	s_waitcnt vmcnt(6)
	v_xor_b32_e32 v13, v82, v43
	v_xor_b32_e32 v13, v13, v14
	s_waitcnt vmcnt(5)
	v_xor_b32_e32 v14, v83, v41
	v_xor_b32_e32 v14, v14, v12
	v_mad_u64_u32 v[12:13], s[68:69], v13, s78, 0
	v_mad_u64_u32 v[14:15], s[68:69], v14, s79, 0
	s_waitcnt vmcnt(3)
	v_xor_b32_e32 v13, v85, v13
	v_xor_b32_e32 v15, v84, v15
	;; [unrolled: 1-line block ×4, first 2 shown]
	v_mad_u64_u32 v[42:43], s[68:69], v13, s79, 0
	v_mad_u64_u32 v[40:41], s[68:69], v15, s78, 0
	s_waitcnt vmcnt(2)
	v_xor_b32_e32 v13, v86, v43
	v_xor_b32_e32 v13, v13, v14
	s_waitcnt vmcnt(1)
	v_xor_b32_e32 v14, v87, v41
	v_xor_b32_e32 v14, v14, v12
	v_mad_u64_u32 v[12:13], s[68:69], v13, s78, 0
	v_mad_u64_u32 v[14:15], s[68:69], v14, s79, 0
	v_xor_b32_e32 v13, v59, v13
	s_waitcnt vmcnt(0)
	v_xor_b32_e32 v15, v90, v15
	v_xor_b32_e32 v13, v13, v40
	v_xor_b32_e32 v15, v15, v42
	v_mad_u64_u32 v[42:43], s[68:69], v13, s79, 0
	v_mad_u64_u32 v[40:41], s[68:69], v15, s78, 0
	v_xor_b32_e32 v13, v64, v43
	v_xor_b32_e32 v13, v13, v14
	v_xor_b32_e32 v14, v49, v41
	v_xor_b32_e32 v12, v14, v12
	v_mad_u64_u32 v[14:15], s[68:69], v13, s78, 0
	v_mad_u64_u32 v[12:13], s[68:69], v12, s79, 0
	v_xor_b32_e32 v13, v52, v13
	;; [unrolled: 6-line block ×3, first 2 shown]
	v_xor_b32_e32 v13, v41, v14
	v_mov_b32_e32 v44, 0
	v_xor_b32_e32 v12, v115, v12
	v_xor_b32_e32 v14, v116, v13
	v_mov_b32_e32 v13, v42
	v_mov_b32_e32 v15, v40
	s_branch .LBB101_42
.LBB101_45:                             ;   in Loop: Header=BB101_14 Depth=1
	s_or_b64 exec, exec, s[2:3]
.LBB101_46:                             ;   in Loop: Header=BB101_14 Depth=1
	s_or_b64 exec, exec, s[0:1]
                                        ; implicit-def: $vgpr100
                                        ; implicit-def: $vgpr22_vgpr23
                                        ; implicit-def: $vgpr62_vgpr63
.LBB101_47:                             ;   in Loop: Header=BB101_14 Depth=1
	s_andn2_saveexec_b64 s[66:67], s[66:67]
	s_cbranch_execz .LBB101_11
; %bb.48:                               ;   in Loop: Header=BB101_14 Depth=1
	v_mov_b32_e32 v88, 0
	v_cmp_lt_f64_e32 vcc, 0.5, v[22:23]
	v_mov_b32_e32 v89, 0x7ff80000
	s_and_saveexec_b64 s[68:69], vcc
	s_cbranch_execz .LBB101_10
; %bb.49:                               ;   in Loop: Header=BB101_14 Depth=1
	v_add_f64 v[22:23], -v[22:23], 1.0
	v_mul_f64 v[36:37], v[62:63], v[22:23]
	v_cmp_le_f64_e32 vcc, s[8:9], v[36:37]
	v_add_f64 v[24:25], -v[22:23], 1.0
                                        ; implicit-def: $vgpr92_vgpr93
                                        ; implicit-def: $vgpr44
	s_and_saveexec_b64 s[0:1], vcc
	s_xor_b64 s[70:71], exec, s[0:1]
	s_cbranch_execz .LBB101_72
; %bb.50:                               ;   in Loop: Header=BB101_14 Depth=1
	v_mul_f64 v[34:35], v[36:37], v[24:25]
	v_cmp_gt_f64_e32 vcc, s[10:11], v[34:35]
	v_cndmask_b32_e64 v40, 0, 1, vcc
	v_lshlrev_b32_e32 v40, 8, v40
	v_ldexp_f64 v[34:35], v[34:35], v40
	v_rsq_f64_e32 v[40:41], v[34:35]
	v_add_f64 v[72:73], v[36:37], 0.5
	s_mov_b32 s50, s52
	s_mov_b32 s56, s28
	v_mul_f64 v[42:43], v[34:35], v[40:41]
	v_mul_f64 v[40:41], v[40:41], 0.5
	v_fma_f64 v[66:67], -v[40:41], v[42:43], 0.5
	v_fmac_f64_e32 v[42:43], v[42:43], v[66:67]
	v_fma_f64 v[70:71], -v[42:43], v[42:43], v[34:35]
	v_fmac_f64_e32 v[40:41], v[40:41], v[66:67]
	v_fmac_f64_e32 v[42:43], v[70:71], v[40:41]
	v_fma_f64 v[66:67], -v[42:43], v[42:43], v[34:35]
	v_fmac_f64_e32 v[42:43], v[66:67], v[40:41]
	buffer_load_dword v66, off, s[88:91], 0 offset:76 ; 4-byte Folded Reload
	buffer_load_dword v67, off, s[88:91], 0 offset:80 ; 4-byte Folded Reload
	v_mov_b32_e32 v40, 0xffffff80
	v_cndmask_b32_e32 v40, 0, v40, vcc
	v_ldexp_f64 v[40:41], v[42:43], v40
	v_mov_b32_e32 v42, 0x260
	v_cmp_class_f64_e32 vcc, v[34:35], v42
	v_cndmask_b32_e32 v35, v41, v35, vcc
	v_cndmask_b32_e32 v34, v40, v34, vcc
	buffer_load_dword v70, off, s[88:91], 0 offset:84 ; 4-byte Folded Reload
	buffer_load_dword v71, off, s[88:91], 0 offset:88 ; 4-byte Folded Reload
	s_getpc_b64 s[4:5]
	s_add_u32 s4, s4, _ZZN12_GLOBAL__N_120stirling_approx_tailIdEET_S1_E11kTailValues.const@rel32@lo+4
	s_addc_u32 s5, s5, _ZZN12_GLOBAL__N_120stirling_approx_tailIdEET_S1_E11kTailValues.const@rel32@hi+12
	s_mov_b64 s[74:75], 0
	s_waitcnt vmcnt(2)
	v_fmac_f64_e32 v[66:67], s[16:17], v[34:35]
	v_div_scale_f64 v[36:37], s[0:1], v[66:67], v[66:67], s[22:23]
	v_rcp_f64_e32 v[40:41], v[36:37]
	v_fma_f64 v[42:43], -v[36:37], v[40:41], 1.0
	v_fmac_f64_e32 v[40:41], v[40:41], v[42:43]
	v_fma_f64 v[42:43], -v[36:37], v[40:41], 1.0
	v_fmac_f64_e32 v[40:41], v[40:41], v[42:43]
	v_div_scale_f64 v[42:43], vcc, s[22:23], v[66:67], s[22:23]
	v_mul_f64 v[74:75], v[42:43], v[40:41]
	v_fma_f64 v[36:37], -v[36:37], v[74:75], v[42:43]
	s_waitcnt vmcnt(0)
	v_fmac_f64_e32 v[70:71], s[18:19], v[66:67]
	v_div_fmas_f64 v[36:37], v[36:37], v[40:41], v[74:75]
	v_div_fixup_f64 v[36:37], v[36:37], v[66:67], s[22:23]
	v_add_f64 v[74:75], v[36:37], s[24:25]
	v_div_scale_f64 v[36:37], s[0:1], v[24:25], v[24:25], v[22:23]
	v_rcp_f64_e32 v[40:41], v[36:37]
	v_fmac_f64_e32 v[70:71], s[20:21], v[22:23]
	v_add_f64 v[82:83], v[70:71], v[70:71]
	v_fma_f64 v[42:43], -v[36:37], v[40:41], 1.0
	v_fmac_f64_e32 v[40:41], v[40:41], v[42:43]
	v_fma_f64 v[42:43], -v[36:37], v[40:41], 1.0
	v_fmac_f64_e32 v[40:41], v[40:41], v[42:43]
	v_div_scale_f64 v[42:43], vcc, v[22:23], v[24:25], v[22:23]
	v_mul_f64 v[76:77], v[42:43], v[40:41]
	v_fma_f64 v[36:37], -v[36:37], v[76:77], v[42:43]
	s_nop 1
	v_div_fmas_f64 v[36:37], v[36:37], v[40:41], v[76:77]
	v_div_fixup_f64 v[76:77], v[36:37], v[24:25], v[22:23]
	v_div_scale_f64 v[24:25], s[0:1], v[66:67], v[66:67], s[14:15]
	v_rcp_f64_e32 v[36:37], v[24:25]
	v_fma_f64 v[40:41], -v[24:25], v[36:37], 1.0
	v_fmac_f64_e32 v[36:37], v[36:37], v[40:41]
	v_fma_f64 v[40:41], -v[24:25], v[36:37], 1.0
	v_fmac_f64_e32 v[36:37], v[36:37], v[40:41]
	v_div_scale_f64 v[40:41], vcc, s[14:15], v[66:67], s[14:15]
	v_mul_f64 v[42:43], v[40:41], v[36:37]
	v_fma_f64 v[24:25], -v[24:25], v[42:43], v[40:41]
	s_nop 1
	v_div_fmas_f64 v[24:25], v[24:25], v[36:37], v[42:43]
	v_div_fixup_f64 v[24:25], v[24:25], v[66:67], s[14:15]
	v_add_f64 v[24:25], v[24:25], s[26:27]
	v_mul_f64 v[24:25], v[34:35], v[24:25]
	buffer_store_dword v24, off, s[88:91], 0 offset:8 ; 4-byte Folded Spill
	s_nop 0
	buffer_store_dword v25, off, s[88:91], 0 offset:12 ; 4-byte Folded Spill
	buffer_store_dword v76, off, s[88:91], 0 ; 4-byte Folded Spill
	s_nop 0
	buffer_store_dword v77, off, s[88:91], 0 offset:4 ; 4-byte Folded Spill
	v_add_f64 v[24:25], v[62:63], 1.0
	v_mul_f64 v[22:23], v[24:25], v[22:23]
	v_floor_f64_e32 v[24:25], v[22:23]
	v_add_f64 v[22:23], v[62:63], -v[24:25]
	v_add_f64 v[84:85], v[22:23], 1.0
	v_add_f64 v[34:35], v[24:25], 1.0
	;; [unrolled: 1-line block ×3, first 2 shown]
	v_mul_f64 v[40:41], v[76:77], v[84:85]
	v_div_scale_f64 v[42:43], s[0:1], v[40:41], v[40:41], v[34:35]
	v_rcp_f64_e32 v[86:87], v[42:43]
	v_cmp_gt_f64_e64 s[0:1], s[8:9], v[24:25]
	v_fma_f64 v[88:89], -v[42:43], v[86:87], 1.0
	v_fmac_f64_e32 v[86:87], v[86:87], v[88:89]
	v_fma_f64 v[88:89], -v[42:43], v[86:87], 1.0
	v_fmac_f64_e32 v[86:87], v[86:87], v[88:89]
	v_div_scale_f64 v[88:89], vcc, v[34:35], v[40:41], v[34:35]
	v_mul_f64 v[90:91], v[88:89], v[86:87]
	v_fma_f64 v[42:43], -v[42:43], v[90:91], v[88:89]
	s_nop 1
	v_div_fmas_f64 v[42:43], v[42:43], v[86:87], v[90:91]
	v_div_fixup_f64 v[40:41], v[42:43], v[40:41], v[34:35]
	v_frexp_mant_f64_e32 v[42:43], v[40:41]
	v_cmp_gt_f64_e32 vcc, s[28:29], v[42:43]
	v_cndmask_b32_e64 v61, v29, 2.0, vcc
	v_mul_f64 v[42:43], v[42:43], v[60:61]
	v_add_f64 v[88:89], v[42:43], 1.0
	v_add_f64 v[90:91], v[88:89], -1.0
	v_add_f64 v[86:87], v[42:43], -1.0
	v_add_f64 v[42:43], v[42:43], -v[90:91]
	v_rcp_f64_e32 v[90:91], v[88:89]
	v_frexp_exp_i32_f64_e32 v44, v[40:41]
	v_subbrev_co_u32_e32 v44, vcc, 0, v44, vcc
	v_fma_f64 v[92:93], -v[88:89], v[90:91], 1.0
	v_fmac_f64_e32 v[90:91], v[92:93], v[90:91]
	v_fma_f64 v[92:93], -v[88:89], v[90:91], 1.0
	v_fmac_f64_e32 v[90:91], v[92:93], v[90:91]
	v_mul_f64 v[92:93], v[86:87], v[90:91]
	v_mul_f64 v[94:95], v[88:89], v[92:93]
	v_fma_f64 v[88:89], v[92:93], v[88:89], -v[94:95]
	v_fmac_f64_e32 v[88:89], v[92:93], v[42:43]
	v_add_f64 v[42:43], v[94:95], v[88:89]
	v_add_f64 v[96:97], v[86:87], -v[42:43]
	v_add_f64 v[94:95], v[42:43], -v[94:95]
	;; [unrolled: 1-line block ×5, first 2 shown]
	v_add_f64 v[42:43], v[86:87], v[42:43]
	v_add_f64 v[42:43], v[96:97], v[42:43]
	v_mul_f64 v[42:43], v[90:91], v[42:43]
	v_add_f64 v[86:87], v[92:93], v[42:43]
	v_add_f64 v[88:89], v[86:87], -v[92:93]
	v_add_f64 v[42:43], v[42:43], -v[88:89]
	v_mul_f64 v[88:89], v[86:87], v[86:87]
	v_pk_mov_b32 v[90:91], v[26:27], v[26:27] op_sel:[0,1]
	v_fmac_f64_e32 v[90:91], s[34:35], v[88:89]
	v_pk_mov_b32 v[92:93], v[30:31], v[30:31] op_sel:[0,1]
	v_fmac_f64_e32 v[92:93], v[88:89], v[90:91]
	;; [unrolled: 2-line block ×6, first 2 shown]
	v_ldexp_f64 v[90:91], v[86:87], 1
	v_mul_f64 v[86:87], v[86:87], v[88:89]
	v_mul_f64 v[86:87], v[86:87], v[92:93]
	v_add_f64 v[88:89], v[90:91], v[86:87]
	v_add_f64 v[90:91], v[88:89], -v[90:91]
	v_ldexp_f64 v[42:43], v[42:43], 1
	v_add_f64 v[86:87], v[86:87], -v[90:91]
	v_add_f64 v[42:43], v[42:43], v[86:87]
	v_add_f64 v[86:87], v[88:89], v[42:43]
	v_add_f64 v[88:89], v[86:87], -v[88:89]
	v_add_f64 v[42:43], v[42:43], -v[88:89]
	v_cvt_f64_i32_e32 v[88:89], v44
	v_mul_f64 v[90:91], v[88:89], s[46:47]
	v_fma_f64 v[92:93], v[88:89], s[46:47], -v[90:91]
	v_fmac_f64_e32 v[92:93], s[48:49], v[88:89]
	v_add_f64 v[88:89], v[90:91], v[92:93]
	v_add_f64 v[90:91], v[88:89], -v[90:91]
	v_add_f64 v[90:91], v[92:93], -v[90:91]
	v_add_f64 v[92:93], v[88:89], v[86:87]
	v_add_f64 v[94:95], v[92:93], -v[88:89]
	v_add_f64 v[96:97], v[92:93], -v[94:95]
	;; [unrolled: 1-line block ×4, first 2 shown]
	v_add_f64 v[86:87], v[86:87], v[88:89]
	v_add_f64 v[88:89], v[90:91], v[42:43]
	v_add_f64 v[94:95], v[88:89], -v[90:91]
	v_add_f64 v[96:97], v[88:89], -v[94:95]
	v_add_f64 v[86:87], v[88:89], v[86:87]
	v_add_f64 v[90:91], v[90:91], -v[96:97]
	v_add_f64 v[42:43], v[42:43], -v[94:95]
	v_add_f64 v[88:89], v[92:93], v[86:87]
	v_add_f64 v[42:43], v[42:43], v[90:91]
	v_add_f64 v[90:91], v[88:89], -v[92:93]
	v_add_f64 v[86:87], v[86:87], -v[90:91]
	v_add_f64 v[42:43], v[42:43], v[86:87]
	v_add_f64 v[42:43], v[88:89], v[42:43]
	v_cmp_class_f64_e64 vcc, v[40:41], s80
	v_cndmask_b32_e32 v42, v42, v40, vcc
	v_cndmask_b32_e32 v43, v43, v41, vcc
	v_cmp_ngt_f64_e32 vcc, 0, v[40:41]
	v_cndmask_b32_e32 v43, v32, v43, vcc
	v_cmp_nge_f64_e32 vcc, 0, v[40:41]
	v_cndmask_b32_e32 v42, 0, v42, vcc
	v_cmp_neq_f64_e32 vcc, 0, v[40:41]
	v_cndmask_b32_e32 v43, v39, v43, vcc
	v_mul_f64 v[36:37], v[36:37], v[42:43]
	buffer_store_dword v36, off, s[88:91], 0 offset:16 ; 4-byte Folded Spill
	s_nop 0
	buffer_store_dword v37, off, s[88:91], 0 offset:20 ; 4-byte Folded Spill
	v_mul_f64 v[36:37], v[34:35], v[34:35]
	v_div_scale_f64 v[40:41], s[2:3], v[36:37], v[36:37], s[50:51]
	v_rcp_f64_e32 v[42:43], v[40:41]
	v_mov_b32_e32 v44, s5
	v_fma_f64 v[88:89], -v[40:41], v[42:43], 1.0
	v_fmac_f64_e32 v[42:43], v[42:43], v[88:89]
	v_fma_f64 v[88:89], -v[40:41], v[42:43], 1.0
	v_fmac_f64_e32 v[42:43], v[42:43], v[88:89]
	v_div_scale_f64 v[88:89], vcc, s[50:51], v[36:37], s[50:51]
	v_mul_f64 v[90:91], v[88:89], v[42:43]
	v_fma_f64 v[40:41], -v[40:41], v[90:91], v[88:89]
	s_nop 1
	v_div_fmas_f64 v[40:41], v[40:41], v[42:43], v[90:91]
	v_div_fixup_f64 v[40:41], v[40:41], v[36:37], s[50:51]
	v_add_f64 v[40:41], -v[40:41], s[54:55]
	v_div_scale_f64 v[42:43], s[2:3], v[36:37], v[36:37], v[40:41]
	v_rcp_f64_e32 v[88:89], v[42:43]
	v_fma_f64 v[90:91], -v[42:43], v[88:89], 1.0
	v_fmac_f64_e32 v[88:89], v[88:89], v[90:91]
	v_fma_f64 v[90:91], -v[42:43], v[88:89], 1.0
	v_fmac_f64_e32 v[88:89], v[88:89], v[90:91]
	v_div_scale_f64 v[90:91], vcc, v[40:41], v[36:37], v[40:41]
	v_mul_f64 v[92:93], v[90:91], v[88:89]
	v_fma_f64 v[42:43], -v[42:43], v[92:93], v[90:91]
	s_nop 1
	v_div_fmas_f64 v[42:43], v[42:43], v[88:89], v[92:93]
	v_div_fixup_f64 v[36:37], v[42:43], v[36:37], v[40:41]
	v_add_f64 v[36:37], -v[36:37], s[56:57]
	v_div_scale_f64 v[40:41], s[2:3], v[34:35], v[34:35], v[36:37]
	v_rcp_f64_e32 v[42:43], v[40:41]
	v_cmp_gt_f64_e64 s[2:3], s[8:9], v[22:23]
	v_trunc_f64_e32 v[22:23], v[22:23]
	v_fma_f64 v[88:89], -v[40:41], v[42:43], 1.0
	v_fmac_f64_e32 v[42:43], v[42:43], v[88:89]
	v_fma_f64 v[88:89], -v[40:41], v[42:43], 1.0
	v_fmac_f64_e32 v[42:43], v[42:43], v[88:89]
	v_div_scale_f64 v[88:89], vcc, v[36:37], v[34:35], v[36:37]
	v_mul_f64 v[90:91], v[88:89], v[42:43]
	v_fma_f64 v[40:41], -v[40:41], v[90:91], v[88:89]
	s_nop 1
	v_div_fmas_f64 v[40:41], v[40:41], v[42:43], v[90:91]
	v_div_fixup_f64 v[34:35], v[40:41], v[34:35], v[36:37]
	buffer_store_dword v34, off, s[88:91], 0 offset:24 ; 4-byte Folded Spill
	s_nop 0
	buffer_store_dword v35, off, s[88:91], 0 offset:28 ; 4-byte Folded Spill
	v_ldexp_f64 v[34:35], v[24:25], s81
	v_floor_f64_e32 v[34:35], v[34:35]
	v_fmac_f64_e32 v[24:25], 0xc1f00000, v[34:35]
	v_cvt_u32_f64_e32 v24, v[24:25]
	v_cvt_u32_f64_e32 v25, v[34:35]
	v_lshlrev_b64 v[24:25], 3, v[24:25]
	v_add_co_u32_e32 v90, vcc, s4, v24
	v_addc_co_u32_e32 v91, vcc, v25, v44, vcc
	v_mul_f64 v[24:25], v[84:85], v[84:85]
	v_div_scale_f64 v[34:35], s[72:73], v[24:25], v[24:25], s[50:51]
	v_rcp_f64_e32 v[36:37], v[34:35]
	v_fma_f64 v[40:41], -v[34:35], v[36:37], 1.0
	v_fmac_f64_e32 v[36:37], v[36:37], v[40:41]
	v_fma_f64 v[40:41], -v[34:35], v[36:37], 1.0
	v_fmac_f64_e32 v[36:37], v[36:37], v[40:41]
	v_div_scale_f64 v[40:41], vcc, s[50:51], v[24:25], s[50:51]
	v_mul_f64 v[42:43], v[40:41], v[36:37]
	v_fma_f64 v[34:35], -v[34:35], v[42:43], v[40:41]
	s_nop 1
	v_div_fmas_f64 v[34:35], v[34:35], v[36:37], v[42:43]
	v_div_fixup_f64 v[34:35], v[34:35], v[24:25], s[50:51]
	v_add_f64 v[34:35], -v[34:35], s[54:55]
	v_div_scale_f64 v[36:37], s[72:73], v[24:25], v[24:25], v[34:35]
	v_rcp_f64_e32 v[40:41], v[36:37]
	v_fma_f64 v[42:43], -v[36:37], v[40:41], 1.0
	v_fmac_f64_e32 v[40:41], v[40:41], v[42:43]
	v_fma_f64 v[42:43], -v[36:37], v[40:41], 1.0
	v_fmac_f64_e32 v[40:41], v[40:41], v[42:43]
	v_div_scale_f64 v[42:43], vcc, v[34:35], v[24:25], v[34:35]
	v_mul_f64 v[92:93], v[42:43], v[40:41]
	v_fma_f64 v[36:37], -v[36:37], v[92:93], v[42:43]
	s_nop 1
	v_div_fmas_f64 v[36:37], v[36:37], v[40:41], v[92:93]
	v_div_fixup_f64 v[24:25], v[36:37], v[24:25], v[34:35]
	v_add_f64 v[24:25], -v[24:25], s[56:57]
	v_div_scale_f64 v[34:35], s[72:73], v[84:85], v[84:85], v[24:25]
	v_rcp_f64_e32 v[36:37], v[34:35]
	s_mov_b64 s[72:73], 0
	v_fma_f64 v[40:41], -v[34:35], v[36:37], 1.0
	v_fmac_f64_e32 v[36:37], v[36:37], v[40:41]
	v_fma_f64 v[40:41], -v[34:35], v[36:37], 1.0
	v_fmac_f64_e32 v[36:37], v[36:37], v[40:41]
	v_div_scale_f64 v[40:41], vcc, v[24:25], v[84:85], v[24:25]
	v_mul_f64 v[42:43], v[40:41], v[36:37]
	v_fma_f64 v[34:35], -v[34:35], v[42:43], v[40:41]
	s_nop 1
	v_div_fmas_f64 v[34:35], v[34:35], v[36:37], v[42:43]
	v_div_fixup_f64 v[94:95], v[34:35], v[84:85], v[24:25]
	v_ldexp_f64 v[24:25], v[22:23], s81
	v_floor_f64_e32 v[24:25], v[24:25]
	v_fmac_f64_e32 v[22:23], 0xc1f00000, v[24:25]
	v_cvt_u32_f64_e32 v22, v[22:23]
	v_cvt_u32_f64_e32 v23, v[24:25]
	v_lshlrev_b64 v[22:23], 3, v[22:23]
	v_add_co_u32_e32 v96, vcc, s4, v22
	v_pk_mov_b32 v[36:37], v[14:15], v[14:15] op_sel:[0,1]
	v_addc_co_u32_e32 v97, vcc, v23, v44, vcc
	v_pk_mov_b32 v[34:35], v[12:13], v[12:13] op_sel:[0,1]
	s_branch .LBB101_53
.LBB101_51:                             ;   in Loop: Header=BB101_53 Depth=2
	s_or_b64 exec, exec, s[74:75]
	v_div_scale_f64 v[78:79], s[74:75], v[106:107], v[106:107], v[84:85]
	v_rcp_f64_e32 v[104:105], v[78:79]
	v_div_scale_f64 v[108:109], vcc, v[84:85], v[106:107], v[84:85]
	s_mov_b32 s45, s29
	v_fma_f64 v[110:111], -v[78:79], v[104:105], 1.0
	v_fmac_f64_e32 v[104:105], v[104:105], v[110:111]
	v_fma_f64 v[110:111], -v[78:79], v[104:105], 1.0
	v_fmac_f64_e32 v[104:105], v[104:105], v[110:111]
	v_mul_f64 v[110:111], v[108:109], v[104:105]
	v_fma_f64 v[78:79], -v[78:79], v[110:111], v[108:109]
	v_div_fmas_f64 v[78:79], v[78:79], v[104:105], v[110:111]
	v_div_fixup_f64 v[78:79], v[78:79], v[106:107], v[84:85]
	v_frexp_mant_f64_e32 v[104:105], v[78:79]
	v_cmp_gt_f64_e32 vcc, s[28:29], v[104:105]
	v_cndmask_b32_e64 v61, v29, 2.0, vcc
	v_mul_f64 v[104:105], v[104:105], v[60:61]
	v_add_f64 v[108:109], v[104:105], 1.0
	v_rcp_f64_e32 v[110:111], v[108:109]
	v_frexp_exp_i32_f64_e32 v76, v[78:79]
	v_subbrev_co_u32_e32 v61, vcc, 0, v76, vcc
	v_add_f64 v[76:77], v[108:109], -1.0
	v_add_f64 v[112:113], v[104:105], -1.0
	v_add_f64 v[76:77], v[104:105], -v[76:77]
	v_fma_f64 v[104:105], -v[108:109], v[110:111], 1.0
	v_fmac_f64_e32 v[110:111], v[104:105], v[110:111]
	v_fma_f64 v[104:105], -v[108:109], v[110:111], 1.0
	v_fmac_f64_e32 v[110:111], v[104:105], v[110:111]
	v_mul_f64 v[104:105], v[112:113], v[110:111]
	v_mul_f64 v[80:81], v[108:109], v[104:105]
	v_fma_f64 v[108:109], v[104:105], v[108:109], -v[80:81]
	v_fmac_f64_e32 v[108:109], v[104:105], v[76:77]
	v_add_f64 v[76:77], v[80:81], v[108:109]
	v_add_f64 v[86:87], v[112:113], -v[76:77]
	v_add_f64 v[80:81], v[76:77], -v[80:81]
	;; [unrolled: 1-line block ×5, first 2 shown]
	v_add_f64 v[76:77], v[80:81], v[76:77]
	v_add_f64 v[76:77], v[86:87], v[76:77]
	v_mul_f64 v[76:77], v[110:111], v[76:77]
	v_add_f64 v[80:81], v[104:105], v[76:77]
	v_add_f64 v[86:87], v[80:81], -v[104:105]
	v_add_f64 v[76:77], v[76:77], -v[86:87]
	v_mul_f64 v[86:87], v[80:81], v[80:81]
	v_pk_mov_b32 v[104:105], s[30:31], s[30:31] op_sel:[0,1]
	v_fma_f64 v[108:109], s[34:35], v[86:87], v[104:105]
	v_fma_f64 v[108:109], v[86:87], v[108:109], s[36:37]
	;; [unrolled: 1-line block ×6, first 2 shown]
	v_ldexp_f64 v[110:111], v[80:81], 1
	v_mul_f64 v[80:81], v[80:81], v[86:87]
	v_mul_f64 v[80:81], v[80:81], v[108:109]
	v_add_f64 v[86:87], v[110:111], v[80:81]
	v_add_f64 v[108:109], v[86:87], -v[110:111]
	v_ldexp_f64 v[76:77], v[76:77], 1
	v_add_f64 v[80:81], v[80:81], -v[108:109]
	v_add_f64 v[76:77], v[76:77], v[80:81]
	v_add_f64 v[80:81], v[86:87], v[76:77]
	v_add_f64 v[86:87], v[80:81], -v[86:87]
	v_add_f64 v[76:77], v[76:77], -v[86:87]
	v_cvt_f64_i32_e32 v[86:87], v61
	v_mul_f64 v[108:109], v[86:87], s[46:47]
	v_fma_f64 v[110:111], v[86:87], s[46:47], -v[108:109]
	v_fmac_f64_e32 v[110:111], s[48:49], v[86:87]
	v_add_f64 v[86:87], v[108:109], v[110:111]
	v_add_f64 v[108:109], v[86:87], -v[108:109]
	v_add_f64 v[108:109], v[110:111], -v[108:109]
	v_add_f64 v[110:111], v[86:87], v[80:81]
	v_add_f64 v[112:113], v[110:111], -v[86:87]
	v_add_f64 v[88:89], v[110:111], -v[112:113]
	;; [unrolled: 1-line block ×4, first 2 shown]
	v_add_f64 v[80:81], v[80:81], v[86:87]
	v_add_f64 v[86:87], v[108:109], v[76:77]
	v_add_f64 v[88:89], v[86:87], -v[108:109]
	v_add_f64 v[80:81], v[86:87], v[80:81]
	v_add_f64 v[112:113], v[86:87], -v[88:89]
	;; [unrolled: 2-line block ×3, first 2 shown]
	v_add_f64 v[76:77], v[76:77], -v[88:89]
	v_add_f64 v[88:89], v[86:87], -v[110:111]
	v_add_f64 v[76:77], v[76:77], v[108:109]
	v_add_f64 v[80:81], v[80:81], -v[88:89]
	v_add_f64 v[76:77], v[76:77], v[80:81]
	buffer_load_dword v80, off, s[88:91], 0 ; 4-byte Folded Reload
	buffer_load_dword v81, off, s[88:91], 0 offset:4 ; 4-byte Folded Reload
	v_add_f64 v[76:77], v[86:87], v[76:77]
	v_cmp_class_f64_e64 vcc, v[78:79], s80
	v_cndmask_b32_e32 v61, v76, v78, vcc
	v_cndmask_b32_e32 v76, v77, v79, vcc
	v_cmp_ngt_f64_e32 vcc, 0, v[78:79]
	v_cndmask_b32_e32 v77, v32, v76, vcc
	v_cmp_nge_f64_e32 vcc, 0, v[78:79]
	v_cndmask_b32_e32 v76, 0, v61, vcc
	v_cmp_neq_f64_e32 vcc, 0, v[78:79]
	v_cndmask_b32_e32 v77, v39, v77, vcc
	v_add_f64 v[78:79], v[62:63], 1.0
	s_waitcnt vmcnt(0)
	v_mul_f64 v[80:81], v[80:81], v[106:107]
	buffer_load_dword v106, off, s[88:91], 0 offset:16 ; 4-byte Folded Reload
	buffer_load_dword v107, off, s[88:91], 0 offset:20 ; 4-byte Folded Reload
	v_div_scale_f64 v[86:87], s[74:75], v[102:103], v[102:103], v[80:81]
	v_rcp_f64_e32 v[88:89], v[86:87]
	s_waitcnt vmcnt(0)
	v_fma_f64 v[106:107], v[78:79], v[76:77], v[106:107]
	v_fma_f64 v[78:79], -v[86:87], v[88:89], 1.0
	v_fmac_f64_e32 v[88:89], v[88:89], v[78:79]
	v_fma_f64 v[78:79], -v[86:87], v[88:89], 1.0
	v_fmac_f64_e32 v[88:89], v[88:89], v[78:79]
	v_div_scale_f64 v[78:79], vcc, v[80:81], v[102:103], v[80:81]
	v_mul_f64 v[108:109], v[78:79], v[88:89]
	v_fma_f64 v[78:79], -v[86:87], v[108:109], v[78:79]
	v_add_f64 v[76:77], v[92:93], 0.5
	s_nop 0
	v_div_fmas_f64 v[78:79], v[78:79], v[88:89], v[108:109]
	v_div_fixup_f64 v[78:79], v[78:79], v[102:103], v[80:81]
	v_frexp_mant_f64_e32 v[80:81], v[78:79]
	v_cmp_gt_f64_e32 vcc, s[28:29], v[80:81]
	v_cndmask_b32_e64 v61, v29, 2.0, vcc
	v_frexp_exp_i32_f64_e32 v86, v[78:79]
	v_mul_f64 v[80:81], v[80:81], v[60:61]
	v_subbrev_co_u32_e32 v61, vcc, 0, v86, vcc
	v_add_f64 v[86:87], v[80:81], 1.0
	v_rcp_f64_e32 v[88:89], v[86:87]
	v_add_f64 v[108:109], v[86:87], -1.0
	v_add_f64 v[102:103], v[80:81], -1.0
	v_add_f64 v[80:81], v[80:81], -v[108:109]
	v_fma_f64 v[108:109], -v[86:87], v[88:89], 1.0
	v_fmac_f64_e32 v[88:89], v[108:109], v[88:89]
	v_fma_f64 v[108:109], -v[86:87], v[88:89], 1.0
	v_fmac_f64_e32 v[88:89], v[108:109], v[88:89]
	v_mul_f64 v[108:109], v[102:103], v[88:89]
	v_mul_f64 v[110:111], v[86:87], v[108:109]
	v_fma_f64 v[86:87], v[108:109], v[86:87], -v[110:111]
	v_fmac_f64_e32 v[86:87], v[108:109], v[80:81]
	v_add_f64 v[80:81], v[110:111], v[86:87]
	v_add_f64 v[112:113], v[102:103], -v[80:81]
	v_add_f64 v[110:111], v[80:81], -v[110:111]
	;; [unrolled: 1-line block ×5, first 2 shown]
	v_add_f64 v[80:81], v[86:87], v[80:81]
	v_add_f64 v[80:81], v[112:113], v[80:81]
	v_mul_f64 v[80:81], v[88:89], v[80:81]
	v_add_f64 v[86:87], v[108:109], v[80:81]
	v_add_f64 v[88:89], v[86:87], -v[108:109]
	v_add_f64 v[80:81], v[80:81], -v[88:89]
	v_mul_f64 v[88:89], v[86:87], v[86:87]
	v_fma_f64 v[102:103], s[34:35], v[88:89], v[104:105]
	v_fma_f64 v[102:103], v[88:89], v[102:103], s[36:37]
	;; [unrolled: 1-line block ×6, first 2 shown]
	v_ldexp_f64 v[108:109], v[86:87], 1
	v_mul_f64 v[86:87], v[86:87], v[88:89]
	v_mul_f64 v[86:87], v[86:87], v[102:103]
	v_add_f64 v[88:89], v[108:109], v[86:87]
	v_add_f64 v[102:103], v[88:89], -v[108:109]
	v_ldexp_f64 v[80:81], v[80:81], 1
	v_add_f64 v[86:87], v[86:87], -v[102:103]
	v_add_f64 v[80:81], v[80:81], v[86:87]
	v_add_f64 v[86:87], v[88:89], v[80:81]
	v_add_f64 v[88:89], v[86:87], -v[88:89]
	v_add_f64 v[80:81], v[80:81], -v[88:89]
	v_cvt_f64_i32_e32 v[88:89], v61
	v_mul_f64 v[102:103], v[88:89], s[46:47]
	v_fma_f64 v[108:109], v[88:89], s[46:47], -v[102:103]
	v_fmac_f64_e32 v[108:109], s[48:49], v[88:89]
	v_add_f64 v[88:89], v[102:103], v[108:109]
	v_add_f64 v[102:103], v[88:89], -v[102:103]
	v_add_f64 v[102:103], v[108:109], -v[102:103]
	v_add_f64 v[108:109], v[88:89], v[86:87]
	v_add_f64 v[110:111], v[108:109], -v[88:89]
	v_add_f64 v[112:113], v[108:109], -v[110:111]
	;; [unrolled: 1-line block ×4, first 2 shown]
	v_add_f64 v[86:87], v[86:87], v[88:89]
	v_add_f64 v[88:89], v[102:103], v[80:81]
	v_add_f64 v[110:111], v[88:89], -v[102:103]
	v_add_f64 v[112:113], v[88:89], -v[110:111]
	v_add_f64 v[86:87], v[88:89], v[86:87]
	v_add_f64 v[102:103], v[102:103], -v[112:113]
	v_add_f64 v[80:81], v[80:81], -v[110:111]
	v_add_f64 v[88:89], v[108:109], v[86:87]
	v_add_f64 v[80:81], v[80:81], v[102:103]
	v_add_f64 v[102:103], v[88:89], -v[108:109]
	v_add_f64 v[86:87], v[86:87], -v[102:103]
	v_add_f64 v[80:81], v[80:81], v[86:87]
	v_add_f64 v[80:81], v[88:89], v[80:81]
	v_cmp_class_f64_e64 vcc, v[78:79], s80
	v_cndmask_b32_e32 v61, v80, v78, vcc
	v_cndmask_b32_e32 v80, v81, v79, vcc
	v_cmp_ngt_f64_e32 vcc, 0, v[78:79]
	v_cndmask_b32_e32 v81, v32, v80, vcc
	v_cmp_nge_f64_e32 vcc, 0, v[78:79]
	v_cndmask_b32_e32 v80, 0, v61, vcc
	v_cmp_neq_f64_e32 vcc, 0, v[78:79]
	v_cndmask_b32_e32 v81, v39, v81, vcc
	v_fmac_f64_e32 v[106:107], v[76:77], v[80:81]
	buffer_load_dword v76, off, s[88:91], 0 offset:8 ; 4-byte Folded Reload
	buffer_load_dword v77, off, s[88:91], 0 offset:12 ; 4-byte Folded Reload
	v_mul_f64 v[86:87], v[98:99], v[98:99]
	v_div_scale_f64 v[88:89], s[74:75], v[86:87], v[86:87], v[70:71]
	v_rcp_f64_e32 v[98:99], v[88:89]
	v_add_f64 v[36:37], v[106:107], v[36:37]
	v_add_f64 v[36:37], v[36:37], v[40:41]
	v_add_f64 v[36:37], v[36:37], -v[100:101]
	s_waitcnt vmcnt(0)
	v_mul_f64 v[34:35], v[76:77], v[34:35]
	v_fma_f64 v[76:77], -v[88:89], v[98:99], 1.0
	v_fmac_f64_e32 v[98:99], v[98:99], v[76:77]
	v_fma_f64 v[76:77], -v[88:89], v[98:99], 1.0
	v_fmac_f64_e32 v[98:99], v[98:99], v[76:77]
	v_div_scale_f64 v[76:77], vcc, v[70:71], v[86:87], v[70:71]
	v_mul_f64 v[78:79], v[76:77], v[98:99]
	v_fma_f64 v[76:77], -v[88:89], v[78:79], v[76:77]
	s_nop 1
	v_div_fmas_f64 v[76:77], v[76:77], v[98:99], v[78:79]
	v_div_fixup_f64 v[76:77], v[76:77], v[86:87], v[70:71]
	v_add_f64 v[76:77], v[66:67], v[76:77]
	v_div_scale_f64 v[78:79], s[74:75], v[76:77], v[76:77], v[34:35]
	v_rcp_f64_e32 v[80:81], v[78:79]
	v_fma_f64 v[40:41], -v[78:79], v[80:81], 1.0
	v_fmac_f64_e32 v[80:81], v[80:81], v[40:41]
	v_fma_f64 v[40:41], -v[78:79], v[80:81], 1.0
	v_fmac_f64_e32 v[80:81], v[80:81], v[40:41]
	v_div_scale_f64 v[40:41], vcc, v[34:35], v[76:77], v[34:35]
	v_mul_f64 v[86:87], v[40:41], v[80:81]
	v_fma_f64 v[40:41], -v[78:79], v[86:87], v[40:41]
	s_nop 1
	v_div_fmas_f64 v[40:41], v[40:41], v[80:81], v[86:87]
	v_div_fixup_f64 v[34:35], v[40:41], v[76:77], v[34:35]
	v_frexp_mant_f64_e32 v[40:41], v[34:35]
	v_cmp_gt_f64_e32 vcc, s[28:29], v[40:41]
	v_cndmask_b32_e64 v61, v29, 2.0, vcc
	v_frexp_exp_i32_f64_e32 v76, v[34:35]
	v_mul_f64 v[40:41], v[40:41], v[60:61]
	v_subbrev_co_u32_e32 v61, vcc, 0, v76, vcc
	v_add_f64 v[76:77], v[40:41], 1.0
	v_rcp_f64_e32 v[78:79], v[76:77]
	v_add_f64 v[86:87], v[76:77], -1.0
	v_add_f64 v[80:81], v[40:41], -1.0
	v_add_f64 v[40:41], v[40:41], -v[86:87]
	v_fma_f64 v[86:87], -v[76:77], v[78:79], 1.0
	v_fmac_f64_e32 v[78:79], v[86:87], v[78:79]
	v_fma_f64 v[86:87], -v[76:77], v[78:79], 1.0
	v_fmac_f64_e32 v[78:79], v[86:87], v[78:79]
	v_mul_f64 v[86:87], v[80:81], v[78:79]
	v_mul_f64 v[88:89], v[76:77], v[86:87]
	v_fma_f64 v[76:77], v[86:87], v[76:77], -v[88:89]
	v_fmac_f64_e32 v[76:77], v[86:87], v[40:41]
	v_add_f64 v[40:41], v[88:89], v[76:77]
	v_add_f64 v[98:99], v[80:81], -v[40:41]
	v_add_f64 v[88:89], v[40:41], -v[88:89]
	;; [unrolled: 1-line block ×5, first 2 shown]
	v_add_f64 v[40:41], v[76:77], v[40:41]
	v_add_f64 v[40:41], v[98:99], v[40:41]
	v_mul_f64 v[40:41], v[78:79], v[40:41]
	v_add_f64 v[76:77], v[86:87], v[40:41]
	v_add_f64 v[78:79], v[76:77], -v[86:87]
	v_add_f64 v[40:41], v[40:41], -v[78:79]
	v_mul_f64 v[78:79], v[76:77], v[76:77]
	v_fmac_f64_e32 v[104:105], s[34:35], v[78:79]
	v_fma_f64 v[80:81], v[78:79], v[104:105], s[36:37]
	v_fma_f64 v[80:81], v[78:79], v[80:81], s[38:39]
	;; [unrolled: 1-line block ×5, first 2 shown]
	v_ldexp_f64 v[86:87], v[76:77], 1
	v_mul_f64 v[76:77], v[76:77], v[78:79]
	v_mul_f64 v[76:77], v[76:77], v[80:81]
	v_add_f64 v[78:79], v[86:87], v[76:77]
	v_add_f64 v[80:81], v[78:79], -v[86:87]
	v_ldexp_f64 v[40:41], v[40:41], 1
	v_add_f64 v[76:77], v[76:77], -v[80:81]
	v_add_f64 v[40:41], v[40:41], v[76:77]
	v_add_f64 v[76:77], v[78:79], v[40:41]
	v_add_f64 v[78:79], v[76:77], -v[78:79]
	v_add_f64 v[40:41], v[40:41], -v[78:79]
	v_cvt_f64_i32_e32 v[78:79], v61
	v_mul_f64 v[80:81], v[78:79], s[46:47]
	v_fma_f64 v[86:87], v[78:79], s[46:47], -v[80:81]
	v_fmac_f64_e32 v[86:87], s[48:49], v[78:79]
	v_add_f64 v[78:79], v[80:81], v[86:87]
	v_add_f64 v[80:81], v[78:79], -v[80:81]
	v_add_f64 v[80:81], v[86:87], -v[80:81]
	v_add_f64 v[86:87], v[78:79], v[76:77]
	v_add_f64 v[88:89], v[86:87], -v[78:79]
	v_add_f64 v[98:99], v[86:87], -v[88:89]
	;; [unrolled: 1-line block ×4, first 2 shown]
	v_add_f64 v[76:77], v[76:77], v[78:79]
	v_add_f64 v[78:79], v[80:81], v[40:41]
	v_add_f64 v[88:89], v[78:79], -v[80:81]
	v_add_f64 v[98:99], v[78:79], -v[88:89]
	v_add_f64 v[76:77], v[78:79], v[76:77]
	v_add_f64 v[80:81], v[80:81], -v[98:99]
	v_add_f64 v[40:41], v[40:41], -v[88:89]
	v_add_f64 v[78:79], v[86:87], v[76:77]
	v_add_f64 v[40:41], v[40:41], v[80:81]
	v_add_f64 v[80:81], v[78:79], -v[86:87]
	v_add_f64 v[76:77], v[76:77], -v[80:81]
	v_add_f64 v[40:41], v[40:41], v[76:77]
	v_add_f64 v[40:41], v[78:79], v[40:41]
	v_cmp_class_f64_e64 vcc, v[34:35], s80
	v_cndmask_b32_e32 v40, v40, v34, vcc
	v_cndmask_b32_e32 v41, v41, v35, vcc
	v_cmp_ngt_f64_e32 vcc, 0, v[34:35]
	v_cndmask_b32_e32 v41, v32, v41, vcc
	v_cmp_nge_f64_e32 vcc, 0, v[34:35]
	v_cndmask_b32_e32 v40, 0, v40, vcc
	v_cmp_neq_f64_e32 vcc, 0, v[34:35]
	v_cndmask_b32_e32 v41, v39, v41, vcc
	v_add_f64 v[34:35], v[36:37], -v[42:43]
	v_cmp_le_f64_e32 vcc, v[40:41], v[34:35]
	s_orn2_b64 s[74:75], vcc, exec
.LBB101_52:                             ;   in Loop: Header=BB101_53 Depth=2
	s_or_b64 exec, exec, s[4:5]
	s_and_b64 s[4:5], exec, s[74:75]
	v_pk_mov_b32 v[36:37], v[24:25], v[24:25] op_sel:[0,1]
	s_or_b64 s[72:73], s[4:5], s[72:73]
	s_mov_b64 s[74:75], 0
	v_mov_b32_e32 v100, v44
	v_pk_mov_b32 v[34:35], v[22:23], v[22:23] op_sel:[0,1]
	s_andn2_b64 exec, exec, s[72:73]
	s_cbranch_execz .LBB101_71
.LBB101_53:                             ;   Parent Loop BB101_14 Depth=1
                                        ; =>  This Inner Loop Header: Depth=2
	v_add_u32_e32 v61, 1, v100
	v_pk_mov_b32 v[42:43], v[36:37], v[36:37] op_sel:[0,1]
	v_cmp_eq_u32_e32 vcc, 4, v61
	v_pk_mov_b32 v[40:41], v[34:35], v[34:35] op_sel:[0,1]
	s_and_saveexec_b64 s[4:5], vcc
	s_cbranch_execz .LBB101_55
; %bb.54:                               ;   in Loop: Header=BB101_53 Depth=2
	v_add_co_u32_e32 v4, vcc, 1, v4
	v_cndmask_b32_e64 v12, 0, 1, vcc
	v_addc_co_u32_e32 v1, vcc, 0, v1, vcc
	v_cmp_eq_u32_e32 vcc, 0, v1
	v_cndmask_b32_e32 v12, 0, v12, vcc
	v_add_u32_e32 v2, v12, v2
	v_cmp_eq_u32_e32 vcc, 0, v2
	v_cndmask_b32_e32 v12, 0, v12, vcc
	v_add_u32_e32 v3, v12, v3
	v_mad_u64_u32 v[12:13], s[84:85], v4, s78, 0
	v_mad_u64_u32 v[14:15], s[84:85], v2, s79, 0
	v_xor_b32_e32 v15, v15, v68
	v_xor_b32_e32 v13, v13, v69
	v_xor_b32_e32 v15, v1, v15
	v_xor_b32_e32 v13, v3, v13
	v_mad_u64_u32 v[22:23], s[84:85], v15, s78, 0
	v_mad_u64_u32 v[24:25], s[84:85], v13, s79, 0
	v_xor_b32_e32 v13, v25, v14
	v_xor_b32_e32 v12, v23, v12
	v_xor_b32_e32 v13, v117, v13
	v_xor_b32_e32 v14, v118, v12
	;; [unrolled: 6-line block ×9, first 2 shown]
	v_mad_u64_u32 v[22:23], s[84:85], v13, s78, 0
	v_mad_u64_u32 v[24:25], s[84:85], v15, s79, 0
	v_xor_b32_e32 v13, v23, v14
	v_xor_b32_e32 v12, v25, v12
	v_xor_b32_e32 v14, v116, v13
	v_mov_b32_e32 v15, v22
	v_xor_b32_e32 v12, v115, v12
	v_mov_b32_e32 v13, v24
	v_pk_mov_b32 v[42:43], v[14:15], v[14:15] op_sel:[0,1]
	v_mov_b32_e32 v61, 0
	v_pk_mov_b32 v[40:41], v[12:13], v[12:13] op_sel:[0,1]
.LBB101_55:                             ;   in Loop: Header=BB101_53 Depth=2
	s_or_b64 exec, exec, s[4:5]
	v_add_u32_e32 v44, 1, v61
	v_pk_mov_b32 v[22:23], v[40:41], v[40:41] op_sel:[0,1]
	v_cmp_eq_u32_e32 vcc, 4, v44
	v_pk_mov_b32 v[24:25], v[42:43], v[42:43] op_sel:[0,1]
	s_and_saveexec_b64 s[4:5], vcc
	s_cbranch_execz .LBB101_57
; %bb.56:                               ;   in Loop: Header=BB101_53 Depth=2
	v_add_co_u32_e32 v4, vcc, 1, v4
	v_cndmask_b32_e64 v12, 0, 1, vcc
	v_addc_co_u32_e32 v1, vcc, 0, v1, vcc
	v_cmp_eq_u32_e32 vcc, 0, v1
	v_cndmask_b32_e32 v12, 0, v12, vcc
	v_add_u32_e32 v2, v12, v2
	v_cmp_eq_u32_e32 vcc, 0, v2
	v_cndmask_b32_e32 v12, 0, v12, vcc
	v_add_u32_e32 v3, v12, v3
	v_mad_u64_u32 v[12:13], s[84:85], v4, s78, 0
	v_mad_u64_u32 v[14:15], s[84:85], v2, s79, 0
	v_xor_b32_e32 v15, v15, v68
	v_xor_b32_e32 v13, v13, v69
	v_xor_b32_e32 v15, v1, v15
	v_xor_b32_e32 v13, v3, v13
	v_mad_u64_u32 v[22:23], s[84:85], v15, s78, 0
	v_mad_u64_u32 v[24:25], s[84:85], v13, s79, 0
	v_xor_b32_e32 v13, v25, v14
	v_xor_b32_e32 v12, v23, v12
	v_xor_b32_e32 v13, v117, v13
	v_xor_b32_e32 v14, v118, v12
	;; [unrolled: 6-line block ×9, first 2 shown]
	v_mad_u64_u32 v[22:23], s[84:85], v13, s78, 0
	v_mad_u64_u32 v[24:25], s[84:85], v15, s79, 0
	v_xor_b32_e32 v13, v23, v14
	v_xor_b32_e32 v12, v25, v12
	;; [unrolled: 1-line block ×3, first 2 shown]
	v_mov_b32_e32 v15, v22
	v_xor_b32_e32 v12, v115, v12
	v_mov_b32_e32 v13, v24
	v_pk_mov_b32 v[24:25], v[14:15], v[14:15] op_sel:[0,1]
	v_mov_b32_e32 v44, 0
	v_pk_mov_b32 v[22:23], v[12:13], v[12:13] op_sel:[0,1]
.LBB101_57:                             ;   in Loop: Header=BB101_53 Depth=2
	s_or_b64 exec, exec, s[4:5]
	v_cmp_eq_u32_e32 vcc, 1, v100
	v_cndmask_b32_e32 v34, v34, v35, vcc
	v_cmp_eq_u32_e32 vcc, 2, v100
	v_cndmask_b32_e32 v34, v34, v36, vcc
	;; [unrolled: 2-line block ×3, first 2 shown]
	v_and_b32_e32 v34, 0xffffff, v34
	v_cvt_f32_u32_e32 v34, v34
	v_mul_f32_e32 v34, 0x33800000, v34
	v_cvt_f64_f32_e32 v[34:35], v34
	v_add_f64 v[34:35], v[34:35], -0.5
	v_add_f64 v[98:99], -|v[34:35]|, 0.5
	v_div_scale_f64 v[36:37], s[4:5], v[98:99], v[98:99], v[82:83]
	v_rcp_f64_e32 v[92:93], v[36:37]
	v_div_scale_f64 v[100:101], vcc, v[82:83], v[98:99], v[82:83]
	v_fma_f64 v[102:103], -v[36:37], v[92:93], 1.0
	v_fmac_f64_e32 v[92:93], v[92:93], v[102:103]
	v_fma_f64 v[102:103], -v[36:37], v[92:93], 1.0
	v_fmac_f64_e32 v[92:93], v[92:93], v[102:103]
	v_mul_f64 v[102:103], v[100:101], v[92:93]
	v_fma_f64 v[36:37], -v[36:37], v[102:103], v[100:101]
	v_div_fmas_f64 v[36:37], v[36:37], v[92:93], v[102:103]
	v_div_fixup_f64 v[36:37], v[36:37], v[98:99], v[82:83]
	v_add_f64 v[36:37], v[66:67], v[36:37]
	v_fma_f64 v[34:35], v[34:35], v[36:37], v[72:73]
	v_floor_f64_e32 v[92:93], v[34:35]
	v_cmp_ngt_f64_e32 vcc, 0, v[92:93]
	v_cmp_ngt_f64_e64 s[4:5], v[92:93], v[62:63]
	s_and_b64 s[4:5], vcc, s[4:5]
	s_and_b64 s[4:5], exec, s[4:5]
	v_pk_mov_b32 v[36:37], v[24:25], v[24:25] op_sel:[0,1]
	s_or_b64 s[74:75], s[4:5], s[74:75]
	v_mov_b32_e32 v100, v44
	v_pk_mov_b32 v[34:35], v[22:23], v[22:23] op_sel:[0,1]
	s_andn2_b64 exec, exec, s[74:75]
	s_cbranch_execnz .LBB101_53
; %bb.58:                               ;   in Loop: Header=BB101_53 Depth=2
	s_or_b64 exec, exec, s[74:75]
	v_cmp_eq_u32_e32 vcc, 1, v61
	v_cndmask_b32_e32 v34, v40, v41, vcc
	v_cmp_eq_u32_e32 vcc, 2, v61
	v_cndmask_b32_e32 v34, v34, v42, vcc
	;; [unrolled: 2-line block ×3, first 2 shown]
	v_and_b32_e32 v34, 0xffffff, v34
	v_cvt_f32_u32_e32 v34, v34
	v_cmp_nle_f64_e32 vcc, s[58:59], v[98:99]
	s_mov_b64 s[74:75], -1
	v_mul_f32_e32 v34, 0x33800000, v34
	v_cvt_f64_f32_e32 v[34:35], v34
	v_cmp_nge_f64_e64 s[4:5], v[74:75], v[34:35]
	s_or_b64 s[84:85], vcc, s[4:5]
	s_and_saveexec_b64 s[4:5], s[84:85]
	s_cbranch_execz .LBB101_52
; %bb.59:                               ;   in Loop: Header=BB101_53 Depth=2
	buffer_load_dword v36, off, s[88:91], 0 offset:24 ; 4-byte Folded Reload
	buffer_load_dword v37, off, s[88:91], 0 offset:28 ; 4-byte Folded Reload
	s_and_saveexec_b64 s[74:75], s[0:1]
	s_cbranch_execz .LBB101_61
; %bb.60:                               ;   in Loop: Header=BB101_53 Depth=2
	global_load_dwordx2 v[36:37], v[90:91], off
.LBB101_61:                             ;   in Loop: Header=BB101_53 Depth=2
	s_or_b64 exec, exec, s[74:75]
	v_pk_mov_b32 v[40:41], v[94:95], v[94:95] op_sel:[0,1]
	s_and_saveexec_b64 s[74:75], s[2:3]
	s_cbranch_execz .LBB101_63
; %bb.62:                               ;   in Loop: Header=BB101_53 Depth=2
	global_load_dwordx2 v[40:41], v[96:97], off
.LBB101_63:                             ;   in Loop: Header=BB101_53 Depth=2
	s_or_b64 exec, exec, s[74:75]
	v_add_f64 v[102:103], v[92:93], 1.0
	v_cmp_ngt_f64_e32 vcc, s[8:9], v[92:93]
                                        ; implicit-def: $vgpr100_vgpr101
	s_and_saveexec_b64 s[74:75], vcc
	s_xor_b64 s[74:75], exec, s[74:75]
	s_cbranch_execz .LBB101_65
; %bb.64:                               ;   in Loop: Header=BB101_53 Depth=2
	v_mul_f64 v[42:43], v[102:103], v[102:103]
	v_div_scale_f64 v[100:101], s[84:85], v[42:43], v[42:43], s[52:53]
	v_rcp_f64_e32 v[104:105], v[100:101]
	v_div_scale_f64 v[106:107], vcc, s[52:53], v[42:43], s[52:53]
	s_mov_b32 s56, s28
	v_fma_f64 v[108:109], -v[100:101], v[104:105], 1.0
	v_fmac_f64_e32 v[104:105], v[104:105], v[108:109]
	v_fma_f64 v[108:109], -v[100:101], v[104:105], 1.0
	v_fmac_f64_e32 v[104:105], v[104:105], v[108:109]
	v_mul_f64 v[108:109], v[106:107], v[104:105]
	v_fma_f64 v[100:101], -v[100:101], v[108:109], v[106:107]
	v_div_fmas_f64 v[100:101], v[100:101], v[104:105], v[108:109]
	v_div_fixup_f64 v[100:101], v[100:101], v[42:43], s[52:53]
	v_add_f64 v[100:101], v[100:101], s[54:55]
	v_div_scale_f64 v[104:105], s[84:85], v[42:43], v[42:43], v[100:101]
	v_rcp_f64_e32 v[106:107], v[104:105]
	v_fma_f64 v[108:109], -v[104:105], v[106:107], 1.0
	v_fmac_f64_e32 v[106:107], v[106:107], v[108:109]
	v_fma_f64 v[108:109], -v[104:105], v[106:107], 1.0
	v_fmac_f64_e32 v[106:107], v[106:107], v[108:109]
	v_div_scale_f64 v[108:109], vcc, v[100:101], v[42:43], v[100:101]
	v_mul_f64 v[110:111], v[108:109], v[106:107]
	v_fma_f64 v[104:105], -v[104:105], v[110:111], v[108:109]
	s_nop 1
	v_div_fmas_f64 v[104:105], v[104:105], v[106:107], v[110:111]
	v_div_fixup_f64 v[42:43], v[104:105], v[42:43], v[100:101]
	v_add_f64 v[42:43], -v[42:43], s[56:57]
	v_div_scale_f64 v[100:101], s[84:85], v[102:103], v[102:103], v[42:43]
	v_rcp_f64_e32 v[104:105], v[100:101]
	v_fma_f64 v[106:107], -v[100:101], v[104:105], 1.0
	v_fmac_f64_e32 v[104:105], v[104:105], v[106:107]
	v_fma_f64 v[106:107], -v[100:101], v[104:105], 1.0
	v_fmac_f64_e32 v[104:105], v[104:105], v[106:107]
	v_div_scale_f64 v[106:107], vcc, v[42:43], v[102:103], v[42:43]
	v_mul_f64 v[108:109], v[106:107], v[104:105]
	v_fma_f64 v[100:101], -v[100:101], v[108:109], v[106:107]
	s_nop 1
	v_div_fmas_f64 v[100:101], v[100:101], v[104:105], v[108:109]
	v_div_fixup_f64 v[100:101], v[100:101], v[102:103], v[42:43]
.LBB101_65:                             ;   in Loop: Header=BB101_53 Depth=2
	s_andn2_saveexec_b64 s[74:75], s[74:75]
	s_cbranch_execz .LBB101_67
; %bb.66:                               ;   in Loop: Header=BB101_53 Depth=2
	v_trunc_f64_e32 v[42:43], v[92:93]
	v_ldexp_f64 v[100:101], v[42:43], s81
	v_floor_f64_e32 v[100:101], v[100:101]
	v_fmac_f64_e32 v[42:43], 0xc1f00000, v[100:101]
	v_cvt_u32_f64_e32 v105, v[100:101]
	v_cvt_u32_f64_e32 v104, v[42:43]
	v_lshlrev_b64 v[42:43], 3, v[104:105]
	s_getpc_b64 s[84:85]
	s_add_u32 s84, s84, _ZZN12_GLOBAL__N_120stirling_approx_tailIdEET_S1_E11kTailValues.const@rel32@lo+4
	s_addc_u32 s85, s85, _ZZN12_GLOBAL__N_120stirling_approx_tailIdEET_S1_E11kTailValues.const@rel32@hi+12
	v_mov_b32_e32 v61, s85
	v_add_co_u32_e32 v42, vcc, s84, v42
	v_addc_co_u32_e32 v43, vcc, v43, v61, vcc
	global_load_dwordx2 v[100:101], v[42:43], off
.LBB101_67:                             ;   in Loop: Header=BB101_53 Depth=2
	s_or_b64 exec, exec, s[74:75]
	v_add_f64 v[104:105], v[62:63], -v[92:93]
	v_add_f64 v[106:107], v[104:105], 1.0
	v_cmp_ngt_f64_e32 vcc, s[8:9], v[104:105]
                                        ; implicit-def: $vgpr42_vgpr43
	s_and_saveexec_b64 s[74:75], vcc
	s_xor_b64 s[74:75], exec, s[74:75]
	s_cbranch_execz .LBB101_69
; %bb.68:                               ;   in Loop: Header=BB101_53 Depth=2
	v_mul_f64 v[42:43], v[106:107], v[106:107]
	v_div_scale_f64 v[104:105], s[84:85], v[42:43], v[42:43], s[52:53]
	v_rcp_f64_e32 v[108:109], v[104:105]
	v_div_scale_f64 v[110:111], vcc, s[52:53], v[42:43], s[52:53]
	s_mov_b32 s56, s28
	v_fma_f64 v[112:113], -v[104:105], v[108:109], 1.0
	v_fmac_f64_e32 v[108:109], v[108:109], v[112:113]
	v_fma_f64 v[112:113], -v[104:105], v[108:109], 1.0
	v_fmac_f64_e32 v[108:109], v[108:109], v[112:113]
	v_mul_f64 v[112:113], v[110:111], v[108:109]
	v_fma_f64 v[104:105], -v[104:105], v[112:113], v[110:111]
	v_div_fmas_f64 v[104:105], v[104:105], v[108:109], v[112:113]
	v_div_fixup_f64 v[104:105], v[104:105], v[42:43], s[52:53]
	v_add_f64 v[104:105], v[104:105], s[54:55]
	v_div_scale_f64 v[108:109], s[84:85], v[42:43], v[42:43], v[104:105]
	v_rcp_f64_e32 v[110:111], v[108:109]
	v_fma_f64 v[112:113], -v[108:109], v[110:111], 1.0
	v_fmac_f64_e32 v[110:111], v[110:111], v[112:113]
	v_fma_f64 v[112:113], -v[108:109], v[110:111], 1.0
	v_fmac_f64_e32 v[110:111], v[110:111], v[112:113]
	v_div_scale_f64 v[112:113], vcc, v[104:105], v[42:43], v[104:105]
	v_mul_f64 v[78:79], v[112:113], v[110:111]
	v_fma_f64 v[108:109], -v[108:109], v[78:79], v[112:113]
	s_nop 1
	v_div_fmas_f64 v[78:79], v[108:109], v[110:111], v[78:79]
	v_div_fixup_f64 v[42:43], v[78:79], v[42:43], v[104:105]
	v_add_f64 v[42:43], -v[42:43], s[56:57]
	v_div_scale_f64 v[78:79], s[84:85], v[106:107], v[106:107], v[42:43]
	v_rcp_f64_e32 v[104:105], v[78:79]
	v_fma_f64 v[108:109], -v[78:79], v[104:105], 1.0
	v_fmac_f64_e32 v[104:105], v[104:105], v[108:109]
	v_fma_f64 v[108:109], -v[78:79], v[104:105], 1.0
	v_fmac_f64_e32 v[104:105], v[104:105], v[108:109]
	v_div_scale_f64 v[108:109], vcc, v[42:43], v[106:107], v[42:43]
	v_mul_f64 v[110:111], v[108:109], v[104:105]
	v_fma_f64 v[78:79], -v[78:79], v[110:111], v[108:109]
	s_nop 1
	v_div_fmas_f64 v[78:79], v[78:79], v[104:105], v[110:111]
	v_div_fixup_f64 v[42:43], v[78:79], v[106:107], v[42:43]
                                        ; implicit-def: $vgpr104_vgpr105
.LBB101_69:                             ;   in Loop: Header=BB101_53 Depth=2
	s_andn2_saveexec_b64 s[74:75], s[74:75]
	s_cbranch_execz .LBB101_51
; %bb.70:                               ;   in Loop: Header=BB101_53 Depth=2
	v_trunc_f64_e32 v[42:43], v[104:105]
	v_ldexp_f64 v[104:105], v[42:43], s81
	v_floor_f64_e32 v[104:105], v[104:105]
	v_fmac_f64_e32 v[42:43], 0xc1f00000, v[104:105]
	v_cvt_u32_f64_e32 v109, v[104:105]
	v_cvt_u32_f64_e32 v108, v[42:43]
	v_lshlrev_b64 v[42:43], 3, v[108:109]
	s_getpc_b64 s[84:85]
	s_add_u32 s84, s84, _ZZN12_GLOBAL__N_120stirling_approx_tailIdEET_S1_E11kTailValues.const@rel32@lo+4
	s_addc_u32 s85, s85, _ZZN12_GLOBAL__N_120stirling_approx_tailIdEET_S1_E11kTailValues.const@rel32@hi+12
	v_mov_b32_e32 v61, s85
	v_add_co_u32_e32 v42, vcc, s84, v42
	v_addc_co_u32_e32 v43, vcc, v43, v61, vcc
	global_load_dwordx2 v[42:43], v[42:43], off
	s_branch .LBB101_51
.LBB101_71:                             ;   in Loop: Header=BB101_14 Depth=1
	s_or_b64 exec, exec, s[72:73]
	buffer_load_dword v78, off, s[88:91], 0 offset:32 ; 4-byte Folded Reload
	buffer_load_dword v79, off, s[88:91], 0 offset:36 ; 4-byte Folded Reload
	;; [unrolled: 1-line block ×11, first 2 shown]
                                        ; implicit-def: $vgpr100
                                        ; implicit-def: $vgpr22_vgpr23
                                        ; implicit-def: $vgpr24_vgpr25
.LBB101_72:                             ;   in Loop: Header=BB101_14 Depth=1
	s_andn2_saveexec_b64 s[0:1], s[70:71]
	s_cbranch_execz .LBB101_9
; %bb.73:                               ;   in Loop: Header=BB101_14 Depth=1
	v_add_f64 v[34:35], v[24:25], -1.0
	v_add_f64 v[36:37], v[34:35], -v[24:25]
	v_add_f64 v[36:37], v[36:37], 1.0
	v_add_f64 v[34:35], -v[22:23], -v[34:35]
	v_add_f64 v[34:35], v[34:35], v[36:37]
	v_frexp_mant_f64_e32 v[36:37], v[24:25]
	v_frexp_exp_i32_f64_e32 v40, v[24:25]
	v_cmp_gt_f64_e32 vcc, s[28:29], v[36:37]
	v_subbrev_co_u32_e32 v61, vcc, 0, v40, vcc
	v_sub_u32_e32 v36, 0, v61
	v_ldexp_f64 v[24:25], v[24:25], v36
	v_ldexp_f64 v[34:35], v[34:35], v36
	v_add_f64 v[36:37], v[24:25], -1.0
	v_add_f64 v[66:67], v[24:25], 1.0
	v_add_f64 v[40:41], v[36:37], 1.0
	v_add_f64 v[70:71], v[66:67], -1.0
	v_add_f64 v[40:41], v[24:25], -v[40:41]
	v_add_f64 v[24:25], v[24:25], -v[70:71]
	v_add_f64 v[24:25], v[34:35], v[24:25]
	v_add_f64 v[40:41], v[34:35], v[40:41]
	;; [unrolled: 1-line block ×3, first 2 shown]
	v_rcp_f64_e32 v[70:71], v[34:35]
	v_add_f64 v[42:43], v[36:37], v[40:41]
	v_add_f64 v[36:37], v[42:43], -v[36:37]
	v_add_f64 v[36:37], v[40:41], -v[36:37]
	;; [unrolled: 1-line block ×4, first 2 shown]
	v_fma_f64 v[40:41], -v[34:35], v[70:71], 1.0
	v_fmac_f64_e32 v[70:71], v[40:41], v[70:71]
	v_fma_f64 v[40:41], -v[34:35], v[70:71], 1.0
	v_fmac_f64_e32 v[70:71], v[40:41], v[70:71]
	v_mul_f64 v[40:41], v[42:43], v[70:71]
	v_mul_f64 v[66:67], v[34:35], v[40:41]
	v_fma_f64 v[72:73], v[40:41], v[34:35], -v[66:67]
	v_fmac_f64_e32 v[72:73], v[40:41], v[24:25]
	v_add_f64 v[74:75], v[66:67], v[72:73]
	v_add_f64 v[76:77], v[42:43], -v[74:75]
	v_add_f64 v[42:43], v[42:43], -v[76:77]
	;; [unrolled: 1-line block ×4, first 2 shown]
	v_add_f64 v[36:37], v[36:37], v[42:43]
	v_add_f64 v[42:43], v[66:67], -v[72:73]
	v_add_f64 v[36:37], v[42:43], v[36:37]
	v_add_f64 v[42:43], v[76:77], v[36:37]
	v_add_f64 v[66:67], v[76:77], -v[42:43]
	v_add_f64 v[36:37], v[36:37], v[66:67]
	v_mul_f64 v[66:67], v[70:71], v[42:43]
	v_mul_f64 v[72:73], v[34:35], v[66:67]
	v_fma_f64 v[34:35], v[66:67], v[34:35], -v[72:73]
	v_fmac_f64_e32 v[34:35], v[66:67], v[24:25]
	v_add_f64 v[24:25], v[72:73], v[34:35]
	v_add_f64 v[74:75], v[42:43], -v[24:25]
	v_add_f64 v[42:43], v[42:43], -v[74:75]
	;; [unrolled: 1-line block ×4, first 2 shown]
	v_add_f64 v[24:25], v[36:37], v[24:25]
	v_add_f64 v[34:35], v[72:73], -v[34:35]
	v_add_f64 v[24:25], v[34:35], v[24:25]
	v_add_f64 v[34:35], v[40:41], v[66:67]
	v_add_f64 v[24:25], v[74:75], v[24:25]
	v_add_f64 v[36:37], v[34:35], -v[40:41]
	v_mul_f64 v[24:25], v[70:71], v[24:25]
	v_add_f64 v[36:37], v[66:67], -v[36:37]
	v_add_f64 v[24:25], v[36:37], v[24:25]
	v_add_f64 v[36:37], v[34:35], v[24:25]
	v_add_f64 v[34:35], v[36:37], -v[34:35]
	v_add_f64 v[24:25], v[24:25], -v[34:35]
	v_mul_f64 v[34:35], v[36:37], v[36:37]
	v_pk_mov_b32 v[40:41], v[26:27], v[26:27] op_sel:[0,1]
	v_fmac_f64_e32 v[40:41], s[34:35], v[34:35]
	v_pk_mov_b32 v[42:43], v[30:31], v[30:31] op_sel:[0,1]
	v_fmac_f64_e32 v[42:43], v[34:35], v[40:41]
	;; [unrolled: 2-line block ×6, first 2 shown]
	v_cvt_f64_i32_e32 v[40:41], v61
	v_mul_f64 v[66:67], v[40:41], s[46:47]
	v_fma_f64 v[70:71], v[40:41], s[46:47], -v[66:67]
	v_fmac_f64_e32 v[70:71], s[48:49], v[40:41]
	v_add_f64 v[40:41], v[66:67], v[70:71]
	v_add_f64 v[66:67], v[40:41], -v[66:67]
	v_mul_f64 v[34:35], v[36:37], v[34:35]
	v_add_f64 v[66:67], v[70:71], -v[66:67]
	v_ldexp_f64 v[70:71], v[36:37], 1
	v_mul_f64 v[34:35], v[34:35], v[42:43]
	v_add_f64 v[36:37], v[70:71], v[34:35]
	v_add_f64 v[42:43], v[36:37], -v[70:71]
	v_ldexp_f64 v[24:25], v[24:25], 1
	v_add_f64 v[34:35], v[34:35], -v[42:43]
	v_add_f64 v[24:25], v[24:25], v[34:35]
	v_add_f64 v[34:35], v[36:37], v[24:25]
	v_add_f64 v[36:37], v[34:35], -v[36:37]
	v_add_f64 v[24:25], v[24:25], -v[36:37]
	v_add_f64 v[36:37], v[40:41], v[34:35]
	v_add_f64 v[42:43], v[36:37], -v[40:41]
	v_add_f64 v[70:71], v[36:37], -v[42:43]
	;; [unrolled: 1-line block ×4, first 2 shown]
	v_add_f64 v[34:35], v[34:35], v[40:41]
	v_add_f64 v[40:41], v[66:67], v[24:25]
	v_add_f64 v[42:43], v[40:41], -v[66:67]
	v_add_f64 v[34:35], v[40:41], v[34:35]
	v_add_f64 v[70:71], v[40:41], -v[42:43]
	;; [unrolled: 2-line block ×3, first 2 shown]
	v_add_f64 v[24:25], v[24:25], -v[42:43]
	v_add_f64 v[36:37], v[40:41], -v[36:37]
	v_add_f64 v[24:25], v[24:25], v[66:67]
	v_add_f64 v[34:35], v[34:35], -v[36:37]
	v_add_f64 v[24:25], v[24:25], v[34:35]
	v_xor_b32_e32 v44, 0x80000000, v23
	v_add_f64 v[24:25], v[40:41], v[24:25]
	v_cmp_eq_f64_e32 vcc, s[60:61], v[22:23]
	v_cndmask_b32_e32 v24, v24, v22, vcc
	v_cndmask_b32_e32 v25, v25, v44, vcc
	v_cmp_nlt_f64_e32 vcc, 1.0, v[22:23]
	v_cndmask_b32_e32 v25, v32, v25, vcc
	v_cmp_nle_f64_e32 vcc, 1.0, v[22:23]
	v_cndmask_b32_e32 v34, 0, v24, vcc
	v_cmp_neq_f64_e32 vcc, 1.0, v[22:23]
	v_cndmask_b32_e32 v35, v39, v25, vcc
	v_pk_mov_b32 v[40:41], 0, 0
	v_pk_mov_b32 v[24:25], v[14:15], v[14:15] op_sel:[0,1]
	s_mov_b64 s[2:3], 0
	v_pk_mov_b32 v[22:23], v[12:13], v[12:13] op_sel:[0,1]
	v_pk_mov_b32 v[36:37], v[40:41], v[40:41] op_sel:[0,1]
	s_branch .LBB101_75
.LBB101_74:                             ;   in Loop: Header=BB101_75 Depth=2
	s_or_b64 exec, exec, s[4:5]
	v_cmp_eq_u32_e32 vcc, 1, v100
	v_cndmask_b32_e32 v22, v22, v23, vcc
	v_cmp_eq_u32_e32 vcc, 2, v100
	v_cndmask_b32_e32 v22, v22, v24, vcc
	;; [unrolled: 2-line block ×3, first 2 shown]
	v_and_b32_e32 v22, 0xffffff, v22
	v_cvt_f32_u32_e32 v22, v22
	v_mov_b32_e32 v100, v44
	v_mul_f32_e32 v76, 0x33800000, v22
	v_cvt_f64_f32_e32 v[22:23], v76
	v_frexp_mant_f64_e32 v[24:25], v[22:23]
	v_cmp_gt_f64_e32 vcc, s[28:29], v[24:25]
	v_cndmask_b32_e64 v61, v29, 2.0, vcc
	v_frexp_exp_i32_f64_e32 v40, v[22:23]
	v_mul_f64 v[24:25], v[24:25], v[60:61]
	v_subbrev_co_u32_e32 v61, vcc, 0, v40, vcc
	v_add_f64 v[40:41], v[24:25], 1.0
	v_rcp_f64_e32 v[42:43], v[40:41]
	v_add_f64 v[70:71], v[40:41], -1.0
	v_add_f64 v[66:67], v[24:25], -1.0
	v_add_f64 v[24:25], v[24:25], -v[70:71]
	v_fma_f64 v[70:71], -v[40:41], v[42:43], 1.0
	v_fmac_f64_e32 v[42:43], v[70:71], v[42:43]
	v_fma_f64 v[70:71], -v[40:41], v[42:43], 1.0
	v_fmac_f64_e32 v[42:43], v[70:71], v[42:43]
	v_mul_f64 v[70:71], v[66:67], v[42:43]
	v_mul_f64 v[72:73], v[40:41], v[70:71]
	v_fma_f64 v[40:41], v[70:71], v[40:41], -v[72:73]
	v_fmac_f64_e32 v[40:41], v[70:71], v[24:25]
	v_add_f64 v[24:25], v[72:73], v[40:41]
	v_add_f64 v[74:75], v[66:67], -v[24:25]
	v_add_f64 v[72:73], v[24:25], -v[72:73]
	;; [unrolled: 1-line block ×5, first 2 shown]
	v_add_f64 v[24:25], v[40:41], v[24:25]
	v_add_f64 v[24:25], v[74:75], v[24:25]
	v_mul_f64 v[24:25], v[42:43], v[24:25]
	v_add_f64 v[40:41], v[70:71], v[24:25]
	v_add_f64 v[42:43], v[40:41], -v[70:71]
	v_add_f64 v[24:25], v[24:25], -v[42:43]
	v_mul_f64 v[42:43], v[40:41], v[40:41]
	v_pk_mov_b32 v[66:67], v[26:27], v[26:27] op_sel:[0,1]
	v_fmac_f64_e32 v[66:67], s[34:35], v[42:43]
	v_pk_mov_b32 v[70:71], v[30:31], v[30:31] op_sel:[0,1]
	v_fmac_f64_e32 v[70:71], v[42:43], v[66:67]
	;; [unrolled: 2-line block ×6, first 2 shown]
	v_ldexp_f64 v[66:67], v[40:41], 1
	v_mul_f64 v[40:41], v[40:41], v[42:43]
	v_mul_f64 v[40:41], v[40:41], v[70:71]
	v_add_f64 v[42:43], v[66:67], v[40:41]
	v_add_f64 v[66:67], v[42:43], -v[66:67]
	v_ldexp_f64 v[24:25], v[24:25], 1
	v_add_f64 v[40:41], v[40:41], -v[66:67]
	v_add_f64 v[24:25], v[24:25], v[40:41]
	v_add_f64 v[40:41], v[42:43], v[24:25]
	v_add_f64 v[42:43], v[40:41], -v[42:43]
	v_add_f64 v[24:25], v[24:25], -v[42:43]
	v_cvt_f64_i32_e32 v[42:43], v61
	v_mul_f64 v[66:67], v[42:43], s[46:47]
	v_fma_f64 v[70:71], v[42:43], s[46:47], -v[66:67]
	v_fmac_f64_e32 v[70:71], s[48:49], v[42:43]
	v_add_f64 v[42:43], v[66:67], v[70:71]
	v_add_f64 v[66:67], v[42:43], -v[66:67]
	v_add_f64 v[66:67], v[70:71], -v[66:67]
	v_add_f64 v[70:71], v[42:43], v[40:41]
	v_add_f64 v[72:73], v[70:71], -v[42:43]
	v_add_f64 v[74:75], v[70:71], -v[72:73]
	;; [unrolled: 1-line block ×4, first 2 shown]
	v_add_f64 v[40:41], v[40:41], v[42:43]
	v_add_f64 v[42:43], v[66:67], v[24:25]
	v_add_f64 v[72:73], v[42:43], -v[66:67]
	v_add_f64 v[74:75], v[42:43], -v[72:73]
	v_add_f64 v[40:41], v[42:43], v[40:41]
	v_add_f64 v[66:67], v[66:67], -v[74:75]
	v_add_f64 v[24:25], v[24:25], -v[72:73]
	v_add_f64 v[42:43], v[70:71], v[40:41]
	v_add_f64 v[24:25], v[24:25], v[66:67]
	v_add_f64 v[66:67], v[42:43], -v[70:71]
	v_add_f64 v[40:41], v[40:41], -v[66:67]
	v_add_f64 v[24:25], v[24:25], v[40:41]
	v_add_f64 v[24:25], v[42:43], v[24:25]
	v_cmp_eq_f32_e32 vcc, s82, v76
	v_cndmask_b32_e32 v22, v24, v22, vcc
	v_cndmask_b32_e32 v23, v25, v23, vcc
	v_cmp_neq_f32_e32 vcc, 0, v76
	v_cndmask_b32_e32 v23, v39, v23, vcc
	v_cndmask_b32_e32 v22, 0, v22, vcc
	v_div_scale_f64 v[24:25], s[4:5], v[34:35], v[34:35], v[22:23]
	v_rcp_f64_e32 v[40:41], v[24:25]
	v_fma_f64 v[42:43], -v[24:25], v[40:41], 1.0
	v_fmac_f64_e32 v[40:41], v[40:41], v[42:43]
	v_fma_f64 v[42:43], -v[24:25], v[40:41], 1.0
	v_fmac_f64_e32 v[40:41], v[40:41], v[42:43]
	v_div_scale_f64 v[42:43], vcc, v[22:23], v[34:35], v[22:23]
	v_mul_f64 v[66:67], v[42:43], v[40:41]
	v_fma_f64 v[24:25], -v[24:25], v[66:67], v[42:43]
	s_nop 1
	v_div_fmas_f64 v[24:25], v[24:25], v[40:41], v[66:67]
	v_div_fixup_f64 v[22:23], v[24:25], v[34:35], v[22:23]
	v_ceil_f64_e32 v[22:23], v[22:23]
	v_add_f64 v[36:37], v[36:37], v[22:23]
	v_cmp_gt_f64_e32 vcc, v[36:37], v[62:63]
	v_pk_mov_b32 v[24:25], v[14:15], v[14:15] op_sel:[0,1]
	v_add_f64 v[40:41], v[92:93], 1.0
	s_or_b64 s[2:3], vcc, s[2:3]
	v_pk_mov_b32 v[22:23], v[12:13], v[12:13] op_sel:[0,1]
	s_andn2_b64 exec, exec, s[2:3]
	s_cbranch_execz .LBB101_8
.LBB101_75:                             ;   Parent Loop BB101_14 Depth=1
                                        ; =>  This Inner Loop Header: Depth=2
	v_add_u32_e32 v44, 1, v100
	v_pk_mov_b32 v[92:93], v[40:41], v[40:41] op_sel:[0,1]
	v_cmp_eq_u32_e32 vcc, 4, v44
	s_and_saveexec_b64 s[4:5], vcc
	s_cbranch_execz .LBB101_74
; %bb.76:                               ;   in Loop: Header=BB101_75 Depth=2
	v_add_co_u32_e32 v4, vcc, 1, v4
	v_cndmask_b32_e64 v12, 0, 1, vcc
	v_addc_co_u32_e32 v1, vcc, 0, v1, vcc
	v_cmp_eq_u32_e32 vcc, 0, v1
	v_cndmask_b32_e32 v12, 0, v12, vcc
	v_add_u32_e32 v2, v12, v2
	v_cmp_eq_u32_e32 vcc, 0, v2
	v_cndmask_b32_e32 v12, 0, v12, vcc
	v_add_u32_e32 v3, v12, v3
	v_mad_u64_u32 v[12:13], s[70:71], v4, s78, 0
	v_mad_u64_u32 v[14:15], s[70:71], v2, s79, 0
	v_xor_b32_e32 v13, v13, v69
	v_xor_b32_e32 v15, v15, v68
	;; [unrolled: 1-line block ×4, first 2 shown]
	v_mad_u64_u32 v[42:43], s[70:71], v13, s79, 0
	v_mad_u64_u32 v[40:41], s[70:71], v15, s78, 0
	s_waitcnt vmcnt(10)
	v_xor_b32_e32 v13, v78, v43
	v_xor_b32_e32 v13, v13, v14
	s_waitcnt vmcnt(9)
	v_xor_b32_e32 v14, v79, v41
	v_xor_b32_e32 v14, v14, v12
	v_mad_u64_u32 v[12:13], s[70:71], v13, s78, 0
	v_mad_u64_u32 v[14:15], s[70:71], v14, s79, 0
	s_waitcnt vmcnt(7)
	v_xor_b32_e32 v13, v81, v13
	v_xor_b32_e32 v15, v80, v15
	;; [unrolled: 1-line block ×4, first 2 shown]
	v_mad_u64_u32 v[42:43], s[70:71], v13, s79, 0
	v_mad_u64_u32 v[40:41], s[70:71], v15, s78, 0
	s_waitcnt vmcnt(6)
	v_xor_b32_e32 v13, v82, v43
	v_xor_b32_e32 v13, v13, v14
	s_waitcnt vmcnt(5)
	v_xor_b32_e32 v14, v83, v41
	v_xor_b32_e32 v14, v14, v12
	v_mad_u64_u32 v[12:13], s[70:71], v13, s78, 0
	v_mad_u64_u32 v[14:15], s[70:71], v14, s79, 0
	s_waitcnt vmcnt(3)
	v_xor_b32_e32 v13, v85, v13
	v_xor_b32_e32 v15, v84, v15
	;; [unrolled: 1-line block ×4, first 2 shown]
	v_mad_u64_u32 v[42:43], s[70:71], v13, s79, 0
	v_mad_u64_u32 v[40:41], s[70:71], v15, s78, 0
	s_waitcnt vmcnt(2)
	v_xor_b32_e32 v13, v86, v43
	v_xor_b32_e32 v13, v13, v14
	s_waitcnt vmcnt(1)
	v_xor_b32_e32 v14, v87, v41
	v_xor_b32_e32 v14, v14, v12
	v_mad_u64_u32 v[12:13], s[70:71], v13, s78, 0
	v_mad_u64_u32 v[14:15], s[70:71], v14, s79, 0
	v_xor_b32_e32 v13, v59, v13
	s_waitcnt vmcnt(0)
	v_xor_b32_e32 v15, v90, v15
	v_xor_b32_e32 v13, v13, v40
	v_xor_b32_e32 v15, v15, v42
	v_mad_u64_u32 v[42:43], s[70:71], v13, s79, 0
	v_mad_u64_u32 v[40:41], s[70:71], v15, s78, 0
	v_xor_b32_e32 v13, v64, v43
	v_xor_b32_e32 v13, v13, v14
	v_xor_b32_e32 v14, v49, v41
	v_xor_b32_e32 v12, v14, v12
	v_mad_u64_u32 v[14:15], s[70:71], v13, s78, 0
	v_mad_u64_u32 v[12:13], s[70:71], v12, s79, 0
	v_xor_b32_e32 v13, v52, v13
	;; [unrolled: 6-line block ×3, first 2 shown]
	v_xor_b32_e32 v13, v41, v14
	v_mov_b32_e32 v44, 0
	v_xor_b32_e32 v12, v115, v12
	v_xor_b32_e32 v14, v116, v13
	v_mov_b32_e32 v13, v42
	v_mov_b32_e32 v15, v40
	s_branch .LBB101_74
.LBB101_77:
	s_endpgm
	.section	.rodata,"a",@progbits
	.p2align	6, 0x0
	.amdhsa_kernel _ZN2at6native12_GLOBAL__N_138distribution_binary_elementwise_kernelIZN12_GLOBAL__N_120binomial_cuda_kernelIdEEvRNS_18TensorIteratorBaseENS_15PhiloxCudaStateEEUlR25hiprandStatePhilox4_32_10ddE_23TrivialOffsetCalculatorILi2EjESB_ILi1EjEEEviT_S7_PN15function_traitsISE_E11result_typeEPKNSG_3argILi1EE4typeEPKNSJ_ILi2EE4typeET0_T1_
		.amdhsa_group_segment_fixed_size 0
		.amdhsa_private_segment_fixed_size 96
		.amdhsa_kernarg_size 328
		.amdhsa_user_sgpr_count 6
		.amdhsa_user_sgpr_private_segment_buffer 1
		.amdhsa_user_sgpr_dispatch_ptr 0
		.amdhsa_user_sgpr_queue_ptr 0
		.amdhsa_user_sgpr_kernarg_segment_ptr 1
		.amdhsa_user_sgpr_dispatch_id 0
		.amdhsa_user_sgpr_flat_scratch_init 0
		.amdhsa_user_sgpr_kernarg_preload_length 0
		.amdhsa_user_sgpr_kernarg_preload_offset 0
		.amdhsa_user_sgpr_private_segment_size 0
		.amdhsa_uses_dynamic_stack 0
		.amdhsa_system_sgpr_private_segment_wavefront_offset 1
		.amdhsa_system_sgpr_workgroup_id_x 1
		.amdhsa_system_sgpr_workgroup_id_y 0
		.amdhsa_system_sgpr_workgroup_id_z 0
		.amdhsa_system_sgpr_workgroup_info 0
		.amdhsa_system_vgpr_workitem_id 0
		.amdhsa_next_free_vgpr 128
		.amdhsa_next_free_sgpr 92
		.amdhsa_accum_offset 128
		.amdhsa_reserve_vcc 1
		.amdhsa_reserve_flat_scratch 0
		.amdhsa_float_round_mode_32 0
		.amdhsa_float_round_mode_16_64 0
		.amdhsa_float_denorm_mode_32 3
		.amdhsa_float_denorm_mode_16_64 3
		.amdhsa_dx10_clamp 1
		.amdhsa_ieee_mode 1
		.amdhsa_fp16_overflow 0
		.amdhsa_tg_split 0
		.amdhsa_exception_fp_ieee_invalid_op 0
		.amdhsa_exception_fp_denorm_src 0
		.amdhsa_exception_fp_ieee_div_zero 0
		.amdhsa_exception_fp_ieee_overflow 0
		.amdhsa_exception_fp_ieee_underflow 0
		.amdhsa_exception_fp_ieee_inexact 0
		.amdhsa_exception_int_div_zero 0
	.end_amdhsa_kernel
	.section	.text._ZN2at6native12_GLOBAL__N_138distribution_binary_elementwise_kernelIZN12_GLOBAL__N_120binomial_cuda_kernelIdEEvRNS_18TensorIteratorBaseENS_15PhiloxCudaStateEEUlR25hiprandStatePhilox4_32_10ddE_23TrivialOffsetCalculatorILi2EjESB_ILi1EjEEEviT_S7_PN15function_traitsISE_E11result_typeEPKNSG_3argILi1EE4typeEPKNSJ_ILi2EE4typeET0_T1_,"axG",@progbits,_ZN2at6native12_GLOBAL__N_138distribution_binary_elementwise_kernelIZN12_GLOBAL__N_120binomial_cuda_kernelIdEEvRNS_18TensorIteratorBaseENS_15PhiloxCudaStateEEUlR25hiprandStatePhilox4_32_10ddE_23TrivialOffsetCalculatorILi2EjESB_ILi1EjEEEviT_S7_PN15function_traitsISE_E11result_typeEPKNSG_3argILi1EE4typeEPKNSJ_ILi2EE4typeET0_T1_,comdat
.Lfunc_end101:
	.size	_ZN2at6native12_GLOBAL__N_138distribution_binary_elementwise_kernelIZN12_GLOBAL__N_120binomial_cuda_kernelIdEEvRNS_18TensorIteratorBaseENS_15PhiloxCudaStateEEUlR25hiprandStatePhilox4_32_10ddE_23TrivialOffsetCalculatorILi2EjESB_ILi1EjEEEviT_S7_PN15function_traitsISE_E11result_typeEPKNSG_3argILi1EE4typeEPKNSJ_ILi2EE4typeET0_T1_, .Lfunc_end101-_ZN2at6native12_GLOBAL__N_138distribution_binary_elementwise_kernelIZN12_GLOBAL__N_120binomial_cuda_kernelIdEEvRNS_18TensorIteratorBaseENS_15PhiloxCudaStateEEUlR25hiprandStatePhilox4_32_10ddE_23TrivialOffsetCalculatorILi2EjESB_ILi1EjEEEviT_S7_PN15function_traitsISE_E11result_typeEPKNSG_3argILi1EE4typeEPKNSJ_ILi2EE4typeET0_T1_
                                        ; -- End function
	.section	.AMDGPU.csdata,"",@progbits
; Kernel info:
; codeLenInByte = 19424
; NumSgprs: 96
; NumVgprs: 128
; NumAgprs: 0
; TotalNumVgprs: 128
; ScratchSize: 96
; MemoryBound: 0
; FloatMode: 240
; IeeeMode: 1
; LDSByteSize: 0 bytes/workgroup (compile time only)
; SGPRBlocks: 11
; VGPRBlocks: 15
; NumSGPRsForWavesPerEU: 96
; NumVGPRsForWavesPerEU: 128
; AccumOffset: 128
; Occupancy: 4
; WaveLimiterHint : 0
; COMPUTE_PGM_RSRC2:SCRATCH_EN: 1
; COMPUTE_PGM_RSRC2:USER_SGPR: 6
; COMPUTE_PGM_RSRC2:TRAP_HANDLER: 0
; COMPUTE_PGM_RSRC2:TGID_X_EN: 1
; COMPUTE_PGM_RSRC2:TGID_Y_EN: 0
; COMPUTE_PGM_RSRC2:TGID_Z_EN: 0
; COMPUTE_PGM_RSRC2:TIDIG_COMP_CNT: 0
; COMPUTE_PGM_RSRC3_GFX90A:ACCUM_OFFSET: 31
; COMPUTE_PGM_RSRC3_GFX90A:TG_SPLIT: 0
	.section	.text._ZN2at6native12_GLOBAL__N_138distribution_binary_elementwise_kernelIZN12_GLOBAL__N_120binomial_cuda_kernelIdEEvRNS_18TensorIteratorBaseENS_15PhiloxCudaStateEEUlR25hiprandStatePhilox4_32_10ddE_16OffsetCalculatorILi2EjLb0EESB_ILi1EjLb0EEEEviT_S7_PN15function_traitsISE_E11result_typeEPKNSG_3argILi1EE4typeEPKNSJ_ILi2EE4typeET0_T1_,"axG",@progbits,_ZN2at6native12_GLOBAL__N_138distribution_binary_elementwise_kernelIZN12_GLOBAL__N_120binomial_cuda_kernelIdEEvRNS_18TensorIteratorBaseENS_15PhiloxCudaStateEEUlR25hiprandStatePhilox4_32_10ddE_16OffsetCalculatorILi2EjLb0EESB_ILi1EjLb0EEEEviT_S7_PN15function_traitsISE_E11result_typeEPKNSG_3argILi1EE4typeEPKNSJ_ILi2EE4typeET0_T1_,comdat
	.globl	_ZN2at6native12_GLOBAL__N_138distribution_binary_elementwise_kernelIZN12_GLOBAL__N_120binomial_cuda_kernelIdEEvRNS_18TensorIteratorBaseENS_15PhiloxCudaStateEEUlR25hiprandStatePhilox4_32_10ddE_16OffsetCalculatorILi2EjLb0EESB_ILi1EjLb0EEEEviT_S7_PN15function_traitsISE_E11result_typeEPKNSG_3argILi1EE4typeEPKNSJ_ILi2EE4typeET0_T1_ ; -- Begin function _ZN2at6native12_GLOBAL__N_138distribution_binary_elementwise_kernelIZN12_GLOBAL__N_120binomial_cuda_kernelIdEEvRNS_18TensorIteratorBaseENS_15PhiloxCudaStateEEUlR25hiprandStatePhilox4_32_10ddE_16OffsetCalculatorILi2EjLb0EESB_ILi1EjLb0EEEEviT_S7_PN15function_traitsISE_E11result_typeEPKNSG_3argILi1EE4typeEPKNSJ_ILi2EE4typeET0_T1_
	.p2align	8
	.type	_ZN2at6native12_GLOBAL__N_138distribution_binary_elementwise_kernelIZN12_GLOBAL__N_120binomial_cuda_kernelIdEEvRNS_18TensorIteratorBaseENS_15PhiloxCudaStateEEUlR25hiprandStatePhilox4_32_10ddE_16OffsetCalculatorILi2EjLb0EESB_ILi1EjLb0EEEEviT_S7_PN15function_traitsISE_E11result_typeEPKNSG_3argILi1EE4typeEPKNSJ_ILi2EE4typeET0_T1_,@function
_ZN2at6native12_GLOBAL__N_138distribution_binary_elementwise_kernelIZN12_GLOBAL__N_120binomial_cuda_kernelIdEEvRNS_18TensorIteratorBaseENS_15PhiloxCudaStateEEUlR25hiprandStatePhilox4_32_10ddE_16OffsetCalculatorILi2EjLb0EESB_ILi1EjLb0EEEEviT_S7_PN15function_traitsISE_E11result_typeEPKNSG_3argILi1EE4typeEPKNSJ_ILi2EE4typeET0_T1_: ; @_ZN2at6native12_GLOBAL__N_138distribution_binary_elementwise_kernelIZN12_GLOBAL__N_120binomial_cuda_kernelIdEEvRNS_18TensorIteratorBaseENS_15PhiloxCudaStateEEUlR25hiprandStatePhilox4_32_10ddE_16OffsetCalculatorILi2EjLb0EESB_ILi1EjLb0EEEEviT_S7_PN15function_traitsISE_E11result_typeEPKNSG_3argILi1EE4typeEPKNSJ_ILi2EE4typeET0_T1_
; %bb.0:
	s_mov_b64 s[98:99], s[2:3]
	s_mov_b64 s[96:97], s[0:1]
	s_add_u32 s96, s96, s7
	s_load_dword s7, s[4:5], 0x20
	s_load_dwordx4 s[0:3], s[4:5], 0x8
	s_addc_u32 s97, s97, 0
	s_waitcnt lgkmcnt(0)
	s_bitcmp0_b32 s7, 0
	v_pk_mov_b32 v[70:71], s[2:3], s[2:3] op_sel:[0,1]
	v_pk_mov_b32 v[68:69], s[0:1], s[0:1] op_sel:[0,1]
	s_cbranch_scc1 .LBB102_2
; %bb.1:
	v_pk_mov_b32 v[2:3], s[2:3], s[2:3] op_sel:[0,1]
	flat_load_dwordx2 v[2:3], v[2:3]
	v_pk_mov_b32 v[4:5], s[0:1], s[0:1] op_sel:[0,1]
	flat_load_dwordx2 v[68:69], v[4:5]
	s_load_dwordx2 s[0:1], s[4:5], 0x18
	s_waitcnt lgkmcnt(0)
	v_mov_b32_e32 v1, s1
	s_waitcnt vmcnt(0)
	v_add_co_u32_e32 v70, vcc, s0, v2
	v_addc_co_u32_e32 v71, vcc, v3, v1, vcc
.LBB102_2:
	s_load_dword s0, s[4:5], 0x0
	s_load_dwordx4 s[28:31], s[4:5], 0x28
	s_load_dwordx2 s[34:35], s[4:5], 0x38
	s_load_dword s7, s[4:5], 0x294
	s_lshl_b32 s33, s6, 10
	s_waitcnt lgkmcnt(0)
	s_sub_i32 s0, s0, s33
	s_min_i32 s94, s0, 0x400
	v_cmp_gt_i32_e64 s[0:1], s0, v0
                                        ; implicit-def: $vgpr18_vgpr19
                                        ; implicit-def: $vgpr8_vgpr9
	s_and_saveexec_b64 s[52:53], s[0:1]
                                        ; implicit-def: $vgpr26_vgpr27_vgpr28_vgpr29_vgpr30_vgpr31_vgpr32_vgpr33
                                        ; implicit-def: $vgpr10_vgpr11_vgpr12_vgpr13_vgpr14_vgpr15_vgpr16_vgpr17
                                        ; implicit-def: $vgpr30_vgpr31_vgpr32_vgpr33_vgpr34_vgpr35_vgpr36_vgpr37
                                        ; implicit-def: $vgpr20_vgpr21_vgpr22_vgpr23_vgpr24_vgpr25_vgpr26_vgpr27
                                        ; implicit-def: $vgpr34_vgpr35_vgpr36_vgpr37_vgpr38_vgpr39_vgpr40_vgpr41
                                        ; implicit-def: $vgpr40_vgpr41_vgpr42_vgpr43_vgpr44_vgpr45_vgpr46_vgpr47
                                        ; implicit-def: $vgpr46_vgpr47_vgpr48_vgpr49_vgpr50_vgpr51_vgpr52_vgpr53
                                        ; implicit-def: $vgpr50_vgpr51_vgpr52_vgpr53_vgpr54_vgpr55_vgpr56_vgpr57
                                        ; implicit-def: $vgpr54_vgpr55_vgpr56_vgpr57_vgpr58_vgpr59_vgpr60_vgpr61
                                        ; implicit-def: $vgpr60_vgpr61_vgpr62_vgpr63_vgpr64_vgpr65_vgpr66_vgpr67
	s_cbranch_execz .LBB102_20
; %bb.3:
	s_load_dwordx8 s[20:27], s[4:5], 0x40
	s_add_u32 s54, s4, 64
	s_addc_u32 s55, s5, 0
                                        ; implicit-def: $vgpr26_vgpr27_vgpr28_vgpr29_vgpr30_vgpr31_vgpr32_vgpr33
                                        ; implicit-def: $vgpr30_vgpr31_vgpr32_vgpr33_vgpr34_vgpr35_vgpr36_vgpr37
	s_load_dwordx4 s[44:47], s[4:5], 0x104
	s_waitcnt lgkmcnt(0)
	s_add_i32 s10, s20, -1
	s_cmp_gt_u32 s10, 1
	s_cselect_b64 s[2:3], -1, 0
	s_cmp_lg_u32 s20, 0
	s_cselect_b64 s[8:9], -1, 0
	s_add_u32 s56, s4, 0x104
	s_addc_u32 s57, s5, 0
	s_min_u32 s11, s10, 15
	s_cmp_gt_u32 s20, 1
	s_cselect_b64 s[58:59], -1, 0
	s_add_i32 s12, s11, 1
	s_mov_b32 s20, s25
	s_and_b32 s25, s12, 3
                                        ; implicit-def: $vgpr34_vgpr35_vgpr36_vgpr37_vgpr38_vgpr39_vgpr40_vgpr41
	s_cmp_lg_u32 s10, 2
                                        ; implicit-def: $vgpr40_vgpr41_vgpr42_vgpr43_vgpr44_vgpr45_vgpr46_vgpr47
	s_cselect_b64 s[10:11], -1, 0
	s_and_b32 s27, s12, 28
                                        ; implicit-def: $vgpr46_vgpr47_vgpr48_vgpr49_vgpr50_vgpr51_vgpr52_vgpr53
	s_cmp_lg_u32 s25, 0
	v_cndmask_b32_e64 v1, 0, 1, s[2:3]
	v_cndmask_b32_e64 v2, 0, 1, s[8:9]
	;; [unrolled: 1-line block ×3, first 2 shown]
                                        ; implicit-def: $vgpr50_vgpr51_vgpr52_vgpr53_vgpr54_vgpr55_vgpr56_vgpr57
	s_mov_b32 s68, 0
	s_mov_b64 s[60:61], 0
	v_cmp_ne_u32_e64 s[2:3], 1, v1
	v_cmp_ne_u32_e64 s[10:11], 1, v2
	;; [unrolled: 1-line block ×3, first 2 shown]
	s_cselect_b64 s[62:63], -1, 0
	v_mov_b32_e32 v23, 0
	v_mov_b32_e32 v1, v0
                                        ; implicit-def: $vgpr54_vgpr55_vgpr56_vgpr57_vgpr58_vgpr59_vgpr60_vgpr61
                                        ; implicit-def: $vgpr20_vgpr21
                                        ; implicit-def: $vgpr10_vgpr11
                                        ; implicit-def: $vgpr2_vgpr3_vgpr4_vgpr5_vgpr6_vgpr7_vgpr8_vgpr9
                                        ; implicit-def: $vgpr60_vgpr61_vgpr62_vgpr63_vgpr64_vgpr65_vgpr66_vgpr67
                                        ; implicit-def: $vgpr12_vgpr13_vgpr14_vgpr15_vgpr16_vgpr17_vgpr18_vgpr19
	s_branch .LBB102_5
.LBB102_4:                              ;   in Loop: Header=BB102_5 Depth=1
	v_lshlrev_b64 v[4:5], 3, v[22:23]
	v_mov_b32_e32 v3, s31
	v_add_co_u32_e32 v4, vcc, s30, v4
	v_addc_co_u32_e32 v5, vcc, v3, v5, vcc
	v_mov_b32_e32 v3, v23
	v_lshlrev_b64 v[2:3], 3, v[2:3]
	v_mov_b32_e32 v6, s35
	v_add_co_u32_e32 v2, vcc, s34, v2
	v_addc_co_u32_e32 v3, vcc, v6, v3, vcc
	global_load_dwordx2 v[4:5], v[4:5], off
	s_cmp_eq_u32 s68, 0
	global_load_dwordx2 v[2:3], v[2:3], off
	s_cselect_b64 s[12:13], -1, 0
	s_cmp_eq_u32 s68, 1
	s_cselect_b64 s[14:15], -1, 0
	s_cmp_eq_u32 s68, 2
	s_cselect_b64 s[16:17], -1, 0
	s_cmp_eq_u32 s68, 3
	s_cselect_b64 s[18:19], -1, 0
	s_add_i32 s38, s68, 1
	v_add_u32_e32 v1, 0x100, v1
	s_cmp_gt_u32 s68, 2
	v_cmp_le_i32_e32 vcc, s94, v1
	s_cselect_b64 s[36:37], -1, 0
	s_or_b64 s[36:37], s[36:37], vcc
	s_and_b64 s[36:37], exec, s[36:37]
	s_or_b64 s[60:61], s[36:37], s[60:61]
	s_mov_b32 s68, s38
	s_waitcnt vmcnt(1)
	v_cndmask_b32_e64 v21, v21, v5, s[12:13]
	v_cndmask_b32_e64 v20, v20, v4, s[12:13]
	;; [unrolled: 1-line block ×8, first 2 shown]
	s_waitcnt vmcnt(0)
	v_cndmask_b32_e64 v11, v11, v3, s[12:13]
	v_cndmask_b32_e64 v10, v10, v2, s[12:13]
	;; [unrolled: 1-line block ×8, first 2 shown]
	s_andn2_b64 exec, exec, s[60:61]
	s_cbranch_execz .LBB102_19
.LBB102_5:                              ; =>This Loop Header: Depth=1
                                        ;     Child Loop BB102_9 Depth 2
                                        ;     Child Loop BB102_14 Depth 2
	s_and_b64 vcc, exec, s[2:3]
	v_add_u32_e32 v3, s33, v1
	s_cbranch_vccnz .LBB102_11
; %bb.6:                                ;   in Loop: Header=BB102_5 Depth=1
	s_mov_b32 s14, 0
	s_and_b64 vcc, exec, s[10:11]
	v_mov_b32_e32 v2, 0
	v_mov_b32_e32 v22, 0
	s_cbranch_vccnz .LBB102_16
; %bb.7:                                ;   in Loop: Header=BB102_5 Depth=1
	s_and_b64 vcc, exec, s[8:9]
	s_cbranch_vccnz .LBB102_12
; %bb.8:                                ;   in Loop: Header=BB102_5 Depth=1
	v_mov_b32_e32 v22, 0
	s_mov_b32 s69, 0
	s_mov_b64 s[64:65], s[54:55]
	s_mov_b64 s[66:67], s[56:57]
	v_mov_b32_e32 v6, v3
	v_mov_b32_e32 v2, v22
.LBB102_9:                              ;   Parent Loop BB102_5 Depth=1
                                        ; =>  This Inner Loop Header: Depth=2
	s_load_dwordx8 s[36:43], s[64:65], 0x4
	s_load_dwordx4 s[48:51], s[64:65], 0x24
	s_load_dwordx8 s[12:19], s[66:67], 0x0
	s_add_u32 s64, s64, 48
	s_addc_u32 s65, s65, 0
	s_waitcnt lgkmcnt(0)
	v_mul_hi_u32 v4, s37, v6
	v_add_u32_e32 v4, v6, v4
	v_lshrrev_b32_e32 v4, s38, v4
	v_mul_lo_u32 v5, v4, s36
	v_mul_hi_u32 v7, s40, v4
	v_sub_u32_e32 v5, v6, v5
	v_add_u32_e32 v6, v4, v7
	v_lshrrev_b32_e32 v6, s41, v6
	v_mul_lo_u32 v12, v6, s39
	v_mul_hi_u32 v13, s43, v6
	v_sub_u32_e32 v4, v4, v12
	v_add_u32_e32 v12, v6, v13
	v_mul_lo_u32 v7, v5, s13
	v_mul_lo_u32 v5, v5, s12
	;; [unrolled: 1-line block ×4, first 2 shown]
	v_lshrrev_b32_e32 v12, s48, v12
	v_add3_u32 v4, v5, v22, v4
	v_add3_u32 v2, v7, v2, v13
	v_mul_lo_u32 v5, v12, s42
	v_mul_hi_u32 v7, s50, v12
	v_sub_u32_e32 v5, v6, v5
	v_add_u32_e32 v6, v12, v7
	v_lshrrev_b32_e32 v6, s51, v6
	s_add_i32 s69, s69, 4
	v_mul_lo_u32 v13, v6, s49
	s_add_u32 s66, s66, 32
	v_sub_u32_e32 v12, v12, v13
	s_addc_u32 s67, s67, 0
	v_mul_lo_u32 v7, v5, s16
	v_mul_lo_u32 v5, v5, s17
	;; [unrolled: 1-line block ×4, first 2 shown]
	s_cmp_lg_u32 s27, s69
	v_add3_u32 v2, v5, v2, v12
	v_add3_u32 v22, v7, v4, v13
	s_cbranch_scc1 .LBB102_9
; %bb.10:                               ;   in Loop: Header=BB102_5 Depth=1
	v_mov_b32_e32 v4, v22
	v_mov_b32_e32 v5, v2
	s_mov_b32 s14, s27
	s_andn2_b64 vcc, exec, s[62:63]
	s_cbranch_vccz .LBB102_13
	s_branch .LBB102_16
.LBB102_11:                             ;   in Loop: Header=BB102_5 Depth=1
                                        ; implicit-def: $vgpr2
	s_branch .LBB102_17
.LBB102_12:                             ;   in Loop: Header=BB102_5 Depth=1
	s_mov_b32 s15, s14
	v_pk_mov_b32 v[4:5], s[14:15], s[14:15] op_sel:[0,1]
                                        ; implicit-def: $vgpr2
	v_mov_b32_e32 v6, v3
	s_andn2_b64 vcc, exec, s[62:63]
	s_cbranch_vccnz .LBB102_16
.LBB102_13:                             ;   in Loop: Header=BB102_5 Depth=1
	s_lshl_b32 s12, s14, 3
	s_add_u32 s12, s56, s12
	s_addc_u32 s13, s57, 0
	s_mul_i32 s14, s14, 12
	s_add_u32 s14, s54, s14
	s_addc_u32 s15, s55, 0
	s_mov_b32 s16, s25
.LBB102_14:                             ;   Parent Loop BB102_5 Depth=1
                                        ; =>  This Inner Loop Header: Depth=2
	s_load_dwordx2 s[18:19], s[14:15], 0x4
	s_load_dword s17, s[14:15], 0xc
	s_load_dwordx2 s[36:37], s[12:13], 0x0
	v_mov_b32_e32 v2, v5
	s_add_u32 s14, s14, 12
	s_waitcnt lgkmcnt(0)
	v_mul_hi_u32 v5, s19, v6
	v_add_u32_e32 v5, v6, v5
	v_lshrrev_b32_e32 v5, s17, v5
	s_addc_u32 s15, s15, 0
	v_mul_lo_u32 v7, v5, s18
	s_add_u32 s12, s12, 8
	v_sub_u32_e32 v7, v6, v7
	s_addc_u32 s13, s13, 0
	s_add_i32 s16, s16, -1
	v_mov_b32_e32 v6, v5
	v_mad_u64_u32 v[12:13], s[18:19], v7, s37, v[2:3]
	v_mad_u64_u32 v[4:5], s[18:19], v7, s36, v[4:5]
	s_cmp_lg_u32 s16, 0
	v_mov_b32_e32 v5, v12
	s_cbranch_scc1 .LBB102_14
; %bb.15:                               ;   in Loop: Header=BB102_5 Depth=1
	v_mov_b32_e32 v2, v5
	v_mov_b32_e32 v22, v4
.LBB102_16:                             ;   in Loop: Header=BB102_5 Depth=1
	s_cbranch_execnz .LBB102_4
.LBB102_17:                             ;   in Loop: Header=BB102_5 Depth=1
	v_mul_hi_u32 v2, s22, v3
	v_add_u32_e32 v2, v3, v2
	v_lshrrev_b32_e32 v4, s23, v2
	v_mul_lo_u32 v2, v4, s21
	v_sub_u32_e32 v3, v3, v2
	v_mul_lo_u32 v2, v3, s45
	s_andn2_b64 vcc, exec, s[58:59]
	v_mul_lo_u32 v22, v3, s44
	s_cbranch_vccnz .LBB102_4
; %bb.18:                               ;   in Loop: Header=BB102_5 Depth=1
	v_mul_hi_u32 v3, s20, v4
	v_add_u32_e32 v3, v4, v3
	v_lshrrev_b32_e32 v3, s26, v3
	v_mul_lo_u32 v3, v3, s24
	v_sub_u32_e32 v3, v4, v3
	v_mad_u64_u32 v[4:5], s[12:13], v3, s46, v[22:23]
	v_mad_u64_u32 v[2:3], s[12:13], v3, s47, v[2:3]
	v_mov_b32_e32 v22, v4
	s_branch .LBB102_4
.LBB102_19:
	s_or_b64 exec, exec, s[60:61]
.LBB102_20:
	s_or_b64 exec, exec, s[52:53]
	s_and_saveexec_b64 s[2:3], s[0:1]
	s_cbranch_execz .LBB102_105
; %bb.21:
	s_and_b32 s0, 0xffff, s7
	s_mul_i32 s6, s6, s0
	v_add_u32_e32 v2, s6, v0
	v_alignbit_b32 v4, v71, v70, 2
	s_mov_b32 s56, 0xd2511f53
	s_mov_b32 s57, 0xcd9e8d57
	v_mad_u64_u32 v[12:13], s[0:1], v4, s56, 0
	v_mad_u64_u32 v[14:15], s[0:1], v2, s57, 0
	v_lshrrev_b32_e32 v1, 2, v71
	s_mov_b32 s0, 0x9e3779b9
	v_xor_b32_e32 v5, v68, v15
	v_mov_b32_e32 v6, v69
	v_xor_b32_e32 v3, v13, v69
	v_add_co_u32_e32 v80, vcc, s0, v68
	s_mov_b32 s0, 0xbb67ae85
	v_xor_b32_e32 v5, v5, v1
	v_add_co_u32_e32 v81, vcc, s0, v6
	v_mad_u64_u32 v[16:17], s[0:1], v5, s56, 0
	v_mad_u64_u32 v[22:23], s[0:1], v3, s57, 0
	v_xor_b32_e32 v3, v23, v80
	v_xor_b32_e32 v5, v81, v17
	s_mov_b32 s0, 0x3c6ef372
	v_xor_b32_e32 v3, v3, v14
	v_xor_b32_e32 v5, v5, v12
	v_add_co_u32_e32 v82, vcc, s0, v68
	s_mov_b32 s0, 0x76cf5d0a
	v_add_co_u32_e32 v83, vcc, s0, v6
	v_mad_u64_u32 v[12:13], s[0:1], v3, s56, 0
	v_mad_u64_u32 v[14:15], s[0:1], v5, s57, 0
	v_xor_b32_e32 v3, v82, v15
	v_xor_b32_e32 v5, v83, v13
	s_mov_b32 s0, 0xdaa66d2b
	v_xor_b32_e32 v3, v3, v22
	v_xor_b32_e32 v5, v5, v16
	v_add_co_u32_e32 v84, vcc, s0, v68
	s_mov_b32 s0, 0x32370b8f
	;; [unrolled: 10-line block ×7, first 2 shown]
	s_load_dwordx8 s[8:15], s[4:5], 0x184
	v_add_co_u32_e32 v116, vcc, s0, v6
	v_mad_u64_u32 v[6:7], s[0:1], v3, s56, 0
	v_mad_u64_u32 v[12:13], s[0:1], v5, s57, 0
	v_xor_b32_e32 v3, v64, v13
	v_xor_b32_e32 v5, v116, v7
	;; [unrolled: 1-line block ×4, first 2 shown]
	v_mad_u64_u32 v[16:17], s[0:1], v3, s56, 0
	v_mad_u64_u32 v[22:23], s[0:1], v5, s57, 0
	s_add_u32 s24, s4, 0x184
	s_addc_u32 s25, s5, 0
	s_waitcnt lgkmcnt(0)
	s_add_i32 s0, s8, -1
	s_cmp_gt_u32 s0, 1
	s_cselect_b64 s[26:27], -1, 0
	s_cmp_lg_u32 s8, 0
	s_cselect_b64 s[30:31], -1, 0
	s_add_u32 s34, s4, 0x248
	s_addc_u32 s35, s5, 0
	s_min_u32 s1, s0, 15
	s_cmp_gt_u32 s8, 1
	s_cselect_b64 s[38:39], -1, 0
	s_add_i32 s1, s1, 1
	s_load_dwordx2 s[36:37], s[4:5], 0x248
	s_mov_b32 s8, s13
	s_and_b32 s13, s1, 3
	s_cmp_lg_u32 s0, 2
	v_add_u32_e32 v117, 0x8ff34781, v68
	v_xor_b32_e32 v3, v23, v12
	s_cselect_b64 s[40:41], -1, 0
	s_and_b32 s15, s1, 28
	v_add_u32_e32 v118, 0x96a522ad, v69
	v_xor_b32_e32 v12, v117, v3
	v_xor_b32_e32 v3, v17, v6
	s_cmp_lg_u32 s13, 0
	s_mov_b32 s46, 0
	s_mov_b32 s50, 0x66666666
	;; [unrolled: 1-line block ×16, first 2 shown]
	v_mov_b32_e32 v60, 0
	s_mov_b32 s95, 0
	v_and_b32_e32 v102, 3, v70
	v_xor_b32_e32 v14, v118, v3
	v_mov_b32_e32 v13, v22
	v_mov_b32_e32 v15, v16
	v_add_u32_e32 v119, 0x9e3779b9, v68
	v_add_u32_e32 v120, 0xbb67ae85, v69
	;; [unrolled: 1-line block ×13, first 2 shown]
	s_mov_b64 s[42:43], 0
	s_cselect_b64 s[44:45], -1, 0
	s_mov_b32 s47, 0x40240000
	s_mov_b32 s51, 0x40146666
	;; [unrolled: 1-line block ×13, first 2 shown]
	s_movk_i32 s60, 0x204
	s_mov_b32 s85, 0x3f4a01a0
	s_mov_b32 s87, 0xbf4a01a0
	v_mov_b32_e32 v22, 0x66666666
	v_mov_b32_e32 v24, 0xf4f0d845
	;; [unrolled: 1-line block ×5, first 2 shown]
	s_mov_b32 s89, 0x3f66c16c
	v_mov_b32_e32 v50, 0x9b27acf1
	s_mov_b32 s91, 0x3fb55555
	v_add_u32_e32 v5, 0x1fd5c5a3, v69
	s_movk_i32 s61, 0xffe0
	v_mov_b32_e32 v54, 0x998ef7b6
	s_mov_b32 s93, 0x3fb1eb85
	v_mov_b32_e32 v56, 0x55555780
	s_mov_b32 s55, 0xfff00000
	v_add_u32_e32 v29, 0xf1bbcdc8, v68
	s_mov_b32 s62, 0x7f800000
	v_mov_b32_e32 v23, 0x3ff26666
	v_mov_b32_e32 v25, 0xbfb6594a
	;; [unrolled: 1-line block ×8, first 2 shown]
	v_add_u32_e32 v32, 0xdb3d7428, v69
	v_mov_b32_e32 v39, 0x3ff00000
	v_mov_b32_e32 v44, 0x7ff80000
	;; [unrolled: 1-line block ×4, first 2 shown]
	buffer_store_dword v22, off, s[96:99], 0 offset:80 ; 4-byte Folded Spill
	s_nop 0
	buffer_store_dword v23, off, s[96:99], 0 offset:84 ; 4-byte Folded Spill
	buffer_store_dword v24, off, s[96:99], 0 offset:88 ; 4-byte Folded Spill
	s_nop 0
	buffer_store_dword v25, off, s[96:99], 0 offset:92 ; 4-byte Folded Spill
	buffer_store_dword v80, off, s[96:99], 0 offset:32 ; 4-byte Folded Spill
	;; [unrolled: 1-line block ×13, first 2 shown]
	s_branch .LBB102_28
.LBB102_22:                             ;   in Loop: Header=BB102_28 Depth=1
	s_or_b64 exec, exec, s[2:3]
.LBB102_23:                             ;   in Loop: Header=BB102_28 Depth=1
	s_or_b64 exec, exec, s[0:1]
	v_add_f64 v[90:91], v[66:67], -v[92:93]
	v_mov_b32_e32 v102, v63
.LBB102_24:                             ;   in Loop: Header=BB102_28 Depth=1
	s_or_b64 exec, exec, s[20:21]
	v_mov_b32_e32 v63, v102
.LBB102_25:                             ;   in Loop: Header=BB102_28 Depth=1
	s_or_b64 exec, exec, s[18:19]
	v_pk_mov_b32 v[66:67], v[90:91], v[90:91] op_sel:[0,1]
	v_mov_b32_e32 v102, v63
.LBB102_26:                             ;   in Loop: Header=BB102_28 Depth=1
	s_or_b64 exec, exec, s[16:17]
	v_pk_mov_b32 v[24:25], v[66:67], v[66:67] op_sel:[0,1]
.LBB102_27:                             ;   in Loop: Header=BB102_28 Depth=1
	s_or_b64 exec, exec, s[6:7]
	v_mov_b32_e32 v63, v60
	v_lshlrev_b64 v[22:23], 3, v[62:63]
	v_mov_b32_e32 v34, s29
	v_add_co_u32_e32 v22, vcc, s28, v22
	s_add_i32 s2, s95, 1
	v_addc_co_u32_e32 v23, vcc, v34, v23, vcc
	v_add_u32_e32 v0, 0x100, v0
	s_cmp_gt_u32 s95, 2
	s_cselect_b64 s[0:1], -1, 0
	v_cmp_le_i32_e32 vcc, s94, v0
	s_or_b64 s[0:1], s[0:1], vcc
	s_and_b64 s[0:1], exec, s[0:1]
	s_or_b64 s[42:43], s[0:1], s[42:43]
	s_mov_b32 s95, s2
	global_store_dwordx2 v[22:23], v[24:25], off
	s_andn2_b64 exec, exec, s[42:43]
	s_cbranch_execz .LBB102_105
.LBB102_28:                             ; =>This Loop Header: Depth=1
                                        ;     Child Loop BB102_32 Depth 2
                                        ;     Child Loop BB102_36 Depth 2
	;; [unrolled: 1-line block ×6, first 2 shown]
	s_andn2_b64 vcc, exec, s[26:27]
	v_add_u32_e32 v22, s33, v0
	s_cbranch_vccnz .LBB102_37
; %bb.29:                               ;   in Loop: Header=BB102_28 Depth=1
	s_andn2_b64 vcc, exec, s[30:31]
	s_cbranch_vccnz .LBB102_38
; %bb.30:                               ;   in Loop: Header=BB102_28 Depth=1
	s_mov_b32 s2, 0
	s_andn2_b64 vcc, exec, s[40:41]
	v_mov_b32_e32 v62, 0
	v_mov_b32_e32 v23, v22
	s_cbranch_vccnz .LBB102_34
; %bb.31:                               ;   in Loop: Header=BB102_28 Depth=1
	s_mov_b32 s63, 0
	v_mov_b32_e32 v62, 0
	s_mov_b64 s[48:49], s[24:25]
	s_mov_b64 s[52:53], s[34:35]
	v_mov_b32_e32 v23, v22
.LBB102_32:                             ;   Parent Loop BB102_28 Depth=1
                                        ; =>  This Inner Loop Header: Depth=2
	s_load_dwordx8 s[0:7], s[48:49], 0x4
	s_load_dwordx4 s[16:19], s[48:49], 0x24
	s_load_dwordx4 s[20:23], s[52:53], 0x0
	s_add_u32 s48, s48, 48
	s_addc_u32 s49, s49, 0
	s_waitcnt lgkmcnt(0)
	v_mul_hi_u32 v24, s1, v23
	v_add_u32_e32 v24, v23, v24
	v_lshrrev_b32_e32 v24, s2, v24
	v_mul_lo_u32 v25, v24, s0
	v_mul_hi_u32 v34, s4, v24
	v_sub_u32_e32 v23, v23, v25
	v_add_u32_e32 v25, v24, v34
	v_lshrrev_b32_e32 v25, s5, v25
	v_mul_lo_u32 v34, v25, s3
	v_mul_hi_u32 v35, s7, v25
	v_sub_u32_e32 v24, v24, v34
	v_add_u32_e32 v34, v25, v35
	v_mul_lo_u32 v23, v23, s20
	v_mul_lo_u32 v24, v24, s21
	v_lshrrev_b32_e32 v34, s16, v34
	v_add3_u32 v24, v23, v62, v24
	v_mul_lo_u32 v23, v34, s6
	v_mul_hi_u32 v35, s18, v34
	v_sub_u32_e32 v23, v25, v23
	v_add_u32_e32 v25, v34, v35
	v_mul_lo_u32 v35, v23, s22
	v_lshrrev_b32_e32 v23, s19, v25
	s_add_i32 s63, s63, 4
	v_mul_lo_u32 v25, v23, s17
	s_add_u32 s52, s52, 16
	v_sub_u32_e32 v25, v34, v25
	s_addc_u32 s53, s53, 0
	v_mul_lo_u32 v25, v25, s23
	s_cmp_lg_u32 s15, s63
	v_add3_u32 v62, v35, v24, v25
	s_cbranch_scc1 .LBB102_32
; %bb.33:                               ;   in Loop: Header=BB102_28 Depth=1
	s_mov_b32 s2, s15
.LBB102_34:                             ;   in Loop: Header=BB102_28 Depth=1
	s_andn2_b64 vcc, exec, s[44:45]
	s_cbranch_vccnz .LBB102_39
; %bb.35:                               ;   in Loop: Header=BB102_28 Depth=1
	s_lshl_b32 s0, s2, 2
	s_add_u32 s0, s34, s0
	s_addc_u32 s1, s35, 0
	s_mul_i32 s2, s2, 12
	s_add_u32 s2, s24, s2
	s_addc_u32 s3, s25, 0
	s_mov_b32 s4, s13
.LBB102_36:                             ;   Parent Loop BB102_28 Depth=1
                                        ; =>  This Inner Loop Header: Depth=2
	s_load_dwordx2 s[6:7], s[2:3], 0x4
	s_load_dword s5, s[2:3], 0xc
	s_load_dword s16, s[0:1], 0x0
	s_add_u32 s2, s2, 12
	s_addc_u32 s3, s3, 0
	s_waitcnt lgkmcnt(0)
	v_mul_hi_u32 v24, s7, v23
	v_add_u32_e32 v24, v23, v24
	v_lshrrev_b32_e32 v24, s5, v24
	s_add_u32 s0, s0, 4
	v_mul_lo_u32 v25, v24, s6
	s_addc_u32 s1, s1, 0
	s_add_i32 s4, s4, -1
	v_sub_u32_e32 v25, v23, v25
	s_cmp_lg_u32 s4, 0
	v_mov_b32_e32 v23, v24
	v_mad_u64_u32 v[62:63], s[6:7], v25, s16, v[62:63]
	s_cbranch_scc1 .LBB102_36
	s_branch .LBB102_39
.LBB102_37:                             ;   in Loop: Header=BB102_28 Depth=1
                                        ; implicit-def: $vgpr62
	s_branch .LBB102_40
.LBB102_38:                             ;   in Loop: Header=BB102_28 Depth=1
	v_mov_b32_e32 v62, 0
.LBB102_39:                             ;   in Loop: Header=BB102_28 Depth=1
	s_cbranch_execnz .LBB102_42
.LBB102_40:                             ;   in Loop: Header=BB102_28 Depth=1
	v_mul_hi_u32 v23, s10, v22
	v_add_u32_e32 v23, v22, v23
	v_lshrrev_b32_e32 v23, s11, v23
	v_mul_lo_u32 v24, v23, s9
	v_sub_u32_e32 v22, v22, v24
	s_andn2_b64 vcc, exec, s[38:39]
	s_waitcnt lgkmcnt(0)
	v_mul_lo_u32 v62, v22, s36
	s_cbranch_vccnz .LBB102_42
; %bb.41:                               ;   in Loop: Header=BB102_28 Depth=1
	v_mul_hi_u32 v22, s8, v23
	v_add_u32_e32 v22, v23, v22
	v_lshrrev_b32_e32 v22, s14, v22
	v_mul_lo_u32 v22, v22, s12
	v_sub_u32_e32 v22, v23, v22
	v_mad_u64_u32 v[62:63], s[0:1], v22, s37, v[62:63]
.LBB102_42:                             ;   in Loop: Header=BB102_28 Depth=1
	s_cmp_eq_u32 s95, 1
	s_cselect_b64 vcc, -1, 0
	s_cmp_eq_u32 s95, 2
	v_cndmask_b32_e32 v22, v21, v53, vcc
	s_cselect_b64 s[0:1], -1, 0
	s_cmp_eq_u32 s95, 3
	v_cndmask_b32_e32 v23, v20, v48, vcc
	v_cndmask_b32_e64 v22, v22, v65, s[0:1]
	v_cndmask_b32_e64 v23, v23, v58, s[0:1]
	s_cselect_b64 s[2:3], -1, 0
	v_cndmask_b32_e64 v67, v22, v19, s[2:3]
	v_cndmask_b32_e64 v66, v23, v18, s[2:3]
	v_cndmask_b32_e32 v22, v11, v33, vcc
	v_cndmask_b32_e32 v23, v10, v28, vcc
	v_cndmask_b32_e64 v22, v22, v45, s[0:1]
	v_cndmask_b32_e64 v24, v23, v38, s[0:1]
	;; [unrolled: 1-line block ×4, first 2 shown]
	v_max_f64 v[24:25], v[22:23], v[22:23]
	v_max_f64 v[34:35], v[66:67], v[66:67]
	v_min_f64 v[24:25], v[34:35], v[24:25]
	v_cmp_nge_f64_e32 vcc, 0, v[24:25]
	v_pk_mov_b32 v[24:25], 0, 0
	s_and_saveexec_b64 s[6:7], vcc
	s_cbranch_execz .LBB102_27
; %bb.43:                               ;   in Loop: Header=BB102_28 Depth=1
	v_cmp_nle_f64_e32 vcc, 1.0, v[22:23]
	s_and_saveexec_b64 s[16:17], vcc
	s_cbranch_execz .LBB102_26
; %bb.44:                               ;   in Loop: Header=BB102_28 Depth=1
	v_cmp_ge_f64_e32 vcc, 0.5, v[22:23]
                                        ; implicit-def: $vgpr90_vgpr91
                                        ; implicit-def: $vgpr63
	s_and_saveexec_b64 s[0:1], vcc
	s_xor_b64 s[18:19], exec, s[0:1]
	s_cbranch_execz .LBB102_75
; %bb.45:                               ;   in Loop: Header=BB102_28 Depth=1
	v_mul_f64 v[36:37], v[66:67], v[22:23]
	v_cmp_le_f64_e32 vcc, s[46:47], v[36:37]
                                        ; implicit-def: $vgpr90_vgpr91
                                        ; implicit-def: $vgpr63
	s_and_saveexec_b64 s[0:1], vcc
	s_xor_b64 s[20:21], exec, s[0:1]
	s_cbranch_execz .LBB102_68
; %bb.46:                               ;   in Loop: Header=BB102_28 Depth=1
	v_add_f64 v[24:25], -v[22:23], 1.0
	s_mov_b32 s0, 0
	v_mul_f64 v[34:35], v[36:37], v[24:25]
	s_brev_b32 s1, 8
	v_cmp_gt_f64_e32 vcc, s[0:1], v[34:35]
	v_cndmask_b32_e64 v40, 0, 1, vcc
	v_lshlrev_b32_e32 v40, 8, v40
	v_ldexp_f64 v[34:35], v[34:35], v40
	v_rsq_f64_e32 v[40:41], v[34:35]
	s_mov_b32 s0, 0xa3d70a3d
	s_mov_b32 s1, 0x40043d70
	v_add_f64 v[74:75], v[36:37], 0.5
	v_mul_f64 v[42:43], v[34:35], v[40:41]
	v_mul_f64 v[40:41], v[40:41], 0.5
	v_fma_f64 v[70:71], -v[40:41], v[42:43], 0.5
	v_fmac_f64_e32 v[42:43], v[42:43], v[70:71]
	v_fma_f64 v[72:73], -v[42:43], v[42:43], v[34:35]
	v_fmac_f64_e32 v[40:41], v[40:41], v[70:71]
	v_fmac_f64_e32 v[42:43], v[72:73], v[40:41]
	v_fma_f64 v[70:71], -v[42:43], v[42:43], v[34:35]
	v_fmac_f64_e32 v[42:43], v[70:71], v[40:41]
	buffer_load_dword v70, off, s[96:99], 0 offset:80 ; 4-byte Folded Reload
	buffer_load_dword v71, off, s[96:99], 0 offset:84 ; 4-byte Folded Reload
	;; [unrolled: 1-line block ×4, first 2 shown]
	v_mov_b32_e32 v40, 0xffffff80
	v_cndmask_b32_e32 v40, 0, v40, vcc
	v_ldexp_f64 v[40:41], v[42:43], v40
	v_mov_b32_e32 v42, 0x260
	v_cmp_class_f64_e32 vcc, v[34:35], v42
	v_cndmask_b32_e32 v35, v41, v35, vcc
	v_cndmask_b32_e32 v34, v40, v34, vcc
	s_mov_b32 s84, s86
	s_mov_b32 s90, s64
	s_getpc_b64 s[4:5]
	s_add_u32 s4, s4, _ZZN12_GLOBAL__N_120stirling_approx_tailIdEET_S1_E11kTailValues.const@rel32@lo+4
	s_addc_u32 s5, s5, _ZZN12_GLOBAL__N_120stirling_approx_tailIdEET_S1_E11kTailValues.const@rel32@hi+12
	s_mov_b64 s[48:49], 0
	s_waitcnt vmcnt(2)
	v_fmac_f64_e32 v[70:71], s[0:1], v[34:35]
	s_mov_b32 s0, 0xd3c36113
	s_mov_b32 s1, 0x3f99652b
	s_waitcnt vmcnt(0)
	v_fmac_f64_e32 v[72:73], s[0:1], v[70:71]
	s_mov_b32 s0, 0x47ae147b
	s_mov_b32 s1, 0x3f847ae1
	v_fmac_f64_e32 v[72:73], s[0:1], v[22:23]
	v_div_scale_f64 v[36:37], s[0:1], v[70:71], v[70:71], s[58:59]
	v_rcp_f64_e32 v[40:41], v[36:37]
	s_mov_b32 s0, 0xd70a3d71
	s_mov_b32 s1, 0x3fed70a3
	v_add_f64 v[84:85], v[72:73], v[72:73]
	v_fma_f64 v[42:43], -v[36:37], v[40:41], 1.0
	v_fmac_f64_e32 v[40:41], v[40:41], v[42:43]
	v_fma_f64 v[42:43], -v[36:37], v[40:41], 1.0
	v_fmac_f64_e32 v[40:41], v[40:41], v[42:43]
	v_div_scale_f64 v[42:43], vcc, s[58:59], v[70:71], s[58:59]
	v_mul_f64 v[76:77], v[42:43], v[40:41]
	v_fma_f64 v[36:37], -v[36:37], v[76:77], v[42:43]
	s_nop 1
	v_div_fmas_f64 v[36:37], v[36:37], v[40:41], v[76:77]
	v_div_fixup_f64 v[36:37], v[36:37], v[70:71], s[58:59]
	v_add_f64 v[76:77], v[36:37], s[0:1]
	v_div_scale_f64 v[36:37], s[0:1], v[24:25], v[24:25], v[22:23]
	v_rcp_f64_e32 v[40:41], v[36:37]
	v_fma_f64 v[42:43], -v[36:37], v[40:41], 1.0
	v_fmac_f64_e32 v[40:41], v[40:41], v[42:43]
	v_fma_f64 v[42:43], -v[36:37], v[40:41], 1.0
	v_fmac_f64_e32 v[40:41], v[40:41], v[42:43]
	v_div_scale_f64 v[42:43], vcc, v[22:23], v[24:25], v[22:23]
	v_mul_f64 v[78:79], v[42:43], v[40:41]
	v_fma_f64 v[36:37], -v[36:37], v[78:79], v[42:43]
	s_nop 1
	v_div_fmas_f64 v[36:37], v[36:37], v[40:41], v[78:79]
	v_div_fixup_f64 v[78:79], v[36:37], v[24:25], v[22:23]
	v_div_scale_f64 v[24:25], s[0:1], v[70:71], v[70:71], s[50:51]
	v_rcp_f64_e32 v[36:37], v[24:25]
	s_mov_b32 s0, 0xa3d70a4
	s_mov_b32 s1, 0x4006a3d7
	v_fma_f64 v[40:41], -v[24:25], v[36:37], 1.0
	v_fmac_f64_e32 v[36:37], v[36:37], v[40:41]
	v_fma_f64 v[40:41], -v[24:25], v[36:37], 1.0
	v_fmac_f64_e32 v[36:37], v[36:37], v[40:41]
	v_div_scale_f64 v[40:41], vcc, s[50:51], v[70:71], s[50:51]
	v_mul_f64 v[42:43], v[40:41], v[36:37]
	v_fma_f64 v[24:25], -v[24:25], v[42:43], v[40:41]
	s_nop 1
	v_div_fmas_f64 v[24:25], v[24:25], v[36:37], v[42:43]
	v_div_fixup_f64 v[24:25], v[24:25], v[70:71], s[50:51]
	v_add_f64 v[24:25], v[24:25], s[0:1]
	v_mul_f64 v[24:25], v[34:35], v[24:25]
	buffer_store_dword v24, off, s[96:99], 0 offset:8 ; 4-byte Folded Spill
	s_nop 0
	buffer_store_dword v25, off, s[96:99], 0 offset:12 ; 4-byte Folded Spill
	buffer_store_dword v78, off, s[96:99], 0 ; 4-byte Folded Spill
	s_nop 0
	buffer_store_dword v79, off, s[96:99], 0 offset:4 ; 4-byte Folded Spill
	v_add_f64 v[24:25], v[66:67], 1.0
	v_mul_f64 v[22:23], v[22:23], v[24:25]
	v_floor_f64_e32 v[24:25], v[22:23]
	v_add_f64 v[22:23], v[66:67], -v[24:25]
	v_add_f64 v[86:87], v[22:23], 1.0
	v_add_f64 v[34:35], v[24:25], 1.0
	;; [unrolled: 1-line block ×3, first 2 shown]
	v_mul_f64 v[40:41], v[78:79], v[86:87]
	v_div_scale_f64 v[42:43], s[0:1], v[40:41], v[40:41], v[34:35]
	v_rcp_f64_e32 v[88:89], v[42:43]
	v_cmp_gt_f64_e64 s[0:1], s[46:47], v[24:25]
	v_fma_f64 v[90:91], -v[42:43], v[88:89], 1.0
	v_fmac_f64_e32 v[88:89], v[88:89], v[90:91]
	v_fma_f64 v[90:91], -v[42:43], v[88:89], 1.0
	v_fmac_f64_e32 v[88:89], v[88:89], v[90:91]
	v_div_scale_f64 v[90:91], vcc, v[34:35], v[40:41], v[34:35]
	v_mul_f64 v[92:93], v[90:91], v[88:89]
	v_fma_f64 v[42:43], -v[42:43], v[92:93], v[90:91]
	s_nop 1
	v_div_fmas_f64 v[42:43], v[42:43], v[88:89], v[92:93]
	v_div_fixup_f64 v[40:41], v[42:43], v[40:41], v[34:35]
	v_frexp_mant_f64_e32 v[42:43], v[40:41]
	v_cmp_gt_f64_e32 vcc, s[64:65], v[42:43]
	v_cndmask_b32_e64 v61, v39, 2.0, vcc
	v_mul_f64 v[42:43], v[42:43], v[60:61]
	v_add_f64 v[90:91], v[42:43], 1.0
	v_add_f64 v[92:93], v[90:91], -1.0
	v_add_f64 v[88:89], v[42:43], -1.0
	v_add_f64 v[42:43], v[42:43], -v[92:93]
	v_rcp_f64_e32 v[92:93], v[90:91]
	v_frexp_exp_i32_f64_e32 v63, v[40:41]
	v_subbrev_co_u32_e32 v61, vcc, 0, v63, vcc
	v_fma_f64 v[94:95], -v[90:91], v[92:93], 1.0
	v_fmac_f64_e32 v[92:93], v[94:95], v[92:93]
	v_fma_f64 v[94:95], -v[90:91], v[92:93], 1.0
	v_fmac_f64_e32 v[92:93], v[94:95], v[92:93]
	v_mul_f64 v[94:95], v[88:89], v[92:93]
	v_mul_f64 v[96:97], v[90:91], v[94:95]
	v_fma_f64 v[90:91], v[94:95], v[90:91], -v[96:97]
	v_fmac_f64_e32 v[90:91], v[94:95], v[42:43]
	v_add_f64 v[42:43], v[96:97], v[90:91]
	v_add_f64 v[98:99], v[88:89], -v[42:43]
	v_add_f64 v[96:97], v[42:43], -v[96:97]
	;; [unrolled: 1-line block ×5, first 2 shown]
	v_add_f64 v[42:43], v[88:89], v[42:43]
	v_add_f64 v[42:43], v[98:99], v[42:43]
	v_mul_f64 v[42:43], v[92:93], v[42:43]
	v_add_f64 v[88:89], v[94:95], v[42:43]
	v_add_f64 v[90:91], v[88:89], -v[94:95]
	v_add_f64 v[42:43], v[42:43], -v[90:91]
	v_mul_f64 v[90:91], v[88:89], v[88:89]
	v_pk_mov_b32 v[92:93], v[26:27], v[26:27] op_sel:[0,1]
	v_fmac_f64_e32 v[92:93], s[68:69], v[90:91]
	v_pk_mov_b32 v[94:95], v[30:31], v[30:31] op_sel:[0,1]
	v_fmac_f64_e32 v[94:95], v[90:91], v[92:93]
	;; [unrolled: 2-line block ×6, first 2 shown]
	v_ldexp_f64 v[92:93], v[88:89], 1
	v_mul_f64 v[88:89], v[88:89], v[90:91]
	v_mul_f64 v[88:89], v[88:89], v[94:95]
	v_add_f64 v[90:91], v[92:93], v[88:89]
	v_add_f64 v[92:93], v[90:91], -v[92:93]
	v_ldexp_f64 v[42:43], v[42:43], 1
	v_add_f64 v[88:89], v[88:89], -v[92:93]
	v_add_f64 v[42:43], v[42:43], v[88:89]
	v_add_f64 v[88:89], v[90:91], v[42:43]
	v_add_f64 v[90:91], v[88:89], -v[90:91]
	v_add_f64 v[42:43], v[42:43], -v[90:91]
	v_cvt_f64_i32_e32 v[90:91], v61
	v_mul_f64 v[92:93], v[90:91], s[80:81]
	v_fma_f64 v[94:95], v[90:91], s[80:81], -v[92:93]
	v_fmac_f64_e32 v[94:95], s[82:83], v[90:91]
	v_add_f64 v[90:91], v[92:93], v[94:95]
	v_add_f64 v[92:93], v[90:91], -v[92:93]
	v_add_f64 v[92:93], v[94:95], -v[92:93]
	v_add_f64 v[94:95], v[90:91], v[88:89]
	v_add_f64 v[96:97], v[94:95], -v[90:91]
	v_add_f64 v[98:99], v[94:95], -v[96:97]
	;; [unrolled: 1-line block ×4, first 2 shown]
	v_add_f64 v[88:89], v[88:89], v[90:91]
	v_add_f64 v[90:91], v[92:93], v[42:43]
	v_add_f64 v[96:97], v[90:91], -v[92:93]
	v_add_f64 v[98:99], v[90:91], -v[96:97]
	v_add_f64 v[88:89], v[90:91], v[88:89]
	v_add_f64 v[92:93], v[92:93], -v[98:99]
	v_add_f64 v[42:43], v[42:43], -v[96:97]
	v_add_f64 v[90:91], v[94:95], v[88:89]
	v_add_f64 v[42:43], v[42:43], v[92:93]
	v_add_f64 v[92:93], v[90:91], -v[94:95]
	v_add_f64 v[88:89], v[88:89], -v[92:93]
	v_add_f64 v[42:43], v[42:43], v[88:89]
	v_add_f64 v[42:43], v[90:91], v[42:43]
	v_cmp_class_f64_e64 vcc, v[40:41], s60
	v_cndmask_b32_e32 v42, v42, v40, vcc
	v_cndmask_b32_e32 v43, v43, v41, vcc
	v_cmp_ngt_f64_e32 vcc, 0, v[40:41]
	v_cndmask_b32_e32 v43, v44, v43, vcc
	v_cmp_nge_f64_e32 vcc, 0, v[40:41]
	v_cndmask_b32_e32 v42, 0, v42, vcc
	v_cmp_neq_f64_e32 vcc, 0, v[40:41]
	v_cndmask_b32_e32 v43, v49, v43, vcc
	v_mul_f64 v[36:37], v[36:37], v[42:43]
	buffer_store_dword v36, off, s[96:99], 0 offset:16 ; 4-byte Folded Spill
	s_nop 0
	buffer_store_dword v37, off, s[96:99], 0 offset:20 ; 4-byte Folded Spill
	v_mul_f64 v[36:37], v[34:35], v[34:35]
	v_div_scale_f64 v[40:41], s[2:3], v[36:37], v[36:37], s[84:85]
	v_rcp_f64_e32 v[42:43], v[40:41]
	v_mov_b32_e32 v61, s5
	v_fma_f64 v[90:91], -v[40:41], v[42:43], 1.0
	v_fmac_f64_e32 v[42:43], v[42:43], v[90:91]
	v_fma_f64 v[90:91], -v[40:41], v[42:43], 1.0
	v_fmac_f64_e32 v[42:43], v[42:43], v[90:91]
	v_div_scale_f64 v[90:91], vcc, s[84:85], v[36:37], s[84:85]
	v_mul_f64 v[92:93], v[90:91], v[42:43]
	v_fma_f64 v[40:41], -v[40:41], v[92:93], v[90:91]
	s_nop 1
	v_div_fmas_f64 v[40:41], v[40:41], v[42:43], v[92:93]
	v_div_fixup_f64 v[40:41], v[40:41], v[36:37], s[84:85]
	v_add_f64 v[40:41], -v[40:41], s[88:89]
	v_div_scale_f64 v[42:43], s[2:3], v[36:37], v[36:37], v[40:41]
	v_rcp_f64_e32 v[90:91], v[42:43]
	v_fma_f64 v[92:93], -v[42:43], v[90:91], 1.0
	v_fmac_f64_e32 v[90:91], v[90:91], v[92:93]
	v_fma_f64 v[92:93], -v[42:43], v[90:91], 1.0
	v_fmac_f64_e32 v[90:91], v[90:91], v[92:93]
	v_div_scale_f64 v[92:93], vcc, v[40:41], v[36:37], v[40:41]
	v_mul_f64 v[94:95], v[92:93], v[90:91]
	v_fma_f64 v[42:43], -v[42:43], v[94:95], v[92:93]
	s_nop 1
	v_div_fmas_f64 v[42:43], v[42:43], v[90:91], v[94:95]
	v_div_fixup_f64 v[36:37], v[42:43], v[36:37], v[40:41]
	v_add_f64 v[36:37], -v[36:37], s[90:91]
	v_div_scale_f64 v[40:41], s[2:3], v[34:35], v[34:35], v[36:37]
	v_rcp_f64_e32 v[42:43], v[40:41]
	v_cmp_gt_f64_e64 s[2:3], s[46:47], v[22:23]
	v_trunc_f64_e32 v[22:23], v[22:23]
	v_fma_f64 v[90:91], -v[40:41], v[42:43], 1.0
	v_fmac_f64_e32 v[42:43], v[42:43], v[90:91]
	v_fma_f64 v[90:91], -v[40:41], v[42:43], 1.0
	v_fmac_f64_e32 v[42:43], v[42:43], v[90:91]
	v_div_scale_f64 v[90:91], vcc, v[36:37], v[34:35], v[36:37]
	v_mul_f64 v[92:93], v[90:91], v[42:43]
	v_fma_f64 v[40:41], -v[40:41], v[92:93], v[90:91]
	s_nop 1
	v_div_fmas_f64 v[40:41], v[40:41], v[42:43], v[92:93]
	v_div_fixup_f64 v[34:35], v[40:41], v[34:35], v[36:37]
	buffer_store_dword v34, off, s[96:99], 0 offset:24 ; 4-byte Folded Spill
	s_nop 0
	buffer_store_dword v35, off, s[96:99], 0 offset:28 ; 4-byte Folded Spill
	v_ldexp_f64 v[34:35], v[24:25], s61
	v_floor_f64_e32 v[34:35], v[34:35]
	v_fmac_f64_e32 v[24:25], 0xc1f00000, v[34:35]
	v_cvt_u32_f64_e32 v24, v[24:25]
	v_cvt_u32_f64_e32 v25, v[34:35]
	v_lshlrev_b64 v[24:25], 3, v[24:25]
	v_add_co_u32_e32 v94, vcc, s4, v24
	v_addc_co_u32_e32 v95, vcc, v25, v61, vcc
	v_mul_f64 v[24:25], v[86:87], v[86:87]
	v_div_scale_f64 v[34:35], s[22:23], v[24:25], v[24:25], s[84:85]
	v_rcp_f64_e32 v[36:37], v[34:35]
	v_fma_f64 v[40:41], -v[34:35], v[36:37], 1.0
	v_fmac_f64_e32 v[36:37], v[36:37], v[40:41]
	v_fma_f64 v[40:41], -v[34:35], v[36:37], 1.0
	v_fmac_f64_e32 v[36:37], v[36:37], v[40:41]
	v_div_scale_f64 v[40:41], vcc, s[84:85], v[24:25], s[84:85]
	v_mul_f64 v[42:43], v[40:41], v[36:37]
	v_fma_f64 v[34:35], -v[34:35], v[42:43], v[40:41]
	s_nop 1
	v_div_fmas_f64 v[34:35], v[34:35], v[36:37], v[42:43]
	v_div_fixup_f64 v[34:35], v[34:35], v[24:25], s[84:85]
	v_add_f64 v[34:35], -v[34:35], s[88:89]
	v_div_scale_f64 v[36:37], s[22:23], v[24:25], v[24:25], v[34:35]
	v_rcp_f64_e32 v[40:41], v[36:37]
	v_fma_f64 v[42:43], -v[36:37], v[40:41], 1.0
	v_fmac_f64_e32 v[40:41], v[40:41], v[42:43]
	v_fma_f64 v[42:43], -v[36:37], v[40:41], 1.0
	v_fmac_f64_e32 v[40:41], v[40:41], v[42:43]
	v_div_scale_f64 v[42:43], vcc, v[34:35], v[24:25], v[34:35]
	v_mul_f64 v[90:91], v[42:43], v[40:41]
	v_fma_f64 v[36:37], -v[36:37], v[90:91], v[42:43]
	s_nop 1
	v_div_fmas_f64 v[36:37], v[36:37], v[40:41], v[90:91]
	v_div_fixup_f64 v[24:25], v[36:37], v[24:25], v[34:35]
	v_add_f64 v[24:25], -v[24:25], s[90:91]
	v_div_scale_f64 v[34:35], s[22:23], v[86:87], v[86:87], v[24:25]
	v_rcp_f64_e32 v[36:37], v[34:35]
	s_mov_b64 s[22:23], 0
	v_fma_f64 v[40:41], -v[34:35], v[36:37], 1.0
	v_fmac_f64_e32 v[36:37], v[36:37], v[40:41]
	v_fma_f64 v[40:41], -v[34:35], v[36:37], 1.0
	v_fmac_f64_e32 v[36:37], v[36:37], v[40:41]
	v_div_scale_f64 v[40:41], vcc, v[24:25], v[86:87], v[24:25]
	v_mul_f64 v[42:43], v[40:41], v[36:37]
	v_fma_f64 v[34:35], -v[34:35], v[42:43], v[40:41]
	s_nop 1
	v_div_fmas_f64 v[34:35], v[34:35], v[36:37], v[42:43]
	v_div_fixup_f64 v[96:97], v[34:35], v[86:87], v[24:25]
	v_ldexp_f64 v[24:25], v[22:23], s61
	v_floor_f64_e32 v[24:25], v[24:25]
	v_fmac_f64_e32 v[22:23], 0xc1f00000, v[24:25]
	v_cvt_u32_f64_e32 v22, v[22:23]
	v_cvt_u32_f64_e32 v23, v[24:25]
	v_lshlrev_b64 v[22:23], 3, v[22:23]
	v_add_co_u32_e32 v98, vcc, s4, v22
	v_pk_mov_b32 v[36:37], v[14:15], v[14:15] op_sel:[0,1]
	v_addc_co_u32_e32 v99, vcc, v23, v61, vcc
	v_pk_mov_b32 v[34:35], v[12:13], v[12:13] op_sel:[0,1]
	s_branch .LBB102_49
.LBB102_47:                             ;   in Loop: Header=BB102_49 Depth=2
	s_or_b64 exec, exec, s[48:49]
	v_div_scale_f64 v[80:81], s[48:49], v[108:109], v[108:109], v[86:87]
	v_rcp_f64_e32 v[106:107], v[80:81]
	v_div_scale_f64 v[110:111], vcc, v[86:87], v[108:109], v[86:87]
	s_mov_b32 s79, s65
	v_fma_f64 v[112:113], -v[80:81], v[106:107], 1.0
	v_fmac_f64_e32 v[106:107], v[106:107], v[112:113]
	v_fma_f64 v[112:113], -v[80:81], v[106:107], 1.0
	v_fmac_f64_e32 v[106:107], v[106:107], v[112:113]
	v_mul_f64 v[112:113], v[110:111], v[106:107]
	v_fma_f64 v[80:81], -v[80:81], v[112:113], v[110:111]
	v_div_fmas_f64 v[80:81], v[80:81], v[106:107], v[112:113]
	v_div_fixup_f64 v[80:81], v[80:81], v[108:109], v[86:87]
	v_frexp_mant_f64_e32 v[106:107], v[80:81]
	v_cmp_gt_f64_e32 vcc, s[64:65], v[106:107]
	v_cndmask_b32_e64 v61, v39, 2.0, vcc
	v_mul_f64 v[106:107], v[106:107], v[60:61]
	v_add_f64 v[110:111], v[106:107], 1.0
	v_rcp_f64_e32 v[112:113], v[110:111]
	v_frexp_exp_i32_f64_e32 v78, v[80:81]
	v_subbrev_co_u32_e32 v61, vcc, 0, v78, vcc
	v_add_f64 v[78:79], v[110:111], -1.0
	v_add_f64 v[114:115], v[106:107], -1.0
	v_add_f64 v[78:79], v[106:107], -v[78:79]
	v_fma_f64 v[106:107], -v[110:111], v[112:113], 1.0
	v_fmac_f64_e32 v[112:113], v[106:107], v[112:113]
	v_fma_f64 v[106:107], -v[110:111], v[112:113], 1.0
	v_fmac_f64_e32 v[112:113], v[106:107], v[112:113]
	v_mul_f64 v[106:107], v[114:115], v[112:113]
	v_mul_f64 v[82:83], v[110:111], v[106:107]
	v_fma_f64 v[110:111], v[106:107], v[110:111], -v[82:83]
	v_fmac_f64_e32 v[110:111], v[106:107], v[78:79]
	v_add_f64 v[78:79], v[82:83], v[110:111]
	v_add_f64 v[88:89], v[114:115], -v[78:79]
	v_add_f64 v[82:83], v[78:79], -v[82:83]
	v_add_f64 v[114:115], v[114:115], -v[88:89]
	v_add_f64 v[78:79], v[114:115], -v[78:79]
	v_add_f64 v[82:83], v[82:83], -v[110:111]
	v_add_f64 v[78:79], v[82:83], v[78:79]
	v_add_f64 v[78:79], v[88:89], v[78:79]
	v_mul_f64 v[78:79], v[112:113], v[78:79]
	v_add_f64 v[82:83], v[106:107], v[78:79]
	v_add_f64 v[88:89], v[82:83], -v[106:107]
	v_add_f64 v[78:79], v[78:79], -v[88:89]
	v_mul_f64 v[88:89], v[82:83], v[82:83]
	v_pk_mov_b32 v[106:107], s[66:67], s[66:67] op_sel:[0,1]
	v_fma_f64 v[110:111], s[68:69], v[88:89], v[106:107]
	v_fma_f64 v[110:111], v[88:89], v[110:111], s[70:71]
	;; [unrolled: 1-line block ×6, first 2 shown]
	v_ldexp_f64 v[112:113], v[82:83], 1
	v_mul_f64 v[82:83], v[82:83], v[88:89]
	v_mul_f64 v[82:83], v[82:83], v[110:111]
	v_add_f64 v[88:89], v[112:113], v[82:83]
	v_add_f64 v[110:111], v[88:89], -v[112:113]
	v_ldexp_f64 v[78:79], v[78:79], 1
	v_add_f64 v[82:83], v[82:83], -v[110:111]
	v_add_f64 v[78:79], v[78:79], v[82:83]
	v_add_f64 v[82:83], v[88:89], v[78:79]
	v_add_f64 v[88:89], v[82:83], -v[88:89]
	v_add_f64 v[78:79], v[78:79], -v[88:89]
	v_cvt_f64_i32_e32 v[88:89], v61
	v_mul_f64 v[110:111], v[88:89], s[80:81]
	v_fma_f64 v[112:113], v[88:89], s[80:81], -v[110:111]
	v_fmac_f64_e32 v[112:113], s[82:83], v[88:89]
	v_add_f64 v[88:89], v[110:111], v[112:113]
	v_add_f64 v[110:111], v[88:89], -v[110:111]
	v_add_f64 v[110:111], v[112:113], -v[110:111]
	v_add_f64 v[112:113], v[88:89], v[82:83]
	v_add_f64 v[114:115], v[112:113], -v[88:89]
	v_add_f64 v[92:93], v[112:113], -v[114:115]
	;; [unrolled: 1-line block ×4, first 2 shown]
	v_add_f64 v[82:83], v[82:83], v[88:89]
	v_add_f64 v[88:89], v[110:111], v[78:79]
	v_add_f64 v[92:93], v[88:89], -v[110:111]
	v_add_f64 v[82:83], v[88:89], v[82:83]
	v_add_f64 v[114:115], v[88:89], -v[92:93]
	;; [unrolled: 2-line block ×3, first 2 shown]
	v_add_f64 v[78:79], v[78:79], -v[92:93]
	v_add_f64 v[92:93], v[88:89], -v[112:113]
	v_add_f64 v[78:79], v[78:79], v[110:111]
	v_add_f64 v[82:83], v[82:83], -v[92:93]
	v_add_f64 v[78:79], v[78:79], v[82:83]
	buffer_load_dword v82, off, s[96:99], 0 ; 4-byte Folded Reload
	buffer_load_dword v83, off, s[96:99], 0 offset:4 ; 4-byte Folded Reload
	v_add_f64 v[78:79], v[88:89], v[78:79]
	v_cmp_class_f64_e64 vcc, v[80:81], s60
	v_cndmask_b32_e32 v61, v78, v80, vcc
	v_cndmask_b32_e32 v78, v79, v81, vcc
	v_cmp_ngt_f64_e32 vcc, 0, v[80:81]
	v_cndmask_b32_e32 v79, v44, v78, vcc
	v_cmp_nge_f64_e32 vcc, 0, v[80:81]
	v_cndmask_b32_e32 v78, 0, v61, vcc
	v_cmp_neq_f64_e32 vcc, 0, v[80:81]
	v_cndmask_b32_e32 v79, v49, v79, vcc
	v_add_f64 v[80:81], v[66:67], 1.0
	s_waitcnt vmcnt(0)
	v_mul_f64 v[82:83], v[82:83], v[108:109]
	buffer_load_dword v108, off, s[96:99], 0 offset:16 ; 4-byte Folded Reload
	buffer_load_dword v109, off, s[96:99], 0 offset:20 ; 4-byte Folded Reload
	v_div_scale_f64 v[88:89], s[48:49], v[104:105], v[104:105], v[82:83]
	v_rcp_f64_e32 v[92:93], v[88:89]
	s_waitcnt vmcnt(0)
	v_fma_f64 v[108:109], v[80:81], v[78:79], v[108:109]
	v_fma_f64 v[80:81], -v[88:89], v[92:93], 1.0
	v_fmac_f64_e32 v[92:93], v[92:93], v[80:81]
	v_fma_f64 v[80:81], -v[88:89], v[92:93], 1.0
	v_fmac_f64_e32 v[92:93], v[92:93], v[80:81]
	v_div_scale_f64 v[80:81], vcc, v[82:83], v[104:105], v[82:83]
	v_mul_f64 v[110:111], v[80:81], v[92:93]
	v_fma_f64 v[80:81], -v[88:89], v[110:111], v[80:81]
	v_add_f64 v[78:79], v[90:91], 0.5
	s_nop 0
	v_div_fmas_f64 v[80:81], v[80:81], v[92:93], v[110:111]
	v_div_fixup_f64 v[80:81], v[80:81], v[104:105], v[82:83]
	v_frexp_mant_f64_e32 v[82:83], v[80:81]
	v_cmp_gt_f64_e32 vcc, s[64:65], v[82:83]
	v_cndmask_b32_e64 v61, v39, 2.0, vcc
	v_frexp_exp_i32_f64_e32 v88, v[80:81]
	v_mul_f64 v[82:83], v[82:83], v[60:61]
	v_subbrev_co_u32_e32 v61, vcc, 0, v88, vcc
	v_add_f64 v[88:89], v[82:83], 1.0
	v_rcp_f64_e32 v[92:93], v[88:89]
	v_add_f64 v[110:111], v[88:89], -1.0
	v_add_f64 v[104:105], v[82:83], -1.0
	v_add_f64 v[82:83], v[82:83], -v[110:111]
	v_fma_f64 v[110:111], -v[88:89], v[92:93], 1.0
	v_fmac_f64_e32 v[92:93], v[110:111], v[92:93]
	v_fma_f64 v[110:111], -v[88:89], v[92:93], 1.0
	v_fmac_f64_e32 v[92:93], v[110:111], v[92:93]
	v_mul_f64 v[110:111], v[104:105], v[92:93]
	v_mul_f64 v[112:113], v[88:89], v[110:111]
	v_fma_f64 v[88:89], v[110:111], v[88:89], -v[112:113]
	v_fmac_f64_e32 v[88:89], v[110:111], v[82:83]
	v_add_f64 v[82:83], v[112:113], v[88:89]
	v_add_f64 v[114:115], v[104:105], -v[82:83]
	v_add_f64 v[112:113], v[82:83], -v[112:113]
	;; [unrolled: 1-line block ×5, first 2 shown]
	v_add_f64 v[82:83], v[88:89], v[82:83]
	v_add_f64 v[82:83], v[114:115], v[82:83]
	v_mul_f64 v[82:83], v[92:93], v[82:83]
	v_add_f64 v[88:89], v[110:111], v[82:83]
	v_add_f64 v[92:93], v[88:89], -v[110:111]
	v_add_f64 v[82:83], v[82:83], -v[92:93]
	v_mul_f64 v[92:93], v[88:89], v[88:89]
	v_fma_f64 v[104:105], s[68:69], v[92:93], v[106:107]
	v_fma_f64 v[104:105], v[92:93], v[104:105], s[70:71]
	;; [unrolled: 1-line block ×6, first 2 shown]
	v_ldexp_f64 v[110:111], v[88:89], 1
	v_mul_f64 v[88:89], v[88:89], v[92:93]
	v_mul_f64 v[88:89], v[88:89], v[104:105]
	v_add_f64 v[92:93], v[110:111], v[88:89]
	v_add_f64 v[104:105], v[92:93], -v[110:111]
	v_ldexp_f64 v[82:83], v[82:83], 1
	v_add_f64 v[88:89], v[88:89], -v[104:105]
	v_add_f64 v[82:83], v[82:83], v[88:89]
	v_add_f64 v[88:89], v[92:93], v[82:83]
	v_add_f64 v[92:93], v[88:89], -v[92:93]
	v_add_f64 v[82:83], v[82:83], -v[92:93]
	v_cvt_f64_i32_e32 v[92:93], v61
	v_mul_f64 v[104:105], v[92:93], s[80:81]
	v_fma_f64 v[110:111], v[92:93], s[80:81], -v[104:105]
	v_fmac_f64_e32 v[110:111], s[82:83], v[92:93]
	v_add_f64 v[92:93], v[104:105], v[110:111]
	v_add_f64 v[104:105], v[92:93], -v[104:105]
	v_add_f64 v[104:105], v[110:111], -v[104:105]
	v_add_f64 v[110:111], v[92:93], v[88:89]
	v_add_f64 v[112:113], v[110:111], -v[92:93]
	v_add_f64 v[114:115], v[110:111], -v[112:113]
	;; [unrolled: 1-line block ×4, first 2 shown]
	v_add_f64 v[88:89], v[88:89], v[92:93]
	v_add_f64 v[92:93], v[104:105], v[82:83]
	v_add_f64 v[112:113], v[92:93], -v[104:105]
	v_add_f64 v[114:115], v[92:93], -v[112:113]
	v_add_f64 v[88:89], v[92:93], v[88:89]
	v_add_f64 v[104:105], v[104:105], -v[114:115]
	v_add_f64 v[82:83], v[82:83], -v[112:113]
	v_add_f64 v[92:93], v[110:111], v[88:89]
	v_add_f64 v[82:83], v[82:83], v[104:105]
	v_add_f64 v[104:105], v[92:93], -v[110:111]
	v_add_f64 v[88:89], v[88:89], -v[104:105]
	v_add_f64 v[82:83], v[82:83], v[88:89]
	v_add_f64 v[82:83], v[92:93], v[82:83]
	v_cmp_class_f64_e64 vcc, v[80:81], s60
	v_cndmask_b32_e32 v61, v82, v80, vcc
	v_cndmask_b32_e32 v82, v83, v81, vcc
	v_cmp_ngt_f64_e32 vcc, 0, v[80:81]
	v_cndmask_b32_e32 v83, v44, v82, vcc
	v_cmp_nge_f64_e32 vcc, 0, v[80:81]
	v_cndmask_b32_e32 v82, 0, v61, vcc
	v_cmp_neq_f64_e32 vcc, 0, v[80:81]
	v_cndmask_b32_e32 v83, v49, v83, vcc
	v_fmac_f64_e32 v[108:109], v[78:79], v[82:83]
	buffer_load_dword v78, off, s[96:99], 0 offset:8 ; 4-byte Folded Reload
	buffer_load_dword v79, off, s[96:99], 0 offset:12 ; 4-byte Folded Reload
	v_mul_f64 v[88:89], v[100:101], v[100:101]
	v_div_scale_f64 v[92:93], s[48:49], v[88:89], v[88:89], v[72:73]
	v_rcp_f64_e32 v[100:101], v[92:93]
	v_add_f64 v[36:37], v[108:109], v[36:37]
	v_add_f64 v[36:37], v[36:37], v[40:41]
	v_add_f64 v[36:37], v[36:37], -v[102:103]
	s_waitcnt vmcnt(0)
	v_mul_f64 v[34:35], v[78:79], v[34:35]
	v_fma_f64 v[78:79], -v[92:93], v[100:101], 1.0
	v_fmac_f64_e32 v[100:101], v[100:101], v[78:79]
	v_fma_f64 v[78:79], -v[92:93], v[100:101], 1.0
	v_fmac_f64_e32 v[100:101], v[100:101], v[78:79]
	v_div_scale_f64 v[78:79], vcc, v[72:73], v[88:89], v[72:73]
	v_mul_f64 v[80:81], v[78:79], v[100:101]
	v_fma_f64 v[78:79], -v[92:93], v[80:81], v[78:79]
	s_nop 1
	v_div_fmas_f64 v[78:79], v[78:79], v[100:101], v[80:81]
	v_div_fixup_f64 v[78:79], v[78:79], v[88:89], v[72:73]
	v_add_f64 v[78:79], v[70:71], v[78:79]
	v_div_scale_f64 v[80:81], s[48:49], v[78:79], v[78:79], v[34:35]
	v_rcp_f64_e32 v[82:83], v[80:81]
	v_fma_f64 v[40:41], -v[80:81], v[82:83], 1.0
	v_fmac_f64_e32 v[82:83], v[82:83], v[40:41]
	v_fma_f64 v[40:41], -v[80:81], v[82:83], 1.0
	v_fmac_f64_e32 v[82:83], v[82:83], v[40:41]
	v_div_scale_f64 v[40:41], vcc, v[34:35], v[78:79], v[34:35]
	v_mul_f64 v[88:89], v[40:41], v[82:83]
	v_fma_f64 v[40:41], -v[80:81], v[88:89], v[40:41]
	s_nop 1
	v_div_fmas_f64 v[40:41], v[40:41], v[82:83], v[88:89]
	v_div_fixup_f64 v[34:35], v[40:41], v[78:79], v[34:35]
	v_frexp_mant_f64_e32 v[40:41], v[34:35]
	v_cmp_gt_f64_e32 vcc, s[64:65], v[40:41]
	v_cndmask_b32_e64 v61, v39, 2.0, vcc
	v_frexp_exp_i32_f64_e32 v78, v[34:35]
	v_mul_f64 v[40:41], v[40:41], v[60:61]
	v_subbrev_co_u32_e32 v61, vcc, 0, v78, vcc
	v_add_f64 v[78:79], v[40:41], 1.0
	v_rcp_f64_e32 v[80:81], v[78:79]
	v_add_f64 v[88:89], v[78:79], -1.0
	v_add_f64 v[82:83], v[40:41], -1.0
	v_add_f64 v[40:41], v[40:41], -v[88:89]
	v_fma_f64 v[88:89], -v[78:79], v[80:81], 1.0
	v_fmac_f64_e32 v[80:81], v[88:89], v[80:81]
	v_fma_f64 v[88:89], -v[78:79], v[80:81], 1.0
	v_fmac_f64_e32 v[80:81], v[88:89], v[80:81]
	v_mul_f64 v[88:89], v[82:83], v[80:81]
	v_mul_f64 v[92:93], v[78:79], v[88:89]
	v_fma_f64 v[78:79], v[88:89], v[78:79], -v[92:93]
	v_fmac_f64_e32 v[78:79], v[88:89], v[40:41]
	v_add_f64 v[40:41], v[92:93], v[78:79]
	v_add_f64 v[100:101], v[82:83], -v[40:41]
	v_add_f64 v[92:93], v[40:41], -v[92:93]
	;; [unrolled: 1-line block ×5, first 2 shown]
	v_add_f64 v[40:41], v[78:79], v[40:41]
	v_add_f64 v[40:41], v[100:101], v[40:41]
	v_mul_f64 v[40:41], v[80:81], v[40:41]
	v_add_f64 v[78:79], v[88:89], v[40:41]
	v_add_f64 v[80:81], v[78:79], -v[88:89]
	v_add_f64 v[40:41], v[40:41], -v[80:81]
	v_mul_f64 v[80:81], v[78:79], v[78:79]
	v_fmac_f64_e32 v[106:107], s[68:69], v[80:81]
	v_fma_f64 v[82:83], v[80:81], v[106:107], s[70:71]
	v_fma_f64 v[82:83], v[80:81], v[82:83], s[72:73]
	;; [unrolled: 1-line block ×5, first 2 shown]
	v_ldexp_f64 v[88:89], v[78:79], 1
	v_mul_f64 v[78:79], v[78:79], v[80:81]
	v_mul_f64 v[78:79], v[78:79], v[82:83]
	v_add_f64 v[80:81], v[88:89], v[78:79]
	v_add_f64 v[82:83], v[80:81], -v[88:89]
	v_ldexp_f64 v[40:41], v[40:41], 1
	v_add_f64 v[78:79], v[78:79], -v[82:83]
	v_add_f64 v[40:41], v[40:41], v[78:79]
	v_add_f64 v[78:79], v[80:81], v[40:41]
	v_add_f64 v[80:81], v[78:79], -v[80:81]
	v_add_f64 v[40:41], v[40:41], -v[80:81]
	v_cvt_f64_i32_e32 v[80:81], v61
	v_mul_f64 v[82:83], v[80:81], s[80:81]
	v_fma_f64 v[88:89], v[80:81], s[80:81], -v[82:83]
	v_fmac_f64_e32 v[88:89], s[82:83], v[80:81]
	v_add_f64 v[80:81], v[82:83], v[88:89]
	v_add_f64 v[82:83], v[80:81], -v[82:83]
	v_add_f64 v[82:83], v[88:89], -v[82:83]
	v_add_f64 v[88:89], v[80:81], v[78:79]
	v_add_f64 v[92:93], v[88:89], -v[80:81]
	v_add_f64 v[100:101], v[88:89], -v[92:93]
	v_add_f64 v[80:81], v[80:81], -v[100:101]
	v_add_f64 v[78:79], v[78:79], -v[92:93]
	v_add_f64 v[78:79], v[78:79], v[80:81]
	v_add_f64 v[80:81], v[82:83], v[40:41]
	v_add_f64 v[92:93], v[80:81], -v[82:83]
	v_add_f64 v[100:101], v[80:81], -v[92:93]
	v_add_f64 v[78:79], v[80:81], v[78:79]
	v_add_f64 v[82:83], v[82:83], -v[100:101]
	v_add_f64 v[40:41], v[40:41], -v[92:93]
	v_add_f64 v[80:81], v[88:89], v[78:79]
	v_add_f64 v[40:41], v[40:41], v[82:83]
	v_add_f64 v[82:83], v[80:81], -v[88:89]
	v_add_f64 v[78:79], v[78:79], -v[82:83]
	v_add_f64 v[40:41], v[40:41], v[78:79]
	v_add_f64 v[40:41], v[80:81], v[40:41]
	v_cmp_class_f64_e64 vcc, v[34:35], s60
	v_cndmask_b32_e32 v40, v40, v34, vcc
	v_cndmask_b32_e32 v41, v41, v35, vcc
	v_cmp_ngt_f64_e32 vcc, 0, v[34:35]
	v_cndmask_b32_e32 v41, v44, v41, vcc
	v_cmp_nge_f64_e32 vcc, 0, v[34:35]
	v_cndmask_b32_e32 v40, 0, v40, vcc
	v_cmp_neq_f64_e32 vcc, 0, v[34:35]
	v_cndmask_b32_e32 v41, v49, v41, vcc
	v_add_f64 v[34:35], v[36:37], -v[42:43]
	v_cmp_le_f64_e32 vcc, v[40:41], v[34:35]
	s_orn2_b64 s[48:49], vcc, exec
.LBB102_48:                             ;   in Loop: Header=BB102_49 Depth=2
	s_or_b64 exec, exec, s[4:5]
	s_and_b64 s[4:5], exec, s[48:49]
	v_pk_mov_b32 v[36:37], v[24:25], v[24:25] op_sel:[0,1]
	s_or_b64 s[22:23], s[4:5], s[22:23]
	s_mov_b64 s[48:49], 0
	v_mov_b32_e32 v102, v63
	v_pk_mov_b32 v[34:35], v[22:23], v[22:23] op_sel:[0,1]
	s_andn2_b64 exec, exec, s[22:23]
	s_cbranch_execz .LBB102_67
.LBB102_49:                             ;   Parent Loop BB102_28 Depth=1
                                        ; =>  This Inner Loop Header: Depth=2
	v_add_u32_e32 v61, 1, v102
	v_pk_mov_b32 v[42:43], v[36:37], v[36:37] op_sel:[0,1]
	v_cmp_eq_u32_e32 vcc, 4, v61
	v_pk_mov_b32 v[40:41], v[34:35], v[34:35] op_sel:[0,1]
	s_and_saveexec_b64 s[4:5], vcc
	s_cbranch_execz .LBB102_51
; %bb.50:                               ;   in Loop: Header=BB102_49 Depth=2
	v_add_co_u32_e32 v4, vcc, 1, v4
	v_cndmask_b32_e64 v12, 0, 1, vcc
	v_addc_co_u32_e32 v1, vcc, 0, v1, vcc
	v_cmp_eq_u32_e32 vcc, 0, v1
	v_cndmask_b32_e32 v12, 0, v12, vcc
	v_add_u32_e32 v2, v12, v2
	v_cmp_eq_u32_e32 vcc, 0, v2
	v_cndmask_b32_e32 v12, 0, v12, vcc
	v_add_u32_e32 v3, v12, v3
	v_mad_u64_u32 v[12:13], s[52:53], v4, s56, 0
	v_mad_u64_u32 v[14:15], s[52:53], v2, s57, 0
	v_xor_b32_e32 v15, v15, v68
	v_xor_b32_e32 v13, v13, v69
	v_xor_b32_e32 v15, v1, v15
	v_xor_b32_e32 v13, v3, v13
	v_mad_u64_u32 v[22:23], s[52:53], v15, s56, 0
	v_mad_u64_u32 v[24:25], s[52:53], v13, s57, 0
	v_xor_b32_e32 v13, v25, v14
	v_xor_b32_e32 v12, v23, v12
	v_xor_b32_e32 v13, v119, v13
	v_xor_b32_e32 v14, v120, v12
	;; [unrolled: 6-line block ×9, first 2 shown]
	v_mad_u64_u32 v[22:23], s[52:53], v13, s56, 0
	v_mad_u64_u32 v[24:25], s[52:53], v15, s57, 0
	v_xor_b32_e32 v13, v23, v14
	v_xor_b32_e32 v12, v25, v12
	;; [unrolled: 1-line block ×3, first 2 shown]
	v_mov_b32_e32 v15, v22
	v_xor_b32_e32 v12, v117, v12
	v_mov_b32_e32 v13, v24
	v_pk_mov_b32 v[42:43], v[14:15], v[14:15] op_sel:[0,1]
	v_mov_b32_e32 v61, 0
	v_pk_mov_b32 v[40:41], v[12:13], v[12:13] op_sel:[0,1]
.LBB102_51:                             ;   in Loop: Header=BB102_49 Depth=2
	s_or_b64 exec, exec, s[4:5]
	v_add_u32_e32 v63, 1, v61
	v_pk_mov_b32 v[22:23], v[40:41], v[40:41] op_sel:[0,1]
	v_cmp_eq_u32_e32 vcc, 4, v63
	v_pk_mov_b32 v[24:25], v[42:43], v[42:43] op_sel:[0,1]
	s_and_saveexec_b64 s[4:5], vcc
	s_cbranch_execz .LBB102_53
; %bb.52:                               ;   in Loop: Header=BB102_49 Depth=2
	v_add_co_u32_e32 v4, vcc, 1, v4
	v_cndmask_b32_e64 v12, 0, 1, vcc
	v_addc_co_u32_e32 v1, vcc, 0, v1, vcc
	v_cmp_eq_u32_e32 vcc, 0, v1
	v_cndmask_b32_e32 v12, 0, v12, vcc
	v_add_u32_e32 v2, v12, v2
	v_cmp_eq_u32_e32 vcc, 0, v2
	v_cndmask_b32_e32 v12, 0, v12, vcc
	v_add_u32_e32 v3, v12, v3
	v_mad_u64_u32 v[12:13], s[52:53], v4, s56, 0
	v_mad_u64_u32 v[14:15], s[52:53], v2, s57, 0
	v_xor_b32_e32 v15, v15, v68
	v_xor_b32_e32 v13, v13, v69
	v_xor_b32_e32 v15, v1, v15
	v_xor_b32_e32 v13, v3, v13
	v_mad_u64_u32 v[22:23], s[52:53], v15, s56, 0
	v_mad_u64_u32 v[24:25], s[52:53], v13, s57, 0
	v_xor_b32_e32 v13, v25, v14
	v_xor_b32_e32 v12, v23, v12
	v_xor_b32_e32 v13, v119, v13
	v_xor_b32_e32 v14, v120, v12
	;; [unrolled: 6-line block ×9, first 2 shown]
	v_mad_u64_u32 v[22:23], s[52:53], v13, s56, 0
	v_mad_u64_u32 v[24:25], s[52:53], v15, s57, 0
	v_xor_b32_e32 v13, v23, v14
	v_xor_b32_e32 v12, v25, v12
	;; [unrolled: 1-line block ×3, first 2 shown]
	v_mov_b32_e32 v15, v22
	v_xor_b32_e32 v12, v117, v12
	v_mov_b32_e32 v13, v24
	v_pk_mov_b32 v[24:25], v[14:15], v[14:15] op_sel:[0,1]
	v_mov_b32_e32 v63, 0
	v_pk_mov_b32 v[22:23], v[12:13], v[12:13] op_sel:[0,1]
.LBB102_53:                             ;   in Loop: Header=BB102_49 Depth=2
	s_or_b64 exec, exec, s[4:5]
	v_cmp_eq_u32_e32 vcc, 1, v102
	v_cndmask_b32_e32 v34, v34, v35, vcc
	v_cmp_eq_u32_e32 vcc, 2, v102
	v_cndmask_b32_e32 v34, v34, v36, vcc
	;; [unrolled: 2-line block ×3, first 2 shown]
	v_and_b32_e32 v34, 0xffffff, v34
	v_cvt_f32_u32_e32 v34, v34
	v_mul_f32_e32 v34, 0x33800000, v34
	v_cvt_f64_f32_e32 v[34:35], v34
	v_add_f64 v[34:35], v[34:35], -0.5
	v_add_f64 v[100:101], -|v[34:35]|, 0.5
	v_div_scale_f64 v[36:37], s[4:5], v[100:101], v[100:101], v[84:85]
	v_rcp_f64_e32 v[90:91], v[36:37]
	v_div_scale_f64 v[102:103], vcc, v[84:85], v[100:101], v[84:85]
	v_fma_f64 v[104:105], -v[36:37], v[90:91], 1.0
	v_fmac_f64_e32 v[90:91], v[90:91], v[104:105]
	v_fma_f64 v[104:105], -v[36:37], v[90:91], 1.0
	v_fmac_f64_e32 v[90:91], v[90:91], v[104:105]
	v_mul_f64 v[104:105], v[102:103], v[90:91]
	v_fma_f64 v[36:37], -v[36:37], v[104:105], v[102:103]
	v_div_fmas_f64 v[36:37], v[36:37], v[90:91], v[104:105]
	v_div_fixup_f64 v[36:37], v[36:37], v[100:101], v[84:85]
	v_add_f64 v[36:37], v[70:71], v[36:37]
	v_fma_f64 v[34:35], v[34:35], v[36:37], v[74:75]
	v_floor_f64_e32 v[90:91], v[34:35]
	v_cmp_ngt_f64_e32 vcc, 0, v[90:91]
	v_cmp_ngt_f64_e64 s[4:5], v[90:91], v[66:67]
	s_and_b64 s[4:5], vcc, s[4:5]
	s_and_b64 s[4:5], exec, s[4:5]
	v_pk_mov_b32 v[36:37], v[24:25], v[24:25] op_sel:[0,1]
	s_or_b64 s[48:49], s[4:5], s[48:49]
	v_mov_b32_e32 v102, v63
	v_pk_mov_b32 v[34:35], v[22:23], v[22:23] op_sel:[0,1]
	s_andn2_b64 exec, exec, s[48:49]
	s_cbranch_execnz .LBB102_49
; %bb.54:                               ;   in Loop: Header=BB102_49 Depth=2
	s_or_b64 exec, exec, s[48:49]
	v_cmp_eq_u32_e32 vcc, 1, v61
	v_cndmask_b32_e32 v34, v40, v41, vcc
	v_cmp_eq_u32_e32 vcc, 2, v61
	v_cndmask_b32_e32 v34, v34, v42, vcc
	;; [unrolled: 2-line block ×3, first 2 shown]
	v_and_b32_e32 v34, 0xffffff, v34
	v_cvt_f32_u32_e32 v34, v34
	v_cmp_nle_f64_e32 vcc, s[92:93], v[100:101]
	s_mov_b64 s[48:49], -1
	v_mul_f32_e32 v34, 0x33800000, v34
	v_cvt_f64_f32_e32 v[34:35], v34
	v_cmp_nge_f64_e64 s[4:5], v[76:77], v[34:35]
	s_or_b64 s[52:53], vcc, s[4:5]
	s_and_saveexec_b64 s[4:5], s[52:53]
	s_cbranch_execz .LBB102_48
; %bb.55:                               ;   in Loop: Header=BB102_49 Depth=2
	buffer_load_dword v36, off, s[96:99], 0 offset:24 ; 4-byte Folded Reload
	buffer_load_dword v37, off, s[96:99], 0 offset:28 ; 4-byte Folded Reload
	s_and_saveexec_b64 s[48:49], s[0:1]
	s_cbranch_execz .LBB102_57
; %bb.56:                               ;   in Loop: Header=BB102_49 Depth=2
	global_load_dwordx2 v[36:37], v[94:95], off
.LBB102_57:                             ;   in Loop: Header=BB102_49 Depth=2
	s_or_b64 exec, exec, s[48:49]
	v_pk_mov_b32 v[40:41], v[96:97], v[96:97] op_sel:[0,1]
	s_and_saveexec_b64 s[48:49], s[2:3]
	s_cbranch_execz .LBB102_59
; %bb.58:                               ;   in Loop: Header=BB102_49 Depth=2
	global_load_dwordx2 v[40:41], v[98:99], off
.LBB102_59:                             ;   in Loop: Header=BB102_49 Depth=2
	s_or_b64 exec, exec, s[48:49]
	v_add_f64 v[104:105], v[90:91], 1.0
	v_cmp_ngt_f64_e32 vcc, s[46:47], v[90:91]
                                        ; implicit-def: $vgpr102_vgpr103
	s_and_saveexec_b64 s[48:49], vcc
	s_xor_b64 s[48:49], exec, s[48:49]
	s_cbranch_execz .LBB102_61
; %bb.60:                               ;   in Loop: Header=BB102_49 Depth=2
	v_mul_f64 v[42:43], v[104:105], v[104:105]
	v_div_scale_f64 v[102:103], s[52:53], v[42:43], v[42:43], s[86:87]
	v_rcp_f64_e32 v[106:107], v[102:103]
	v_div_scale_f64 v[108:109], vcc, s[86:87], v[42:43], s[86:87]
	s_mov_b32 s90, s64
	v_fma_f64 v[110:111], -v[102:103], v[106:107], 1.0
	v_fmac_f64_e32 v[106:107], v[106:107], v[110:111]
	v_fma_f64 v[110:111], -v[102:103], v[106:107], 1.0
	v_fmac_f64_e32 v[106:107], v[106:107], v[110:111]
	v_mul_f64 v[110:111], v[108:109], v[106:107]
	v_fma_f64 v[102:103], -v[102:103], v[110:111], v[108:109]
	v_div_fmas_f64 v[102:103], v[102:103], v[106:107], v[110:111]
	v_div_fixup_f64 v[102:103], v[102:103], v[42:43], s[86:87]
	v_add_f64 v[102:103], v[102:103], s[88:89]
	v_div_scale_f64 v[106:107], s[52:53], v[42:43], v[42:43], v[102:103]
	v_rcp_f64_e32 v[108:109], v[106:107]
	v_fma_f64 v[110:111], -v[106:107], v[108:109], 1.0
	v_fmac_f64_e32 v[108:109], v[108:109], v[110:111]
	v_fma_f64 v[110:111], -v[106:107], v[108:109], 1.0
	v_fmac_f64_e32 v[108:109], v[108:109], v[110:111]
	v_div_scale_f64 v[110:111], vcc, v[102:103], v[42:43], v[102:103]
	v_mul_f64 v[112:113], v[110:111], v[108:109]
	v_fma_f64 v[106:107], -v[106:107], v[112:113], v[110:111]
	s_nop 1
	v_div_fmas_f64 v[106:107], v[106:107], v[108:109], v[112:113]
	v_div_fixup_f64 v[42:43], v[106:107], v[42:43], v[102:103]
	v_add_f64 v[42:43], -v[42:43], s[90:91]
	v_div_scale_f64 v[102:103], s[52:53], v[104:105], v[104:105], v[42:43]
	v_rcp_f64_e32 v[106:107], v[102:103]
	v_fma_f64 v[108:109], -v[102:103], v[106:107], 1.0
	v_fmac_f64_e32 v[106:107], v[106:107], v[108:109]
	v_fma_f64 v[108:109], -v[102:103], v[106:107], 1.0
	v_fmac_f64_e32 v[106:107], v[106:107], v[108:109]
	v_div_scale_f64 v[108:109], vcc, v[42:43], v[104:105], v[42:43]
	v_mul_f64 v[110:111], v[108:109], v[106:107]
	v_fma_f64 v[102:103], -v[102:103], v[110:111], v[108:109]
	s_nop 1
	v_div_fmas_f64 v[102:103], v[102:103], v[106:107], v[110:111]
	v_div_fixup_f64 v[102:103], v[102:103], v[104:105], v[42:43]
.LBB102_61:                             ;   in Loop: Header=BB102_49 Depth=2
	s_andn2_saveexec_b64 s[48:49], s[48:49]
	s_cbranch_execz .LBB102_63
; %bb.62:                               ;   in Loop: Header=BB102_49 Depth=2
	v_trunc_f64_e32 v[42:43], v[90:91]
	v_ldexp_f64 v[102:103], v[42:43], s61
	v_floor_f64_e32 v[102:103], v[102:103]
	v_fmac_f64_e32 v[42:43], 0xc1f00000, v[102:103]
	v_cvt_u32_f64_e32 v107, v[102:103]
	v_cvt_u32_f64_e32 v106, v[42:43]
	v_lshlrev_b64 v[42:43], 3, v[106:107]
	s_getpc_b64 s[52:53]
	s_add_u32 s52, s52, _ZZN12_GLOBAL__N_120stirling_approx_tailIdEET_S1_E11kTailValues.const@rel32@lo+4
	s_addc_u32 s53, s53, _ZZN12_GLOBAL__N_120stirling_approx_tailIdEET_S1_E11kTailValues.const@rel32@hi+12
	v_mov_b32_e32 v61, s53
	v_add_co_u32_e32 v42, vcc, s52, v42
	v_addc_co_u32_e32 v43, vcc, v43, v61, vcc
	global_load_dwordx2 v[102:103], v[42:43], off
.LBB102_63:                             ;   in Loop: Header=BB102_49 Depth=2
	s_or_b64 exec, exec, s[48:49]
	v_add_f64 v[106:107], v[66:67], -v[90:91]
	v_add_f64 v[108:109], v[106:107], 1.0
	v_cmp_ngt_f64_e32 vcc, s[46:47], v[106:107]
                                        ; implicit-def: $vgpr42_vgpr43
	s_and_saveexec_b64 s[48:49], vcc
	s_xor_b64 s[48:49], exec, s[48:49]
	s_cbranch_execz .LBB102_65
; %bb.64:                               ;   in Loop: Header=BB102_49 Depth=2
	v_mul_f64 v[42:43], v[108:109], v[108:109]
	v_div_scale_f64 v[106:107], s[52:53], v[42:43], v[42:43], s[86:87]
	v_rcp_f64_e32 v[110:111], v[106:107]
	v_div_scale_f64 v[112:113], vcc, s[86:87], v[42:43], s[86:87]
	s_mov_b32 s90, s64
	v_fma_f64 v[114:115], -v[106:107], v[110:111], 1.0
	v_fmac_f64_e32 v[110:111], v[110:111], v[114:115]
	v_fma_f64 v[114:115], -v[106:107], v[110:111], 1.0
	v_fmac_f64_e32 v[110:111], v[110:111], v[114:115]
	v_mul_f64 v[114:115], v[112:113], v[110:111]
	v_fma_f64 v[106:107], -v[106:107], v[114:115], v[112:113]
	v_div_fmas_f64 v[106:107], v[106:107], v[110:111], v[114:115]
	v_div_fixup_f64 v[106:107], v[106:107], v[42:43], s[86:87]
	v_add_f64 v[106:107], v[106:107], s[88:89]
	v_div_scale_f64 v[110:111], s[52:53], v[42:43], v[42:43], v[106:107]
	v_rcp_f64_e32 v[112:113], v[110:111]
	v_fma_f64 v[114:115], -v[110:111], v[112:113], 1.0
	v_fmac_f64_e32 v[112:113], v[112:113], v[114:115]
	v_fma_f64 v[114:115], -v[110:111], v[112:113], 1.0
	v_fmac_f64_e32 v[112:113], v[112:113], v[114:115]
	v_div_scale_f64 v[114:115], vcc, v[106:107], v[42:43], v[106:107]
	v_mul_f64 v[80:81], v[114:115], v[112:113]
	v_fma_f64 v[110:111], -v[110:111], v[80:81], v[114:115]
	s_nop 1
	v_div_fmas_f64 v[80:81], v[110:111], v[112:113], v[80:81]
	v_div_fixup_f64 v[42:43], v[80:81], v[42:43], v[106:107]
	v_add_f64 v[42:43], -v[42:43], s[90:91]
	v_div_scale_f64 v[80:81], s[52:53], v[108:109], v[108:109], v[42:43]
	v_rcp_f64_e32 v[106:107], v[80:81]
	v_fma_f64 v[110:111], -v[80:81], v[106:107], 1.0
	v_fmac_f64_e32 v[106:107], v[106:107], v[110:111]
	v_fma_f64 v[110:111], -v[80:81], v[106:107], 1.0
	v_fmac_f64_e32 v[106:107], v[106:107], v[110:111]
	v_div_scale_f64 v[110:111], vcc, v[42:43], v[108:109], v[42:43]
	v_mul_f64 v[112:113], v[110:111], v[106:107]
	v_fma_f64 v[80:81], -v[80:81], v[112:113], v[110:111]
	s_nop 1
	v_div_fmas_f64 v[80:81], v[80:81], v[106:107], v[112:113]
	v_div_fixup_f64 v[42:43], v[80:81], v[108:109], v[42:43]
                                        ; implicit-def: $vgpr106_vgpr107
.LBB102_65:                             ;   in Loop: Header=BB102_49 Depth=2
	s_andn2_saveexec_b64 s[48:49], s[48:49]
	s_cbranch_execz .LBB102_47
; %bb.66:                               ;   in Loop: Header=BB102_49 Depth=2
	v_trunc_f64_e32 v[42:43], v[106:107]
	v_ldexp_f64 v[106:107], v[42:43], s61
	v_floor_f64_e32 v[106:107], v[106:107]
	v_fmac_f64_e32 v[42:43], 0xc1f00000, v[106:107]
	v_cvt_u32_f64_e32 v111, v[106:107]
	v_cvt_u32_f64_e32 v110, v[42:43]
	v_lshlrev_b64 v[42:43], 3, v[110:111]
	s_getpc_b64 s[52:53]
	s_add_u32 s52, s52, _ZZN12_GLOBAL__N_120stirling_approx_tailIdEET_S1_E11kTailValues.const@rel32@lo+4
	s_addc_u32 s53, s53, _ZZN12_GLOBAL__N_120stirling_approx_tailIdEET_S1_E11kTailValues.const@rel32@hi+12
	v_mov_b32_e32 v61, s53
	v_add_co_u32_e32 v42, vcc, s52, v42
	v_addc_co_u32_e32 v43, vcc, v43, v61, vcc
	global_load_dwordx2 v[42:43], v[42:43], off
	s_branch .LBB102_47
.LBB102_67:                             ;   in Loop: Header=BB102_28 Depth=1
	s_or_b64 exec, exec, s[22:23]
	buffer_load_dword v80, off, s[96:99], 0 offset:32 ; 4-byte Folded Reload
	buffer_load_dword v81, off, s[96:99], 0 offset:36 ; 4-byte Folded Reload
	;; [unrolled: 1-line block ×12, first 2 shown]
                                        ; implicit-def: $vgpr66_vgpr67
                                        ; implicit-def: $vgpr102
                                        ; implicit-def: $vgpr22_vgpr23
.LBB102_68:                             ;   in Loop: Header=BB102_28 Depth=1
	s_andn2_saveexec_b64 s[0:1], s[20:21]
	s_cbranch_execz .LBB102_74
; %bb.69:                               ;   in Loop: Header=BB102_28 Depth=1
	v_add_f64 v[24:25], -v[22:23], 1.0
	v_add_f64 v[34:35], v[24:25], -1.0
	v_add_f64 v[36:37], v[34:35], -v[24:25]
	v_add_f64 v[36:37], v[36:37], 1.0
	v_add_f64 v[34:35], -v[22:23], -v[34:35]
	v_add_f64 v[34:35], v[34:35], v[36:37]
	v_frexp_mant_f64_e32 v[36:37], v[24:25]
	v_frexp_exp_i32_f64_e32 v40, v[24:25]
	v_cmp_gt_f64_e32 vcc, s[64:65], v[36:37]
	v_subbrev_co_u32_e32 v63, vcc, 0, v40, vcc
	v_sub_u32_e32 v36, 0, v63
	v_ldexp_f64 v[24:25], v[24:25], v36
	v_ldexp_f64 v[34:35], v[34:35], v36
	v_add_f64 v[36:37], v[24:25], -1.0
	v_add_f64 v[70:71], v[24:25], 1.0
	v_add_f64 v[40:41], v[36:37], 1.0
	v_add_f64 v[72:73], v[70:71], -1.0
	v_add_f64 v[40:41], v[24:25], -v[40:41]
	v_add_f64 v[24:25], v[24:25], -v[72:73]
	v_add_f64 v[24:25], v[34:35], v[24:25]
	v_add_f64 v[40:41], v[34:35], v[40:41]
	;; [unrolled: 1-line block ×3, first 2 shown]
	v_rcp_f64_e32 v[72:73], v[34:35]
	v_add_f64 v[42:43], v[36:37], v[40:41]
	v_add_f64 v[36:37], v[42:43], -v[36:37]
	v_add_f64 v[36:37], v[40:41], -v[36:37]
	v_add_f64 v[40:41], v[34:35], -v[70:71]
	v_add_f64 v[24:25], v[24:25], -v[40:41]
	v_fma_f64 v[40:41], -v[34:35], v[72:73], 1.0
	v_fmac_f64_e32 v[72:73], v[40:41], v[72:73]
	v_fma_f64 v[40:41], -v[34:35], v[72:73], 1.0
	v_fmac_f64_e32 v[72:73], v[40:41], v[72:73]
	v_mul_f64 v[40:41], v[42:43], v[72:73]
	v_mul_f64 v[70:71], v[34:35], v[40:41]
	v_fma_f64 v[74:75], v[40:41], v[34:35], -v[70:71]
	v_fmac_f64_e32 v[74:75], v[40:41], v[24:25]
	v_add_f64 v[76:77], v[70:71], v[74:75]
	v_add_f64 v[78:79], v[42:43], -v[76:77]
	v_add_f64 v[42:43], v[42:43], -v[78:79]
	;; [unrolled: 1-line block ×4, first 2 shown]
	v_add_f64 v[36:37], v[36:37], v[42:43]
	v_add_f64 v[42:43], v[70:71], -v[74:75]
	v_add_f64 v[36:37], v[42:43], v[36:37]
	v_add_f64 v[42:43], v[78:79], v[36:37]
	v_add_f64 v[70:71], v[78:79], -v[42:43]
	v_add_f64 v[36:37], v[36:37], v[70:71]
	v_mul_f64 v[70:71], v[72:73], v[42:43]
	v_mul_f64 v[74:75], v[34:35], v[70:71]
	v_fma_f64 v[34:35], v[70:71], v[34:35], -v[74:75]
	v_fmac_f64_e32 v[34:35], v[70:71], v[24:25]
	v_add_f64 v[24:25], v[74:75], v[34:35]
	v_add_f64 v[76:77], v[42:43], -v[24:25]
	v_add_f64 v[42:43], v[42:43], -v[76:77]
	;; [unrolled: 1-line block ×4, first 2 shown]
	v_add_f64 v[24:25], v[36:37], v[24:25]
	v_add_f64 v[34:35], v[74:75], -v[34:35]
	v_add_f64 v[24:25], v[34:35], v[24:25]
	v_add_f64 v[34:35], v[40:41], v[70:71]
	;; [unrolled: 1-line block ×3, first 2 shown]
	v_add_f64 v[36:37], v[34:35], -v[40:41]
	v_mul_f64 v[24:25], v[72:73], v[24:25]
	v_add_f64 v[36:37], v[70:71], -v[36:37]
	v_add_f64 v[24:25], v[36:37], v[24:25]
	v_add_f64 v[36:37], v[34:35], v[24:25]
	v_add_f64 v[34:35], v[36:37], -v[34:35]
	v_add_f64 v[24:25], v[24:25], -v[34:35]
	v_mul_f64 v[34:35], v[36:37], v[36:37]
	v_pk_mov_b32 v[40:41], v[26:27], v[26:27] op_sel:[0,1]
	v_fmac_f64_e32 v[40:41], s[68:69], v[34:35]
	v_pk_mov_b32 v[42:43], v[30:31], v[30:31] op_sel:[0,1]
	v_fmac_f64_e32 v[42:43], v[34:35], v[40:41]
	;; [unrolled: 2-line block ×6, first 2 shown]
	v_cvt_f64_i32_e32 v[40:41], v63
	v_mul_f64 v[70:71], v[40:41], s[80:81]
	v_fma_f64 v[72:73], v[40:41], s[80:81], -v[70:71]
	v_fmac_f64_e32 v[72:73], s[82:83], v[40:41]
	v_add_f64 v[40:41], v[70:71], v[72:73]
	v_add_f64 v[70:71], v[40:41], -v[70:71]
	v_mul_f64 v[34:35], v[36:37], v[34:35]
	v_add_f64 v[70:71], v[72:73], -v[70:71]
	v_ldexp_f64 v[72:73], v[36:37], 1
	v_mul_f64 v[34:35], v[34:35], v[42:43]
	v_add_f64 v[36:37], v[72:73], v[34:35]
	v_add_f64 v[42:43], v[36:37], -v[72:73]
	v_ldexp_f64 v[24:25], v[24:25], 1
	v_add_f64 v[34:35], v[34:35], -v[42:43]
	v_add_f64 v[24:25], v[24:25], v[34:35]
	v_add_f64 v[34:35], v[36:37], v[24:25]
	v_add_f64 v[36:37], v[34:35], -v[36:37]
	v_add_f64 v[24:25], v[24:25], -v[36:37]
	v_add_f64 v[36:37], v[40:41], v[34:35]
	v_add_f64 v[42:43], v[36:37], -v[40:41]
	v_add_f64 v[72:73], v[36:37], -v[42:43]
	v_add_f64 v[40:41], v[40:41], -v[72:73]
	v_add_f64 v[34:35], v[34:35], -v[42:43]
	v_add_f64 v[34:35], v[34:35], v[40:41]
	v_add_f64 v[40:41], v[70:71], v[24:25]
	v_add_f64 v[42:43], v[40:41], -v[70:71]
	v_add_f64 v[34:35], v[40:41], v[34:35]
	v_add_f64 v[72:73], v[40:41], -v[42:43]
	v_add_f64 v[40:41], v[36:37], v[34:35]
	v_add_f64 v[70:71], v[70:71], -v[72:73]
	v_add_f64 v[24:25], v[24:25], -v[42:43]
	v_add_f64 v[36:37], v[40:41], -v[36:37]
	v_add_f64 v[24:25], v[24:25], v[70:71]
	v_add_f64 v[34:35], v[34:35], -v[36:37]
	v_add_f64 v[24:25], v[24:25], v[34:35]
	v_xor_b32_e32 v61, 0x80000000, v23
	v_add_f64 v[24:25], v[40:41], v[24:25]
	v_cmp_eq_f64_e32 vcc, s[54:55], v[22:23]
	v_cndmask_b32_e32 v24, v24, v22, vcc
	v_cndmask_b32_e32 v25, v25, v61, vcc
	v_cmp_nlt_f64_e32 vcc, 1.0, v[22:23]
	v_cndmask_b32_e32 v25, v44, v25, vcc
	v_cmp_nle_f64_e32 vcc, 1.0, v[22:23]
	v_cndmask_b32_e32 v34, 0, v24, vcc
	v_cmp_neq_f64_e32 vcc, 1.0, v[22:23]
	v_cndmask_b32_e32 v35, v49, v25, vcc
	v_pk_mov_b32 v[40:41], 0, 0
	v_pk_mov_b32 v[24:25], v[14:15], v[14:15] op_sel:[0,1]
	s_mov_b64 s[2:3], 0
	v_pk_mov_b32 v[22:23], v[12:13], v[12:13] op_sel:[0,1]
	v_pk_mov_b32 v[36:37], v[40:41], v[40:41] op_sel:[0,1]
	s_branch .LBB102_71
.LBB102_70:                             ;   in Loop: Header=BB102_71 Depth=2
	s_or_b64 exec, exec, s[4:5]
	v_cmp_eq_u32_e32 vcc, 1, v102
	v_cndmask_b32_e32 v22, v22, v23, vcc
	v_cmp_eq_u32_e32 vcc, 2, v102
	v_cndmask_b32_e32 v22, v22, v24, vcc
	;; [unrolled: 2-line block ×3, first 2 shown]
	v_and_b32_e32 v22, 0xffffff, v22
	v_cvt_f32_u32_e32 v22, v22
	v_mov_b32_e32 v102, v63
	v_mul_f32_e32 v78, 0x33800000, v22
	v_cvt_f64_f32_e32 v[22:23], v78
	v_frexp_mant_f64_e32 v[24:25], v[22:23]
	v_cmp_gt_f64_e32 vcc, s[64:65], v[24:25]
	v_cndmask_b32_e64 v61, v39, 2.0, vcc
	v_frexp_exp_i32_f64_e32 v40, v[22:23]
	v_mul_f64 v[24:25], v[24:25], v[60:61]
	v_subbrev_co_u32_e32 v61, vcc, 0, v40, vcc
	v_add_f64 v[40:41], v[24:25], 1.0
	v_rcp_f64_e32 v[42:43], v[40:41]
	v_add_f64 v[72:73], v[40:41], -1.0
	v_add_f64 v[70:71], v[24:25], -1.0
	v_add_f64 v[24:25], v[24:25], -v[72:73]
	v_fma_f64 v[72:73], -v[40:41], v[42:43], 1.0
	v_fmac_f64_e32 v[42:43], v[72:73], v[42:43]
	v_fma_f64 v[72:73], -v[40:41], v[42:43], 1.0
	v_fmac_f64_e32 v[42:43], v[72:73], v[42:43]
	v_mul_f64 v[72:73], v[70:71], v[42:43]
	v_mul_f64 v[74:75], v[40:41], v[72:73]
	v_fma_f64 v[40:41], v[72:73], v[40:41], -v[74:75]
	v_fmac_f64_e32 v[40:41], v[72:73], v[24:25]
	v_add_f64 v[24:25], v[74:75], v[40:41]
	v_add_f64 v[76:77], v[70:71], -v[24:25]
	v_add_f64 v[74:75], v[24:25], -v[74:75]
	;; [unrolled: 1-line block ×5, first 2 shown]
	v_add_f64 v[24:25], v[40:41], v[24:25]
	v_add_f64 v[24:25], v[76:77], v[24:25]
	v_mul_f64 v[24:25], v[42:43], v[24:25]
	v_add_f64 v[40:41], v[72:73], v[24:25]
	v_add_f64 v[42:43], v[40:41], -v[72:73]
	v_add_f64 v[24:25], v[24:25], -v[42:43]
	v_mul_f64 v[42:43], v[40:41], v[40:41]
	v_pk_mov_b32 v[70:71], v[26:27], v[26:27] op_sel:[0,1]
	v_fmac_f64_e32 v[70:71], s[68:69], v[42:43]
	v_pk_mov_b32 v[72:73], v[30:31], v[30:31] op_sel:[0,1]
	v_fmac_f64_e32 v[72:73], v[42:43], v[70:71]
	;; [unrolled: 2-line block ×6, first 2 shown]
	v_ldexp_f64 v[70:71], v[40:41], 1
	v_mul_f64 v[40:41], v[40:41], v[42:43]
	v_mul_f64 v[40:41], v[40:41], v[72:73]
	v_add_f64 v[42:43], v[70:71], v[40:41]
	v_add_f64 v[70:71], v[42:43], -v[70:71]
	v_ldexp_f64 v[24:25], v[24:25], 1
	v_add_f64 v[40:41], v[40:41], -v[70:71]
	v_add_f64 v[24:25], v[24:25], v[40:41]
	v_add_f64 v[40:41], v[42:43], v[24:25]
	v_add_f64 v[42:43], v[40:41], -v[42:43]
	v_add_f64 v[24:25], v[24:25], -v[42:43]
	v_cvt_f64_i32_e32 v[42:43], v61
	v_mul_f64 v[70:71], v[42:43], s[80:81]
	v_fma_f64 v[72:73], v[42:43], s[80:81], -v[70:71]
	v_fmac_f64_e32 v[72:73], s[82:83], v[42:43]
	v_add_f64 v[42:43], v[70:71], v[72:73]
	v_add_f64 v[70:71], v[42:43], -v[70:71]
	v_add_f64 v[70:71], v[72:73], -v[70:71]
	v_add_f64 v[72:73], v[42:43], v[40:41]
	v_add_f64 v[74:75], v[72:73], -v[42:43]
	v_add_f64 v[76:77], v[72:73], -v[74:75]
	;; [unrolled: 1-line block ×4, first 2 shown]
	v_add_f64 v[40:41], v[40:41], v[42:43]
	v_add_f64 v[42:43], v[70:71], v[24:25]
	v_add_f64 v[74:75], v[42:43], -v[70:71]
	v_add_f64 v[76:77], v[42:43], -v[74:75]
	v_add_f64 v[40:41], v[42:43], v[40:41]
	v_add_f64 v[70:71], v[70:71], -v[76:77]
	v_add_f64 v[24:25], v[24:25], -v[74:75]
	v_add_f64 v[42:43], v[72:73], v[40:41]
	v_add_f64 v[24:25], v[24:25], v[70:71]
	v_add_f64 v[70:71], v[42:43], -v[72:73]
	v_add_f64 v[40:41], v[40:41], -v[70:71]
	v_add_f64 v[24:25], v[24:25], v[40:41]
	v_add_f64 v[24:25], v[42:43], v[24:25]
	v_cmp_eq_f32_e32 vcc, s62, v78
	v_cndmask_b32_e32 v22, v24, v22, vcc
	v_cndmask_b32_e32 v23, v25, v23, vcc
	v_cmp_neq_f32_e32 vcc, 0, v78
	v_cndmask_b32_e32 v23, v49, v23, vcc
	v_cndmask_b32_e32 v22, 0, v22, vcc
	v_div_scale_f64 v[24:25], s[4:5], v[34:35], v[34:35], v[22:23]
	v_rcp_f64_e32 v[40:41], v[24:25]
	v_fma_f64 v[42:43], -v[24:25], v[40:41], 1.0
	v_fmac_f64_e32 v[40:41], v[40:41], v[42:43]
	v_fma_f64 v[42:43], -v[24:25], v[40:41], 1.0
	v_fmac_f64_e32 v[40:41], v[40:41], v[42:43]
	v_div_scale_f64 v[42:43], vcc, v[22:23], v[34:35], v[22:23]
	v_mul_f64 v[70:71], v[42:43], v[40:41]
	v_fma_f64 v[24:25], -v[24:25], v[70:71], v[42:43]
	s_nop 1
	v_div_fmas_f64 v[24:25], v[24:25], v[40:41], v[70:71]
	v_div_fixup_f64 v[22:23], v[24:25], v[34:35], v[22:23]
	v_ceil_f64_e32 v[22:23], v[22:23]
	v_add_f64 v[36:37], v[36:37], v[22:23]
	v_cmp_gt_f64_e32 vcc, v[36:37], v[66:67]
	v_pk_mov_b32 v[24:25], v[14:15], v[14:15] op_sel:[0,1]
	v_add_f64 v[40:41], v[90:91], 1.0
	s_or_b64 s[2:3], vcc, s[2:3]
	v_pk_mov_b32 v[22:23], v[12:13], v[12:13] op_sel:[0,1]
	s_andn2_b64 exec, exec, s[2:3]
	s_cbranch_execz .LBB102_73
.LBB102_71:                             ;   Parent Loop BB102_28 Depth=1
                                        ; =>  This Inner Loop Header: Depth=2
	v_add_u32_e32 v63, 1, v102
	v_pk_mov_b32 v[90:91], v[40:41], v[40:41] op_sel:[0,1]
	v_cmp_eq_u32_e32 vcc, 4, v63
	s_and_saveexec_b64 s[4:5], vcc
	s_cbranch_execz .LBB102_70
; %bb.72:                               ;   in Loop: Header=BB102_71 Depth=2
	v_add_co_u32_e32 v4, vcc, 1, v4
	v_cndmask_b32_e64 v12, 0, 1, vcc
	v_addc_co_u32_e32 v1, vcc, 0, v1, vcc
	v_cmp_eq_u32_e32 vcc, 0, v1
	v_cndmask_b32_e32 v12, 0, v12, vcc
	v_add_u32_e32 v2, v12, v2
	v_cmp_eq_u32_e32 vcc, 0, v2
	v_cndmask_b32_e32 v12, 0, v12, vcc
	v_add_u32_e32 v3, v12, v3
	v_mad_u64_u32 v[12:13], s[20:21], v4, s56, 0
	v_mad_u64_u32 v[14:15], s[20:21], v2, s57, 0
	v_xor_b32_e32 v13, v13, v69
	v_xor_b32_e32 v15, v15, v68
	v_xor_b32_e32 v13, v3, v13
	v_xor_b32_e32 v15, v1, v15
	v_mad_u64_u32 v[42:43], s[20:21], v13, s57, 0
	v_mad_u64_u32 v[40:41], s[20:21], v15, s56, 0
	s_waitcnt vmcnt(11)
	v_xor_b32_e32 v13, v80, v43
	v_xor_b32_e32 v13, v13, v14
	s_waitcnt vmcnt(10)
	v_xor_b32_e32 v14, v81, v41
	v_xor_b32_e32 v14, v14, v12
	v_mad_u64_u32 v[12:13], s[20:21], v13, s56, 0
	v_mad_u64_u32 v[14:15], s[20:21], v14, s57, 0
	s_waitcnt vmcnt(8)
	v_xor_b32_e32 v13, v83, v13
	v_xor_b32_e32 v15, v82, v15
	v_xor_b32_e32 v13, v13, v40
	v_xor_b32_e32 v15, v15, v42
	v_mad_u64_u32 v[42:43], s[20:21], v13, s57, 0
	v_mad_u64_u32 v[40:41], s[20:21], v15, s56, 0
	s_waitcnt vmcnt(7)
	v_xor_b32_e32 v13, v84, v43
	v_xor_b32_e32 v13, v13, v14
	s_waitcnt vmcnt(6)
	v_xor_b32_e32 v14, v85, v41
	v_xor_b32_e32 v14, v14, v12
	v_mad_u64_u32 v[12:13], s[20:21], v13, s56, 0
	v_mad_u64_u32 v[14:15], s[20:21], v14, s57, 0
	s_waitcnt vmcnt(4)
	;; [unrolled: 15-line block ×3, first 2 shown]
	v_xor_b32_e32 v13, v95, v13
	v_xor_b32_e32 v15, v94, v15
	v_xor_b32_e32 v13, v13, v40
	v_xor_b32_e32 v15, v15, v42
	v_mad_u64_u32 v[42:43], s[20:21], v13, s57, 0
	v_mad_u64_u32 v[40:41], s[20:21], v15, s56, 0
	v_xor_b32_e32 v13, v52, v43
	v_xor_b32_e32 v13, v13, v14
	v_xor_b32_e32 v14, v59, v41
	v_xor_b32_e32 v12, v14, v12
	v_mad_u64_u32 v[14:15], s[20:21], v13, s56, 0
	v_mad_u64_u32 v[12:13], s[20:21], v12, s57, 0
	;; [unrolled: 6-line block ×3, first 2 shown]
	v_xor_b32_e32 v12, v43, v12
	v_xor_b32_e32 v13, v41, v14
	v_mov_b32_e32 v63, 0
	v_xor_b32_e32 v12, v117, v12
	v_xor_b32_e32 v14, v118, v13
	v_mov_b32_e32 v13, v42
	v_mov_b32_e32 v15, v40
	s_branch .LBB102_70
.LBB102_73:                             ;   in Loop: Header=BB102_28 Depth=1
	s_or_b64 exec, exec, s[2:3]
.LBB102_74:                             ;   in Loop: Header=BB102_28 Depth=1
	s_or_b64 exec, exec, s[0:1]
                                        ; implicit-def: $vgpr102
                                        ; implicit-def: $vgpr22_vgpr23
                                        ; implicit-def: $vgpr66_vgpr67
.LBB102_75:                             ;   in Loop: Header=BB102_28 Depth=1
	s_andn2_saveexec_b64 s[18:19], s[18:19]
	s_cbranch_execz .LBB102_25
; %bb.76:                               ;   in Loop: Header=BB102_28 Depth=1
	v_mov_b32_e32 v90, 0
	v_cmp_lt_f64_e32 vcc, 0.5, v[22:23]
	v_mov_b32_e32 v91, 0x7ff80000
	s_and_saveexec_b64 s[20:21], vcc
	s_cbranch_execz .LBB102_24
; %bb.77:                               ;   in Loop: Header=BB102_28 Depth=1
	v_add_f64 v[22:23], -v[22:23], 1.0
	v_mul_f64 v[24:25], v[66:67], v[22:23]
	v_cmp_le_f64_e32 vcc, s[46:47], v[24:25]
                                        ; implicit-def: $vgpr92_vgpr93
                                        ; implicit-def: $vgpr63
	s_and_saveexec_b64 s[0:1], vcc
	s_xor_b64 s[22:23], exec, s[0:1]
	s_cbranch_execz .LBB102_100
; %bb.78:                               ;   in Loop: Header=BB102_28 Depth=1
	v_add_f64 v[34:35], -v[22:23], 1.0
	s_mov_b32 s0, 0
	v_mul_f64 v[36:37], v[24:25], v[34:35]
	s_brev_b32 s1, 8
	v_cmp_gt_f64_e32 vcc, s[0:1], v[36:37]
	v_cndmask_b32_e64 v40, 0, 1, vcc
	v_lshlrev_b32_e32 v40, 8, v40
	v_ldexp_f64 v[36:37], v[36:37], v40
	v_rsq_f64_e32 v[40:41], v[36:37]
	s_mov_b32 s0, 0xa3d70a3d
	s_mov_b32 s1, 0x40043d70
	v_add_f64 v[74:75], v[24:25], 0.5
	v_mul_f64 v[42:43], v[36:37], v[40:41]
	v_mul_f64 v[40:41], v[40:41], 0.5
	v_fma_f64 v[70:71], -v[40:41], v[42:43], 0.5
	v_fmac_f64_e32 v[42:43], v[42:43], v[70:71]
	v_fmac_f64_e32 v[40:41], v[40:41], v[70:71]
	v_fma_f64 v[70:71], -v[42:43], v[42:43], v[36:37]
	v_fmac_f64_e32 v[42:43], v[70:71], v[40:41]
	v_fma_f64 v[70:71], -v[42:43], v[42:43], v[36:37]
	v_fmac_f64_e32 v[42:43], v[70:71], v[40:41]
	buffer_load_dword v70, off, s[96:99], 0 offset:80 ; 4-byte Folded Reload
	buffer_load_dword v71, off, s[96:99], 0 offset:84 ; 4-byte Folded Reload
	;; [unrolled: 1-line block ×4, first 2 shown]
	v_mov_b32_e32 v40, 0xffffff80
	v_cndmask_b32_e32 v40, 0, v40, vcc
	v_ldexp_f64 v[40:41], v[42:43], v40
	v_mov_b32_e32 v42, 0x260
	v_cmp_class_f64_e32 vcc, v[36:37], v42
	v_cndmask_b32_e32 v37, v41, v37, vcc
	v_cndmask_b32_e32 v36, v40, v36, vcc
	s_mov_b32 s84, s86
	s_mov_b32 s90, s64
	s_getpc_b64 s[4:5]
	s_add_u32 s4, s4, _ZZN12_GLOBAL__N_120stirling_approx_tailIdEET_S1_E11kTailValues.const@rel32@lo+4
	s_addc_u32 s5, s5, _ZZN12_GLOBAL__N_120stirling_approx_tailIdEET_S1_E11kTailValues.const@rel32@hi+12
	s_mov_b64 s[48:49], 0
	s_mov_b64 s[52:53], 0
	s_waitcnt vmcnt(2)
	v_fmac_f64_e32 v[70:71], s[0:1], v[36:37]
	v_div_scale_f64 v[40:41], s[0:1], v[70:71], v[70:71], s[58:59]
	v_rcp_f64_e32 v[42:43], v[40:41]
	s_mov_b32 s0, 0xd3c36113
	s_mov_b32 s1, 0x3f99652b
	s_waitcnt vmcnt(0)
	v_fmac_f64_e32 v[72:73], s[0:1], v[70:71]
	v_fma_f64 v[24:25], -v[40:41], v[42:43], 1.0
	v_fmac_f64_e32 v[42:43], v[42:43], v[24:25]
	v_fma_f64 v[24:25], -v[40:41], v[42:43], 1.0
	s_mov_b32 s0, 0x47ae147b
	v_fmac_f64_e32 v[42:43], v[42:43], v[24:25]
	v_div_scale_f64 v[24:25], vcc, s[58:59], v[70:71], s[58:59]
	s_mov_b32 s1, 0x3f847ae1
	v_mul_f64 v[76:77], v[24:25], v[42:43]
	v_fmac_f64_e32 v[72:73], s[0:1], v[22:23]
	v_fma_f64 v[24:25], -v[40:41], v[76:77], v[24:25]
	v_div_scale_f64 v[40:41], s[0:1], v[34:35], v[34:35], v[22:23]
	v_rcp_f64_e32 v[78:79], v[40:41]
	v_div_fmas_f64 v[24:25], v[24:25], v[42:43], v[76:77]
	s_mov_b32 s0, 0xd70a3d71
	v_div_fixup_f64 v[24:25], v[24:25], v[70:71], s[58:59]
	s_mov_b32 s1, 0x3fed70a3
	v_add_f64 v[76:77], v[24:25], s[0:1]
	v_fma_f64 v[24:25], -v[40:41], v[78:79], 1.0
	v_fmac_f64_e32 v[78:79], v[78:79], v[24:25]
	v_fma_f64 v[24:25], -v[40:41], v[78:79], 1.0
	v_fmac_f64_e32 v[78:79], v[78:79], v[24:25]
	v_div_scale_f64 v[24:25], vcc, v[22:23], v[34:35], v[22:23]
	v_mul_f64 v[42:43], v[24:25], v[78:79]
	v_fma_f64 v[24:25], -v[40:41], v[42:43], v[24:25]
	v_div_scale_f64 v[40:41], s[0:1], v[70:71], v[70:71], s[50:51]
	s_nop 0
	v_div_fmas_f64 v[24:25], v[24:25], v[78:79], v[42:43]
	v_div_fixup_f64 v[42:43], v[24:25], v[34:35], v[22:23]
	buffer_store_dword v42, off, s[96:99], 0 ; 4-byte Folded Spill
	s_nop 0
	buffer_store_dword v43, off, s[96:99], 0 offset:4 ; 4-byte Folded Spill
	v_rcp_f64_e32 v[80:81], v[40:41]
	s_mov_b32 s0, 0xa3d70a4
	s_mov_b32 s1, 0x4006a3d7
	v_add_f64 v[86:87], v[72:73], v[72:73]
	v_fma_f64 v[24:25], -v[40:41], v[80:81], 1.0
	v_fmac_f64_e32 v[80:81], v[80:81], v[24:25]
	v_fma_f64 v[24:25], -v[40:41], v[80:81], 1.0
	v_fmac_f64_e32 v[80:81], v[80:81], v[24:25]
	v_div_scale_f64 v[24:25], vcc, s[50:51], v[70:71], s[50:51]
	v_mul_f64 v[34:35], v[24:25], v[80:81]
	v_fma_f64 v[24:25], -v[40:41], v[34:35], v[24:25]
	s_nop 1
	v_div_fmas_f64 v[24:25], v[24:25], v[80:81], v[34:35]
	v_div_fixup_f64 v[24:25], v[24:25], v[70:71], s[50:51]
	v_add_f64 v[40:41], v[24:25], s[0:1]
	v_add_f64 v[24:25], v[66:67], 1.0
	v_mul_f64 v[22:23], v[24:25], v[22:23]
	v_floor_f64_e32 v[24:25], v[22:23]
	v_add_f64 v[22:23], v[66:67], -v[24:25]
	v_add_f64 v[82:83], v[22:23], 1.0
	v_add_f64 v[34:35], v[24:25], 1.0
	v_mul_f64 v[36:37], v[36:37], v[40:41]
	buffer_store_dword v36, off, s[96:99], 0 offset:8 ; 4-byte Folded Spill
	s_nop 0
	buffer_store_dword v37, off, s[96:99], 0 offset:12 ; 4-byte Folded Spill
	v_add_f64 v[36:37], v[24:25], 0.5
	v_mul_f64 v[42:43], v[42:43], v[82:83]
	v_div_scale_f64 v[88:89], s[0:1], v[42:43], v[42:43], v[34:35]
	v_rcp_f64_e32 v[90:91], v[88:89]
	v_fma_f64 v[40:41], -v[88:89], v[90:91], 1.0
	v_fmac_f64_e32 v[90:91], v[90:91], v[40:41]
	v_fma_f64 v[40:41], -v[88:89], v[90:91], 1.0
	v_fmac_f64_e32 v[90:91], v[90:91], v[40:41]
	v_div_scale_f64 v[40:41], vcc, v[34:35], v[42:43], v[34:35]
	v_mul_f64 v[92:93], v[40:41], v[90:91]
	v_fma_f64 v[40:41], -v[88:89], v[92:93], v[40:41]
	s_nop 1
	v_div_fmas_f64 v[40:41], v[40:41], v[90:91], v[92:93]
	v_div_fixup_f64 v[40:41], v[40:41], v[42:43], v[34:35]
	v_frexp_mant_f64_e32 v[42:43], v[40:41]
	v_cmp_gt_f64_e32 vcc, s[64:65], v[42:43]
	v_cndmask_b32_e64 v61, v39, 2.0, vcc
	v_mul_f64 v[42:43], v[42:43], v[60:61]
	v_add_f64 v[88:89], v[42:43], 1.0
	v_rcp_f64_e32 v[90:91], v[88:89]
	v_add_f64 v[94:95], v[88:89], -1.0
	v_add_f64 v[92:93], v[42:43], -1.0
	v_add_f64 v[42:43], v[42:43], -v[94:95]
	v_fma_f64 v[94:95], -v[88:89], v[90:91], 1.0
	v_fmac_f64_e32 v[90:91], v[94:95], v[90:91]
	v_fma_f64 v[94:95], -v[88:89], v[90:91], 1.0
	v_fmac_f64_e32 v[90:91], v[94:95], v[90:91]
	v_mul_f64 v[94:95], v[92:93], v[90:91]
	v_mul_f64 v[96:97], v[88:89], v[94:95]
	v_fma_f64 v[88:89], v[94:95], v[88:89], -v[96:97]
	v_fmac_f64_e32 v[88:89], v[94:95], v[42:43]
	v_add_f64 v[42:43], v[96:97], v[88:89]
	v_add_f64 v[98:99], v[92:93], -v[42:43]
	v_add_f64 v[96:97], v[42:43], -v[96:97]
	;; [unrolled: 1-line block ×5, first 2 shown]
	v_add_f64 v[42:43], v[88:89], v[42:43]
	v_add_f64 v[42:43], v[98:99], v[42:43]
	v_mul_f64 v[42:43], v[90:91], v[42:43]
	v_add_f64 v[88:89], v[94:95], v[42:43]
	v_add_f64 v[90:91], v[88:89], -v[94:95]
	v_add_f64 v[42:43], v[42:43], -v[90:91]
	v_mul_f64 v[90:91], v[88:89], v[88:89]
	v_pk_mov_b32 v[92:93], v[26:27], v[26:27] op_sel:[0,1]
	v_fmac_f64_e32 v[92:93], s[68:69], v[90:91]
	v_pk_mov_b32 v[94:95], v[30:31], v[30:31] op_sel:[0,1]
	v_fmac_f64_e32 v[94:95], v[90:91], v[92:93]
	;; [unrolled: 2-line block ×6, first 2 shown]
	v_ldexp_f64 v[92:93], v[88:89], 1
	v_mul_f64 v[88:89], v[88:89], v[90:91]
	v_mul_f64 v[88:89], v[88:89], v[94:95]
	v_add_f64 v[90:91], v[92:93], v[88:89]
	v_add_f64 v[92:93], v[90:91], -v[92:93]
	v_ldexp_f64 v[42:43], v[42:43], 1
	v_add_f64 v[88:89], v[88:89], -v[92:93]
	v_add_f64 v[42:43], v[42:43], v[88:89]
	v_frexp_exp_i32_f64_e32 v63, v[40:41]
	v_add_f64 v[88:89], v[90:91], v[42:43]
	v_subbrev_co_u32_e32 v61, vcc, 0, v63, vcc
	v_add_f64 v[90:91], v[88:89], -v[90:91]
	v_add_f64 v[42:43], v[42:43], -v[90:91]
	v_cvt_f64_i32_e32 v[90:91], v61
	v_mul_f64 v[92:93], v[90:91], s[80:81]
	v_fma_f64 v[94:95], v[90:91], s[80:81], -v[92:93]
	v_fmac_f64_e32 v[94:95], s[82:83], v[90:91]
	v_add_f64 v[90:91], v[92:93], v[94:95]
	v_add_f64 v[92:93], v[90:91], -v[92:93]
	v_add_f64 v[92:93], v[94:95], -v[92:93]
	v_add_f64 v[94:95], v[90:91], v[88:89]
	v_add_f64 v[96:97], v[94:95], -v[90:91]
	v_add_f64 v[98:99], v[94:95], -v[96:97]
	;; [unrolled: 1-line block ×4, first 2 shown]
	v_add_f64 v[88:89], v[88:89], v[90:91]
	v_add_f64 v[90:91], v[92:93], v[42:43]
	v_add_f64 v[96:97], v[90:91], -v[92:93]
	v_add_f64 v[98:99], v[90:91], -v[96:97]
	v_add_f64 v[88:89], v[90:91], v[88:89]
	v_add_f64 v[92:93], v[92:93], -v[98:99]
	v_add_f64 v[42:43], v[42:43], -v[96:97]
	v_add_f64 v[90:91], v[94:95], v[88:89]
	v_add_f64 v[42:43], v[42:43], v[92:93]
	v_add_f64 v[92:93], v[90:91], -v[94:95]
	v_add_f64 v[88:89], v[88:89], -v[92:93]
	v_add_f64 v[42:43], v[42:43], v[88:89]
	v_mul_f64 v[88:89], v[34:35], v[34:35]
	v_add_f64 v[42:43], v[90:91], v[42:43]
	v_div_scale_f64 v[90:91], s[0:1], v[88:89], v[88:89], s[84:85]
	v_rcp_f64_e32 v[92:93], v[90:91]
	v_cmp_class_f64_e64 vcc, v[40:41], s60
	v_cndmask_b32_e32 v61, v42, v40, vcc
	v_cndmask_b32_e32 v63, v43, v41, vcc
	v_fma_f64 v[42:43], -v[90:91], v[92:93], 1.0
	v_fmac_f64_e32 v[92:93], v[92:93], v[42:43]
	v_fma_f64 v[42:43], -v[90:91], v[92:93], 1.0
	v_fmac_f64_e32 v[92:93], v[92:93], v[42:43]
	v_div_scale_f64 v[42:43], vcc, s[84:85], v[88:89], s[84:85]
	v_mul_f64 v[94:95], v[42:43], v[92:93]
	v_fma_f64 v[42:43], -v[90:91], v[94:95], v[42:43]
	s_nop 1
	v_div_fmas_f64 v[42:43], v[42:43], v[92:93], v[94:95]
	v_div_fixup_f64 v[42:43], v[42:43], v[88:89], s[84:85]
	v_add_f64 v[42:43], -v[42:43], s[88:89]
	v_div_scale_f64 v[90:91], s[0:1], v[88:89], v[88:89], v[42:43]
	v_rcp_f64_e32 v[92:93], v[90:91]
	v_cmp_ngt_f64_e32 vcc, 0, v[40:41]
	v_cndmask_b32_e32 v63, v44, v63, vcc
	v_cmp_nge_f64_e32 vcc, 0, v[40:41]
	v_fma_f64 v[96:97], -v[90:91], v[92:93], 1.0
	v_fmac_f64_e32 v[92:93], v[92:93], v[96:97]
	v_fma_f64 v[96:97], -v[90:91], v[92:93], 1.0
	v_cndmask_b32_e32 v94, 0, v61, vcc
	v_fmac_f64_e32 v[92:93], v[92:93], v[96:97]
	v_div_scale_f64 v[96:97], vcc, v[42:43], v[88:89], v[42:43]
	v_mul_f64 v[98:99], v[96:97], v[92:93]
	v_fma_f64 v[90:91], -v[90:91], v[98:99], v[96:97]
	v_mov_b32_e32 v61, s5
	s_nop 0
	v_div_fmas_f64 v[90:91], v[90:91], v[92:93], v[98:99]
	v_div_fixup_f64 v[42:43], v[90:91], v[88:89], v[42:43]
	v_add_f64 v[42:43], -v[42:43], s[90:91]
	v_div_scale_f64 v[90:91], s[0:1], v[34:35], v[34:35], v[42:43]
	v_rcp_f64_e32 v[92:93], v[90:91]
	v_cmp_neq_f64_e32 vcc, 0, v[40:41]
	v_cndmask_b32_e32 v95, v49, v63, vcc
	v_mul_f64 v[36:37], v[36:37], v[94:95]
	buffer_store_dword v36, off, s[96:99], 0 offset:16 ; 4-byte Folded Spill
	s_nop 0
	buffer_store_dword v37, off, s[96:99], 0 offset:20 ; 4-byte Folded Spill
	v_fma_f64 v[36:37], -v[90:91], v[92:93], 1.0
	v_fmac_f64_e32 v[92:93], v[92:93], v[36:37]
	v_fma_f64 v[36:37], -v[90:91], v[92:93], 1.0
	v_fmac_f64_e32 v[92:93], v[92:93], v[36:37]
	v_div_scale_f64 v[36:37], vcc, v[42:43], v[34:35], v[42:43]
	v_mul_f64 v[40:41], v[36:37], v[92:93]
	v_fma_f64 v[36:37], -v[90:91], v[40:41], v[36:37]
	v_cmp_gt_f64_e64 s[0:1], s[46:47], v[24:25]
	s_nop 0
	v_div_fmas_f64 v[36:37], v[36:37], v[92:93], v[40:41]
	v_div_fixup_f64 v[34:35], v[36:37], v[34:35], v[42:43]
	v_mul_f64 v[36:37], v[82:83], v[82:83]
	v_div_scale_f64 v[40:41], s[2:3], v[36:37], v[36:37], s[84:85]
	buffer_store_dword v34, off, s[96:99], 0 offset:24 ; 4-byte Folded Spill
	s_nop 0
	buffer_store_dword v35, off, s[96:99], 0 offset:28 ; 4-byte Folded Spill
	v_rcp_f64_e32 v[42:43], v[40:41]
	v_ldexp_f64 v[34:35], v[24:25], s61
	v_floor_f64_e32 v[34:35], v[34:35]
	v_fmac_f64_e32 v[24:25], 0xc1f00000, v[34:35]
	v_cvt_u32_f64_e32 v24, v[24:25]
	v_cvt_u32_f64_e32 v25, v[34:35]
	v_fma_f64 v[34:35], -v[40:41], v[42:43], 1.0
	v_fmac_f64_e32 v[42:43], v[42:43], v[34:35]
	v_fma_f64 v[34:35], -v[40:41], v[42:43], 1.0
	v_fmac_f64_e32 v[42:43], v[42:43], v[34:35]
	v_div_scale_f64 v[34:35], vcc, s[84:85], v[36:37], s[84:85]
	v_mul_f64 v[92:93], v[34:35], v[42:43]
	v_fma_f64 v[34:35], -v[40:41], v[92:93], v[34:35]
	v_lshlrev_b64 v[24:25], 3, v[24:25]
	s_nop 0
	v_div_fmas_f64 v[34:35], v[34:35], v[42:43], v[92:93]
	v_div_fixup_f64 v[34:35], v[34:35], v[36:37], s[84:85]
	v_add_f64 v[34:35], -v[34:35], s[88:89]
	v_div_scale_f64 v[40:41], s[2:3], v[36:37], v[36:37], v[34:35]
	v_rcp_f64_e32 v[42:43], v[40:41]
	v_fma_f64 v[92:93], -v[40:41], v[42:43], 1.0
	v_fmac_f64_e32 v[42:43], v[42:43], v[92:93]
	v_fma_f64 v[92:93], -v[40:41], v[42:43], 1.0
	v_fmac_f64_e32 v[42:43], v[42:43], v[92:93]
	v_div_scale_f64 v[92:93], vcc, v[34:35], v[36:37], v[34:35]
	v_mul_f64 v[94:95], v[92:93], v[42:43]
	v_fma_f64 v[40:41], -v[40:41], v[94:95], v[92:93]
	s_nop 1
	v_div_fmas_f64 v[40:41], v[40:41], v[42:43], v[94:95]
	v_div_fixup_f64 v[34:35], v[40:41], v[36:37], v[34:35]
	v_add_f64 v[34:35], -v[34:35], s[90:91]
	v_div_scale_f64 v[36:37], s[2:3], v[82:83], v[82:83], v[34:35]
	v_rcp_f64_e32 v[40:41], v[36:37]
	v_add_co_u32_e32 v94, vcc, s4, v24
	v_addc_co_u32_e32 v95, vcc, v25, v61, vcc
	v_fma_f64 v[24:25], -v[36:37], v[40:41], 1.0
	v_fmac_f64_e32 v[40:41], v[40:41], v[24:25]
	v_fma_f64 v[24:25], -v[36:37], v[40:41], 1.0
	v_fmac_f64_e32 v[40:41], v[40:41], v[24:25]
	v_div_scale_f64 v[24:25], vcc, v[34:35], v[82:83], v[34:35]
	v_mul_f64 v[42:43], v[24:25], v[40:41]
	v_fma_f64 v[24:25], -v[36:37], v[42:43], v[24:25]
	v_cmp_gt_f64_e64 s[2:3], s[46:47], v[22:23]
	s_nop 0
	v_div_fmas_f64 v[24:25], v[24:25], v[40:41], v[42:43]
	v_trunc_f64_e32 v[22:23], v[22:23]
	v_div_fixup_f64 v[96:97], v[24:25], v[82:83], v[34:35]
	v_ldexp_f64 v[24:25], v[22:23], s61
	v_floor_f64_e32 v[24:25], v[24:25]
	v_fmac_f64_e32 v[22:23], 0xc1f00000, v[24:25]
	v_cvt_u32_f64_e32 v22, v[22:23]
	v_cvt_u32_f64_e32 v23, v[24:25]
	v_lshlrev_b64 v[22:23], 3, v[22:23]
	v_add_co_u32_e32 v98, vcc, s4, v22
	v_pk_mov_b32 v[36:37], v[14:15], v[14:15] op_sel:[0,1]
	v_addc_co_u32_e32 v99, vcc, v23, v61, vcc
	v_pk_mov_b32 v[34:35], v[12:13], v[12:13] op_sel:[0,1]
	s_branch .LBB102_81
.LBB102_79:                             ;   in Loop: Header=BB102_81 Depth=2
	s_or_b64 exec, exec, s[52:53]
	v_div_scale_f64 v[84:85], s[52:53], v[108:109], v[108:109], v[82:83]
	v_rcp_f64_e32 v[106:107], v[84:85]
	v_div_scale_f64 v[110:111], vcc, v[82:83], v[108:109], v[82:83]
	s_mov_b32 s79, s65
	v_fma_f64 v[112:113], -v[84:85], v[106:107], 1.0
	v_fmac_f64_e32 v[106:107], v[106:107], v[112:113]
	v_fma_f64 v[112:113], -v[84:85], v[106:107], 1.0
	v_fmac_f64_e32 v[106:107], v[106:107], v[112:113]
	v_mul_f64 v[112:113], v[110:111], v[106:107]
	v_fma_f64 v[84:85], -v[84:85], v[112:113], v[110:111]
	v_div_fmas_f64 v[84:85], v[84:85], v[106:107], v[112:113]
	v_div_fixup_f64 v[84:85], v[84:85], v[108:109], v[82:83]
	v_frexp_mant_f64_e32 v[106:107], v[84:85]
	v_cmp_gt_f64_e32 vcc, s[64:65], v[106:107]
	v_cndmask_b32_e64 v61, v39, 2.0, vcc
	v_mul_f64 v[106:107], v[106:107], v[60:61]
	v_add_f64 v[110:111], v[106:107], 1.0
	v_rcp_f64_e32 v[112:113], v[110:111]
	v_frexp_exp_i32_f64_e32 v78, v[84:85]
	v_subbrev_co_u32_e32 v61, vcc, 0, v78, vcc
	v_add_f64 v[78:79], v[110:111], -1.0
	v_add_f64 v[114:115], v[106:107], -1.0
	v_add_f64 v[78:79], v[106:107], -v[78:79]
	v_fma_f64 v[106:107], -v[110:111], v[112:113], 1.0
	v_fmac_f64_e32 v[112:113], v[106:107], v[112:113]
	v_fma_f64 v[106:107], -v[110:111], v[112:113], 1.0
	v_fmac_f64_e32 v[112:113], v[106:107], v[112:113]
	v_mul_f64 v[106:107], v[114:115], v[112:113]
	v_mul_f64 v[80:81], v[110:111], v[106:107]
	v_fma_f64 v[110:111], v[106:107], v[110:111], -v[80:81]
	v_fmac_f64_e32 v[110:111], v[106:107], v[78:79]
	v_add_f64 v[78:79], v[80:81], v[110:111]
	v_add_f64 v[88:89], v[114:115], -v[78:79]
	v_add_f64 v[80:81], v[78:79], -v[80:81]
	;; [unrolled: 1-line block ×5, first 2 shown]
	v_add_f64 v[78:79], v[80:81], v[78:79]
	v_add_f64 v[78:79], v[88:89], v[78:79]
	v_mul_f64 v[78:79], v[112:113], v[78:79]
	v_add_f64 v[80:81], v[106:107], v[78:79]
	v_add_f64 v[88:89], v[80:81], -v[106:107]
	v_add_f64 v[78:79], v[78:79], -v[88:89]
	v_mul_f64 v[88:89], v[80:81], v[80:81]
	v_pk_mov_b32 v[106:107], s[66:67], s[66:67] op_sel:[0,1]
	v_fma_f64 v[110:111], s[68:69], v[88:89], v[106:107]
	v_fma_f64 v[110:111], v[88:89], v[110:111], s[70:71]
	;; [unrolled: 1-line block ×6, first 2 shown]
	v_ldexp_f64 v[112:113], v[80:81], 1
	v_mul_f64 v[80:81], v[80:81], v[88:89]
	v_mul_f64 v[80:81], v[80:81], v[110:111]
	v_add_f64 v[88:89], v[112:113], v[80:81]
	v_add_f64 v[110:111], v[88:89], -v[112:113]
	v_ldexp_f64 v[78:79], v[78:79], 1
	v_add_f64 v[80:81], v[80:81], -v[110:111]
	v_add_f64 v[78:79], v[78:79], v[80:81]
	v_add_f64 v[80:81], v[88:89], v[78:79]
	v_add_f64 v[88:89], v[80:81], -v[88:89]
	v_add_f64 v[78:79], v[78:79], -v[88:89]
	v_cvt_f64_i32_e32 v[88:89], v61
	v_mul_f64 v[110:111], v[88:89], s[80:81]
	v_fma_f64 v[112:113], v[88:89], s[80:81], -v[110:111]
	v_fmac_f64_e32 v[112:113], s[82:83], v[88:89]
	v_add_f64 v[88:89], v[110:111], v[112:113]
	v_add_f64 v[110:111], v[88:89], -v[110:111]
	v_add_f64 v[110:111], v[112:113], -v[110:111]
	v_add_f64 v[112:113], v[88:89], v[80:81]
	v_add_f64 v[114:115], v[112:113], -v[88:89]
	v_add_f64 v[90:91], v[112:113], -v[114:115]
	;; [unrolled: 1-line block ×4, first 2 shown]
	v_add_f64 v[80:81], v[80:81], v[88:89]
	v_add_f64 v[88:89], v[110:111], v[78:79]
	v_add_f64 v[90:91], v[88:89], -v[110:111]
	v_add_f64 v[80:81], v[88:89], v[80:81]
	v_add_f64 v[114:115], v[88:89], -v[90:91]
	;; [unrolled: 2-line block ×3, first 2 shown]
	v_add_f64 v[78:79], v[78:79], -v[90:91]
	v_add_f64 v[90:91], v[88:89], -v[112:113]
	v_add_f64 v[78:79], v[78:79], v[110:111]
	v_add_f64 v[80:81], v[80:81], -v[90:91]
	v_add_f64 v[78:79], v[78:79], v[80:81]
	buffer_load_dword v80, off, s[96:99], 0 ; 4-byte Folded Reload
	buffer_load_dword v81, off, s[96:99], 0 offset:4 ; 4-byte Folded Reload
	v_add_f64 v[78:79], v[88:89], v[78:79]
	v_cmp_class_f64_e64 vcc, v[84:85], s60
	v_cndmask_b32_e32 v61, v78, v84, vcc
	v_cndmask_b32_e32 v78, v79, v85, vcc
	v_cmp_ngt_f64_e32 vcc, 0, v[84:85]
	v_cndmask_b32_e32 v79, v44, v78, vcc
	v_cmp_nge_f64_e32 vcc, 0, v[84:85]
	v_cndmask_b32_e32 v78, 0, v61, vcc
	v_cmp_neq_f64_e32 vcc, 0, v[84:85]
	v_cndmask_b32_e32 v79, v49, v79, vcc
	v_add_f64 v[84:85], v[66:67], 1.0
	s_waitcnt vmcnt(0)
	v_mul_f64 v[80:81], v[80:81], v[108:109]
	buffer_load_dword v108, off, s[96:99], 0 offset:16 ; 4-byte Folded Reload
	buffer_load_dword v109, off, s[96:99], 0 offset:20 ; 4-byte Folded Reload
	v_div_scale_f64 v[88:89], s[52:53], v[104:105], v[104:105], v[80:81]
	v_rcp_f64_e32 v[90:91], v[88:89]
	s_waitcnt vmcnt(0)
	v_fma_f64 v[108:109], v[84:85], v[78:79], v[108:109]
	v_fma_f64 v[84:85], -v[88:89], v[90:91], 1.0
	v_fmac_f64_e32 v[90:91], v[90:91], v[84:85]
	v_fma_f64 v[84:85], -v[88:89], v[90:91], 1.0
	v_fmac_f64_e32 v[90:91], v[90:91], v[84:85]
	v_div_scale_f64 v[84:85], vcc, v[80:81], v[104:105], v[80:81]
	v_mul_f64 v[110:111], v[84:85], v[90:91]
	v_fma_f64 v[84:85], -v[88:89], v[110:111], v[84:85]
	v_add_f64 v[78:79], v[92:93], 0.5
	s_nop 0
	v_div_fmas_f64 v[84:85], v[84:85], v[90:91], v[110:111]
	v_div_fixup_f64 v[80:81], v[84:85], v[104:105], v[80:81]
	v_frexp_mant_f64_e32 v[84:85], v[80:81]
	v_cmp_gt_f64_e32 vcc, s[64:65], v[84:85]
	v_cndmask_b32_e64 v61, v39, 2.0, vcc
	v_frexp_exp_i32_f64_e32 v88, v[80:81]
	v_mul_f64 v[84:85], v[84:85], v[60:61]
	v_subbrev_co_u32_e32 v61, vcc, 0, v88, vcc
	v_add_f64 v[88:89], v[84:85], 1.0
	v_rcp_f64_e32 v[90:91], v[88:89]
	v_add_f64 v[110:111], v[88:89], -1.0
	v_add_f64 v[104:105], v[84:85], -1.0
	v_add_f64 v[84:85], v[84:85], -v[110:111]
	v_fma_f64 v[110:111], -v[88:89], v[90:91], 1.0
	v_fmac_f64_e32 v[90:91], v[110:111], v[90:91]
	v_fma_f64 v[110:111], -v[88:89], v[90:91], 1.0
	v_fmac_f64_e32 v[90:91], v[110:111], v[90:91]
	v_mul_f64 v[110:111], v[104:105], v[90:91]
	v_mul_f64 v[112:113], v[88:89], v[110:111]
	v_fma_f64 v[88:89], v[110:111], v[88:89], -v[112:113]
	v_fmac_f64_e32 v[88:89], v[110:111], v[84:85]
	v_add_f64 v[84:85], v[112:113], v[88:89]
	v_add_f64 v[114:115], v[104:105], -v[84:85]
	v_add_f64 v[112:113], v[84:85], -v[112:113]
	;; [unrolled: 1-line block ×5, first 2 shown]
	v_add_f64 v[84:85], v[88:89], v[84:85]
	v_add_f64 v[84:85], v[114:115], v[84:85]
	v_mul_f64 v[84:85], v[90:91], v[84:85]
	v_add_f64 v[88:89], v[110:111], v[84:85]
	v_add_f64 v[90:91], v[88:89], -v[110:111]
	v_add_f64 v[84:85], v[84:85], -v[90:91]
	v_mul_f64 v[90:91], v[88:89], v[88:89]
	v_fma_f64 v[104:105], s[68:69], v[90:91], v[106:107]
	v_fma_f64 v[104:105], v[90:91], v[104:105], s[70:71]
	;; [unrolled: 1-line block ×6, first 2 shown]
	v_ldexp_f64 v[110:111], v[88:89], 1
	v_mul_f64 v[88:89], v[88:89], v[90:91]
	v_mul_f64 v[88:89], v[88:89], v[104:105]
	v_add_f64 v[90:91], v[110:111], v[88:89]
	v_add_f64 v[104:105], v[90:91], -v[110:111]
	v_ldexp_f64 v[84:85], v[84:85], 1
	v_add_f64 v[88:89], v[88:89], -v[104:105]
	v_add_f64 v[84:85], v[84:85], v[88:89]
	v_add_f64 v[88:89], v[90:91], v[84:85]
	v_add_f64 v[90:91], v[88:89], -v[90:91]
	v_add_f64 v[84:85], v[84:85], -v[90:91]
	v_cvt_f64_i32_e32 v[90:91], v61
	v_mul_f64 v[104:105], v[90:91], s[80:81]
	v_fma_f64 v[110:111], v[90:91], s[80:81], -v[104:105]
	v_fmac_f64_e32 v[110:111], s[82:83], v[90:91]
	v_add_f64 v[90:91], v[104:105], v[110:111]
	v_add_f64 v[104:105], v[90:91], -v[104:105]
	v_add_f64 v[104:105], v[110:111], -v[104:105]
	v_add_f64 v[110:111], v[90:91], v[88:89]
	v_add_f64 v[112:113], v[110:111], -v[90:91]
	v_add_f64 v[114:115], v[110:111], -v[112:113]
	;; [unrolled: 1-line block ×4, first 2 shown]
	v_add_f64 v[88:89], v[88:89], v[90:91]
	v_add_f64 v[90:91], v[104:105], v[84:85]
	v_add_f64 v[112:113], v[90:91], -v[104:105]
	v_add_f64 v[114:115], v[90:91], -v[112:113]
	v_add_f64 v[88:89], v[90:91], v[88:89]
	v_add_f64 v[104:105], v[104:105], -v[114:115]
	v_add_f64 v[84:85], v[84:85], -v[112:113]
	v_add_f64 v[90:91], v[110:111], v[88:89]
	v_add_f64 v[84:85], v[84:85], v[104:105]
	v_add_f64 v[104:105], v[90:91], -v[110:111]
	v_add_f64 v[88:89], v[88:89], -v[104:105]
	v_add_f64 v[84:85], v[84:85], v[88:89]
	v_add_f64 v[84:85], v[90:91], v[84:85]
	v_cmp_class_f64_e64 vcc, v[80:81], s60
	v_cndmask_b32_e32 v61, v84, v80, vcc
	v_cndmask_b32_e32 v84, v85, v81, vcc
	v_cmp_ngt_f64_e32 vcc, 0, v[80:81]
	v_cndmask_b32_e32 v85, v44, v84, vcc
	v_cmp_nge_f64_e32 vcc, 0, v[80:81]
	v_cndmask_b32_e32 v84, 0, v61, vcc
	v_cmp_neq_f64_e32 vcc, 0, v[80:81]
	v_cndmask_b32_e32 v85, v49, v85, vcc
	v_fmac_f64_e32 v[108:109], v[78:79], v[84:85]
	buffer_load_dword v78, off, s[96:99], 0 offset:8 ; 4-byte Folded Reload
	buffer_load_dword v79, off, s[96:99], 0 offset:12 ; 4-byte Folded Reload
	v_mul_f64 v[88:89], v[100:101], v[100:101]
	v_div_scale_f64 v[90:91], s[52:53], v[88:89], v[88:89], v[72:73]
	v_rcp_f64_e32 v[100:101], v[90:91]
	v_add_f64 v[36:37], v[108:109], v[36:37]
	v_add_f64 v[36:37], v[36:37], v[40:41]
	v_add_f64 v[36:37], v[36:37], -v[102:103]
	s_waitcnt vmcnt(0)
	v_mul_f64 v[34:35], v[78:79], v[34:35]
	v_fma_f64 v[78:79], -v[90:91], v[100:101], 1.0
	v_fmac_f64_e32 v[100:101], v[100:101], v[78:79]
	v_fma_f64 v[78:79], -v[90:91], v[100:101], 1.0
	v_fmac_f64_e32 v[100:101], v[100:101], v[78:79]
	v_div_scale_f64 v[78:79], vcc, v[72:73], v[88:89], v[72:73]
	v_mul_f64 v[80:81], v[78:79], v[100:101]
	v_fma_f64 v[78:79], -v[90:91], v[80:81], v[78:79]
	s_nop 1
	v_div_fmas_f64 v[78:79], v[78:79], v[100:101], v[80:81]
	v_div_fixup_f64 v[78:79], v[78:79], v[88:89], v[72:73]
	v_add_f64 v[78:79], v[70:71], v[78:79]
	v_div_scale_f64 v[80:81], s[52:53], v[78:79], v[78:79], v[34:35]
	v_rcp_f64_e32 v[84:85], v[80:81]
	v_fma_f64 v[40:41], -v[80:81], v[84:85], 1.0
	v_fmac_f64_e32 v[84:85], v[84:85], v[40:41]
	v_fma_f64 v[40:41], -v[80:81], v[84:85], 1.0
	v_fmac_f64_e32 v[84:85], v[84:85], v[40:41]
	v_div_scale_f64 v[40:41], vcc, v[34:35], v[78:79], v[34:35]
	v_mul_f64 v[88:89], v[40:41], v[84:85]
	v_fma_f64 v[40:41], -v[80:81], v[88:89], v[40:41]
	s_nop 1
	v_div_fmas_f64 v[40:41], v[40:41], v[84:85], v[88:89]
	v_div_fixup_f64 v[34:35], v[40:41], v[78:79], v[34:35]
	v_frexp_mant_f64_e32 v[40:41], v[34:35]
	v_cmp_gt_f64_e32 vcc, s[64:65], v[40:41]
	v_cndmask_b32_e64 v61, v39, 2.0, vcc
	v_frexp_exp_i32_f64_e32 v78, v[34:35]
	v_mul_f64 v[40:41], v[40:41], v[60:61]
	v_subbrev_co_u32_e32 v61, vcc, 0, v78, vcc
	v_add_f64 v[78:79], v[40:41], 1.0
	v_rcp_f64_e32 v[80:81], v[78:79]
	v_add_f64 v[88:89], v[78:79], -1.0
	v_add_f64 v[84:85], v[40:41], -1.0
	v_add_f64 v[40:41], v[40:41], -v[88:89]
	v_fma_f64 v[88:89], -v[78:79], v[80:81], 1.0
	v_fmac_f64_e32 v[80:81], v[88:89], v[80:81]
	v_fma_f64 v[88:89], -v[78:79], v[80:81], 1.0
	v_fmac_f64_e32 v[80:81], v[88:89], v[80:81]
	v_mul_f64 v[88:89], v[84:85], v[80:81]
	v_mul_f64 v[90:91], v[78:79], v[88:89]
	v_fma_f64 v[78:79], v[88:89], v[78:79], -v[90:91]
	v_fmac_f64_e32 v[78:79], v[88:89], v[40:41]
	v_add_f64 v[40:41], v[90:91], v[78:79]
	v_add_f64 v[100:101], v[84:85], -v[40:41]
	v_add_f64 v[90:91], v[40:41], -v[90:91]
	;; [unrolled: 1-line block ×5, first 2 shown]
	v_add_f64 v[40:41], v[78:79], v[40:41]
	v_add_f64 v[40:41], v[100:101], v[40:41]
	v_mul_f64 v[40:41], v[80:81], v[40:41]
	v_add_f64 v[78:79], v[88:89], v[40:41]
	v_add_f64 v[80:81], v[78:79], -v[88:89]
	v_add_f64 v[40:41], v[40:41], -v[80:81]
	v_mul_f64 v[80:81], v[78:79], v[78:79]
	v_fmac_f64_e32 v[106:107], s[68:69], v[80:81]
	v_fma_f64 v[84:85], v[80:81], v[106:107], s[70:71]
	v_fma_f64 v[84:85], v[80:81], v[84:85], s[72:73]
	;; [unrolled: 1-line block ×5, first 2 shown]
	v_ldexp_f64 v[88:89], v[78:79], 1
	v_mul_f64 v[78:79], v[78:79], v[80:81]
	v_mul_f64 v[78:79], v[78:79], v[84:85]
	v_add_f64 v[80:81], v[88:89], v[78:79]
	v_add_f64 v[84:85], v[80:81], -v[88:89]
	v_ldexp_f64 v[40:41], v[40:41], 1
	v_add_f64 v[78:79], v[78:79], -v[84:85]
	v_add_f64 v[40:41], v[40:41], v[78:79]
	v_add_f64 v[78:79], v[80:81], v[40:41]
	v_add_f64 v[80:81], v[78:79], -v[80:81]
	v_add_f64 v[40:41], v[40:41], -v[80:81]
	v_cvt_f64_i32_e32 v[80:81], v61
	v_mul_f64 v[84:85], v[80:81], s[80:81]
	v_fma_f64 v[88:89], v[80:81], s[80:81], -v[84:85]
	v_fmac_f64_e32 v[88:89], s[82:83], v[80:81]
	v_add_f64 v[80:81], v[84:85], v[88:89]
	v_add_f64 v[84:85], v[80:81], -v[84:85]
	v_add_f64 v[84:85], v[88:89], -v[84:85]
	v_add_f64 v[88:89], v[80:81], v[78:79]
	v_add_f64 v[90:91], v[88:89], -v[80:81]
	v_add_f64 v[100:101], v[88:89], -v[90:91]
	;; [unrolled: 1-line block ×4, first 2 shown]
	v_add_f64 v[78:79], v[78:79], v[80:81]
	v_add_f64 v[80:81], v[84:85], v[40:41]
	v_add_f64 v[90:91], v[80:81], -v[84:85]
	v_add_f64 v[100:101], v[80:81], -v[90:91]
	v_add_f64 v[78:79], v[80:81], v[78:79]
	v_add_f64 v[84:85], v[84:85], -v[100:101]
	v_add_f64 v[40:41], v[40:41], -v[90:91]
	v_add_f64 v[80:81], v[88:89], v[78:79]
	v_add_f64 v[40:41], v[40:41], v[84:85]
	v_add_f64 v[84:85], v[80:81], -v[88:89]
	v_add_f64 v[78:79], v[78:79], -v[84:85]
	v_add_f64 v[40:41], v[40:41], v[78:79]
	v_add_f64 v[40:41], v[80:81], v[40:41]
	v_cmp_class_f64_e64 vcc, v[34:35], s60
	v_cndmask_b32_e32 v40, v40, v34, vcc
	v_cndmask_b32_e32 v41, v41, v35, vcc
	v_cmp_ngt_f64_e32 vcc, 0, v[34:35]
	v_cndmask_b32_e32 v41, v44, v41, vcc
	v_cmp_nge_f64_e32 vcc, 0, v[34:35]
	v_cndmask_b32_e32 v40, 0, v40, vcc
	v_cmp_neq_f64_e32 vcc, 0, v[34:35]
	v_cndmask_b32_e32 v41, v49, v41, vcc
	v_add_f64 v[34:35], v[36:37], -v[42:43]
	v_cmp_le_f64_e32 vcc, v[40:41], v[34:35]
	s_orn2_b64 s[52:53], vcc, exec
.LBB102_80:                             ;   in Loop: Header=BB102_81 Depth=2
	s_or_b64 exec, exec, s[4:5]
	s_and_b64 s[4:5], exec, s[52:53]
	v_pk_mov_b32 v[36:37], v[24:25], v[24:25] op_sel:[0,1]
	s_or_b64 s[48:49], s[4:5], s[48:49]
	s_mov_b64 s[52:53], 0
	v_mov_b32_e32 v102, v63
	v_pk_mov_b32 v[34:35], v[22:23], v[22:23] op_sel:[0,1]
	s_andn2_b64 exec, exec, s[48:49]
	s_cbranch_execz .LBB102_99
.LBB102_81:                             ;   Parent Loop BB102_28 Depth=1
                                        ; =>  This Inner Loop Header: Depth=2
	v_add_u32_e32 v61, 1, v102
	v_pk_mov_b32 v[42:43], v[36:37], v[36:37] op_sel:[0,1]
	v_cmp_eq_u32_e32 vcc, 4, v61
	v_pk_mov_b32 v[40:41], v[34:35], v[34:35] op_sel:[0,1]
	s_and_saveexec_b64 s[4:5], vcc
	s_cbranch_execz .LBB102_83
; %bb.82:                               ;   in Loop: Header=BB102_81 Depth=2
	v_add_co_u32_e32 v4, vcc, 1, v4
	v_cndmask_b32_e64 v12, 0, 1, vcc
	v_addc_co_u32_e32 v1, vcc, 0, v1, vcc
	v_cmp_eq_u32_e32 vcc, 0, v1
	v_cndmask_b32_e32 v12, 0, v12, vcc
	v_add_u32_e32 v2, v12, v2
	v_cmp_eq_u32_e32 vcc, 0, v2
	v_cndmask_b32_e32 v12, 0, v12, vcc
	v_add_u32_e32 v3, v12, v3
	v_mad_u64_u32 v[12:13], vcc, v4, s56, 0
	v_mad_u64_u32 v[14:15], vcc, v2, s57, 0
	v_xor_b32_e32 v15, v15, v68
	v_xor_b32_e32 v13, v13, v69
	v_xor_b32_e32 v15, v1, v15
	v_xor_b32_e32 v13, v3, v13
	v_mad_u64_u32 v[22:23], vcc, v15, s56, 0
	v_mad_u64_u32 v[24:25], vcc, v13, s57, 0
	v_xor_b32_e32 v13, v25, v14
	v_xor_b32_e32 v12, v23, v12
	v_xor_b32_e32 v13, v119, v13
	v_xor_b32_e32 v14, v120, v12
	v_mad_u64_u32 v[12:13], vcc, v13, s56, 0
	v_mad_u64_u32 v[14:15], vcc, v14, s57, 0
	v_xor_b32_e32 v15, v15, v24
	v_xor_b32_e32 v13, v13, v22
	v_xor_b32_e32 v15, v121, v15
	v_xor_b32_e32 v13, v122, v13
	v_mad_u64_u32 v[22:23], vcc, v15, s56, 0
	v_mad_u64_u32 v[24:25], vcc, v13, s57, 0
	v_xor_b32_e32 v13, v25, v14
	v_xor_b32_e32 v12, v23, v12
	v_xor_b32_e32 v13, v123, v13
	v_xor_b32_e32 v14, v124, v12
	v_mad_u64_u32 v[12:13], vcc, v13, s56, 0
	v_mad_u64_u32 v[14:15], vcc, v14, s57, 0
	v_xor_b32_e32 v15, v15, v24
	v_xor_b32_e32 v13, v13, v22
	v_xor_b32_e32 v15, v125, v15
	v_xor_b32_e32 v13, v126, v13
	v_mad_u64_u32 v[22:23], vcc, v15, s56, 0
	v_mad_u64_u32 v[24:25], vcc, v13, s57, 0
	v_xor_b32_e32 v13, v25, v14
	v_xor_b32_e32 v12, v23, v12
	v_xor_b32_e32 v13, v127, v13
	v_xor_b32_e32 v14, v6, v12
	v_mad_u64_u32 v[12:13], vcc, v13, s56, 0
	v_mad_u64_u32 v[14:15], vcc, v14, s57, 0
	v_xor_b32_e32 v15, v15, v24
	v_xor_b32_e32 v13, v13, v22
	v_xor_b32_e32 v15, v7, v15
	v_xor_b32_e32 v13, v16, v13
	v_mad_u64_u32 v[22:23], vcc, v15, s56, 0
	v_mad_u64_u32 v[24:25], vcc, v13, s57, 0
	v_xor_b32_e32 v13, v25, v14
	v_xor_b32_e32 v12, v23, v12
	v_xor_b32_e32 v13, v17, v13
	v_xor_b32_e32 v12, v5, v12
	v_mad_u64_u32 v[14:15], vcc, v13, s56, 0
	v_mad_u64_u32 v[12:13], vcc, v12, s57, 0
	v_xor_b32_e32 v13, v13, v24
	v_xor_b32_e32 v13, v29, v13
	v_xor_b32_e32 v15, v15, v22
	v_xor_b32_e32 v15, v32, v15
	v_mad_u64_u32 v[22:23], vcc, v13, s56, 0
	v_mad_u64_u32 v[24:25], vcc, v15, s57, 0
	v_xor_b32_e32 v13, v23, v14
	v_xor_b32_e32 v12, v25, v12
	;; [unrolled: 1-line block ×3, first 2 shown]
	v_mov_b32_e32 v15, v22
	v_xor_b32_e32 v12, v117, v12
	v_mov_b32_e32 v13, v24
	v_pk_mov_b32 v[42:43], v[14:15], v[14:15] op_sel:[0,1]
	v_mov_b32_e32 v61, 0
	v_pk_mov_b32 v[40:41], v[12:13], v[12:13] op_sel:[0,1]
.LBB102_83:                             ;   in Loop: Header=BB102_81 Depth=2
	s_or_b64 exec, exec, s[4:5]
	v_add_u32_e32 v63, 1, v61
	v_pk_mov_b32 v[22:23], v[40:41], v[40:41] op_sel:[0,1]
	v_cmp_eq_u32_e32 vcc, 4, v63
	v_pk_mov_b32 v[24:25], v[42:43], v[42:43] op_sel:[0,1]
	s_and_saveexec_b64 s[4:5], vcc
	s_cbranch_execz .LBB102_85
; %bb.84:                               ;   in Loop: Header=BB102_81 Depth=2
	v_add_co_u32_e32 v4, vcc, 1, v4
	v_cndmask_b32_e64 v12, 0, 1, vcc
	v_addc_co_u32_e32 v1, vcc, 0, v1, vcc
	v_cmp_eq_u32_e32 vcc, 0, v1
	v_cndmask_b32_e32 v12, 0, v12, vcc
	v_add_u32_e32 v2, v12, v2
	v_cmp_eq_u32_e32 vcc, 0, v2
	v_cndmask_b32_e32 v12, 0, v12, vcc
	v_add_u32_e32 v3, v12, v3
	v_mad_u64_u32 v[12:13], vcc, v4, s56, 0
	v_mad_u64_u32 v[14:15], vcc, v2, s57, 0
	v_xor_b32_e32 v15, v15, v68
	v_xor_b32_e32 v13, v13, v69
	v_xor_b32_e32 v15, v1, v15
	v_xor_b32_e32 v13, v3, v13
	v_mad_u64_u32 v[22:23], vcc, v15, s56, 0
	v_mad_u64_u32 v[24:25], vcc, v13, s57, 0
	v_xor_b32_e32 v13, v25, v14
	v_xor_b32_e32 v12, v23, v12
	v_xor_b32_e32 v13, v119, v13
	v_xor_b32_e32 v14, v120, v12
	v_mad_u64_u32 v[12:13], vcc, v13, s56, 0
	v_mad_u64_u32 v[14:15], vcc, v14, s57, 0
	v_xor_b32_e32 v15, v15, v24
	v_xor_b32_e32 v13, v13, v22
	v_xor_b32_e32 v15, v121, v15
	v_xor_b32_e32 v13, v122, v13
	v_mad_u64_u32 v[22:23], vcc, v15, s56, 0
	v_mad_u64_u32 v[24:25], vcc, v13, s57, 0
	v_xor_b32_e32 v13, v25, v14
	v_xor_b32_e32 v12, v23, v12
	v_xor_b32_e32 v13, v123, v13
	v_xor_b32_e32 v14, v124, v12
	v_mad_u64_u32 v[12:13], vcc, v13, s56, 0
	v_mad_u64_u32 v[14:15], vcc, v14, s57, 0
	v_xor_b32_e32 v15, v15, v24
	v_xor_b32_e32 v13, v13, v22
	v_xor_b32_e32 v15, v125, v15
	v_xor_b32_e32 v13, v126, v13
	v_mad_u64_u32 v[22:23], vcc, v15, s56, 0
	v_mad_u64_u32 v[24:25], vcc, v13, s57, 0
	v_xor_b32_e32 v13, v25, v14
	v_xor_b32_e32 v12, v23, v12
	v_xor_b32_e32 v13, v127, v13
	v_xor_b32_e32 v14, v6, v12
	v_mad_u64_u32 v[12:13], vcc, v13, s56, 0
	v_mad_u64_u32 v[14:15], vcc, v14, s57, 0
	v_xor_b32_e32 v15, v15, v24
	v_xor_b32_e32 v13, v13, v22
	v_xor_b32_e32 v15, v7, v15
	v_xor_b32_e32 v13, v16, v13
	v_mad_u64_u32 v[22:23], vcc, v15, s56, 0
	v_mad_u64_u32 v[24:25], vcc, v13, s57, 0
	v_xor_b32_e32 v13, v25, v14
	v_xor_b32_e32 v12, v23, v12
	v_xor_b32_e32 v13, v17, v13
	v_xor_b32_e32 v12, v5, v12
	v_mad_u64_u32 v[14:15], vcc, v13, s56, 0
	v_mad_u64_u32 v[12:13], vcc, v12, s57, 0
	v_xor_b32_e32 v13, v13, v24
	v_xor_b32_e32 v13, v29, v13
	v_xor_b32_e32 v15, v15, v22
	v_xor_b32_e32 v15, v32, v15
	v_mad_u64_u32 v[22:23], vcc, v13, s56, 0
	v_mad_u64_u32 v[24:25], vcc, v15, s57, 0
	v_xor_b32_e32 v13, v23, v14
	v_xor_b32_e32 v12, v25, v12
	v_xor_b32_e32 v14, v118, v13
	v_mov_b32_e32 v15, v22
	v_xor_b32_e32 v12, v117, v12
	v_mov_b32_e32 v13, v24
	v_pk_mov_b32 v[24:25], v[14:15], v[14:15] op_sel:[0,1]
	v_mov_b32_e32 v63, 0
	v_pk_mov_b32 v[22:23], v[12:13], v[12:13] op_sel:[0,1]
.LBB102_85:                             ;   in Loop: Header=BB102_81 Depth=2
	s_or_b64 exec, exec, s[4:5]
	v_cmp_eq_u32_e32 vcc, 1, v102
	v_cndmask_b32_e32 v34, v34, v35, vcc
	v_cmp_eq_u32_e32 vcc, 2, v102
	v_cndmask_b32_e32 v34, v34, v36, vcc
	;; [unrolled: 2-line block ×3, first 2 shown]
	v_and_b32_e32 v34, 0xffffff, v34
	v_cvt_f32_u32_e32 v34, v34
	v_mul_f32_e32 v34, 0x33800000, v34
	v_cvt_f64_f32_e32 v[34:35], v34
	v_add_f64 v[34:35], v[34:35], -0.5
	v_add_f64 v[100:101], -|v[34:35]|, 0.5
	v_div_scale_f64 v[36:37], s[4:5], v[100:101], v[100:101], v[86:87]
	v_rcp_f64_e32 v[92:93], v[36:37]
	v_div_scale_f64 v[102:103], vcc, v[86:87], v[100:101], v[86:87]
	v_fma_f64 v[104:105], -v[36:37], v[92:93], 1.0
	v_fmac_f64_e32 v[92:93], v[92:93], v[104:105]
	v_fma_f64 v[104:105], -v[36:37], v[92:93], 1.0
	v_fmac_f64_e32 v[92:93], v[92:93], v[104:105]
	v_mul_f64 v[104:105], v[102:103], v[92:93]
	v_fma_f64 v[36:37], -v[36:37], v[104:105], v[102:103]
	v_div_fmas_f64 v[36:37], v[36:37], v[92:93], v[104:105]
	v_div_fixup_f64 v[36:37], v[36:37], v[100:101], v[86:87]
	v_add_f64 v[36:37], v[70:71], v[36:37]
	v_fma_f64 v[34:35], v[34:35], v[36:37], v[74:75]
	v_floor_f64_e32 v[92:93], v[34:35]
	v_cmp_ngt_f64_e32 vcc, 0, v[92:93]
	v_cmp_ngt_f64_e64 s[4:5], v[92:93], v[66:67]
	s_and_b64 s[4:5], vcc, s[4:5]
	s_and_b64 s[4:5], exec, s[4:5]
	v_pk_mov_b32 v[36:37], v[24:25], v[24:25] op_sel:[0,1]
	s_or_b64 s[52:53], s[4:5], s[52:53]
	v_mov_b32_e32 v102, v63
	v_pk_mov_b32 v[34:35], v[22:23], v[22:23] op_sel:[0,1]
	s_andn2_b64 exec, exec, s[52:53]
	s_cbranch_execnz .LBB102_81
; %bb.86:                               ;   in Loop: Header=BB102_81 Depth=2
	s_or_b64 exec, exec, s[52:53]
	v_cmp_eq_u32_e32 vcc, 1, v61
	v_cndmask_b32_e32 v34, v40, v41, vcc
	v_cmp_eq_u32_e32 vcc, 2, v61
	v_cndmask_b32_e32 v34, v34, v42, vcc
	;; [unrolled: 2-line block ×3, first 2 shown]
	v_and_b32_e32 v34, 0xffffff, v34
	v_cvt_f32_u32_e32 v34, v34
	v_cmp_nle_f64_e32 vcc, s[92:93], v[100:101]
	s_mov_b64 s[52:53], -1
	v_mul_f32_e32 v34, 0x33800000, v34
	v_cvt_f64_f32_e32 v[34:35], v34
	v_cmp_nge_f64_e64 s[4:5], v[76:77], v[34:35]
	s_or_b64 vcc, vcc, s[4:5]
	s_and_saveexec_b64 s[4:5], vcc
	s_cbranch_execz .LBB102_80
; %bb.87:                               ;   in Loop: Header=BB102_81 Depth=2
	buffer_load_dword v36, off, s[96:99], 0 offset:24 ; 4-byte Folded Reload
	buffer_load_dword v37, off, s[96:99], 0 offset:28 ; 4-byte Folded Reload
	s_and_saveexec_b64 s[52:53], s[0:1]
	s_cbranch_execz .LBB102_89
; %bb.88:                               ;   in Loop: Header=BB102_81 Depth=2
	global_load_dwordx2 v[36:37], v[94:95], off
.LBB102_89:                             ;   in Loop: Header=BB102_81 Depth=2
	s_or_b64 exec, exec, s[52:53]
	v_pk_mov_b32 v[40:41], v[96:97], v[96:97] op_sel:[0,1]
	s_and_saveexec_b64 s[52:53], s[2:3]
	s_cbranch_execz .LBB102_91
; %bb.90:                               ;   in Loop: Header=BB102_81 Depth=2
	global_load_dwordx2 v[40:41], v[98:99], off
.LBB102_91:                             ;   in Loop: Header=BB102_81 Depth=2
	s_or_b64 exec, exec, s[52:53]
	v_add_f64 v[104:105], v[92:93], 1.0
	v_cmp_ngt_f64_e32 vcc, s[46:47], v[92:93]
                                        ; implicit-def: $vgpr102_vgpr103
	s_and_saveexec_b64 s[52:53], vcc
	s_xor_b64 s[52:53], exec, s[52:53]
	s_cbranch_execz .LBB102_93
; %bb.92:                               ;   in Loop: Header=BB102_81 Depth=2
	v_mul_f64 v[42:43], v[104:105], v[104:105]
	v_div_scale_f64 v[102:103], vcc, v[42:43], v[42:43], s[86:87]
	v_rcp_f64_e32 v[106:107], v[102:103]
	v_div_scale_f64 v[108:109], vcc, s[86:87], v[42:43], s[86:87]
	s_mov_b32 s90, s64
	v_fma_f64 v[110:111], -v[102:103], v[106:107], 1.0
	v_fmac_f64_e32 v[106:107], v[106:107], v[110:111]
	v_fma_f64 v[110:111], -v[102:103], v[106:107], 1.0
	v_fmac_f64_e32 v[106:107], v[106:107], v[110:111]
	v_mul_f64 v[110:111], v[108:109], v[106:107]
	v_fma_f64 v[102:103], -v[102:103], v[110:111], v[108:109]
	v_div_fmas_f64 v[102:103], v[102:103], v[106:107], v[110:111]
	v_div_fixup_f64 v[102:103], v[102:103], v[42:43], s[86:87]
	v_add_f64 v[102:103], v[102:103], s[88:89]
	v_div_scale_f64 v[106:107], vcc, v[42:43], v[42:43], v[102:103]
	v_rcp_f64_e32 v[108:109], v[106:107]
	v_fma_f64 v[110:111], -v[106:107], v[108:109], 1.0
	v_fmac_f64_e32 v[108:109], v[108:109], v[110:111]
	v_fma_f64 v[110:111], -v[106:107], v[108:109], 1.0
	v_fmac_f64_e32 v[108:109], v[108:109], v[110:111]
	v_div_scale_f64 v[110:111], vcc, v[102:103], v[42:43], v[102:103]
	v_mul_f64 v[112:113], v[110:111], v[108:109]
	v_fma_f64 v[106:107], -v[106:107], v[112:113], v[110:111]
	s_nop 1
	v_div_fmas_f64 v[106:107], v[106:107], v[108:109], v[112:113]
	v_div_fixup_f64 v[42:43], v[106:107], v[42:43], v[102:103]
	v_add_f64 v[42:43], -v[42:43], s[90:91]
	v_div_scale_f64 v[102:103], vcc, v[104:105], v[104:105], v[42:43]
	v_rcp_f64_e32 v[106:107], v[102:103]
	v_fma_f64 v[108:109], -v[102:103], v[106:107], 1.0
	v_fmac_f64_e32 v[106:107], v[106:107], v[108:109]
	v_fma_f64 v[108:109], -v[102:103], v[106:107], 1.0
	v_fmac_f64_e32 v[106:107], v[106:107], v[108:109]
	v_div_scale_f64 v[108:109], vcc, v[42:43], v[104:105], v[42:43]
	v_mul_f64 v[110:111], v[108:109], v[106:107]
	v_fma_f64 v[102:103], -v[102:103], v[110:111], v[108:109]
	s_nop 1
	v_div_fmas_f64 v[102:103], v[102:103], v[106:107], v[110:111]
	v_div_fixup_f64 v[102:103], v[102:103], v[104:105], v[42:43]
.LBB102_93:                             ;   in Loop: Header=BB102_81 Depth=2
	s_andn2_saveexec_b64 s[52:53], s[52:53]
	s_cbranch_execz .LBB102_95
; %bb.94:                               ;   in Loop: Header=BB102_81 Depth=2
	v_trunc_f64_e32 v[42:43], v[92:93]
	v_ldexp_f64 v[102:103], v[42:43], s61
	v_floor_f64_e32 v[102:103], v[102:103]
	v_fmac_f64_e32 v[42:43], 0xc1f00000, v[102:103]
	v_cvt_u32_f64_e32 v107, v[102:103]
	v_cvt_u32_f64_e32 v106, v[42:43]
	v_lshlrev_b64 v[42:43], 3, v[106:107]
	s_getpc_b64 vcc
	s_add_u32 vcc_lo, vcc_lo, _ZZN12_GLOBAL__N_120stirling_approx_tailIdEET_S1_E11kTailValues.const@rel32@lo+4
	s_addc_u32 vcc_hi, vcc_hi, _ZZN12_GLOBAL__N_120stirling_approx_tailIdEET_S1_E11kTailValues.const@rel32@hi+12
	v_mov_b32_e32 v61, vcc_hi
	v_add_co_u32_e32 v42, vcc, vcc_lo, v42
	v_addc_co_u32_e32 v43, vcc, v43, v61, vcc
	global_load_dwordx2 v[102:103], v[42:43], off
.LBB102_95:                             ;   in Loop: Header=BB102_81 Depth=2
	s_or_b64 exec, exec, s[52:53]
	v_add_f64 v[106:107], v[66:67], -v[92:93]
	v_add_f64 v[108:109], v[106:107], 1.0
	v_cmp_ngt_f64_e32 vcc, s[46:47], v[106:107]
                                        ; implicit-def: $vgpr42_vgpr43
	s_and_saveexec_b64 s[52:53], vcc
	s_xor_b64 s[52:53], exec, s[52:53]
	s_cbranch_execz .LBB102_97
; %bb.96:                               ;   in Loop: Header=BB102_81 Depth=2
	v_mul_f64 v[42:43], v[108:109], v[108:109]
	v_div_scale_f64 v[106:107], vcc, v[42:43], v[42:43], s[86:87]
	v_rcp_f64_e32 v[110:111], v[106:107]
	v_div_scale_f64 v[112:113], vcc, s[86:87], v[42:43], s[86:87]
	s_mov_b32 s90, s64
	v_fma_f64 v[114:115], -v[106:107], v[110:111], 1.0
	v_fmac_f64_e32 v[110:111], v[110:111], v[114:115]
	v_fma_f64 v[114:115], -v[106:107], v[110:111], 1.0
	v_fmac_f64_e32 v[110:111], v[110:111], v[114:115]
	v_mul_f64 v[114:115], v[112:113], v[110:111]
	v_fma_f64 v[106:107], -v[106:107], v[114:115], v[112:113]
	v_div_fmas_f64 v[106:107], v[106:107], v[110:111], v[114:115]
	v_div_fixup_f64 v[106:107], v[106:107], v[42:43], s[86:87]
	v_add_f64 v[106:107], v[106:107], s[88:89]
	v_div_scale_f64 v[110:111], vcc, v[42:43], v[42:43], v[106:107]
	v_rcp_f64_e32 v[112:113], v[110:111]
	v_fma_f64 v[114:115], -v[110:111], v[112:113], 1.0
	v_fmac_f64_e32 v[112:113], v[112:113], v[114:115]
	v_fma_f64 v[114:115], -v[110:111], v[112:113], 1.0
	v_fmac_f64_e32 v[112:113], v[112:113], v[114:115]
	v_div_scale_f64 v[114:115], vcc, v[106:107], v[42:43], v[106:107]
	v_mul_f64 v[84:85], v[114:115], v[112:113]
	v_fma_f64 v[110:111], -v[110:111], v[84:85], v[114:115]
	s_nop 1
	v_div_fmas_f64 v[84:85], v[110:111], v[112:113], v[84:85]
	v_div_fixup_f64 v[42:43], v[84:85], v[42:43], v[106:107]
	v_add_f64 v[42:43], -v[42:43], s[90:91]
	v_div_scale_f64 v[84:85], vcc, v[108:109], v[108:109], v[42:43]
	v_rcp_f64_e32 v[106:107], v[84:85]
	v_fma_f64 v[110:111], -v[84:85], v[106:107], 1.0
	v_fmac_f64_e32 v[106:107], v[106:107], v[110:111]
	v_fma_f64 v[110:111], -v[84:85], v[106:107], 1.0
	v_fmac_f64_e32 v[106:107], v[106:107], v[110:111]
	v_div_scale_f64 v[110:111], vcc, v[42:43], v[108:109], v[42:43]
	v_mul_f64 v[112:113], v[110:111], v[106:107]
	v_fma_f64 v[84:85], -v[84:85], v[112:113], v[110:111]
	s_nop 1
	v_div_fmas_f64 v[84:85], v[84:85], v[106:107], v[112:113]
	v_div_fixup_f64 v[42:43], v[84:85], v[108:109], v[42:43]
                                        ; implicit-def: $vgpr106_vgpr107
.LBB102_97:                             ;   in Loop: Header=BB102_81 Depth=2
	s_andn2_saveexec_b64 s[52:53], s[52:53]
	s_cbranch_execz .LBB102_79
; %bb.98:                               ;   in Loop: Header=BB102_81 Depth=2
	v_trunc_f64_e32 v[42:43], v[106:107]
	v_ldexp_f64 v[106:107], v[42:43], s61
	v_floor_f64_e32 v[106:107], v[106:107]
	v_fmac_f64_e32 v[42:43], 0xc1f00000, v[106:107]
	v_cvt_u32_f64_e32 v111, v[106:107]
	v_cvt_u32_f64_e32 v110, v[42:43]
	v_lshlrev_b64 v[42:43], 3, v[110:111]
	s_getpc_b64 vcc
	s_add_u32 vcc_lo, vcc_lo, _ZZN12_GLOBAL__N_120stirling_approx_tailIdEET_S1_E11kTailValues.const@rel32@lo+4
	s_addc_u32 vcc_hi, vcc_hi, _ZZN12_GLOBAL__N_120stirling_approx_tailIdEET_S1_E11kTailValues.const@rel32@hi+12
	v_mov_b32_e32 v61, vcc_hi
	v_add_co_u32_e32 v42, vcc, vcc_lo, v42
	v_addc_co_u32_e32 v43, vcc, v43, v61, vcc
	global_load_dwordx2 v[42:43], v[42:43], off
	s_branch .LBB102_79
.LBB102_99:                             ;   in Loop: Header=BB102_28 Depth=1
	s_or_b64 exec, exec, s[48:49]
	buffer_load_dword v80, off, s[96:99], 0 offset:32 ; 4-byte Folded Reload
	buffer_load_dword v81, off, s[96:99], 0 offset:36 ; 4-byte Folded Reload
	;; [unrolled: 1-line block ×12, first 2 shown]
                                        ; implicit-def: $vgpr102
                                        ; implicit-def: $vgpr22_vgpr23
.LBB102_100:                            ;   in Loop: Header=BB102_28 Depth=1
	s_andn2_saveexec_b64 s[0:1], s[22:23]
	s_cbranch_execz .LBB102_23
; %bb.101:                              ;   in Loop: Header=BB102_28 Depth=1
	v_add_f64 v[24:25], -v[22:23], 1.0
	v_add_f64 v[34:35], v[24:25], -1.0
	v_add_f64 v[36:37], v[34:35], -v[24:25]
	v_add_f64 v[36:37], v[36:37], 1.0
	v_add_f64 v[34:35], -v[22:23], -v[34:35]
	v_add_f64 v[34:35], v[34:35], v[36:37]
	v_frexp_mant_f64_e32 v[36:37], v[24:25]
	v_frexp_exp_i32_f64_e32 v40, v[24:25]
	v_cmp_gt_f64_e32 vcc, s[64:65], v[36:37]
	v_subbrev_co_u32_e32 v63, vcc, 0, v40, vcc
	v_sub_u32_e32 v36, 0, v63
	v_ldexp_f64 v[24:25], v[24:25], v36
	v_ldexp_f64 v[34:35], v[34:35], v36
	v_add_f64 v[36:37], v[24:25], -1.0
	v_add_f64 v[70:71], v[24:25], 1.0
	v_add_f64 v[40:41], v[36:37], 1.0
	v_add_f64 v[72:73], v[70:71], -1.0
	v_add_f64 v[40:41], v[24:25], -v[40:41]
	v_add_f64 v[24:25], v[24:25], -v[72:73]
	v_add_f64 v[24:25], v[34:35], v[24:25]
	v_add_f64 v[40:41], v[34:35], v[40:41]
	;; [unrolled: 1-line block ×3, first 2 shown]
	v_rcp_f64_e32 v[72:73], v[34:35]
	v_add_f64 v[42:43], v[36:37], v[40:41]
	v_add_f64 v[36:37], v[42:43], -v[36:37]
	v_add_f64 v[36:37], v[40:41], -v[36:37]
	;; [unrolled: 1-line block ×4, first 2 shown]
	v_fma_f64 v[40:41], -v[34:35], v[72:73], 1.0
	v_fmac_f64_e32 v[72:73], v[40:41], v[72:73]
	v_fma_f64 v[40:41], -v[34:35], v[72:73], 1.0
	v_fmac_f64_e32 v[72:73], v[40:41], v[72:73]
	v_mul_f64 v[40:41], v[42:43], v[72:73]
	v_mul_f64 v[70:71], v[34:35], v[40:41]
	v_fma_f64 v[74:75], v[40:41], v[34:35], -v[70:71]
	v_fmac_f64_e32 v[74:75], v[40:41], v[24:25]
	v_add_f64 v[76:77], v[70:71], v[74:75]
	v_add_f64 v[78:79], v[42:43], -v[76:77]
	v_add_f64 v[42:43], v[42:43], -v[78:79]
	;; [unrolled: 1-line block ×4, first 2 shown]
	v_add_f64 v[36:37], v[36:37], v[42:43]
	v_add_f64 v[42:43], v[70:71], -v[74:75]
	v_add_f64 v[36:37], v[42:43], v[36:37]
	v_add_f64 v[42:43], v[78:79], v[36:37]
	v_add_f64 v[70:71], v[78:79], -v[42:43]
	v_add_f64 v[36:37], v[36:37], v[70:71]
	v_mul_f64 v[70:71], v[72:73], v[42:43]
	v_mul_f64 v[74:75], v[34:35], v[70:71]
	v_fma_f64 v[34:35], v[70:71], v[34:35], -v[74:75]
	v_fmac_f64_e32 v[34:35], v[70:71], v[24:25]
	v_add_f64 v[24:25], v[74:75], v[34:35]
	v_add_f64 v[76:77], v[42:43], -v[24:25]
	v_add_f64 v[42:43], v[42:43], -v[76:77]
	v_add_f64 v[74:75], v[24:25], -v[74:75]
	v_add_f64 v[24:25], v[42:43], -v[24:25]
	v_add_f64 v[24:25], v[36:37], v[24:25]
	v_add_f64 v[34:35], v[74:75], -v[34:35]
	v_add_f64 v[24:25], v[34:35], v[24:25]
	v_add_f64 v[34:35], v[40:41], v[70:71]
	;; [unrolled: 1-line block ×3, first 2 shown]
	v_add_f64 v[36:37], v[34:35], -v[40:41]
	v_mul_f64 v[24:25], v[72:73], v[24:25]
	v_add_f64 v[36:37], v[70:71], -v[36:37]
	v_add_f64 v[24:25], v[36:37], v[24:25]
	v_add_f64 v[36:37], v[34:35], v[24:25]
	v_add_f64 v[34:35], v[36:37], -v[34:35]
	v_add_f64 v[24:25], v[24:25], -v[34:35]
	v_mul_f64 v[34:35], v[36:37], v[36:37]
	v_pk_mov_b32 v[40:41], v[26:27], v[26:27] op_sel:[0,1]
	v_fmac_f64_e32 v[40:41], s[68:69], v[34:35]
	v_pk_mov_b32 v[42:43], v[30:31], v[30:31] op_sel:[0,1]
	v_fmac_f64_e32 v[42:43], v[34:35], v[40:41]
	;; [unrolled: 2-line block ×6, first 2 shown]
	v_cvt_f64_i32_e32 v[40:41], v63
	v_mul_f64 v[70:71], v[40:41], s[80:81]
	v_fma_f64 v[72:73], v[40:41], s[80:81], -v[70:71]
	v_fmac_f64_e32 v[72:73], s[82:83], v[40:41]
	v_add_f64 v[40:41], v[70:71], v[72:73]
	v_add_f64 v[70:71], v[40:41], -v[70:71]
	v_mul_f64 v[34:35], v[36:37], v[34:35]
	v_add_f64 v[70:71], v[72:73], -v[70:71]
	v_ldexp_f64 v[72:73], v[36:37], 1
	v_mul_f64 v[34:35], v[34:35], v[42:43]
	v_add_f64 v[36:37], v[72:73], v[34:35]
	v_add_f64 v[42:43], v[36:37], -v[72:73]
	v_ldexp_f64 v[24:25], v[24:25], 1
	v_add_f64 v[34:35], v[34:35], -v[42:43]
	v_add_f64 v[24:25], v[24:25], v[34:35]
	v_add_f64 v[34:35], v[36:37], v[24:25]
	v_add_f64 v[36:37], v[34:35], -v[36:37]
	v_add_f64 v[24:25], v[24:25], -v[36:37]
	v_add_f64 v[36:37], v[40:41], v[34:35]
	v_add_f64 v[42:43], v[36:37], -v[40:41]
	v_add_f64 v[72:73], v[36:37], -v[42:43]
	;; [unrolled: 1-line block ×4, first 2 shown]
	v_add_f64 v[34:35], v[34:35], v[40:41]
	v_add_f64 v[40:41], v[70:71], v[24:25]
	v_add_f64 v[42:43], v[40:41], -v[70:71]
	v_add_f64 v[34:35], v[40:41], v[34:35]
	v_add_f64 v[72:73], v[40:41], -v[42:43]
	;; [unrolled: 2-line block ×3, first 2 shown]
	v_add_f64 v[24:25], v[24:25], -v[42:43]
	v_add_f64 v[36:37], v[40:41], -v[36:37]
	v_add_f64 v[24:25], v[24:25], v[70:71]
	v_add_f64 v[34:35], v[34:35], -v[36:37]
	v_add_f64 v[24:25], v[24:25], v[34:35]
	v_xor_b32_e32 v61, 0x80000000, v23
	v_add_f64 v[24:25], v[40:41], v[24:25]
	v_cmp_eq_f64_e32 vcc, s[54:55], v[22:23]
	v_cndmask_b32_e32 v24, v24, v22, vcc
	v_cndmask_b32_e32 v25, v25, v61, vcc
	v_cmp_nlt_f64_e32 vcc, 1.0, v[22:23]
	v_cndmask_b32_e32 v25, v44, v25, vcc
	v_cmp_nle_f64_e32 vcc, 1.0, v[22:23]
	v_cndmask_b32_e32 v34, 0, v24, vcc
	v_cmp_neq_f64_e32 vcc, 1.0, v[22:23]
	v_cndmask_b32_e32 v35, v49, v25, vcc
	v_pk_mov_b32 v[40:41], 0, 0
	v_pk_mov_b32 v[24:25], v[14:15], v[14:15] op_sel:[0,1]
	s_mov_b64 s[2:3], 0
	v_pk_mov_b32 v[22:23], v[12:13], v[12:13] op_sel:[0,1]
	v_pk_mov_b32 v[36:37], v[40:41], v[40:41] op_sel:[0,1]
	s_branch .LBB102_103
.LBB102_102:                            ;   in Loop: Header=BB102_103 Depth=2
	s_or_b64 exec, exec, s[4:5]
	v_cmp_eq_u32_e32 vcc, 1, v102
	v_cndmask_b32_e32 v22, v22, v23, vcc
	v_cmp_eq_u32_e32 vcc, 2, v102
	v_cndmask_b32_e32 v22, v22, v24, vcc
	;; [unrolled: 2-line block ×3, first 2 shown]
	v_and_b32_e32 v22, 0xffffff, v22
	v_cvt_f32_u32_e32 v22, v22
	v_mov_b32_e32 v102, v63
	v_mul_f32_e32 v78, 0x33800000, v22
	v_cvt_f64_f32_e32 v[22:23], v78
	v_frexp_mant_f64_e32 v[24:25], v[22:23]
	v_cmp_gt_f64_e32 vcc, s[64:65], v[24:25]
	v_cndmask_b32_e64 v61, v39, 2.0, vcc
	v_frexp_exp_i32_f64_e32 v40, v[22:23]
	v_mul_f64 v[24:25], v[24:25], v[60:61]
	v_subbrev_co_u32_e32 v61, vcc, 0, v40, vcc
	v_add_f64 v[40:41], v[24:25], 1.0
	v_rcp_f64_e32 v[42:43], v[40:41]
	v_add_f64 v[72:73], v[40:41], -1.0
	v_add_f64 v[70:71], v[24:25], -1.0
	v_add_f64 v[24:25], v[24:25], -v[72:73]
	v_fma_f64 v[72:73], -v[40:41], v[42:43], 1.0
	v_fmac_f64_e32 v[42:43], v[72:73], v[42:43]
	v_fma_f64 v[72:73], -v[40:41], v[42:43], 1.0
	v_fmac_f64_e32 v[42:43], v[72:73], v[42:43]
	v_mul_f64 v[72:73], v[70:71], v[42:43]
	v_mul_f64 v[74:75], v[40:41], v[72:73]
	v_fma_f64 v[40:41], v[72:73], v[40:41], -v[74:75]
	v_fmac_f64_e32 v[40:41], v[72:73], v[24:25]
	v_add_f64 v[24:25], v[74:75], v[40:41]
	v_add_f64 v[76:77], v[70:71], -v[24:25]
	v_add_f64 v[74:75], v[24:25], -v[74:75]
	v_add_f64 v[70:71], v[70:71], -v[76:77]
	v_add_f64 v[24:25], v[70:71], -v[24:25]
	v_add_f64 v[40:41], v[74:75], -v[40:41]
	v_add_f64 v[24:25], v[40:41], v[24:25]
	v_add_f64 v[24:25], v[76:77], v[24:25]
	v_mul_f64 v[24:25], v[42:43], v[24:25]
	v_add_f64 v[40:41], v[72:73], v[24:25]
	v_add_f64 v[42:43], v[40:41], -v[72:73]
	v_add_f64 v[24:25], v[24:25], -v[42:43]
	v_mul_f64 v[42:43], v[40:41], v[40:41]
	v_pk_mov_b32 v[70:71], v[26:27], v[26:27] op_sel:[0,1]
	v_fmac_f64_e32 v[70:71], s[68:69], v[42:43]
	v_pk_mov_b32 v[72:73], v[30:31], v[30:31] op_sel:[0,1]
	v_fmac_f64_e32 v[72:73], v[42:43], v[70:71]
	;; [unrolled: 2-line block ×6, first 2 shown]
	v_ldexp_f64 v[70:71], v[40:41], 1
	v_mul_f64 v[40:41], v[40:41], v[42:43]
	v_mul_f64 v[40:41], v[40:41], v[72:73]
	v_add_f64 v[42:43], v[70:71], v[40:41]
	v_add_f64 v[70:71], v[42:43], -v[70:71]
	v_ldexp_f64 v[24:25], v[24:25], 1
	v_add_f64 v[40:41], v[40:41], -v[70:71]
	v_add_f64 v[24:25], v[24:25], v[40:41]
	v_add_f64 v[40:41], v[42:43], v[24:25]
	v_add_f64 v[42:43], v[40:41], -v[42:43]
	v_add_f64 v[24:25], v[24:25], -v[42:43]
	v_cvt_f64_i32_e32 v[42:43], v61
	v_mul_f64 v[70:71], v[42:43], s[80:81]
	v_fma_f64 v[72:73], v[42:43], s[80:81], -v[70:71]
	v_fmac_f64_e32 v[72:73], s[82:83], v[42:43]
	v_add_f64 v[42:43], v[70:71], v[72:73]
	v_add_f64 v[70:71], v[42:43], -v[70:71]
	v_add_f64 v[70:71], v[72:73], -v[70:71]
	v_add_f64 v[72:73], v[42:43], v[40:41]
	v_add_f64 v[74:75], v[72:73], -v[42:43]
	v_add_f64 v[76:77], v[72:73], -v[74:75]
	;; [unrolled: 1-line block ×4, first 2 shown]
	v_add_f64 v[40:41], v[40:41], v[42:43]
	v_add_f64 v[42:43], v[70:71], v[24:25]
	v_add_f64 v[74:75], v[42:43], -v[70:71]
	v_add_f64 v[76:77], v[42:43], -v[74:75]
	v_add_f64 v[40:41], v[42:43], v[40:41]
	v_add_f64 v[70:71], v[70:71], -v[76:77]
	v_add_f64 v[24:25], v[24:25], -v[74:75]
	v_add_f64 v[42:43], v[72:73], v[40:41]
	v_add_f64 v[24:25], v[24:25], v[70:71]
	v_add_f64 v[70:71], v[42:43], -v[72:73]
	v_add_f64 v[40:41], v[40:41], -v[70:71]
	v_add_f64 v[24:25], v[24:25], v[40:41]
	v_add_f64 v[24:25], v[42:43], v[24:25]
	v_cmp_eq_f32_e32 vcc, s62, v78
	v_cndmask_b32_e32 v22, v24, v22, vcc
	v_cndmask_b32_e32 v23, v25, v23, vcc
	v_cmp_neq_f32_e32 vcc, 0, v78
	v_cndmask_b32_e32 v23, v49, v23, vcc
	v_cndmask_b32_e32 v22, 0, v22, vcc
	v_div_scale_f64 v[24:25], s[4:5], v[34:35], v[34:35], v[22:23]
	v_rcp_f64_e32 v[40:41], v[24:25]
	v_fma_f64 v[42:43], -v[24:25], v[40:41], 1.0
	v_fmac_f64_e32 v[40:41], v[40:41], v[42:43]
	v_fma_f64 v[42:43], -v[24:25], v[40:41], 1.0
	v_fmac_f64_e32 v[40:41], v[40:41], v[42:43]
	v_div_scale_f64 v[42:43], vcc, v[22:23], v[34:35], v[22:23]
	v_mul_f64 v[70:71], v[42:43], v[40:41]
	v_fma_f64 v[24:25], -v[24:25], v[70:71], v[42:43]
	s_nop 1
	v_div_fmas_f64 v[24:25], v[24:25], v[40:41], v[70:71]
	v_div_fixup_f64 v[22:23], v[24:25], v[34:35], v[22:23]
	v_ceil_f64_e32 v[22:23], v[22:23]
	v_add_f64 v[36:37], v[36:37], v[22:23]
	v_cmp_gt_f64_e32 vcc, v[36:37], v[66:67]
	v_pk_mov_b32 v[24:25], v[14:15], v[14:15] op_sel:[0,1]
	v_add_f64 v[40:41], v[92:93], 1.0
	s_or_b64 s[2:3], vcc, s[2:3]
	v_pk_mov_b32 v[22:23], v[12:13], v[12:13] op_sel:[0,1]
	s_andn2_b64 exec, exec, s[2:3]
	s_cbranch_execz .LBB102_22
.LBB102_103:                            ;   Parent Loop BB102_28 Depth=1
                                        ; =>  This Inner Loop Header: Depth=2
	v_add_u32_e32 v63, 1, v102
	v_pk_mov_b32 v[92:93], v[40:41], v[40:41] op_sel:[0,1]
	v_cmp_eq_u32_e32 vcc, 4, v63
	s_and_saveexec_b64 s[4:5], vcc
	s_cbranch_execz .LBB102_102
; %bb.104:                              ;   in Loop: Header=BB102_103 Depth=2
	v_add_co_u32_e32 v4, vcc, 1, v4
	v_cndmask_b32_e64 v12, 0, 1, vcc
	v_addc_co_u32_e32 v1, vcc, 0, v1, vcc
	v_cmp_eq_u32_e32 vcc, 0, v1
	v_cndmask_b32_e32 v12, 0, v12, vcc
	v_add_u32_e32 v2, v12, v2
	v_cmp_eq_u32_e32 vcc, 0, v2
	v_cndmask_b32_e32 v12, 0, v12, vcc
	v_add_u32_e32 v3, v12, v3
	v_mad_u64_u32 v[12:13], s[22:23], v4, s56, 0
	v_mad_u64_u32 v[14:15], s[22:23], v2, s57, 0
	v_xor_b32_e32 v13, v13, v69
	v_xor_b32_e32 v15, v15, v68
	v_xor_b32_e32 v13, v3, v13
	v_xor_b32_e32 v15, v1, v15
	v_mad_u64_u32 v[42:43], s[22:23], v13, s57, 0
	v_mad_u64_u32 v[40:41], s[22:23], v15, s56, 0
	s_waitcnt vmcnt(11)
	v_xor_b32_e32 v13, v80, v43
	v_xor_b32_e32 v13, v13, v14
	s_waitcnt vmcnt(10)
	v_xor_b32_e32 v14, v81, v41
	v_xor_b32_e32 v14, v14, v12
	v_mad_u64_u32 v[12:13], s[22:23], v13, s56, 0
	v_mad_u64_u32 v[14:15], s[22:23], v14, s57, 0
	s_waitcnt vmcnt(8)
	v_xor_b32_e32 v13, v83, v13
	v_xor_b32_e32 v15, v82, v15
	v_xor_b32_e32 v13, v13, v40
	v_xor_b32_e32 v15, v15, v42
	v_mad_u64_u32 v[42:43], s[22:23], v13, s57, 0
	v_mad_u64_u32 v[40:41], s[22:23], v15, s56, 0
	s_waitcnt vmcnt(7)
	v_xor_b32_e32 v13, v84, v43
	v_xor_b32_e32 v13, v13, v14
	s_waitcnt vmcnt(6)
	v_xor_b32_e32 v14, v85, v41
	v_xor_b32_e32 v14, v14, v12
	v_mad_u64_u32 v[12:13], s[22:23], v13, s56, 0
	v_mad_u64_u32 v[14:15], s[22:23], v14, s57, 0
	s_waitcnt vmcnt(4)
	;; [unrolled: 15-line block ×3, first 2 shown]
	v_xor_b32_e32 v13, v95, v13
	v_xor_b32_e32 v15, v94, v15
	v_xor_b32_e32 v13, v13, v40
	v_xor_b32_e32 v15, v15, v42
	v_mad_u64_u32 v[42:43], s[22:23], v13, s57, 0
	v_mad_u64_u32 v[40:41], s[22:23], v15, s56, 0
	v_xor_b32_e32 v13, v52, v43
	v_xor_b32_e32 v13, v13, v14
	v_xor_b32_e32 v14, v59, v41
	v_xor_b32_e32 v12, v14, v12
	v_mad_u64_u32 v[14:15], s[22:23], v13, s56, 0
	v_mad_u64_u32 v[12:13], s[22:23], v12, s57, 0
	;; [unrolled: 6-line block ×3, first 2 shown]
	v_xor_b32_e32 v12, v43, v12
	v_xor_b32_e32 v13, v41, v14
	v_mov_b32_e32 v63, 0
	v_xor_b32_e32 v12, v117, v12
	v_xor_b32_e32 v14, v118, v13
	v_mov_b32_e32 v13, v42
	v_mov_b32_e32 v15, v40
	s_branch .LBB102_102
.LBB102_105:
	s_endpgm
	.section	.rodata,"a",@progbits
	.p2align	6, 0x0
	.amdhsa_kernel _ZN2at6native12_GLOBAL__N_138distribution_binary_elementwise_kernelIZN12_GLOBAL__N_120binomial_cuda_kernelIdEEvRNS_18TensorIteratorBaseENS_15PhiloxCudaStateEEUlR25hiprandStatePhilox4_32_10ddE_16OffsetCalculatorILi2EjLb0EESB_ILi1EjLb0EEEEviT_S7_PN15function_traitsISE_E11result_typeEPKNSG_3argILi1EE4typeEPKNSJ_ILi2EE4typeET0_T1_
		.amdhsa_group_segment_fixed_size 0
		.amdhsa_private_segment_fixed_size 100
		.amdhsa_kernarg_size 904
		.amdhsa_user_sgpr_count 6
		.amdhsa_user_sgpr_private_segment_buffer 1
		.amdhsa_user_sgpr_dispatch_ptr 0
		.amdhsa_user_sgpr_queue_ptr 0
		.amdhsa_user_sgpr_kernarg_segment_ptr 1
		.amdhsa_user_sgpr_dispatch_id 0
		.amdhsa_user_sgpr_flat_scratch_init 0
		.amdhsa_user_sgpr_kernarg_preload_length 0
		.amdhsa_user_sgpr_kernarg_preload_offset 0
		.amdhsa_user_sgpr_private_segment_size 0
		.amdhsa_uses_dynamic_stack 0
		.amdhsa_system_sgpr_private_segment_wavefront_offset 1
		.amdhsa_system_sgpr_workgroup_id_x 1
		.amdhsa_system_sgpr_workgroup_id_y 0
		.amdhsa_system_sgpr_workgroup_id_z 0
		.amdhsa_system_sgpr_workgroup_info 0
		.amdhsa_system_vgpr_workitem_id 0
		.amdhsa_next_free_vgpr 128
		.amdhsa_next_free_sgpr 100
		.amdhsa_accum_offset 128
		.amdhsa_reserve_vcc 1
		.amdhsa_reserve_flat_scratch 0
		.amdhsa_float_round_mode_32 0
		.amdhsa_float_round_mode_16_64 0
		.amdhsa_float_denorm_mode_32 3
		.amdhsa_float_denorm_mode_16_64 3
		.amdhsa_dx10_clamp 1
		.amdhsa_ieee_mode 1
		.amdhsa_fp16_overflow 0
		.amdhsa_tg_split 0
		.amdhsa_exception_fp_ieee_invalid_op 0
		.amdhsa_exception_fp_denorm_src 0
		.amdhsa_exception_fp_ieee_div_zero 0
		.amdhsa_exception_fp_ieee_overflow 0
		.amdhsa_exception_fp_ieee_underflow 0
		.amdhsa_exception_fp_ieee_inexact 0
		.amdhsa_exception_int_div_zero 0
	.end_amdhsa_kernel
	.section	.text._ZN2at6native12_GLOBAL__N_138distribution_binary_elementwise_kernelIZN12_GLOBAL__N_120binomial_cuda_kernelIdEEvRNS_18TensorIteratorBaseENS_15PhiloxCudaStateEEUlR25hiprandStatePhilox4_32_10ddE_16OffsetCalculatorILi2EjLb0EESB_ILi1EjLb0EEEEviT_S7_PN15function_traitsISE_E11result_typeEPKNSG_3argILi1EE4typeEPKNSJ_ILi2EE4typeET0_T1_,"axG",@progbits,_ZN2at6native12_GLOBAL__N_138distribution_binary_elementwise_kernelIZN12_GLOBAL__N_120binomial_cuda_kernelIdEEvRNS_18TensorIteratorBaseENS_15PhiloxCudaStateEEUlR25hiprandStatePhilox4_32_10ddE_16OffsetCalculatorILi2EjLb0EESB_ILi1EjLb0EEEEviT_S7_PN15function_traitsISE_E11result_typeEPKNSG_3argILi1EE4typeEPKNSJ_ILi2EE4typeET0_T1_,comdat
.Lfunc_end102:
	.size	_ZN2at6native12_GLOBAL__N_138distribution_binary_elementwise_kernelIZN12_GLOBAL__N_120binomial_cuda_kernelIdEEvRNS_18TensorIteratorBaseENS_15PhiloxCudaStateEEUlR25hiprandStatePhilox4_32_10ddE_16OffsetCalculatorILi2EjLb0EESB_ILi1EjLb0EEEEviT_S7_PN15function_traitsISE_E11result_typeEPKNSG_3argILi1EE4typeEPKNSJ_ILi2EE4typeET0_T1_, .Lfunc_end102-_ZN2at6native12_GLOBAL__N_138distribution_binary_elementwise_kernelIZN12_GLOBAL__N_120binomial_cuda_kernelIdEEvRNS_18TensorIteratorBaseENS_15PhiloxCudaStateEEUlR25hiprandStatePhilox4_32_10ddE_16OffsetCalculatorILi2EjLb0EESB_ILi1EjLb0EEEEviT_S7_PN15function_traitsISE_E11result_typeEPKNSG_3argILi1EE4typeEPKNSJ_ILi2EE4typeET0_T1_
                                        ; -- End function
	.section	.AMDGPU.csdata,"",@progbits
; Kernel info:
; codeLenInByte = 20948
; NumSgprs: 104
; NumVgprs: 128
; NumAgprs: 0
; TotalNumVgprs: 128
; ScratchSize: 100
; MemoryBound: 0
; FloatMode: 240
; IeeeMode: 1
; LDSByteSize: 0 bytes/workgroup (compile time only)
; SGPRBlocks: 12
; VGPRBlocks: 15
; NumSGPRsForWavesPerEU: 104
; NumVGPRsForWavesPerEU: 128
; AccumOffset: 128
; Occupancy: 4
; WaveLimiterHint : 1
; COMPUTE_PGM_RSRC2:SCRATCH_EN: 1
; COMPUTE_PGM_RSRC2:USER_SGPR: 6
; COMPUTE_PGM_RSRC2:TRAP_HANDLER: 0
; COMPUTE_PGM_RSRC2:TGID_X_EN: 1
; COMPUTE_PGM_RSRC2:TGID_Y_EN: 0
; COMPUTE_PGM_RSRC2:TGID_Z_EN: 0
; COMPUTE_PGM_RSRC2:TIDIG_COMP_CNT: 0
; COMPUTE_PGM_RSRC3_GFX90A:ACCUM_OFFSET: 31
; COMPUTE_PGM_RSRC3_GFX90A:TG_SPLIT: 0
	.section	.text._ZN2at6native12_GLOBAL__N_138distribution_binary_elementwise_kernelIZN12_GLOBAL__N_120binomial_cuda_kernelIfEEvRNS_18TensorIteratorBaseENS_15PhiloxCudaStateEEUlR25hiprandStatePhilox4_32_10ffE_23TrivialOffsetCalculatorILi2EjESB_ILi1EjEEEviT_S7_PN15function_traitsISE_E11result_typeEPKNSG_3argILi1EE4typeEPKNSJ_ILi2EE4typeET0_T1_,"axG",@progbits,_ZN2at6native12_GLOBAL__N_138distribution_binary_elementwise_kernelIZN12_GLOBAL__N_120binomial_cuda_kernelIfEEvRNS_18TensorIteratorBaseENS_15PhiloxCudaStateEEUlR25hiprandStatePhilox4_32_10ffE_23TrivialOffsetCalculatorILi2EjESB_ILi1EjEEEviT_S7_PN15function_traitsISE_E11result_typeEPKNSG_3argILi1EE4typeEPKNSJ_ILi2EE4typeET0_T1_,comdat
	.globl	_ZN2at6native12_GLOBAL__N_138distribution_binary_elementwise_kernelIZN12_GLOBAL__N_120binomial_cuda_kernelIfEEvRNS_18TensorIteratorBaseENS_15PhiloxCudaStateEEUlR25hiprandStatePhilox4_32_10ffE_23TrivialOffsetCalculatorILi2EjESB_ILi1EjEEEviT_S7_PN15function_traitsISE_E11result_typeEPKNSG_3argILi1EE4typeEPKNSJ_ILi2EE4typeET0_T1_ ; -- Begin function _ZN2at6native12_GLOBAL__N_138distribution_binary_elementwise_kernelIZN12_GLOBAL__N_120binomial_cuda_kernelIfEEvRNS_18TensorIteratorBaseENS_15PhiloxCudaStateEEUlR25hiprandStatePhilox4_32_10ffE_23TrivialOffsetCalculatorILi2EjESB_ILi1EjEEEviT_S7_PN15function_traitsISE_E11result_typeEPKNSG_3argILi1EE4typeEPKNSJ_ILi2EE4typeET0_T1_
	.p2align	8
	.type	_ZN2at6native12_GLOBAL__N_138distribution_binary_elementwise_kernelIZN12_GLOBAL__N_120binomial_cuda_kernelIfEEvRNS_18TensorIteratorBaseENS_15PhiloxCudaStateEEUlR25hiprandStatePhilox4_32_10ffE_23TrivialOffsetCalculatorILi2EjESB_ILi1EjEEEviT_S7_PN15function_traitsISE_E11result_typeEPKNSG_3argILi1EE4typeEPKNSJ_ILi2EE4typeET0_T1_,@function
_ZN2at6native12_GLOBAL__N_138distribution_binary_elementwise_kernelIZN12_GLOBAL__N_120binomial_cuda_kernelIfEEvRNS_18TensorIteratorBaseENS_15PhiloxCudaStateEEUlR25hiprandStatePhilox4_32_10ffE_23TrivialOffsetCalculatorILi2EjESB_ILi1EjEEEviT_S7_PN15function_traitsISE_E11result_typeEPKNSG_3argILi1EE4typeEPKNSJ_ILi2EE4typeET0_T1_: ; @_ZN2at6native12_GLOBAL__N_138distribution_binary_elementwise_kernelIZN12_GLOBAL__N_120binomial_cuda_kernelIfEEvRNS_18TensorIteratorBaseENS_15PhiloxCudaStateEEUlR25hiprandStatePhilox4_32_10ffE_23TrivialOffsetCalculatorILi2EjESB_ILi1EjEEEviT_S7_PN15function_traitsISE_E11result_typeEPKNSG_3argILi1EE4typeEPKNSJ_ILi2EE4typeET0_T1_
; %bb.0:
	s_load_dword s7, s[4:5], 0x20
	s_load_dwordx4 s[0:3], s[4:5], 0x8
	s_waitcnt lgkmcnt(0)
	s_bitcmp0_b32 s7, 0
	v_pk_mov_b32 v[26:27], s[2:3], s[2:3] op_sel:[0,1]
	v_pk_mov_b32 v[50:51], s[0:1], s[0:1] op_sel:[0,1]
	s_cbranch_scc1 .LBB103_2
; %bb.1:
	v_pk_mov_b32 v[2:3], s[2:3], s[2:3] op_sel:[0,1]
	flat_load_dwordx2 v[2:3], v[2:3]
	v_pk_mov_b32 v[4:5], s[0:1], s[0:1] op_sel:[0,1]
	flat_load_dwordx2 v[50:51], v[4:5]
	s_load_dwordx2 s[0:1], s[4:5], 0x18
	s_waitcnt lgkmcnt(0)
	v_mov_b32_e32 v1, s1
	s_waitcnt vmcnt(0)
	v_add_co_u32_e32 v26, vcc, s0, v2
	v_addc_co_u32_e32 v27, vcc, v3, v1, vcc
.LBB103_2:
	s_load_dword s0, s[4:5], 0x0
	s_load_dwordx4 s[12:15], s[4:5], 0x28
	s_load_dwordx2 s[16:17], s[4:5], 0x38
	s_load_dword s7, s[4:5], 0x54
	s_lshl_b32 s33, s6, 10
	s_waitcnt lgkmcnt(0)
	s_sub_i32 s0, s0, s33
	s_min_i32 s50, s0, 0x400
	v_cmp_gt_i32_e32 vcc, s0, v0
                                        ; implicit-def: $vgpr5
                                        ; implicit-def: $vgpr7
	s_and_saveexec_b64 s[18:19], vcc
                                        ; implicit-def: $vgpr12_vgpr13_vgpr14_vgpr15
                                        ; implicit-def: $vgpr20_vgpr21_vgpr22_vgpr23
                                        ; implicit-def: $vgpr8_vgpr9_vgpr10_vgpr11
                                        ; implicit-def: $vgpr14_vgpr15_vgpr16_vgpr17
                                        ; implicit-def: $vgpr22_vgpr23_vgpr24_vgpr25
                                        ; implicit-def: $vgpr16_vgpr17_vgpr18_vgpr19
	s_cbranch_execz .LBB103_6
; %bb.3:
	s_mov_b64 s[20:21], 0
	v_mov_b32_e32 v11, 0
	v_mov_b32_e32 v1, s15
	;; [unrolled: 1-line block ×3, first 2 shown]
	s_mov_b64 s[22:23], 0
	v_mov_b32_e32 v13, v0
                                        ; implicit-def: $vgpr14_vgpr15_vgpr16_vgpr17
                                        ; implicit-def: $vgpr4_vgpr5_vgpr6_vgpr7
                                        ; implicit-def: $vgpr20_vgpr21_vgpr22_vgpr23
                                        ; implicit-def: $vgpr8
                                        ; implicit-def: $vgpr12
                                        ; implicit-def: $vgpr16_vgpr17_vgpr18_vgpr19
                                        ; implicit-def: $vgpr22_vgpr23_vgpr24_vgpr25
                                        ; implicit-def: $vgpr2_vgpr3_vgpr4_vgpr5
.LBB103_4:                              ; =>This Inner Loop Header: Depth=1
	v_add_u32_e32 v10, s33, v13
	v_lshlrev_b64 v[2:3], 2, v[10:11]
	v_add_co_u32_e64 v16, s[0:1], s14, v2
	v_addc_co_u32_e64 v17, s[0:1], v1, v3, s[0:1]
	v_add_co_u32_e64 v2, s[0:1], s16, v2
	v_addc_co_u32_e64 v3, s[0:1], v9, v3, s[0:1]
	global_load_dword v4, v[16:17], off
	global_load_dword v6, v[2:3], off
	s_cmp_eq_u32 s22, 0
	s_cselect_b64 s[2:3], -1, 0
	s_cmp_eq_u32 s22, 1
	s_cselect_b64 s[4:5], -1, 0
	;; [unrolled: 2-line block ×3, first 2 shown]
	s_cmp_eq_u32 s22, 3
	v_add_u32_e32 v13, 0x100, v13
	s_cselect_b64 s[10:11], -1, 0
	s_cmp_gt_u32 s22, 2
	v_cmp_le_i32_e64 s[0:1], s50, v13
	s_cselect_b64 s[24:25], -1, 0
	s_or_b64 s[0:1], s[24:25], s[0:1]
	s_add_u32 s22, s22, 1
	s_addc_u32 s23, s23, 0
	s_and_b64 s[0:1], exec, s[0:1]
	s_or_b64 s[20:21], s[0:1], s[20:21]
	s_waitcnt vmcnt(1)
	v_cndmask_b32_e64 v8, v8, v4, s[2:3]
	v_cndmask_b32_e64 v21, v21, v4, s[4:5]
	;; [unrolled: 1-line block ×4, first 2 shown]
	s_waitcnt vmcnt(0)
	v_cndmask_b32_e64 v12, v12, v6, s[2:3]
	v_cndmask_b32_e64 v15, v15, v6, s[4:5]
	;; [unrolled: 1-line block ×4, first 2 shown]
	s_andn2_b64 exec, exec, s[20:21]
	s_cbranch_execnz .LBB103_4
; %bb.5:
	s_or_b64 exec, exec, s[20:21]
.LBB103_6:
	s_or_b64 exec, exec, s[18:19]
	s_and_saveexec_b64 s[0:1], vcc
	s_cbranch_execz .LBB103_77
; %bb.7:
	s_and_b32 s0, 0xffff, s7
	s_mul_i32 s6, s6, s0
	v_add_u32_e32 v28, s6, v0
	v_and_b32_e32 v16, 3, v26
	v_alignbit_b32 v26, v27, v26, 2
	s_mov_b32 s52, 0xd2511f53
	s_mov_b32 s53, 0xcd9e8d57
	v_mad_u64_u32 v[10:11], s[0:1], v26, s52, 0
	v_mad_u64_u32 v[22:23], s[0:1], v28, s53, 0
	v_lshrrev_b32_e32 v27, 2, v27
	s_mov_b32 s0, 0x9e3779b9
	v_xor_b32_e32 v6, v50, v23
	v_mov_b32_e32 v2, v51
	v_xor_b32_e32 v3, v11, v51
	v_add_co_u32_e32 v1, vcc, s0, v50
	s_mov_b32 s0, 0xbb67ae85
	v_xor_b32_e32 v6, v6, v27
	v_add_co_u32_e32 v4, vcc, s0, v2
	v_mad_u64_u32 v[30:31], s[0:1], v6, s52, 0
	v_mad_u64_u32 v[32:33], s[0:1], v3, s53, 0
	v_xor_b32_e32 v3, v33, v1
	v_xor_b32_e32 v6, v4, v31
	s_mov_b32 s0, 0x3c6ef372
	v_xor_b32_e32 v3, v3, v22
	v_xor_b32_e32 v13, v6, v10
	v_add_co_u32_e32 v6, vcc, s0, v50
	s_mov_b32 s0, 0x76cf5d0a
	v_add_co_u32_e32 v9, vcc, s0, v2
	v_mad_u64_u32 v[10:11], s[0:1], v3, s52, 0
	v_mad_u64_u32 v[22:23], s[0:1], v13, s53, 0
	v_xor_b32_e32 v3, v6, v23
	v_xor_b32_e32 v11, v9, v11
	s_mov_b32 s0, 0xdaa66d2b
	v_xor_b32_e32 v3, v3, v32
	v_xor_b32_e32 v11, v11, v30
	v_add_co_u32_e32 v13, vcc, s0, v50
	s_mov_b32 s0, 0x32370b8f
	;; [unrolled: 10-line block ×7, first 2 shown]
	v_add_co_u32_e32 v62, vcc, s0, v2
	v_mad_u64_u32 v[2:3], s[0:1], v3, s52, 0
	v_mad_u64_u32 v[10:11], s[0:1], v10, s53, 0
	v_xor_b32_e32 v11, v61, v11
	v_xor_b32_e32 v3, v62, v3
	;; [unrolled: 1-line block ×4, first 2 shown]
	v_mov_b32_e32 v29, 0
	v_mad_u64_u32 v[22:23], s[0:1], v11, s52, 0
	v_mad_u64_u32 v[30:31], s[0:1], v3, s53, 0
	v_add_u32_e32 v63, 0x8ff34781, v50
	v_add_u32_e32 v64, 0x96a522ad, v51
	v_xor_b32_e32 v3, v31, v10
	v_xor_b32_e32 v2, v23, v2
	v_mov_b32_e32 v35, v30
	s_mov_b32 s8, 0x66666666
	s_mov_b32 s10, 0xa3d70a3d
	;; [unrolled: 1-line block ×11, first 2 shown]
	v_pk_mov_b32 v[32:33], v[28:29], v[28:29] op_sel:[0,1]
	s_mov_b32 s51, 0
	v_xor_b32_e32 v34, v63, v3
	v_xor_b32_e32 v36, v64, v2
	v_mov_b32_e32 v37, v22
	v_add_u32_e32 v65, 0x9e3779b9, v50
	v_add_u32_e32 v66, 0xbb67ae85, v51
	;; [unrolled: 1-line block ×16, first 2 shown]
	s_mov_b64 s[6:7], 0
	s_mov_b32 s54, 0x41200000
	s_mov_b32 s55, 0xf800000
	v_mov_b32_e32 v81, 0x260
	s_mov_b32 s9, 0x40146666
	s_mov_b32 s11, 0x40043d70
	;; [unrolled: 1-line block ×17, first 2 shown]
	v_mov_b32_e32 v82, 0x3f2aaada
	s_mov_b32 s61, 0x3f317218
	s_mov_b32 s62, 0xff800000
	v_mov_b32_e32 v2, 0x66666666
	v_mov_b32_e32 v3, 0x3ff26666
	;; [unrolled: 1-line block ×8, first 2 shown]
	v_mov_b32_e32 v17, 1.0
	v_pk_mov_b32 v[30:31], v[26:27], v[26:27] op_sel:[0,1]
	s_branch .LBB103_14
.LBB103_8:                              ;   in Loop: Header=BB103_14 Depth=1
	s_or_b64 exec, exec, s[2:3]
.LBB103_9:                              ;   in Loop: Header=BB103_14 Depth=1
	s_or_b64 exec, exec, s[0:1]
	v_sub_f32_e32 v27, v28, v55
	v_mov_b32_e32 v16, v95
.LBB103_10:                             ;   in Loop: Header=BB103_14 Depth=1
	s_or_b64 exec, exec, s[42:43]
	v_mov_b32_e32 v95, v16
.LBB103_11:                             ;   in Loop: Header=BB103_14 Depth=1
	s_or_b64 exec, exec, s[40:41]
	v_mov_b32_e32 v28, v27
	v_mov_b32_e32 v16, v95
.LBB103_12:                             ;   in Loop: Header=BB103_14 Depth=1
	s_or_b64 exec, exec, s[38:39]
	v_mov_b32_e32 v23, v28
.LBB103_13:                             ;   in Loop: Header=BB103_14 Depth=1
	s_or_b64 exec, exec, s[36:37]
	v_add_u32_e32 v28, s33, v0
	v_lshlrev_b64 v[26:27], 2, v[28:29]
	v_mov_b32_e32 v22, s13
	v_add_co_u32_e32 v26, vcc, s12, v26
	s_add_i32 s2, s51, 1
	v_addc_co_u32_e32 v27, vcc, v22, v27, vcc
	v_add_u32_e32 v0, 0x100, v0
	s_cmp_gt_u32 s51, 2
	s_cselect_b64 s[0:1], -1, 0
	v_cmp_le_i32_e32 vcc, s50, v0
	s_or_b64 s[0:1], s[0:1], vcc
	s_and_b64 s[0:1], exec, s[0:1]
	s_or_b64 s[6:7], s[0:1], s[6:7]
	s_mov_b32 s51, s2
	global_store_dword v[26:27], v23, off
	s_andn2_b64 exec, exec, s[6:7]
	s_cbranch_execz .LBB103_77
.LBB103_14:                             ; =>This Loop Header: Depth=1
                                        ;     Child Loop BB103_21 Depth 2
                                        ;     Child Loop BB103_43 Depth 2
	;; [unrolled: 1-line block ×4, first 2 shown]
	s_cmp_eq_u32 s51, 1
	s_cselect_b64 vcc, -1, 0
	s_cmp_eq_u32 s51, 2
	v_cndmask_b32_e32 v22, v8, v21, vcc
	s_cselect_b64 s[0:1], -1, 0
	s_cmp_eq_u32 s51, 3
	v_cndmask_b32_e64 v22, v22, v24, s[0:1]
	s_cselect_b64 s[2:3], -1, 0
	v_cndmask_b32_e64 v28, v22, v5, s[2:3]
	v_cndmask_b32_e32 v22, v12, v15, vcc
	v_cndmask_b32_e64 v22, v22, v18, s[0:1]
	v_cndmask_b32_e64 v22, v22, v7, s[2:3]
	v_max_f32_e32 v23, v22, v22
	v_max_f32_e32 v26, v28, v28
	v_min_f32_e32 v23, v26, v23
	v_cmp_nge_f32_e32 vcc, 0, v23
	v_mov_b32_e32 v23, 0
	s_and_saveexec_b64 s[36:37], vcc
	s_cbranch_execz .LBB103_13
; %bb.15:                               ;   in Loop: Header=BB103_14 Depth=1
	v_cmp_nle_f32_e32 vcc, 1.0, v22
	s_and_saveexec_b64 s[38:39], vcc
	s_cbranch_execz .LBB103_12
; %bb.16:                               ;   in Loop: Header=BB103_14 Depth=1
	v_cmp_ge_f32_e32 vcc, 0.5, v22
                                        ; implicit-def: $vgpr27
                                        ; implicit-def: $vgpr95
	s_and_saveexec_b64 s[0:1], vcc
	s_xor_b64 s[40:41], exec, s[0:1]
	s_cbranch_execz .LBB103_47
; %bb.17:                               ;   in Loop: Header=BB103_14 Depth=1
	v_mul_f32_e32 v23, v28, v22
	v_cmp_le_f32_e32 vcc, s54, v23
                                        ; implicit-def: $vgpr27
                                        ; implicit-def: $vgpr95
	s_and_saveexec_b64 s[0:1], vcc
	s_xor_b64 s[42:43], exec, s[0:1]
	s_cbranch_execz .LBB103_40
; %bb.18:                               ;   in Loop: Header=BB103_14 Depth=1
	v_sub_f32_e32 v52, 1.0, v22
	v_mul_f32_e32 v26, v23, v52
	v_mul_f32_e32 v27, 0x4f800000, v26
	v_cmp_gt_f32_e32 vcc, s55, v26
	v_cndmask_b32_e32 v26, v26, v27, vcc
	v_sqrt_f32_e32 v27, v26
	v_pk_mov_b32 v[42:43], v[10:11], v[10:11] op_sel:[0,1]
	v_cvt_f64_f32_e32 v[44:45], v22
	v_add_f32_e32 v88, 0.5, v23
	v_add_u32_e32 v38, -1, v27
	v_add_u32_e32 v39, 1, v27
	v_fma_f32 v40, -v38, v27, v26
	v_fma_f32 v41, -v39, v27, v26
	v_cmp_ge_f32_e64 s[0:1], 0, v40
	v_cndmask_b32_e64 v27, v27, v38, s[0:1]
	v_cmp_lt_f32_e64 s[0:1], 0, v41
	v_cndmask_b32_e64 v27, v27, v39, s[0:1]
	v_mul_f32_e32 v38, 0x37800000, v27
	v_cndmask_b32_e32 v27, v27, v38, vcc
	v_cmp_class_f32_e32 vcc, v26, v81
	v_cndmask_b32_e32 v26, v27, v26, vcc
	v_cvt_f64_f32_e32 v[38:39], v26
	v_pk_mov_b32 v[26:27], v[2:3], v[2:3] op_sel:[0,1]
	v_fmac_f64_e32 v[26:27], s[10:11], v[38:39]
	v_cvt_f32_f64_e32 v26, v[26:27]
	v_cvt_f64_f32_e32 v[40:41], v26
	v_div_scale_f64 v[46:47], s[0:1], v[40:41], v[40:41], s[18:19]
	v_rcp_f64_e32 v[48:49], v[46:47]
	v_fmac_f64_e32 v[42:43], s[14:15], v[40:41]
	v_fmac_f64_e32 v[42:43], s[16:17], v[44:45]
	v_cvt_f32_f64_e32 v87, v[42:43]
	v_fma_f64 v[42:43], -v[46:47], v[48:49], 1.0
	v_fmac_f64_e32 v[48:49], v[48:49], v[42:43]
	v_fma_f64 v[42:43], -v[46:47], v[48:49], 1.0
	v_fmac_f64_e32 v[48:49], v[48:49], v[42:43]
	v_div_scale_f64 v[42:43], vcc, s[18:19], v[40:41], s[18:19]
	v_mul_f64 v[44:45], v[42:43], v[48:49]
	v_div_scale_f32 v23, s[0:1], v52, v52, v22
	v_fma_f64 v[42:43], -v[46:47], v[44:45], v[42:43]
	v_rcp_f32_e32 v27, v23
	v_div_fmas_f64 v[42:43], v[42:43], v[48:49], v[44:45]
	v_div_fixup_f64 v[42:43], v[42:43], v[40:41], s[18:19]
	v_add_f64 v[42:43], v[42:43], s[20:21]
	v_cvt_f32_f64_e32 v89, v[42:43]
	v_fma_f32 v42, -v23, v27, 1.0
	v_fmac_f32_e32 v27, v42, v27
	v_div_scale_f32 v42, vcc, v22, v52, v22
	v_mul_f32_e32 v46, v42, v27
	v_fma_f32 v43, -v23, v46, v42
	v_fmac_f32_e32 v46, v43, v27
	v_fma_f32 v23, -v23, v46, v42
	v_div_scale_f64 v[42:43], s[0:1], v[40:41], v[40:41], s[8:9]
	v_rcp_f64_e32 v[44:45], v[42:43]
	v_div_fmas_f32 v23, v23, v27, v46
	v_add_f32_e32 v91, 1.0, v28
	v_div_fixup_f32 v90, v23, v52, v22
	v_fma_f64 v[46:47], -v[42:43], v[44:45], 1.0
	v_fmac_f64_e32 v[44:45], v[44:45], v[46:47]
	v_fma_f64 v[46:47], -v[42:43], v[44:45], 1.0
	v_fmac_f64_e32 v[44:45], v[44:45], v[46:47]
	v_div_scale_f64 v[46:47], vcc, s[8:9], v[40:41], s[8:9]
	v_mul_f32_e32 v22, v22, v91
	v_mul_f64 v[48:49], v[46:47], v[44:45]
	v_floor_f32_e32 v27, v22
	v_fma_f64 v[42:43], -v[42:43], v[48:49], v[46:47]
	v_sub_f32_e32 v54, v28, v27
	v_div_fmas_f64 v[42:43], v[42:43], v[44:45], v[48:49]
	v_add_f32_e32 v92, 1.0, v54
	v_div_fixup_f64 v[40:41], v[42:43], v[40:41], s[8:9]
	v_add_f32_e32 v52, 1.0, v27
	v_mul_f32_e32 v42, v90, v92
	v_div_scale_f32 v43, s[0:1], v42, v42, v52
	v_rcp_f32_e32 v44, v43
	v_add_f64 v[22:23], v[40:41], s[22:23]
	v_mul_f64 v[22:23], v[22:23], v[38:39]
	v_cvt_f32_f64_e32 v93, v[22:23]
	v_fma_f32 v22, -v43, v44, 1.0
	v_fmac_f32_e32 v44, v22, v44
	v_div_scale_f32 v22, vcc, v52, v42, v52
	v_mul_f32_e32 v23, v22, v44
	v_fma_f32 v38, -v43, v23, v22
	v_fmac_f32_e32 v23, v38, v44
	v_fma_f32 v22, -v43, v23, v22
	v_div_fmas_f32 v22, v22, v44, v23
	v_div_fixup_f32 v22, v22, v42, v52
	v_cmp_gt_f32_e64 s[0:1], s56, v22
	v_cndmask_b32_e64 v23, 1.0, v83, s[0:1]
	v_mul_f32_e32 v22, v22, v23
	v_log_f32_e32 v48, v22
	v_mul_f32_e32 v38, v52, v52
	v_cvt_f64_f32_e32 v[38:39], v38
	s_mov_b32 s24, s26
	v_div_scale_f64 v[40:41], s[2:3], v[38:39], v[38:39], s[24:25]
	v_rcp_f64_e32 v[42:43], v[40:41]
	v_mul_f32_e32 v44, 0x3f317217, v48
	v_fma_f32 v45, v48, s57, -v44
	v_fmac_f32_e32 v45, 0x3377d1cf, v48
	v_add_f32_e32 v49, v44, v45
	v_fma_f64 v[44:45], -v[40:41], v[42:43], 1.0
	v_fmac_f64_e32 v[42:43], v[42:43], v[44:45]
	v_fma_f64 v[44:45], -v[40:41], v[42:43], 1.0
	v_fmac_f64_e32 v[42:43], v[42:43], v[44:45]
	v_div_scale_f64 v[44:45], vcc, s[24:25], v[38:39], s[24:25]
	v_mul_f64 v[46:47], v[44:45], v[42:43]
	v_fma_f64 v[40:41], -v[40:41], v[46:47], v[44:45]
	v_cvt_f64_f32_e32 v[22:23], v27
	s_nop 0
	v_div_fmas_f64 v[40:41], v[40:41], v[42:43], v[46:47]
	v_div_fixup_f64 v[40:41], v[40:41], v[38:39], s[24:25]
	v_add_f64 v[40:41], -v[40:41], s[28:29]
	v_div_scale_f64 v[42:43], s[2:3], v[38:39], v[38:39], v[40:41]
	v_rcp_f64_e32 v[44:45], v[42:43]
	v_cmp_lt_f32_e64 vcc, |v48|, s58
	v_cndmask_b32_e32 v46, v48, v49, vcc
	v_cndmask_b32_e64 v47, 0, v84, s[0:1]
	v_sub_f32_e32 v53, v46, v47
	v_fma_f64 v[46:47], -v[42:43], v[44:45], 1.0
	v_fmac_f64_e32 v[44:45], v[44:45], v[46:47]
	v_fma_f64 v[46:47], -v[42:43], v[44:45], 1.0
	v_fmac_f64_e32 v[44:45], v[44:45], v[46:47]
	v_div_scale_f64 v[46:47], vcc, v[40:41], v[38:39], v[40:41]
	v_mul_f64 v[48:49], v[46:47], v[44:45]
	v_fma_f64 v[42:43], -v[42:43], v[48:49], v[46:47]
	v_add_f64 v[22:23], v[22:23], 0.5
	s_nop 0
	v_div_fmas_f64 v[42:43], v[42:43], v[44:45], v[48:49]
	v_div_fixup_f64 v[38:39], v[42:43], v[38:39], v[40:41]
	v_add_f64 v[38:39], -v[38:39], s[30:31]
	v_cvt_f64_f32_e32 v[40:41], v52
	v_div_scale_f64 v[42:43], s[0:1], v[40:41], v[40:41], v[38:39]
	v_rcp_f64_e32 v[44:45], v[42:43]
	v_cvt_f64_f32_e32 v[46:47], v53
	v_mul_f64 v[22:23], v[22:23], v[46:47]
	v_cmp_gt_f32_e64 s[0:1], s54, v27
	v_fma_f64 v[46:47], -v[42:43], v[44:45], 1.0
	v_fmac_f64_e32 v[44:45], v[44:45], v[46:47]
	v_fma_f64 v[46:47], -v[42:43], v[44:45], 1.0
	v_fmac_f64_e32 v[44:45], v[44:45], v[46:47]
	v_div_scale_f64 v[46:47], vcc, v[38:39], v[40:41], v[38:39]
	v_mul_f64 v[48:49], v[46:47], v[44:45]
	v_fma_f64 v[42:43], -v[42:43], v[48:49], v[46:47]
	s_getpc_b64 s[4:5]
	s_add_u32 s4, s4, _ZZN12_GLOBAL__N_120stirling_approx_tailIfEET_S1_E11kTailValues.const@rel32@lo+4
	s_addc_u32 s5, s5, _ZZN12_GLOBAL__N_120stirling_approx_tailIfEET_S1_E11kTailValues.const@rel32@hi+12
	v_div_fmas_f64 v[42:43], v[42:43], v[44:45], v[48:49]
	v_div_fixup_f64 v[38:39], v[42:43], v[40:41], v[38:39]
	v_cvt_f32_f64_e32 v96, v[38:39]
	v_mul_f32_e32 v38, 0x2f800000, v27
	v_floor_f32_e32 v45, v38
	v_mul_f32_e32 v38, v92, v92
	v_cvt_f64_f32_e32 v[38:39], v38
	v_div_scale_f64 v[40:41], s[2:3], v[38:39], v[38:39], s[24:25]
	v_rcp_f64_e32 v[42:43], v[40:41]
	v_fmac_f32_e32 v27, 0xcf800000, v45
	v_cvt_u32_f32_e32 v44, v27
	v_cvt_u32_f32_e32 v45, v45
	v_fma_f64 v[46:47], -v[40:41], v[42:43], 1.0
	v_fmac_f64_e32 v[42:43], v[42:43], v[46:47]
	v_fma_f64 v[46:47], -v[40:41], v[42:43], 1.0
	v_fmac_f64_e32 v[42:43], v[42:43], v[46:47]
	v_div_scale_f64 v[46:47], vcc, s[24:25], v[38:39], s[24:25]
	v_mul_f64 v[48:49], v[46:47], v[42:43]
	v_fma_f64 v[40:41], -v[40:41], v[48:49], v[46:47]
	v_lshlrev_b64 v[44:45], 2, v[44:45]
	s_nop 0
	v_div_fmas_f64 v[40:41], v[40:41], v[42:43], v[48:49]
	v_div_fixup_f64 v[40:41], v[40:41], v[38:39], s[24:25]
	v_add_f64 v[40:41], -v[40:41], s[28:29]
	v_div_scale_f64 v[42:43], s[2:3], v[38:39], v[38:39], v[40:41]
	v_rcp_f64_e32 v[46:47], v[42:43]
	v_mov_b32_e32 v27, s5
	v_add_f32_e32 v94, v87, v87
	s_mov_b64 s[44:45], 0
	v_fma_f64 v[48:49], -v[42:43], v[46:47], 1.0
	v_fmac_f64_e32 v[46:47], v[46:47], v[48:49]
	v_fma_f64 v[48:49], -v[42:43], v[46:47], 1.0
	v_fmac_f64_e32 v[46:47], v[46:47], v[48:49]
	v_div_scale_f64 v[48:49], vcc, v[40:41], v[38:39], v[40:41]
	v_mul_f64 v[52:53], v[48:49], v[46:47]
	v_fma_f64 v[42:43], -v[42:43], v[52:53], v[48:49]
	s_mov_b64 s[46:47], 0
	s_nop 0
	v_div_fmas_f64 v[42:43], v[42:43], v[46:47], v[52:53]
	v_div_fixup_f64 v[38:39], v[42:43], v[38:39], v[40:41]
	v_add_f64 v[38:39], -v[38:39], s[30:31]
	v_cvt_f64_f32_e32 v[40:41], v92
	v_div_scale_f64 v[42:43], s[2:3], v[40:41], v[40:41], v[38:39]
	v_rcp_f64_e32 v[46:47], v[42:43]
	v_add_co_u32_e32 v52, vcc, s4, v44
	v_addc_co_u32_e32 v53, vcc, v45, v27, vcc
	v_fma_f64 v[44:45], -v[42:43], v[46:47], 1.0
	v_fmac_f64_e32 v[46:47], v[46:47], v[44:45]
	v_fma_f64 v[44:45], -v[42:43], v[46:47], 1.0
	v_fmac_f64_e32 v[46:47], v[46:47], v[44:45]
	v_div_scale_f64 v[44:45], vcc, v[38:39], v[40:41], v[38:39]
	v_mul_f64 v[48:49], v[44:45], v[46:47]
	v_fma_f64 v[42:43], -v[42:43], v[48:49], v[44:45]
	v_trunc_f32_e32 v44, v54
	v_mul_f32_e32 v45, 0x2f800000, v44
	v_floor_f32_e32 v45, v45
	v_fmac_f32_e32 v44, 0xcf800000, v45
	v_cvt_u32_f32_e32 v44, v44
	v_cvt_u32_f32_e32 v45, v45
	v_div_fmas_f64 v[42:43], v[42:43], v[46:47], v[48:49]
	v_div_fixup_f64 v[38:39], v[42:43], v[40:41], v[38:39]
	v_cvt_f32_f64_e32 v97, v[38:39]
	v_lshlrev_b64 v[38:39], 2, v[44:45]
	v_cmp_gt_f32_e64 s[2:3], s54, v54
	v_add_co_u32_e32 v54, vcc, s4, v38
	v_pk_mov_b32 v[44:45], v[36:37], v[36:37] op_sel:[0,1]
	v_addc_co_u32_e32 v55, vcc, v39, v27, vcc
	v_pk_mov_b32 v[42:43], v[34:35], v[34:35] op_sel:[0,1]
	s_branch .LBB103_21
.LBB103_19:                             ;   in Loop: Header=BB103_21 Depth=2
	s_or_b64 exec, exec, s[4:5]
	v_div_scale_f32 v48, s[4:5], v47, v47, v92
	v_rcp_f32_e32 v49, v48
	v_div_scale_f32 v99, vcc, v92, v47, v92
	v_mul_f32_e32 v16, v16, v93
	v_fma_f32 v100, -v48, v49, 1.0
	v_fmac_f32_e32 v49, v100, v49
	v_mul_f32_e32 v100, v99, v49
	v_fma_f32 v101, -v48, v100, v99
	v_fmac_f32_e32 v100, v101, v49
	v_fma_f32 v48, -v48, v100, v99
	v_div_fmas_f32 v48, v48, v49, v100
	v_div_fixup_f32 v48, v48, v47, v92
	v_cmp_gt_f32_e32 vcc, s56, v48
	v_cndmask_b32_e32 v49, 1.0, v83, vcc
	v_mul_f32_e32 v48, v48, v49
	v_log_f32_e32 v48, v48
	v_mul_f32_e32 v47, v90, v47
	v_mul_f32_e32 v49, 0x3f317217, v48
	v_fma_f32 v99, v48, s57, -v49
	v_fmac_f32_e32 v99, 0x3377d1cf, v48
	v_add_f32_e32 v49, v49, v99
	v_cmp_lt_f32_e64 s[4:5], |v48|, s58
	v_cndmask_b32_e64 v48, v48, v49, s[4:5]
	v_div_scale_f32 v99, s[4:5], v44, v44, v47
	v_rcp_f32_e32 v100, v99
	v_cndmask_b32_e32 v49, 0, v84, vcc
	v_sub_f32_e32 v48, v48, v49
	v_mul_f32_e32 v48, v91, v48
	v_fma_f32 v101, -v99, v100, 1.0
	v_fmac_f32_e32 v100, v101, v100
	v_div_scale_f32 v101, vcc, v47, v44, v47
	v_mul_f32_e32 v102, v101, v100
	v_fma_f32 v103, -v99, v102, v101
	v_fmac_f32_e32 v102, v103, v100
	v_fma_f32 v99, -v99, v102, v101
	v_div_fmas_f32 v99, v99, v100, v102
	v_div_fixup_f32 v44, v99, v44, v47
	v_cmp_gt_f32_e32 vcc, s56, v44
	v_cndmask_b32_e32 v47, 1.0, v83, vcc
	v_mul_f32_e32 v44, v44, v47
	v_log_f32_e32 v44, v44
	v_cvt_f64_f32_e32 v[48:49], v48
	v_cvt_f64_f32_e32 v[100:101], v27
	v_add_f64 v[48:49], v[22:23], v[48:49]
	v_mul_f32_e32 v47, 0x3f317217, v44
	v_fma_f32 v99, v44, s57, -v47
	v_fmac_f32_e32 v99, 0x3377d1cf, v44
	v_add_f32_e32 v47, v47, v99
	v_cmp_lt_f32_e64 s[4:5], |v44|, s58
	v_cndmask_b32_e64 v44, v44, v47, s[4:5]
	v_cndmask_b32_e32 v47, 0, v84, vcc
	v_sub_f32_e32 v44, v44, v47
	v_mul_f32_e32 v47, v98, v98
	v_div_scale_f32 v102, s[4:5], v47, v47, v87
	v_rcp_f32_e32 v103, v102
	v_cvt_f64_f32_e32 v[98:99], v44
	v_add_f64 v[100:101], v[100:101], 0.5
	v_fmac_f64_e32 v[48:49], v[100:101], v[98:99]
	v_fma_f32 v44, -v102, v103, 1.0
	v_fmac_f32_e32 v103, v44, v103
	v_div_scale_f32 v44, vcc, v87, v47, v87
	v_mul_f32_e32 v98, v44, v103
	v_fma_f32 v99, -v102, v98, v44
	v_fmac_f32_e32 v98, v99, v103
	v_fma_f32 v44, -v102, v98, v44
	v_div_fmas_f32 v44, v44, v103, v98
	v_div_fixup_f32 v44, v44, v47, v87
	v_add_f32_e32 v44, v44, v26
	v_div_scale_f32 v47, s[4:5], v44, v44, v16
	v_rcp_f32_e32 v100, v47
	s_waitcnt vmcnt(0)
	v_cvt_f64_f32_e32 v[98:99], v42
	v_add_f64 v[48:49], v[48:49], v[98:99]
	v_cvt_f64_f32_e32 v[42:43], v43
	v_fma_f32 v98, -v47, v100, 1.0
	v_fmac_f32_e32 v100, v98, v100
	v_div_scale_f32 v98, vcc, v16, v44, v16
	v_mul_f32_e32 v99, v98, v100
	v_fma_f32 v101, -v47, v99, v98
	v_fmac_f32_e32 v99, v101, v100
	v_fma_f32 v47, -v47, v99, v98
	v_div_fmas_f32 v47, v47, v100, v99
	v_div_fixup_f32 v16, v47, v44, v16
	v_cmp_gt_f32_e32 vcc, s56, v16
	v_cndmask_b32_e32 v44, 1.0, v83, vcc
	v_mul_f32_e32 v16, v16, v44
	v_log_f32_e32 v16, v16
	v_add_f64 v[42:43], v[48:49], v[42:43]
	v_cvt_f64_f32_e32 v[44:45], v45
	v_add_f64 v[42:43], v[42:43], -v[44:45]
	v_mul_f32_e32 v44, 0x3f317217, v16
	v_fma_f32 v45, v16, s57, -v44
	v_fmac_f32_e32 v45, 0x3377d1cf, v16
	v_add_f32_e32 v44, v44, v45
	v_cmp_lt_f32_e64 s[4:5], |v16|, s58
	v_cndmask_b32_e64 v16, v16, v44, s[4:5]
	v_cndmask_b32_e32 v44, 0, v84, vcc
	v_sub_f32_e32 v16, v16, v44
	v_cvt_f64_f32_e32 v[44:45], v46
	v_add_f64 v[42:43], v[42:43], -v[44:45]
	v_cvt_f32_f64_e32 v42, v[42:43]
	v_cmp_le_f32_e32 vcc, v16, v42
	s_orn2_b64 s[4:5], vcc, exec
.LBB103_20:                             ;   in Loop: Header=BB103_21 Depth=2
	s_or_b64 exec, exec, s[46:47]
	s_and_b64 s[4:5], exec, s[4:5]
	v_pk_mov_b32 v[44:45], v[40:41], v[40:41] op_sel:[0,1]
	s_or_b64 s[44:45], s[4:5], s[44:45]
	s_mov_b64 s[46:47], 0
	v_mov_b32_e32 v16, v95
	v_pk_mov_b32 v[42:43], v[38:39], v[38:39] op_sel:[0,1]
	s_andn2_b64 exec, exec, s[44:45]
	s_cbranch_execz .LBB103_39
.LBB103_21:                             ;   Parent Loop BB103_14 Depth=1
                                        ; =>  This Inner Loop Header: Depth=2
	v_add_u32_e32 v99, 1, v16
	v_pk_mov_b32 v[48:49], v[44:45], v[44:45] op_sel:[0,1]
	v_cmp_eq_u32_e32 vcc, 4, v99
	v_pk_mov_b32 v[46:47], v[42:43], v[42:43] op_sel:[0,1]
	s_and_saveexec_b64 s[4:5], vcc
	s_cbranch_execz .LBB103_23
; %bb.22:                               ;   in Loop: Header=BB103_21 Depth=2
	v_add_co_u32_e32 v30, vcc, 1, v30
	v_cndmask_b32_e64 v27, 0, 1, vcc
	v_addc_co_u32_e32 v31, vcc, 0, v31, vcc
	v_cmp_eq_u32_e32 vcc, 0, v31
	v_cndmask_b32_e32 v27, 0, v27, vcc
	v_add_u32_e32 v32, v27, v32
	v_cmp_eq_u32_e32 vcc, 0, v32
	v_cndmask_b32_e32 v27, 0, v27, vcc
	v_mad_u64_u32 v[34:35], s[48:49], v30, s52, 0
	v_mad_u64_u32 v[36:37], s[48:49], v32, s53, 0
	v_add_u32_e32 v33, v27, v33
	v_xor_b32_e32 v27, v37, v50
	v_xor_b32_e32 v35, v35, v51
	v_xor_b32_e32 v27, v31, v27
	v_xor_b32_e32 v35, v33, v35
	v_mad_u64_u32 v[38:39], s[48:49], v27, s52, 0
	v_mad_u64_u32 v[40:41], s[48:49], v35, s53, 0
	v_xor_b32_e32 v27, v41, v36
	v_xor_b32_e32 v34, v39, v34
	v_xor_b32_e32 v27, v65, v27
	v_xor_b32_e32 v36, v66, v34
	v_mad_u64_u32 v[34:35], s[48:49], v27, s52, 0
	v_mad_u64_u32 v[36:37], s[48:49], v36, s53, 0
	;; [unrolled: 6-line block ×9, first 2 shown]
	v_xor_b32_e32 v27, v41, v34
	v_xor_b32_e32 v34, v63, v27
	;; [unrolled: 1-line block ×4, first 2 shown]
	v_mov_b32_e32 v37, v38
	v_mov_b32_e32 v35, v40
	v_pk_mov_b32 v[48:49], v[36:37], v[36:37] op_sel:[0,1]
	v_mov_b32_e32 v99, 0
	v_pk_mov_b32 v[46:47], v[34:35], v[34:35] op_sel:[0,1]
.LBB103_23:                             ;   in Loop: Header=BB103_21 Depth=2
	s_or_b64 exec, exec, s[4:5]
	v_add_u32_e32 v95, 1, v99
	v_pk_mov_b32 v[38:39], v[46:47], v[46:47] op_sel:[0,1]
	v_cmp_eq_u32_e32 vcc, 4, v95
	v_pk_mov_b32 v[40:41], v[48:49], v[48:49] op_sel:[0,1]
	s_and_saveexec_b64 s[4:5], vcc
	s_cbranch_execz .LBB103_25
; %bb.24:                               ;   in Loop: Header=BB103_21 Depth=2
	v_add_co_u32_e32 v30, vcc, 1, v30
	v_cndmask_b32_e64 v27, 0, 1, vcc
	v_addc_co_u32_e32 v31, vcc, 0, v31, vcc
	v_cmp_eq_u32_e32 vcc, 0, v31
	v_cndmask_b32_e32 v27, 0, v27, vcc
	v_add_u32_e32 v32, v27, v32
	v_cmp_eq_u32_e32 vcc, 0, v32
	v_cndmask_b32_e32 v27, 0, v27, vcc
	v_mad_u64_u32 v[34:35], s[48:49], v30, s52, 0
	v_mad_u64_u32 v[36:37], s[48:49], v32, s53, 0
	v_add_u32_e32 v33, v27, v33
	v_xor_b32_e32 v27, v37, v50
	v_xor_b32_e32 v35, v35, v51
	v_xor_b32_e32 v27, v31, v27
	v_xor_b32_e32 v35, v33, v35
	v_mad_u64_u32 v[38:39], s[48:49], v27, s52, 0
	v_mad_u64_u32 v[40:41], s[48:49], v35, s53, 0
	v_xor_b32_e32 v27, v41, v36
	v_xor_b32_e32 v34, v39, v34
	v_xor_b32_e32 v27, v65, v27
	v_xor_b32_e32 v36, v66, v34
	v_mad_u64_u32 v[34:35], s[48:49], v27, s52, 0
	v_mad_u64_u32 v[36:37], s[48:49], v36, s53, 0
	v_xor_b32_e32 v27, v37, v40
	v_xor_b32_e32 v35, v35, v38
	v_xor_b32_e32 v27, v67, v27
	v_xor_b32_e32 v35, v68, v35
	v_mad_u64_u32 v[38:39], s[48:49], v27, s52, 0
	v_mad_u64_u32 v[40:41], s[48:49], v35, s53, 0
	v_xor_b32_e32 v27, v41, v36
	v_xor_b32_e32 v34, v39, v34
	v_xor_b32_e32 v27, v69, v27
	v_xor_b32_e32 v36, v70, v34
	v_mad_u64_u32 v[34:35], s[48:49], v27, s52, 0
	v_mad_u64_u32 v[36:37], s[48:49], v36, s53, 0
	v_xor_b32_e32 v27, v37, v40
	v_xor_b32_e32 v35, v35, v38
	v_xor_b32_e32 v27, v71, v27
	v_xor_b32_e32 v35, v72, v35
	v_mad_u64_u32 v[38:39], s[48:49], v27, s52, 0
	v_mad_u64_u32 v[40:41], s[48:49], v35, s53, 0
	v_xor_b32_e32 v27, v41, v36
	v_xor_b32_e32 v34, v39, v34
	v_xor_b32_e32 v27, v73, v27
	v_xor_b32_e32 v36, v74, v34
	v_mad_u64_u32 v[34:35], s[48:49], v27, s52, 0
	v_mad_u64_u32 v[36:37], s[48:49], v36, s53, 0
	v_xor_b32_e32 v27, v37, v40
	v_xor_b32_e32 v35, v35, v38
	v_xor_b32_e32 v27, v75, v27
	v_xor_b32_e32 v35, v76, v35
	v_mad_u64_u32 v[38:39], s[48:49], v27, s52, 0
	v_mad_u64_u32 v[40:41], s[48:49], v35, s53, 0
	v_xor_b32_e32 v27, v41, v36
	v_xor_b32_e32 v34, v39, v34
	v_xor_b32_e32 v27, v77, v27
	v_xor_b32_e32 v34, v78, v34
	v_mad_u64_u32 v[36:37], s[48:49], v27, s52, 0
	v_mad_u64_u32 v[34:35], s[48:49], v34, s53, 0
	v_xor_b32_e32 v27, v35, v40
	v_xor_b32_e32 v35, v37, v38
	v_xor_b32_e32 v35, v80, v35
	v_xor_b32_e32 v27, v79, v27
	v_mad_u64_u32 v[40:41], s[48:49], v35, s53, 0
	v_mad_u64_u32 v[38:39], s[48:49], v27, s52, 0
	v_xor_b32_e32 v27, v41, v34
	v_xor_b32_e32 v34, v63, v27
	;; [unrolled: 1-line block ×4, first 2 shown]
	v_mov_b32_e32 v37, v38
	v_mov_b32_e32 v35, v40
	v_pk_mov_b32 v[40:41], v[36:37], v[36:37] op_sel:[0,1]
	v_mov_b32_e32 v95, 0
	v_pk_mov_b32 v[38:39], v[34:35], v[34:35] op_sel:[0,1]
.LBB103_25:                             ;   in Loop: Header=BB103_21 Depth=2
	s_or_b64 exec, exec, s[4:5]
	v_cmp_eq_u32_e32 vcc, 1, v16
	v_cndmask_b32_e32 v27, v42, v43, vcc
	v_cmp_eq_u32_e32 vcc, 2, v16
	v_cndmask_b32_e32 v27, v27, v44, vcc
	;; [unrolled: 2-line block ×3, first 2 shown]
	v_and_b32_e32 v16, 0xffffff, v16
	v_cvt_f32_u32_e32 v16, v16
	v_fma_f32 v16, v16, s59, -0.5
	v_sub_f32_e64 v98, 0.5, |v16|
	v_div_scale_f32 v27, s[4:5], v98, v98, v94
	v_rcp_f32_e32 v42, v27
	v_div_scale_f32 v43, vcc, v94, v98, v94
	v_fma_f32 v44, -v27, v42, 1.0
	v_fmac_f32_e32 v42, v44, v42
	v_mul_f32_e32 v44, v43, v42
	v_fma_f32 v45, -v27, v44, v43
	v_fmac_f32_e32 v44, v45, v42
	v_fma_f32 v27, -v27, v44, v43
	v_div_fmas_f32 v27, v27, v42, v44
	v_div_fixup_f32 v27, v27, v98, v94
	v_add_f32_e32 v27, v27, v26
	v_fma_f32 v16, v16, v27, v88
	v_floor_f32_e32 v27, v16
	v_cmp_ngt_f32_e32 vcc, 0, v27
	v_cmp_ngt_f32_e64 s[4:5], v27, v28
	s_and_b64 s[4:5], vcc, s[4:5]
	s_and_b64 s[4:5], exec, s[4:5]
	v_pk_mov_b32 v[44:45], v[40:41], v[40:41] op_sel:[0,1]
	s_or_b64 s[46:47], s[4:5], s[46:47]
	v_mov_b32_e32 v16, v95
	v_pk_mov_b32 v[42:43], v[38:39], v[38:39] op_sel:[0,1]
	s_andn2_b64 exec, exec, s[46:47]
	s_cbranch_execnz .LBB103_21
; %bb.26:                               ;   in Loop: Header=BB103_21 Depth=2
	s_or_b64 exec, exec, s[46:47]
	v_cmp_eq_u32_e32 vcc, 1, v99
	v_cndmask_b32_e32 v16, v46, v47, vcc
	v_cmp_eq_u32_e32 vcc, 2, v99
	v_cndmask_b32_e32 v16, v16, v48, vcc
	;; [unrolled: 2-line block ×3, first 2 shown]
	v_and_b32_e32 v16, 0xffffff, v16
	v_cvt_f32_u32_e32 v16, v16
	v_cvt_f64_f32_e32 v[42:43], v98
	v_cmp_nle_f64_e32 vcc, s[34:35], v[42:43]
	v_mul_f32_e32 v16, 0x33800000, v16
	v_cmp_nle_f32_e64 s[4:5], v16, v89
	s_or_b64 s[48:49], vcc, s[4:5]
	s_mov_b64 s[4:5], -1
	s_and_saveexec_b64 s[46:47], s[48:49]
	s_cbranch_execz .LBB103_20
; %bb.27:                               ;   in Loop: Header=BB103_21 Depth=2
	v_mov_b32_e32 v42, v96
	s_and_saveexec_b64 s[4:5], s[0:1]
	s_cbranch_execz .LBB103_29
; %bb.28:                               ;   in Loop: Header=BB103_21 Depth=2
	global_load_dword v42, v[52:53], off
.LBB103_29:                             ;   in Loop: Header=BB103_21 Depth=2
	s_or_b64 exec, exec, s[4:5]
	v_mov_b32_e32 v43, v97
	s_and_saveexec_b64 s[4:5], s[2:3]
	s_cbranch_execz .LBB103_31
; %bb.30:                               ;   in Loop: Header=BB103_21 Depth=2
	global_load_dword v43, v[54:55], off
.LBB103_31:                             ;   in Loop: Header=BB103_21 Depth=2
	s_or_b64 exec, exec, s[4:5]
	v_add_f32_e32 v44, 1.0, v27
	v_cmp_ngt_f32_e32 vcc, s54, v27
                                        ; implicit-def: $vgpr45
	s_and_saveexec_b64 s[4:5], vcc
	s_xor_b64 s[4:5], exec, s[4:5]
	s_cbranch_execz .LBB103_33
; %bb.32:                               ;   in Loop: Header=BB103_21 Depth=2
	v_mul_f32_e32 v45, v44, v44
	v_cvt_f64_f32_e32 v[46:47], v45
	v_div_scale_f64 v[48:49], s[48:49], v[46:47], v[46:47], s[26:27]
	v_rcp_f64_e32 v[100:101], v[48:49]
	v_div_scale_f64 v[102:103], vcc, s[26:27], v[46:47], s[26:27]
	v_fma_f64 v[104:105], -v[48:49], v[100:101], 1.0
	v_fmac_f64_e32 v[100:101], v[100:101], v[104:105]
	v_fma_f64 v[104:105], -v[48:49], v[100:101], 1.0
	v_fmac_f64_e32 v[100:101], v[100:101], v[104:105]
	v_mul_f64 v[104:105], v[102:103], v[100:101]
	v_fma_f64 v[48:49], -v[48:49], v[104:105], v[102:103]
	v_div_fmas_f64 v[48:49], v[48:49], v[100:101], v[104:105]
	v_div_fixup_f64 v[48:49], v[48:49], v[46:47], s[26:27]
	v_add_f64 v[48:49], v[48:49], s[28:29]
	v_div_scale_f64 v[100:101], s[48:49], v[46:47], v[46:47], v[48:49]
	v_rcp_f64_e32 v[102:103], v[100:101]
	v_fma_f64 v[104:105], -v[100:101], v[102:103], 1.0
	v_fmac_f64_e32 v[102:103], v[102:103], v[104:105]
	v_fma_f64 v[104:105], -v[100:101], v[102:103], 1.0
	v_fmac_f64_e32 v[102:103], v[102:103], v[104:105]
	v_div_scale_f64 v[104:105], vcc, v[48:49], v[46:47], v[48:49]
	v_mul_f64 v[106:107], v[104:105], v[102:103]
	v_fma_f64 v[100:101], -v[100:101], v[106:107], v[104:105]
	s_nop 1
	v_div_fmas_f64 v[100:101], v[100:101], v[102:103], v[106:107]
	v_div_fixup_f64 v[46:47], v[100:101], v[46:47], v[48:49]
	v_add_f64 v[46:47], -v[46:47], s[30:31]
	v_cvt_f64_f32_e32 v[48:49], v44
	v_div_scale_f64 v[100:101], s[48:49], v[48:49], v[48:49], v[46:47]
	v_rcp_f64_e32 v[102:103], v[100:101]
	v_fma_f64 v[104:105], -v[100:101], v[102:103], 1.0
	v_fmac_f64_e32 v[102:103], v[102:103], v[104:105]
	v_fma_f64 v[104:105], -v[100:101], v[102:103], 1.0
	v_fmac_f64_e32 v[102:103], v[102:103], v[104:105]
	v_div_scale_f64 v[104:105], vcc, v[46:47], v[48:49], v[46:47]
	v_mul_f64 v[106:107], v[104:105], v[102:103]
	v_fma_f64 v[100:101], -v[100:101], v[106:107], v[104:105]
	s_nop 1
	v_div_fmas_f64 v[100:101], v[100:101], v[102:103], v[106:107]
	v_div_fixup_f64 v[46:47], v[100:101], v[48:49], v[46:47]
	v_cvt_f32_f64_e32 v45, v[46:47]
.LBB103_33:                             ;   in Loop: Header=BB103_21 Depth=2
	s_andn2_saveexec_b64 s[4:5], s[4:5]
	s_cbranch_execz .LBB103_35
; %bb.34:                               ;   in Loop: Header=BB103_21 Depth=2
	v_trunc_f32_e32 v45, v27
	v_mul_f32_e32 v46, 0x2f800000, v45
	v_floor_f32_e32 v46, v46
	v_fmac_f32_e32 v45, 0xcf800000, v46
	v_cvt_u32_f32_e32 v47, v46
	v_cvt_u32_f32_e32 v46, v45
	s_getpc_b64 s[48:49]
	s_add_u32 s48, s48, _ZZN12_GLOBAL__N_120stirling_approx_tailIfEET_S1_E11kTailValues.const@rel32@lo+4
	s_addc_u32 s49, s49, _ZZN12_GLOBAL__N_120stirling_approx_tailIfEET_S1_E11kTailValues.const@rel32@hi+12
	v_mov_b32_e32 v45, s49
	v_lshlrev_b64 v[46:47], 2, v[46:47]
	v_add_co_u32_e32 v46, vcc, s48, v46
	v_addc_co_u32_e32 v47, vcc, v47, v45, vcc
	global_load_dword v45, v[46:47], off
.LBB103_35:                             ;   in Loop: Header=BB103_21 Depth=2
	s_or_b64 exec, exec, s[4:5]
	v_sub_f32_e32 v48, v28, v27
	v_add_f32_e32 v47, 1.0, v48
	v_cmp_ngt_f32_e32 vcc, s54, v48
                                        ; implicit-def: $vgpr46
	s_and_saveexec_b64 s[4:5], vcc
	s_xor_b64 s[4:5], exec, s[4:5]
	s_cbranch_execz .LBB103_37
; %bb.36:                               ;   in Loop: Header=BB103_21 Depth=2
	v_mul_f32_e32 v46, v47, v47
	v_cvt_f64_f32_e32 v[48:49], v46
	v_div_scale_f64 v[100:101], s[48:49], v[48:49], v[48:49], s[26:27]
	v_rcp_f64_e32 v[102:103], v[100:101]
	v_div_scale_f64 v[104:105], vcc, s[26:27], v[48:49], s[26:27]
	v_fma_f64 v[106:107], -v[100:101], v[102:103], 1.0
	v_fmac_f64_e32 v[102:103], v[102:103], v[106:107]
	v_fma_f64 v[106:107], -v[100:101], v[102:103], 1.0
	v_fmac_f64_e32 v[102:103], v[102:103], v[106:107]
	v_mul_f64 v[106:107], v[104:105], v[102:103]
	v_fma_f64 v[100:101], -v[100:101], v[106:107], v[104:105]
	v_div_fmas_f64 v[100:101], v[100:101], v[102:103], v[106:107]
	v_div_fixup_f64 v[100:101], v[100:101], v[48:49], s[26:27]
	v_add_f64 v[100:101], v[100:101], s[28:29]
	v_div_scale_f64 v[102:103], s[48:49], v[48:49], v[48:49], v[100:101]
	v_rcp_f64_e32 v[104:105], v[102:103]
	v_fma_f64 v[106:107], -v[102:103], v[104:105], 1.0
	v_fmac_f64_e32 v[104:105], v[104:105], v[106:107]
	v_fma_f64 v[106:107], -v[102:103], v[104:105], 1.0
	v_fmac_f64_e32 v[104:105], v[104:105], v[106:107]
	v_div_scale_f64 v[106:107], vcc, v[100:101], v[48:49], v[100:101]
	v_mul_f64 v[108:109], v[106:107], v[104:105]
	v_fma_f64 v[102:103], -v[102:103], v[108:109], v[106:107]
	s_nop 1
	v_div_fmas_f64 v[102:103], v[102:103], v[104:105], v[108:109]
	v_div_fixup_f64 v[48:49], v[102:103], v[48:49], v[100:101]
	v_add_f64 v[48:49], -v[48:49], s[30:31]
	v_cvt_f64_f32_e32 v[100:101], v47
	v_div_scale_f64 v[102:103], s[48:49], v[100:101], v[100:101], v[48:49]
	v_rcp_f64_e32 v[104:105], v[102:103]
	v_fma_f64 v[106:107], -v[102:103], v[104:105], 1.0
	v_fmac_f64_e32 v[104:105], v[104:105], v[106:107]
	v_fma_f64 v[106:107], -v[102:103], v[104:105], 1.0
	v_fmac_f64_e32 v[104:105], v[104:105], v[106:107]
	v_div_scale_f64 v[106:107], vcc, v[48:49], v[100:101], v[48:49]
	v_mul_f64 v[108:109], v[106:107], v[104:105]
	v_fma_f64 v[102:103], -v[102:103], v[108:109], v[106:107]
	s_nop 1
	v_div_fmas_f64 v[102:103], v[102:103], v[104:105], v[108:109]
	v_div_fixup_f64 v[48:49], v[102:103], v[100:101], v[48:49]
	v_cvt_f32_f64_e32 v46, v[48:49]
                                        ; implicit-def: $vgpr48
.LBB103_37:                             ;   in Loop: Header=BB103_21 Depth=2
	s_andn2_saveexec_b64 s[4:5], s[4:5]
	s_cbranch_execz .LBB103_19
; %bb.38:                               ;   in Loop: Header=BB103_21 Depth=2
	v_trunc_f32_e32 v46, v48
	v_mul_f32_e32 v48, 0x2f800000, v46
	v_floor_f32_e32 v48, v48
	v_fmac_f32_e32 v46, 0xcf800000, v48
	v_cvt_u32_f32_e32 v49, v48
	v_cvt_u32_f32_e32 v48, v46
	s_getpc_b64 s[48:49]
	s_add_u32 s48, s48, _ZZN12_GLOBAL__N_120stirling_approx_tailIfEET_S1_E11kTailValues.const@rel32@lo+4
	s_addc_u32 s49, s49, _ZZN12_GLOBAL__N_120stirling_approx_tailIfEET_S1_E11kTailValues.const@rel32@hi+12
	v_mov_b32_e32 v46, s49
	v_lshlrev_b64 v[48:49], 2, v[48:49]
	v_add_co_u32_e32 v48, vcc, s48, v48
	v_addc_co_u32_e32 v49, vcc, v49, v46, vcc
	global_load_dword v46, v[48:49], off
	s_branch .LBB103_19
.LBB103_39:                             ;   in Loop: Header=BB103_14 Depth=1
	s_or_b64 exec, exec, s[44:45]
                                        ; implicit-def: $vgpr28
                                        ; implicit-def: $vgpr16
                                        ; implicit-def: $vgpr22
.LBB103_40:                             ;   in Loop: Header=BB103_14 Depth=1
	s_andn2_saveexec_b64 s[0:1], s[42:43]
	s_cbranch_execz .LBB103_46
; %bb.41:                               ;   in Loop: Header=BB103_14 Depth=1
	v_sub_f32_e32 v23, 1.0, v22
	v_add_f32_e32 v26, -1.0, v23
	v_sub_f32_e32 v27, v26, v23
	v_add_f32_e32 v27, 1.0, v27
	v_sub_f32_e64 v26, -v22, v26
	v_add_f32_e32 v38, v26, v27
	v_frexp_mant_f32_e32 v39, v23
	v_cvt_f64_f32_e32 v[26:27], v23
	v_frexp_exp_i32_f64_e32 v26, v[26:27]
	v_cmp_gt_f32_e32 vcc, s60, v39
	v_subbrev_co_u32_e32 v26, vcc, 0, v26, vcc
	v_sub_u32_e32 v27, 0, v26
	v_ldexp_f32 v23, v23, v27
	v_ldexp_f32 v27, v38, v27
	v_add_f32_e32 v38, -1.0, v23
	v_add_f32_e32 v41, 1.0, v23
	v_add_f32_e32 v39, 1.0, v38
	v_add_f32_e32 v42, -1.0, v41
	v_sub_f32_e32 v39, v23, v39
	v_sub_f32_e32 v23, v23, v42
	v_add_f32_e32 v23, v27, v23
	v_add_f32_e32 v39, v27, v39
	;; [unrolled: 1-line block ×3, first 2 shown]
	v_rcp_f32_e32 v42, v27
	v_add_f32_e32 v40, v38, v39
	v_sub_f32_e32 v38, v40, v38
	v_sub_f32_e32 v38, v39, v38
	;; [unrolled: 1-line block ×4, first 2 shown]
	v_mul_f32_e32 v39, v40, v42
	v_mul_f32_e32 v41, v27, v39
	v_fma_f32 v43, v39, v27, -v41
	v_fmac_f32_e32 v43, v39, v23
	v_add_f32_e32 v44, v41, v43
	v_sub_f32_e32 v45, v40, v44
	v_sub_f32_e32 v40, v40, v45
	v_sub_f32_e32 v41, v44, v41
	v_sub_f32_e32 v40, v40, v44
	v_add_f32_e32 v38, v38, v40
	v_sub_f32_e32 v40, v41, v43
	v_add_f32_e32 v38, v40, v38
	v_add_f32_e32 v40, v45, v38
	v_mul_f32_e32 v41, v42, v40
	v_mul_f32_e32 v43, v27, v41
	v_fma_f32 v27, v41, v27, -v43
	v_fmac_f32_e32 v27, v41, v23
	v_sub_f32_e32 v23, v45, v40
	v_add_f32_e32 v23, v38, v23
	v_add_f32_e32 v38, v43, v27
	v_sub_f32_e32 v44, v40, v38
	v_sub_f32_e32 v40, v40, v44
	;; [unrolled: 1-line block ×4, first 2 shown]
	v_add_f32_e32 v23, v23, v38
	v_sub_f32_e32 v27, v43, v27
	v_cvt_f32_i32_e32 v26, v26
	v_add_f32_e32 v23, v27, v23
	v_add_f32_e32 v27, v39, v41
	;; [unrolled: 1-line block ×3, first 2 shown]
	v_sub_f32_e32 v38, v27, v39
	v_mul_f32_e32 v23, v42, v23
	v_sub_f32_e32 v38, v41, v38
	v_add_f32_e32 v23, v38, v23
	v_mul_f32_e32 v41, 0x3f317218, v26
	v_add_f32_e32 v38, v27, v23
	v_fma_f32 v42, v26, s61, -v41
	v_mul_f32_e32 v39, v38, v38
	v_mov_b32_e32 v40, 0x3ecc95a3
	v_fmac_f32_e32 v42, 0xb102e308, v26
	v_sub_f32_e32 v26, v38, v27
	v_fmac_f32_e32 v40, 0x3e9b6dac, v39
	v_sub_f32_e32 v23, v23, v26
	v_add_f32_e32 v26, v41, v42
	v_fma_f32 v40, v39, v40, v82
	v_sub_f32_e32 v27, v26, v41
	v_ldexp_f32 v41, v38, 1
	v_mul_f32_e32 v38, v38, v39
	v_mul_f32_e32 v38, v38, v40
	v_add_f32_e32 v39, v41, v38
	v_sub_f32_e32 v40, v39, v41
	v_ldexp_f32 v23, v23, 1
	v_sub_f32_e32 v38, v38, v40
	v_add_f32_e32 v23, v23, v38
	v_add_f32_e32 v38, v39, v23
	v_sub_f32_e32 v39, v38, v39
	v_sub_f32_e32 v23, v23, v39
	v_add_f32_e32 v39, v26, v38
	v_sub_f32_e32 v40, v39, v26
	v_sub_f32_e32 v41, v39, v40
	v_sub_f32_e32 v27, v42, v27
	v_sub_f32_e32 v26, v26, v41
	v_sub_f32_e32 v38, v38, v40
	v_add_f32_e32 v26, v38, v26
	v_add_f32_e32 v38, v27, v23
	v_sub_f32_e32 v40, v38, v27
	v_sub_f32_e32 v41, v38, v40
	;; [unrolled: 1-line block ×4, first 2 shown]
	v_add_f32_e32 v26, v38, v26
	v_add_f32_e32 v23, v23, v27
	;; [unrolled: 1-line block ×3, first 2 shown]
	v_sub_f32_e32 v38, v27, v39
	v_sub_f32_e32 v26, v26, v38
	v_add_f32_e32 v23, v23, v26
	v_add_f32_e32 v23, v27, v23
	v_cmp_eq_f32_e32 vcc, s62, v22
	v_cndmask_b32_e64 v23, v23, -v22, vcc
	v_cmp_nlt_f32_e32 vcc, 1.0, v22
	v_cndmask_b32_e32 v23, v85, v23, vcc
	v_cmp_neq_f32_e32 vcc, 1.0, v22
	v_cndmask_b32_e32 v23, v86, v23, vcc
	v_cmp_lt_f32_e64 s[2:3], |v22|, s59
	v_mov_b32_e32 v26, 0
	v_pk_mov_b32 v[40:41], v[36:37], v[36:37] op_sel:[0,1]
	v_cndmask_b32_e64 v42, v23, -v22, s[2:3]
	s_mov_b64 s[2:3], 0
	v_pk_mov_b32 v[38:39], v[34:35], v[34:35] op_sel:[0,1]
	v_mov_b32_e32 v23, v26
	s_branch .LBB103_43
.LBB103_42:                             ;   in Loop: Header=BB103_43 Depth=2
	s_or_b64 exec, exec, s[4:5]
	v_cmp_eq_u32_e32 vcc, 1, v16
	v_cndmask_b32_e32 v22, v38, v39, vcc
	v_cmp_eq_u32_e32 vcc, 2, v16
	v_cndmask_b32_e32 v22, v22, v40, vcc
	;; [unrolled: 2-line block ×3, first 2 shown]
	v_and_b32_e32 v16, 0xffffff, v16
	v_cvt_f32_u32_e32 v16, v16
	v_mul_f32_e32 v16, 0x33800000, v16
	v_cmp_gt_f32_e32 vcc, s56, v16
	v_cndmask_b32_e32 v22, 1.0, v83, vcc
	v_mul_f32_e32 v16, v16, v22
	v_log_f32_e32 v16, v16
	v_cndmask_b32_e32 v22, 0, v84, vcc
	v_mul_f32_e32 v23, 0x3f317217, v16
	v_fma_f32 v38, v16, s57, -v23
	v_fmac_f32_e32 v38, 0x3377d1cf, v16
	v_add_f32_e32 v23, v23, v38
	v_cmp_lt_f32_e64 vcc, |v16|, s58
	v_cndmask_b32_e32 v16, v16, v23, vcc
	v_sub_f32_e32 v16, v16, v22
	v_div_scale_f32 v22, s[4:5], v42, v42, v16
	v_rcp_f32_e32 v23, v22
	v_div_scale_f32 v38, vcc, v16, v42, v16
	v_fma_f32 v39, -v22, v23, 1.0
	v_fmac_f32_e32 v23, v39, v23
	v_mul_f32_e32 v39, v38, v23
	v_fma_f32 v40, -v22, v39, v38
	v_fmac_f32_e32 v39, v40, v23
	v_fma_f32 v22, -v22, v39, v38
	v_div_fmas_f32 v22, v22, v23, v39
	v_div_fixup_f32 v16, v22, v42, v16
	v_ceil_f32_e32 v16, v16
	v_pk_add_f32 v[22:23], v[26:27], v[16:17]
	v_cmp_gt_f32_e32 vcc, v22, v28
	v_pk_mov_b32 v[40:41], v[36:37], v[36:37] op_sel:[0,1]
	s_or_b64 s[2:3], vcc, s[2:3]
	v_mov_b32_e32 v16, v95
	v_pk_mov_b32 v[38:39], v[34:35], v[34:35] op_sel:[0,1]
	v_mov_b32_e32 v26, v22
	s_andn2_b64 exec, exec, s[2:3]
	s_cbranch_execz .LBB103_45
.LBB103_43:                             ;   Parent Loop BB103_14 Depth=1
                                        ; =>  This Inner Loop Header: Depth=2
	v_add_u32_e32 v95, 1, v16
	v_mov_b32_e32 v27, v23
	v_cmp_eq_u32_e32 vcc, 4, v95
	s_and_saveexec_b64 s[4:5], vcc
	s_cbranch_execz .LBB103_42
; %bb.44:                               ;   in Loop: Header=BB103_43 Depth=2
	v_add_co_u32_e32 v30, vcc, 1, v30
	v_cndmask_b32_e64 v22, 0, 1, vcc
	v_addc_co_u32_e32 v31, vcc, 0, v31, vcc
	v_cmp_eq_u32_e32 vcc, 0, v31
	v_cndmask_b32_e32 v22, 0, v22, vcc
	v_add_u32_e32 v32, v22, v32
	v_cmp_eq_u32_e32 vcc, 0, v32
	v_cndmask_b32_e32 v22, 0, v22, vcc
	v_add_u32_e32 v33, v22, v33
	v_mad_u64_u32 v[22:23], s[42:43], v30, s52, 0
	v_mad_u64_u32 v[34:35], s[42:43], v32, s53, 0
	v_xor_b32_e32 v23, v23, v51
	v_xor_b32_e32 v35, v35, v50
	v_xor_b32_e32 v23, v33, v23
	v_xor_b32_e32 v35, v31, v35
	v_mad_u64_u32 v[44:45], s[42:43], v23, s53, 0
	v_mad_u64_u32 v[36:37], s[42:43], v35, s52, 0
	v_xor_b32_e32 v23, v1, v45
	v_xor_b32_e32 v23, v23, v34
	v_xor_b32_e32 v34, v4, v37
	v_xor_b32_e32 v34, v34, v22
	;; [unrolled: 6-line block ×9, first 2 shown]
	v_mad_u64_u32 v[44:45], s[42:43], v35, s52, 0
	v_mad_u64_u32 v[46:47], s[42:43], v23, s53, 0
	v_xor_b32_e32 v23, v47, v34
	v_xor_b32_e32 v22, v45, v22
	v_mov_b32_e32 v95, 0
	v_xor_b32_e32 v34, v63, v23
	v_xor_b32_e32 v36, v64, v22
	v_mov_b32_e32 v35, v46
	v_mov_b32_e32 v37, v44
	s_branch .LBB103_42
.LBB103_45:                             ;   in Loop: Header=BB103_14 Depth=1
	s_or_b64 exec, exec, s[2:3]
.LBB103_46:                             ;   in Loop: Header=BB103_14 Depth=1
	s_or_b64 exec, exec, s[0:1]
                                        ; implicit-def: $vgpr16
                                        ; implicit-def: $vgpr22
                                        ; implicit-def: $vgpr28
.LBB103_47:                             ;   in Loop: Header=BB103_14 Depth=1
	s_andn2_saveexec_b64 s[40:41], s[40:41]
	s_cbranch_execz .LBB103_11
; %bb.48:                               ;   in Loop: Header=BB103_14 Depth=1
	v_cmp_lt_f32_e32 vcc, 0.5, v22
	v_mov_b32_e32 v27, 0x7fc00000
	s_and_saveexec_b64 s[42:43], vcc
	s_cbranch_execz .LBB103_10
; %bb.49:                               ;   in Loop: Header=BB103_14 Depth=1
	v_sub_f32_e32 v22, 1.0, v22
	v_mul_f32_e32 v26, v28, v22
	v_cmp_le_f32_e32 vcc, s54, v26
	v_sub_f32_e32 v23, 1.0, v22
                                        ; implicit-def: $vgpr55
                                        ; implicit-def: $vgpr95
	s_and_saveexec_b64 s[0:1], vcc
	s_xor_b64 s[44:45], exec, s[0:1]
	s_cbranch_execz .LBB103_72
; %bb.50:                               ;   in Loop: Header=BB103_14 Depth=1
	v_mul_f32_e32 v27, v26, v23
	v_mul_f32_e32 v38, 0x4f800000, v27
	v_cmp_gt_f32_e32 vcc, s55, v27
	v_cndmask_b32_e32 v27, v27, v38, vcc
	v_sqrt_f32_e32 v38, v27
	v_add_f32_e32 v88, 0.5, v26
	v_pk_mov_b32 v[42:43], v[10:11], v[10:11] op_sel:[0,1]
	v_cvt_f64_f32_e32 v[44:45], v22
	v_add_u32_e32 v39, -1, v38
	v_fma_f32 v41, -v39, v38, v27
	v_add_u32_e32 v40, 1, v38
	v_cmp_ge_f32_e64 s[0:1], 0, v41
	v_cndmask_b32_e64 v39, v38, v39, s[0:1]
	v_fma_f32 v38, -v40, v38, v27
	v_cmp_lt_f32_e64 s[0:1], 0, v38
	v_cndmask_b32_e64 v38, v39, v40, s[0:1]
	v_mul_f32_e32 v39, 0x37800000, v38
	v_cndmask_b32_e32 v38, v38, v39, vcc
	v_cmp_class_f32_e32 vcc, v27, v81
	v_cndmask_b32_e32 v27, v38, v27, vcc
	v_cvt_f64_f32_e32 v[38:39], v27
	v_pk_mov_b32 v[40:41], v[2:3], v[2:3] op_sel:[0,1]
	v_fmac_f64_e32 v[40:41], s[10:11], v[38:39]
	v_cvt_f32_f64_e32 v54, v[40:41]
	v_cvt_f64_f32_e32 v[40:41], v54
	v_div_scale_f64 v[46:47], s[0:1], v[40:41], v[40:41], s[18:19]
	v_rcp_f64_e32 v[48:49], v[46:47]
	v_fmac_f64_e32 v[42:43], s[14:15], v[40:41]
	v_fmac_f64_e32 v[42:43], s[16:17], v[44:45]
	v_cvt_f32_f64_e32 v87, v[42:43]
	v_fma_f64 v[26:27], -v[46:47], v[48:49], 1.0
	v_fmac_f64_e32 v[48:49], v[48:49], v[26:27]
	v_fma_f64 v[26:27], -v[46:47], v[48:49], 1.0
	v_fmac_f64_e32 v[48:49], v[48:49], v[26:27]
	v_div_scale_f64 v[26:27], vcc, s[18:19], v[40:41], s[18:19]
	v_mul_f64 v[42:43], v[26:27], v[48:49]
	v_fma_f64 v[26:27], -v[46:47], v[42:43], v[26:27]
	v_add_f32_e32 v91, 1.0, v28
	s_nop 0
	v_div_fmas_f64 v[26:27], v[26:27], v[48:49], v[42:43]
	v_div_scale_f32 v42, s[0:1], v23, v23, v22
	v_rcp_f32_e32 v44, v42
	v_div_fixup_f64 v[26:27], v[26:27], v[40:41], s[18:19]
	v_add_f64 v[26:27], v[26:27], s[20:21]
	v_cvt_f32_f64_e32 v89, v[26:27]
	v_fma_f32 v26, -v42, v44, 1.0
	v_fmac_f32_e32 v44, v26, v44
	v_div_scale_f32 v26, vcc, v22, v23, v22
	v_mul_f32_e32 v45, v26, v44
	v_fma_f32 v27, -v42, v45, v26
	v_fmac_f32_e32 v45, v27, v44
	v_fma_f32 v46, -v42, v45, v26
	v_div_scale_f64 v[26:27], s[0:1], v[40:41], v[40:41], s[8:9]
	v_rcp_f64_e32 v[42:43], v[26:27]
	v_div_fmas_f32 v44, v46, v44, v45
	v_div_fixup_f32 v90, v44, v23, v22
	v_mul_f32_e32 v22, v91, v22
	v_fma_f64 v[44:45], -v[26:27], v[42:43], 1.0
	v_fmac_f64_e32 v[42:43], v[42:43], v[44:45]
	v_fma_f64 v[44:45], -v[26:27], v[42:43], 1.0
	v_fmac_f64_e32 v[42:43], v[42:43], v[44:45]
	v_div_scale_f64 v[44:45], vcc, s[8:9], v[40:41], s[8:9]
	v_mul_f64 v[46:47], v[44:45], v[42:43]
	v_floor_f32_e32 v48, v22
	v_fma_f64 v[26:27], -v[26:27], v[46:47], v[44:45]
	v_sub_f32_e32 v52, v28, v48
	v_div_fmas_f64 v[26:27], v[26:27], v[42:43], v[46:47]
	v_add_f32_e32 v92, 1.0, v52
	v_div_fixup_f64 v[26:27], v[26:27], v[40:41], s[8:9]
	v_add_f32_e32 v49, 1.0, v48
	v_mul_f32_e32 v40, v90, v92
	v_div_scale_f32 v41, s[0:1], v40, v40, v49
	v_rcp_f32_e32 v42, v41
	v_add_f64 v[22:23], v[26:27], s[22:23]
	v_mul_f64 v[22:23], v[22:23], v[38:39]
	v_cvt_f32_f64_e32 v93, v[22:23]
	v_fma_f32 v22, -v41, v42, 1.0
	v_fmac_f32_e32 v42, v22, v42
	v_div_scale_f32 v22, vcc, v49, v40, v49
	v_mul_f32_e32 v23, v22, v42
	v_fma_f32 v26, -v41, v23, v22
	v_fmac_f32_e32 v23, v26, v42
	v_fma_f32 v22, -v41, v23, v22
	v_div_fmas_f32 v22, v22, v42, v23
	v_div_fixup_f32 v22, v22, v40, v49
	v_cmp_gt_f32_e64 s[0:1], s56, v22
	v_cndmask_b32_e64 v23, 1.0, v83, s[0:1]
	v_mul_f32_e32 v22, v22, v23
	v_log_f32_e32 v46, v22
	v_mul_f32_e32 v26, v49, v49
	v_cvt_f64_f32_e32 v[26:27], v26
	s_mov_b32 s24, s26
	v_div_scale_f64 v[38:39], s[2:3], v[26:27], v[26:27], s[24:25]
	v_rcp_f64_e32 v[40:41], v[38:39]
	v_mul_f32_e32 v42, 0x3f317217, v46
	v_fma_f32 v43, v46, s57, -v42
	v_fmac_f32_e32 v43, 0x3377d1cf, v46
	v_add_f32_e32 v47, v42, v43
	v_fma_f64 v[42:43], -v[38:39], v[40:41], 1.0
	v_fmac_f64_e32 v[40:41], v[40:41], v[42:43]
	v_fma_f64 v[42:43], -v[38:39], v[40:41], 1.0
	v_fmac_f64_e32 v[40:41], v[40:41], v[42:43]
	v_div_scale_f64 v[42:43], vcc, s[24:25], v[26:27], s[24:25]
	v_mul_f64 v[44:45], v[42:43], v[40:41]
	v_fma_f64 v[38:39], -v[38:39], v[44:45], v[42:43]
	v_cvt_f64_f32_e32 v[22:23], v48
	s_nop 0
	v_div_fmas_f64 v[38:39], v[38:39], v[40:41], v[44:45]
	v_div_fixup_f64 v[38:39], v[38:39], v[26:27], s[24:25]
	v_add_f64 v[38:39], -v[38:39], s[28:29]
	v_div_scale_f64 v[40:41], s[2:3], v[26:27], v[26:27], v[38:39]
	v_rcp_f64_e32 v[42:43], v[40:41]
	v_cmp_lt_f32_e64 vcc, |v46|, s58
	v_cndmask_b32_e32 v44, v46, v47, vcc
	v_cndmask_b32_e64 v45, 0, v84, s[0:1]
	v_sub_f32_e32 v53, v44, v45
	v_fma_f64 v[44:45], -v[40:41], v[42:43], 1.0
	v_fmac_f64_e32 v[42:43], v[42:43], v[44:45]
	v_fma_f64 v[44:45], -v[40:41], v[42:43], 1.0
	v_fmac_f64_e32 v[42:43], v[42:43], v[44:45]
	v_div_scale_f64 v[44:45], vcc, v[38:39], v[26:27], v[38:39]
	v_mul_f64 v[46:47], v[44:45], v[42:43]
	v_fma_f64 v[40:41], -v[40:41], v[46:47], v[44:45]
	v_add_f64 v[22:23], v[22:23], 0.5
	s_nop 0
	v_div_fmas_f64 v[40:41], v[40:41], v[42:43], v[46:47]
	v_div_fixup_f64 v[26:27], v[40:41], v[26:27], v[38:39]
	v_add_f64 v[26:27], -v[26:27], s[30:31]
	v_cvt_f64_f32_e32 v[38:39], v49
	v_div_scale_f64 v[40:41], s[0:1], v[38:39], v[38:39], v[26:27]
	v_rcp_f64_e32 v[42:43], v[40:41]
	v_cvt_f64_f32_e32 v[44:45], v53
	v_mul_f64 v[22:23], v[22:23], v[44:45]
	v_cmp_gt_f32_e64 s[0:1], s54, v48
	v_fma_f64 v[44:45], -v[40:41], v[42:43], 1.0
	v_fmac_f64_e32 v[42:43], v[42:43], v[44:45]
	v_fma_f64 v[44:45], -v[40:41], v[42:43], 1.0
	v_fmac_f64_e32 v[42:43], v[42:43], v[44:45]
	v_div_scale_f64 v[44:45], vcc, v[26:27], v[38:39], v[26:27]
	v_mul_f64 v[46:47], v[44:45], v[42:43]
	v_fma_f64 v[40:41], -v[40:41], v[46:47], v[44:45]
	s_getpc_b64 s[4:5]
	s_add_u32 s4, s4, _ZZN12_GLOBAL__N_120stirling_approx_tailIfEET_S1_E11kTailValues.const@rel32@lo+4
	s_addc_u32 s5, s5, _ZZN12_GLOBAL__N_120stirling_approx_tailIfEET_S1_E11kTailValues.const@rel32@hi+12
	v_div_fmas_f64 v[40:41], v[40:41], v[42:43], v[46:47]
	v_div_fixup_f64 v[26:27], v[40:41], v[38:39], v[26:27]
	v_cvt_f32_f64_e32 v96, v[26:27]
	v_mul_f32_e32 v26, 0x2f800000, v48
	v_floor_f32_e32 v43, v26
	v_mul_f32_e32 v26, v92, v92
	v_cvt_f64_f32_e32 v[26:27], v26
	v_div_scale_f64 v[38:39], s[2:3], v[26:27], v[26:27], s[24:25]
	v_rcp_f64_e32 v[40:41], v[38:39]
	v_fmac_f32_e32 v48, 0xcf800000, v43
	v_cvt_u32_f32_e32 v42, v48
	v_cvt_u32_f32_e32 v43, v43
	v_fma_f64 v[44:45], -v[38:39], v[40:41], 1.0
	v_fmac_f64_e32 v[40:41], v[40:41], v[44:45]
	v_fma_f64 v[44:45], -v[38:39], v[40:41], 1.0
	v_fmac_f64_e32 v[40:41], v[40:41], v[44:45]
	v_div_scale_f64 v[44:45], vcc, s[24:25], v[26:27], s[24:25]
	v_mul_f64 v[46:47], v[44:45], v[40:41]
	v_fma_f64 v[38:39], -v[38:39], v[46:47], v[44:45]
	v_lshlrev_b64 v[42:43], 2, v[42:43]
	s_nop 0
	v_div_fmas_f64 v[38:39], v[38:39], v[40:41], v[46:47]
	v_div_fixup_f64 v[38:39], v[38:39], v[26:27], s[24:25]
	v_add_f64 v[38:39], -v[38:39], s[28:29]
	v_div_scale_f64 v[40:41], s[2:3], v[26:27], v[26:27], v[38:39]
	v_rcp_f64_e32 v[44:45], v[40:41]
	v_mov_b32_e32 v53, s5
	v_add_f32_e32 v94, v87, v87
	s_mov_b64 s[46:47], 0
	v_fma_f64 v[46:47], -v[40:41], v[44:45], 1.0
	v_fmac_f64_e32 v[44:45], v[44:45], v[46:47]
	v_fma_f64 v[46:47], -v[40:41], v[44:45], 1.0
	v_fmac_f64_e32 v[44:45], v[44:45], v[46:47]
	v_div_scale_f64 v[46:47], vcc, v[38:39], v[26:27], v[38:39]
	v_mul_f64 v[48:49], v[46:47], v[44:45]
	v_fma_f64 v[40:41], -v[40:41], v[48:49], v[46:47]
	s_mov_b64 s[48:49], 0
	s_nop 0
	v_div_fmas_f64 v[40:41], v[40:41], v[44:45], v[48:49]
	v_div_fixup_f64 v[26:27], v[40:41], v[26:27], v[38:39]
	v_add_f64 v[38:39], -v[26:27], s[30:31]
	v_cvt_f64_f32_e32 v[40:41], v92
	v_div_scale_f64 v[44:45], s[2:3], v[40:41], v[40:41], v[38:39]
	v_rcp_f64_e32 v[46:47], v[44:45]
	v_add_co_u32_e32 v26, vcc, s4, v42
	v_addc_co_u32_e32 v27, vcc, v43, v53, vcc
	v_fma_f64 v[42:43], -v[44:45], v[46:47], 1.0
	v_fmac_f64_e32 v[46:47], v[46:47], v[42:43]
	v_fma_f64 v[42:43], -v[44:45], v[46:47], 1.0
	v_fmac_f64_e32 v[46:47], v[46:47], v[42:43]
	v_div_scale_f64 v[42:43], vcc, v[38:39], v[40:41], v[38:39]
	v_mul_f64 v[48:49], v[42:43], v[46:47]
	v_fma_f64 v[42:43], -v[44:45], v[48:49], v[42:43]
	v_trunc_f32_e32 v44, v52
	v_mul_f32_e32 v45, 0x2f800000, v44
	v_floor_f32_e32 v45, v45
	v_fmac_f32_e32 v44, 0xcf800000, v45
	v_cvt_u32_f32_e32 v44, v44
	v_cvt_u32_f32_e32 v45, v45
	v_div_fmas_f64 v[42:43], v[42:43], v[46:47], v[48:49]
	v_div_fixup_f64 v[38:39], v[42:43], v[40:41], v[38:39]
	v_cvt_f32_f64_e32 v97, v[38:39]
	v_lshlrev_b64 v[38:39], 2, v[44:45]
	v_cmp_gt_f32_e64 s[2:3], s54, v52
	v_add_co_u32_e32 v52, vcc, s4, v38
	v_pk_mov_b32 v[44:45], v[36:37], v[36:37] op_sel:[0,1]
	v_addc_co_u32_e32 v53, vcc, v39, v53, vcc
	v_pk_mov_b32 v[42:43], v[34:35], v[34:35] op_sel:[0,1]
	s_branch .LBB103_53
.LBB103_51:                             ;   in Loop: Header=BB103_53 Depth=2
	s_or_b64 exec, exec, s[4:5]
	v_div_scale_f32 v48, s[4:5], v47, v47, v92
	v_rcp_f32_e32 v49, v48
	v_div_scale_f32 v99, vcc, v92, v47, v92
	v_mul_f32_e32 v16, v16, v93
	v_fma_f32 v100, -v48, v49, 1.0
	v_fmac_f32_e32 v49, v100, v49
	v_mul_f32_e32 v100, v99, v49
	v_fma_f32 v101, -v48, v100, v99
	v_fmac_f32_e32 v100, v101, v49
	v_fma_f32 v48, -v48, v100, v99
	v_div_fmas_f32 v48, v48, v49, v100
	v_div_fixup_f32 v48, v48, v47, v92
	v_cmp_gt_f32_e32 vcc, s56, v48
	v_cndmask_b32_e32 v49, 1.0, v83, vcc
	v_mul_f32_e32 v48, v48, v49
	v_log_f32_e32 v48, v48
	v_mul_f32_e32 v47, v90, v47
	v_mul_f32_e32 v49, 0x3f317217, v48
	v_fma_f32 v99, v48, s57, -v49
	v_fmac_f32_e32 v99, 0x3377d1cf, v48
	v_add_f32_e32 v49, v49, v99
	v_cmp_lt_f32_e64 s[4:5], |v48|, s58
	v_cndmask_b32_e64 v48, v48, v49, s[4:5]
	v_div_scale_f32 v99, s[4:5], v44, v44, v47
	v_rcp_f32_e32 v100, v99
	v_cndmask_b32_e32 v49, 0, v84, vcc
	v_sub_f32_e32 v48, v48, v49
	v_mul_f32_e32 v48, v91, v48
	v_fma_f32 v101, -v99, v100, 1.0
	v_fmac_f32_e32 v100, v101, v100
	v_div_scale_f32 v101, vcc, v47, v44, v47
	v_mul_f32_e32 v102, v101, v100
	v_fma_f32 v103, -v99, v102, v101
	v_fmac_f32_e32 v102, v103, v100
	v_fma_f32 v99, -v99, v102, v101
	v_div_fmas_f32 v99, v99, v100, v102
	v_div_fixup_f32 v44, v99, v44, v47
	v_cmp_gt_f32_e32 vcc, s56, v44
	v_cndmask_b32_e32 v47, 1.0, v83, vcc
	v_mul_f32_e32 v44, v44, v47
	v_log_f32_e32 v44, v44
	v_cvt_f64_f32_e32 v[48:49], v48
	v_cvt_f64_f32_e32 v[100:101], v55
	v_add_f64 v[48:49], v[22:23], v[48:49]
	v_mul_f32_e32 v47, 0x3f317217, v44
	v_fma_f32 v99, v44, s57, -v47
	v_fmac_f32_e32 v99, 0x3377d1cf, v44
	v_add_f32_e32 v47, v47, v99
	v_cmp_lt_f32_e64 s[4:5], |v44|, s58
	v_cndmask_b32_e64 v44, v44, v47, s[4:5]
	v_cndmask_b32_e32 v47, 0, v84, vcc
	v_sub_f32_e32 v44, v44, v47
	v_mul_f32_e32 v47, v98, v98
	v_div_scale_f32 v102, s[4:5], v47, v47, v87
	v_rcp_f32_e32 v103, v102
	v_cvt_f64_f32_e32 v[98:99], v44
	v_add_f64 v[100:101], v[100:101], 0.5
	v_fmac_f64_e32 v[48:49], v[100:101], v[98:99]
	v_fma_f32 v44, -v102, v103, 1.0
	v_fmac_f32_e32 v103, v44, v103
	v_div_scale_f32 v44, vcc, v87, v47, v87
	v_mul_f32_e32 v98, v44, v103
	v_fma_f32 v99, -v102, v98, v44
	v_fmac_f32_e32 v98, v99, v103
	v_fma_f32 v44, -v102, v98, v44
	v_div_fmas_f32 v44, v44, v103, v98
	v_div_fixup_f32 v44, v44, v47, v87
	v_add_f32_e32 v44, v44, v54
	v_div_scale_f32 v47, s[4:5], v44, v44, v16
	v_rcp_f32_e32 v100, v47
	s_waitcnt vmcnt(0)
	v_cvt_f64_f32_e32 v[98:99], v42
	v_add_f64 v[48:49], v[48:49], v[98:99]
	v_cvt_f64_f32_e32 v[42:43], v43
	v_fma_f32 v98, -v47, v100, 1.0
	v_fmac_f32_e32 v100, v98, v100
	v_div_scale_f32 v98, vcc, v16, v44, v16
	v_mul_f32_e32 v99, v98, v100
	v_fma_f32 v101, -v47, v99, v98
	v_fmac_f32_e32 v99, v101, v100
	v_fma_f32 v47, -v47, v99, v98
	v_div_fmas_f32 v47, v47, v100, v99
	v_div_fixup_f32 v16, v47, v44, v16
	v_cmp_gt_f32_e32 vcc, s56, v16
	v_cndmask_b32_e32 v44, 1.0, v83, vcc
	v_mul_f32_e32 v16, v16, v44
	v_log_f32_e32 v16, v16
	v_add_f64 v[42:43], v[48:49], v[42:43]
	v_cvt_f64_f32_e32 v[44:45], v45
	v_add_f64 v[42:43], v[42:43], -v[44:45]
	v_mul_f32_e32 v44, 0x3f317217, v16
	v_fma_f32 v45, v16, s57, -v44
	v_fmac_f32_e32 v45, 0x3377d1cf, v16
	v_add_f32_e32 v44, v44, v45
	v_cmp_lt_f32_e64 s[4:5], |v16|, s58
	v_cndmask_b32_e64 v16, v16, v44, s[4:5]
	v_cndmask_b32_e32 v44, 0, v84, vcc
	v_sub_f32_e32 v16, v16, v44
	v_cvt_f64_f32_e32 v[44:45], v46
	v_add_f64 v[42:43], v[42:43], -v[44:45]
	v_cvt_f32_f64_e32 v42, v[42:43]
	v_cmp_le_f32_e32 vcc, v16, v42
	s_orn2_b64 s[4:5], vcc, exec
.LBB103_52:                             ;   in Loop: Header=BB103_53 Depth=2
	s_or_b64 exec, exec, s[48:49]
	s_and_b64 s[4:5], exec, s[4:5]
	v_pk_mov_b32 v[44:45], v[40:41], v[40:41] op_sel:[0,1]
	s_or_b64 s[46:47], s[4:5], s[46:47]
	s_mov_b64 s[48:49], 0
	v_mov_b32_e32 v16, v95
	v_pk_mov_b32 v[42:43], v[38:39], v[38:39] op_sel:[0,1]
	s_andn2_b64 exec, exec, s[46:47]
	s_cbranch_execz .LBB103_71
.LBB103_53:                             ;   Parent Loop BB103_14 Depth=1
                                        ; =>  This Inner Loop Header: Depth=2
	v_add_u32_e32 v99, 1, v16
	v_pk_mov_b32 v[48:49], v[44:45], v[44:45] op_sel:[0,1]
	v_cmp_eq_u32_e32 vcc, 4, v99
	v_pk_mov_b32 v[46:47], v[42:43], v[42:43] op_sel:[0,1]
	s_and_saveexec_b64 s[4:5], vcc
	s_cbranch_execz .LBB103_55
; %bb.54:                               ;   in Loop: Header=BB103_53 Depth=2
	v_add_co_u32_e32 v30, vcc, 1, v30
	v_cndmask_b32_e64 v34, 0, 1, vcc
	v_addc_co_u32_e32 v31, vcc, 0, v31, vcc
	v_cmp_eq_u32_e32 vcc, 0, v31
	v_cndmask_b32_e32 v34, 0, v34, vcc
	v_add_u32_e32 v32, v34, v32
	v_cmp_eq_u32_e32 vcc, 0, v32
	v_cndmask_b32_e32 v34, 0, v34, vcc
	v_add_u32_e32 v33, v34, v33
	v_mad_u64_u32 v[34:35], s[64:65], v30, s52, 0
	v_mad_u64_u32 v[36:37], s[64:65], v32, s53, 0
	v_xor_b32_e32 v37, v37, v50
	v_xor_b32_e32 v35, v35, v51
	v_xor_b32_e32 v37, v31, v37
	v_xor_b32_e32 v35, v33, v35
	v_mad_u64_u32 v[38:39], s[64:65], v37, s52, 0
	v_mad_u64_u32 v[40:41], s[64:65], v35, s53, 0
	v_xor_b32_e32 v35, v41, v36
	v_xor_b32_e32 v34, v39, v34
	v_xor_b32_e32 v35, v65, v35
	v_xor_b32_e32 v36, v66, v34
	;; [unrolled: 6-line block ×9, first 2 shown]
	v_mad_u64_u32 v[38:39], s[64:65], v35, s52, 0
	v_mad_u64_u32 v[40:41], s[64:65], v37, s53, 0
	v_xor_b32_e32 v35, v39, v36
	v_xor_b32_e32 v34, v41, v34
	;; [unrolled: 1-line block ×3, first 2 shown]
	v_mov_b32_e32 v37, v38
	v_xor_b32_e32 v34, v63, v34
	v_mov_b32_e32 v35, v40
	v_pk_mov_b32 v[48:49], v[36:37], v[36:37] op_sel:[0,1]
	v_mov_b32_e32 v99, 0
	v_pk_mov_b32 v[46:47], v[34:35], v[34:35] op_sel:[0,1]
.LBB103_55:                             ;   in Loop: Header=BB103_53 Depth=2
	s_or_b64 exec, exec, s[4:5]
	v_add_u32_e32 v95, 1, v99
	v_pk_mov_b32 v[38:39], v[46:47], v[46:47] op_sel:[0,1]
	v_cmp_eq_u32_e32 vcc, 4, v95
	v_pk_mov_b32 v[40:41], v[48:49], v[48:49] op_sel:[0,1]
	s_and_saveexec_b64 s[4:5], vcc
	s_cbranch_execz .LBB103_57
; %bb.56:                               ;   in Loop: Header=BB103_53 Depth=2
	v_add_co_u32_e32 v30, vcc, 1, v30
	v_cndmask_b32_e64 v34, 0, 1, vcc
	v_addc_co_u32_e32 v31, vcc, 0, v31, vcc
	v_cmp_eq_u32_e32 vcc, 0, v31
	v_cndmask_b32_e32 v34, 0, v34, vcc
	v_add_u32_e32 v32, v34, v32
	v_cmp_eq_u32_e32 vcc, 0, v32
	v_cndmask_b32_e32 v34, 0, v34, vcc
	v_add_u32_e32 v33, v34, v33
	v_mad_u64_u32 v[34:35], s[64:65], v30, s52, 0
	v_mad_u64_u32 v[36:37], s[64:65], v32, s53, 0
	v_xor_b32_e32 v37, v37, v50
	v_xor_b32_e32 v35, v35, v51
	v_xor_b32_e32 v37, v31, v37
	v_xor_b32_e32 v35, v33, v35
	v_mad_u64_u32 v[38:39], s[64:65], v37, s52, 0
	v_mad_u64_u32 v[40:41], s[64:65], v35, s53, 0
	v_xor_b32_e32 v35, v41, v36
	v_xor_b32_e32 v34, v39, v34
	v_xor_b32_e32 v35, v65, v35
	v_xor_b32_e32 v36, v66, v34
	;; [unrolled: 6-line block ×9, first 2 shown]
	v_mad_u64_u32 v[38:39], s[64:65], v35, s52, 0
	v_mad_u64_u32 v[40:41], s[64:65], v37, s53, 0
	v_xor_b32_e32 v35, v39, v36
	v_xor_b32_e32 v34, v41, v34
	;; [unrolled: 1-line block ×3, first 2 shown]
	v_mov_b32_e32 v37, v38
	v_xor_b32_e32 v34, v63, v34
	v_mov_b32_e32 v35, v40
	v_pk_mov_b32 v[40:41], v[36:37], v[36:37] op_sel:[0,1]
	v_mov_b32_e32 v95, 0
	v_pk_mov_b32 v[38:39], v[34:35], v[34:35] op_sel:[0,1]
.LBB103_57:                             ;   in Loop: Header=BB103_53 Depth=2
	s_or_b64 exec, exec, s[4:5]
	v_cmp_eq_u32_e32 vcc, 1, v16
	v_cndmask_b32_e32 v42, v42, v43, vcc
	v_cmp_eq_u32_e32 vcc, 2, v16
	v_cndmask_b32_e32 v42, v42, v44, vcc
	;; [unrolled: 2-line block ×3, first 2 shown]
	v_and_b32_e32 v16, 0xffffff, v16
	v_cvt_f32_u32_e32 v16, v16
	v_fma_f32 v16, v16, s59, -0.5
	v_sub_f32_e64 v98, 0.5, |v16|
	v_div_scale_f32 v42, s[4:5], v98, v98, v94
	v_rcp_f32_e32 v43, v42
	v_div_scale_f32 v44, vcc, v94, v98, v94
	v_fma_f32 v45, -v42, v43, 1.0
	v_fmac_f32_e32 v43, v45, v43
	v_mul_f32_e32 v45, v44, v43
	v_fma_f32 v55, -v42, v45, v44
	v_fmac_f32_e32 v45, v55, v43
	v_fma_f32 v42, -v42, v45, v44
	v_div_fmas_f32 v42, v42, v43, v45
	v_div_fixup_f32 v42, v42, v98, v94
	v_add_f32_e32 v42, v42, v54
	v_fma_f32 v16, v16, v42, v88
	v_floor_f32_e32 v55, v16
	v_cmp_ngt_f32_e32 vcc, 0, v55
	v_cmp_ngt_f32_e64 s[4:5], v55, v28
	s_and_b64 s[4:5], vcc, s[4:5]
	s_and_b64 s[4:5], exec, s[4:5]
	v_pk_mov_b32 v[44:45], v[40:41], v[40:41] op_sel:[0,1]
	s_or_b64 s[48:49], s[4:5], s[48:49]
	v_mov_b32_e32 v16, v95
	v_pk_mov_b32 v[42:43], v[38:39], v[38:39] op_sel:[0,1]
	s_andn2_b64 exec, exec, s[48:49]
	s_cbranch_execnz .LBB103_53
; %bb.58:                               ;   in Loop: Header=BB103_53 Depth=2
	s_or_b64 exec, exec, s[48:49]
	v_cmp_eq_u32_e32 vcc, 1, v99
	v_cndmask_b32_e32 v16, v46, v47, vcc
	v_cmp_eq_u32_e32 vcc, 2, v99
	v_cndmask_b32_e32 v16, v16, v48, vcc
	;; [unrolled: 2-line block ×3, first 2 shown]
	v_and_b32_e32 v16, 0xffffff, v16
	v_cvt_f32_u32_e32 v16, v16
	v_cvt_f64_f32_e32 v[42:43], v98
	v_cmp_nle_f64_e32 vcc, s[34:35], v[42:43]
	v_mul_f32_e32 v16, 0x33800000, v16
	v_cmp_nle_f32_e64 s[4:5], v16, v89
	s_or_b64 s[64:65], vcc, s[4:5]
	s_mov_b64 s[4:5], -1
	s_and_saveexec_b64 s[48:49], s[64:65]
	s_cbranch_execz .LBB103_52
; %bb.59:                               ;   in Loop: Header=BB103_53 Depth=2
	v_mov_b32_e32 v42, v96
	s_and_saveexec_b64 s[4:5], s[0:1]
	s_cbranch_execz .LBB103_61
; %bb.60:                               ;   in Loop: Header=BB103_53 Depth=2
	global_load_dword v42, v[26:27], off
.LBB103_61:                             ;   in Loop: Header=BB103_53 Depth=2
	s_or_b64 exec, exec, s[4:5]
	v_mov_b32_e32 v43, v97
	s_and_saveexec_b64 s[4:5], s[2:3]
	s_cbranch_execz .LBB103_63
; %bb.62:                               ;   in Loop: Header=BB103_53 Depth=2
	global_load_dword v43, v[52:53], off
.LBB103_63:                             ;   in Loop: Header=BB103_53 Depth=2
	s_or_b64 exec, exec, s[4:5]
	v_add_f32_e32 v44, 1.0, v55
	v_cmp_ngt_f32_e32 vcc, s54, v55
                                        ; implicit-def: $vgpr45
	s_and_saveexec_b64 s[4:5], vcc
	s_xor_b64 s[4:5], exec, s[4:5]
	s_cbranch_execz .LBB103_65
; %bb.64:                               ;   in Loop: Header=BB103_53 Depth=2
	v_mul_f32_e32 v45, v44, v44
	v_cvt_f64_f32_e32 v[46:47], v45
	v_div_scale_f64 v[48:49], s[64:65], v[46:47], v[46:47], s[26:27]
	v_rcp_f64_e32 v[100:101], v[48:49]
	v_div_scale_f64 v[102:103], vcc, s[26:27], v[46:47], s[26:27]
	v_fma_f64 v[104:105], -v[48:49], v[100:101], 1.0
	v_fmac_f64_e32 v[100:101], v[100:101], v[104:105]
	v_fma_f64 v[104:105], -v[48:49], v[100:101], 1.0
	v_fmac_f64_e32 v[100:101], v[100:101], v[104:105]
	v_mul_f64 v[104:105], v[102:103], v[100:101]
	v_fma_f64 v[48:49], -v[48:49], v[104:105], v[102:103]
	v_div_fmas_f64 v[48:49], v[48:49], v[100:101], v[104:105]
	v_div_fixup_f64 v[48:49], v[48:49], v[46:47], s[26:27]
	v_add_f64 v[48:49], v[48:49], s[28:29]
	v_div_scale_f64 v[100:101], s[64:65], v[46:47], v[46:47], v[48:49]
	v_rcp_f64_e32 v[102:103], v[100:101]
	v_fma_f64 v[104:105], -v[100:101], v[102:103], 1.0
	v_fmac_f64_e32 v[102:103], v[102:103], v[104:105]
	v_fma_f64 v[104:105], -v[100:101], v[102:103], 1.0
	v_fmac_f64_e32 v[102:103], v[102:103], v[104:105]
	v_div_scale_f64 v[104:105], vcc, v[48:49], v[46:47], v[48:49]
	v_mul_f64 v[106:107], v[104:105], v[102:103]
	v_fma_f64 v[100:101], -v[100:101], v[106:107], v[104:105]
	s_nop 1
	v_div_fmas_f64 v[100:101], v[100:101], v[102:103], v[106:107]
	v_div_fixup_f64 v[46:47], v[100:101], v[46:47], v[48:49]
	v_add_f64 v[46:47], -v[46:47], s[30:31]
	v_cvt_f64_f32_e32 v[48:49], v44
	v_div_scale_f64 v[100:101], s[64:65], v[48:49], v[48:49], v[46:47]
	v_rcp_f64_e32 v[102:103], v[100:101]
	v_fma_f64 v[104:105], -v[100:101], v[102:103], 1.0
	v_fmac_f64_e32 v[102:103], v[102:103], v[104:105]
	v_fma_f64 v[104:105], -v[100:101], v[102:103], 1.0
	v_fmac_f64_e32 v[102:103], v[102:103], v[104:105]
	v_div_scale_f64 v[104:105], vcc, v[46:47], v[48:49], v[46:47]
	v_mul_f64 v[106:107], v[104:105], v[102:103]
	v_fma_f64 v[100:101], -v[100:101], v[106:107], v[104:105]
	s_nop 1
	v_div_fmas_f64 v[100:101], v[100:101], v[102:103], v[106:107]
	v_div_fixup_f64 v[46:47], v[100:101], v[48:49], v[46:47]
	v_cvt_f32_f64_e32 v45, v[46:47]
.LBB103_65:                             ;   in Loop: Header=BB103_53 Depth=2
	s_andn2_saveexec_b64 s[4:5], s[4:5]
	s_cbranch_execz .LBB103_67
; %bb.66:                               ;   in Loop: Header=BB103_53 Depth=2
	v_trunc_f32_e32 v45, v55
	v_mul_f32_e32 v46, 0x2f800000, v45
	v_floor_f32_e32 v46, v46
	v_fmac_f32_e32 v45, 0xcf800000, v46
	v_cvt_u32_f32_e32 v47, v46
	v_cvt_u32_f32_e32 v46, v45
	s_getpc_b64 s[64:65]
	s_add_u32 s64, s64, _ZZN12_GLOBAL__N_120stirling_approx_tailIfEET_S1_E11kTailValues.const@rel32@lo+4
	s_addc_u32 s65, s65, _ZZN12_GLOBAL__N_120stirling_approx_tailIfEET_S1_E11kTailValues.const@rel32@hi+12
	v_mov_b32_e32 v45, s65
	v_lshlrev_b64 v[46:47], 2, v[46:47]
	v_add_co_u32_e32 v46, vcc, s64, v46
	v_addc_co_u32_e32 v47, vcc, v47, v45, vcc
	global_load_dword v45, v[46:47], off
.LBB103_67:                             ;   in Loop: Header=BB103_53 Depth=2
	s_or_b64 exec, exec, s[4:5]
	v_sub_f32_e32 v48, v28, v55
	v_add_f32_e32 v47, 1.0, v48
	v_cmp_ngt_f32_e32 vcc, s54, v48
                                        ; implicit-def: $vgpr46
	s_and_saveexec_b64 s[4:5], vcc
	s_xor_b64 s[4:5], exec, s[4:5]
	s_cbranch_execz .LBB103_69
; %bb.68:                               ;   in Loop: Header=BB103_53 Depth=2
	v_mul_f32_e32 v46, v47, v47
	v_cvt_f64_f32_e32 v[48:49], v46
	v_div_scale_f64 v[100:101], s[64:65], v[48:49], v[48:49], s[26:27]
	v_rcp_f64_e32 v[102:103], v[100:101]
	v_div_scale_f64 v[104:105], vcc, s[26:27], v[48:49], s[26:27]
	v_fma_f64 v[106:107], -v[100:101], v[102:103], 1.0
	v_fmac_f64_e32 v[102:103], v[102:103], v[106:107]
	v_fma_f64 v[106:107], -v[100:101], v[102:103], 1.0
	v_fmac_f64_e32 v[102:103], v[102:103], v[106:107]
	v_mul_f64 v[106:107], v[104:105], v[102:103]
	v_fma_f64 v[100:101], -v[100:101], v[106:107], v[104:105]
	v_div_fmas_f64 v[100:101], v[100:101], v[102:103], v[106:107]
	v_div_fixup_f64 v[100:101], v[100:101], v[48:49], s[26:27]
	v_add_f64 v[100:101], v[100:101], s[28:29]
	v_div_scale_f64 v[102:103], s[64:65], v[48:49], v[48:49], v[100:101]
	v_rcp_f64_e32 v[104:105], v[102:103]
	v_fma_f64 v[106:107], -v[102:103], v[104:105], 1.0
	v_fmac_f64_e32 v[104:105], v[104:105], v[106:107]
	v_fma_f64 v[106:107], -v[102:103], v[104:105], 1.0
	v_fmac_f64_e32 v[104:105], v[104:105], v[106:107]
	v_div_scale_f64 v[106:107], vcc, v[100:101], v[48:49], v[100:101]
	v_mul_f64 v[108:109], v[106:107], v[104:105]
	v_fma_f64 v[102:103], -v[102:103], v[108:109], v[106:107]
	s_nop 1
	v_div_fmas_f64 v[102:103], v[102:103], v[104:105], v[108:109]
	v_div_fixup_f64 v[48:49], v[102:103], v[48:49], v[100:101]
	v_add_f64 v[48:49], -v[48:49], s[30:31]
	v_cvt_f64_f32_e32 v[100:101], v47
	v_div_scale_f64 v[102:103], s[64:65], v[100:101], v[100:101], v[48:49]
	v_rcp_f64_e32 v[104:105], v[102:103]
	v_fma_f64 v[106:107], -v[102:103], v[104:105], 1.0
	v_fmac_f64_e32 v[104:105], v[104:105], v[106:107]
	v_fma_f64 v[106:107], -v[102:103], v[104:105], 1.0
	v_fmac_f64_e32 v[104:105], v[104:105], v[106:107]
	v_div_scale_f64 v[106:107], vcc, v[48:49], v[100:101], v[48:49]
	v_mul_f64 v[108:109], v[106:107], v[104:105]
	v_fma_f64 v[102:103], -v[102:103], v[108:109], v[106:107]
	s_nop 1
	v_div_fmas_f64 v[102:103], v[102:103], v[104:105], v[108:109]
	v_div_fixup_f64 v[48:49], v[102:103], v[100:101], v[48:49]
	v_cvt_f32_f64_e32 v46, v[48:49]
                                        ; implicit-def: $vgpr48
.LBB103_69:                             ;   in Loop: Header=BB103_53 Depth=2
	s_andn2_saveexec_b64 s[4:5], s[4:5]
	s_cbranch_execz .LBB103_51
; %bb.70:                               ;   in Loop: Header=BB103_53 Depth=2
	v_trunc_f32_e32 v46, v48
	v_mul_f32_e32 v48, 0x2f800000, v46
	v_floor_f32_e32 v48, v48
	v_fmac_f32_e32 v46, 0xcf800000, v48
	v_cvt_u32_f32_e32 v49, v48
	v_cvt_u32_f32_e32 v48, v46
	s_getpc_b64 s[64:65]
	s_add_u32 s64, s64, _ZZN12_GLOBAL__N_120stirling_approx_tailIfEET_S1_E11kTailValues.const@rel32@lo+4
	s_addc_u32 s65, s65, _ZZN12_GLOBAL__N_120stirling_approx_tailIfEET_S1_E11kTailValues.const@rel32@hi+12
	v_mov_b32_e32 v46, s65
	v_lshlrev_b64 v[48:49], 2, v[48:49]
	v_add_co_u32_e32 v48, vcc, s64, v48
	v_addc_co_u32_e32 v49, vcc, v49, v46, vcc
	global_load_dword v46, v[48:49], off
	s_branch .LBB103_51
.LBB103_71:                             ;   in Loop: Header=BB103_14 Depth=1
	s_or_b64 exec, exec, s[46:47]
                                        ; implicit-def: $vgpr16
                                        ; implicit-def: $vgpr23
                                        ; implicit-def: $vgpr22
.LBB103_72:                             ;   in Loop: Header=BB103_14 Depth=1
	s_andn2_saveexec_b64 s[0:1], s[44:45]
	s_cbranch_execz .LBB103_9
; %bb.73:                               ;   in Loop: Header=BB103_14 Depth=1
	v_add_f32_e32 v26, -1.0, v23
	v_sub_f32_e32 v27, v26, v23
	v_add_f32_e32 v27, 1.0, v27
	v_sub_f32_e64 v26, -v22, v26
	v_add_f32_e32 v38, v26, v27
	v_frexp_mant_f32_e32 v39, v23
	v_cvt_f64_f32_e32 v[26:27], v23
	v_frexp_exp_i32_f64_e32 v26, v[26:27]
	v_cmp_gt_f32_e32 vcc, s60, v39
	v_subbrev_co_u32_e32 v26, vcc, 0, v26, vcc
	v_sub_u32_e32 v27, 0, v26
	v_ldexp_f32 v23, v23, v27
	v_ldexp_f32 v27, v38, v27
	v_add_f32_e32 v38, -1.0, v23
	v_add_f32_e32 v41, 1.0, v23
	v_add_f32_e32 v39, 1.0, v38
	v_add_f32_e32 v42, -1.0, v41
	v_sub_f32_e32 v39, v23, v39
	v_sub_f32_e32 v23, v23, v42
	v_add_f32_e32 v23, v27, v23
	v_add_f32_e32 v39, v27, v39
	;; [unrolled: 1-line block ×3, first 2 shown]
	v_rcp_f32_e32 v42, v27
	v_add_f32_e32 v40, v38, v39
	v_sub_f32_e32 v38, v40, v38
	v_sub_f32_e32 v38, v39, v38
	;; [unrolled: 1-line block ×4, first 2 shown]
	v_mul_f32_e32 v39, v40, v42
	v_mul_f32_e32 v41, v27, v39
	v_fma_f32 v43, v39, v27, -v41
	v_fmac_f32_e32 v43, v39, v23
	v_add_f32_e32 v44, v41, v43
	v_sub_f32_e32 v45, v40, v44
	v_sub_f32_e32 v40, v40, v45
	;; [unrolled: 1-line block ×4, first 2 shown]
	v_add_f32_e32 v38, v38, v40
	v_sub_f32_e32 v40, v41, v43
	v_add_f32_e32 v38, v40, v38
	v_add_f32_e32 v40, v45, v38
	v_mul_f32_e32 v41, v42, v40
	v_mul_f32_e32 v43, v27, v41
	v_fma_f32 v27, v41, v27, -v43
	v_fmac_f32_e32 v27, v41, v23
	v_sub_f32_e32 v23, v45, v40
	v_add_f32_e32 v23, v38, v23
	v_add_f32_e32 v38, v43, v27
	v_sub_f32_e32 v44, v40, v38
	v_sub_f32_e32 v40, v40, v44
	;; [unrolled: 1-line block ×4, first 2 shown]
	v_add_f32_e32 v23, v23, v38
	v_sub_f32_e32 v27, v43, v27
	v_cvt_f32_i32_e32 v26, v26
	v_add_f32_e32 v23, v27, v23
	v_add_f32_e32 v27, v39, v41
	;; [unrolled: 1-line block ×3, first 2 shown]
	v_sub_f32_e32 v38, v27, v39
	v_mul_f32_e32 v23, v42, v23
	v_sub_f32_e32 v38, v41, v38
	v_add_f32_e32 v23, v38, v23
	v_mul_f32_e32 v41, 0x3f317218, v26
	v_add_f32_e32 v38, v27, v23
	v_fma_f32 v42, v26, s61, -v41
	v_mul_f32_e32 v39, v38, v38
	v_mov_b32_e32 v40, 0x3ecc95a3
	v_fmac_f32_e32 v42, 0xb102e308, v26
	v_sub_f32_e32 v26, v38, v27
	v_fmac_f32_e32 v40, 0x3e9b6dac, v39
	v_sub_f32_e32 v23, v23, v26
	v_add_f32_e32 v26, v41, v42
	v_fma_f32 v40, v39, v40, v82
	v_sub_f32_e32 v27, v26, v41
	v_ldexp_f32 v41, v38, 1
	v_mul_f32_e32 v38, v38, v39
	v_mul_f32_e32 v38, v38, v40
	v_add_f32_e32 v39, v41, v38
	v_sub_f32_e32 v40, v39, v41
	v_ldexp_f32 v23, v23, 1
	v_sub_f32_e32 v38, v38, v40
	v_add_f32_e32 v23, v23, v38
	v_add_f32_e32 v38, v39, v23
	v_sub_f32_e32 v39, v38, v39
	v_sub_f32_e32 v23, v23, v39
	v_add_f32_e32 v39, v26, v38
	v_sub_f32_e32 v40, v39, v26
	v_sub_f32_e32 v41, v39, v40
	;; [unrolled: 1-line block ×5, first 2 shown]
	v_add_f32_e32 v26, v38, v26
	v_add_f32_e32 v38, v27, v23
	v_sub_f32_e32 v40, v38, v27
	v_sub_f32_e32 v41, v38, v40
	;; [unrolled: 1-line block ×4, first 2 shown]
	v_add_f32_e32 v26, v38, v26
	v_add_f32_e32 v23, v23, v27
	;; [unrolled: 1-line block ×3, first 2 shown]
	v_sub_f32_e32 v38, v27, v39
	v_sub_f32_e32 v26, v26, v38
	v_add_f32_e32 v23, v23, v26
	v_add_f32_e32 v23, v27, v23
	v_cmp_eq_f32_e32 vcc, s62, v22
	v_cndmask_b32_e64 v23, v23, -v22, vcc
	v_cmp_nlt_f32_e32 vcc, 1.0, v22
	v_cndmask_b32_e32 v23, v85, v23, vcc
	v_cmp_neq_f32_e32 vcc, 1.0, v22
	v_cndmask_b32_e32 v23, v86, v23, vcc
	v_cmp_lt_f32_e64 s[2:3], |v22|, s59
	v_mov_b32_e32 v54, 0
	v_pk_mov_b32 v[40:41], v[36:37], v[36:37] op_sel:[0,1]
	v_cndmask_b32_e64 v26, v23, -v22, s[2:3]
	s_mov_b64 s[2:3], 0
	v_pk_mov_b32 v[38:39], v[34:35], v[34:35] op_sel:[0,1]
	v_mov_b32_e32 v23, v54
	s_branch .LBB103_75
.LBB103_74:                             ;   in Loop: Header=BB103_75 Depth=2
	s_or_b64 exec, exec, s[4:5]
	v_cmp_eq_u32_e32 vcc, 1, v16
	v_cndmask_b32_e32 v22, v38, v39, vcc
	v_cmp_eq_u32_e32 vcc, 2, v16
	v_cndmask_b32_e32 v22, v22, v40, vcc
	;; [unrolled: 2-line block ×3, first 2 shown]
	v_and_b32_e32 v16, 0xffffff, v16
	v_cvt_f32_u32_e32 v16, v16
	v_mul_f32_e32 v16, 0x33800000, v16
	v_cmp_gt_f32_e32 vcc, s56, v16
	v_cndmask_b32_e32 v22, 1.0, v83, vcc
	v_mul_f32_e32 v16, v16, v22
	v_log_f32_e32 v16, v16
	v_cndmask_b32_e32 v22, 0, v84, vcc
	v_mul_f32_e32 v23, 0x3f317217, v16
	v_fma_f32 v27, v16, s57, -v23
	v_fmac_f32_e32 v27, 0x3377d1cf, v16
	v_add_f32_e32 v23, v23, v27
	v_cmp_lt_f32_e64 vcc, |v16|, s58
	v_cndmask_b32_e32 v16, v16, v23, vcc
	v_sub_f32_e32 v16, v16, v22
	v_div_scale_f32 v22, s[4:5], v26, v26, v16
	v_rcp_f32_e32 v23, v22
	v_div_scale_f32 v27, vcc, v16, v26, v16
	v_fma_f32 v38, -v22, v23, 1.0
	v_fmac_f32_e32 v23, v38, v23
	v_mul_f32_e32 v38, v27, v23
	v_fma_f32 v39, -v22, v38, v27
	v_fmac_f32_e32 v38, v39, v23
	v_fma_f32 v22, -v22, v38, v27
	v_div_fmas_f32 v22, v22, v23, v38
	v_div_fixup_f32 v16, v22, v26, v16
	v_ceil_f32_e32 v16, v16
	v_pk_add_f32 v[22:23], v[54:55], v[16:17]
	v_cmp_gt_f32_e32 vcc, v22, v28
	v_pk_mov_b32 v[40:41], v[36:37], v[36:37] op_sel:[0,1]
	s_or_b64 s[2:3], vcc, s[2:3]
	v_mov_b32_e32 v16, v95
	v_pk_mov_b32 v[38:39], v[34:35], v[34:35] op_sel:[0,1]
	v_mov_b32_e32 v54, v22
	s_andn2_b64 exec, exec, s[2:3]
	s_cbranch_execz .LBB103_8
.LBB103_75:                             ;   Parent Loop BB103_14 Depth=1
                                        ; =>  This Inner Loop Header: Depth=2
	v_add_u32_e32 v95, 1, v16
	v_mov_b32_e32 v55, v23
	v_cmp_eq_u32_e32 vcc, 4, v95
	s_and_saveexec_b64 s[4:5], vcc
	s_cbranch_execz .LBB103_74
; %bb.76:                               ;   in Loop: Header=BB103_75 Depth=2
	v_add_co_u32_e32 v30, vcc, 1, v30
	v_cndmask_b32_e64 v22, 0, 1, vcc
	v_addc_co_u32_e32 v31, vcc, 0, v31, vcc
	v_cmp_eq_u32_e32 vcc, 0, v31
	v_cndmask_b32_e32 v22, 0, v22, vcc
	v_add_u32_e32 v32, v22, v32
	v_cmp_eq_u32_e32 vcc, 0, v32
	v_cndmask_b32_e32 v22, 0, v22, vcc
	v_add_u32_e32 v33, v22, v33
	v_mad_u64_u32 v[22:23], s[44:45], v30, s52, 0
	v_mad_u64_u32 v[34:35], s[44:45], v32, s53, 0
	v_xor_b32_e32 v27, v35, v50
	v_xor_b32_e32 v23, v23, v51
	v_xor_b32_e32 v27, v31, v27
	v_xor_b32_e32 v23, v33, v23
	v_mad_u64_u32 v[36:37], s[44:45], v27, s52, 0
	v_mad_u64_u32 v[42:43], s[44:45], v23, s53, 0
	v_xor_b32_e32 v23, v1, v43
	v_xor_b32_e32 v27, v4, v37
	v_xor_b32_e32 v23, v23, v34
	v_xor_b32_e32 v27, v27, v22
	;; [unrolled: 6-line block ×9, first 2 shown]
	v_mad_u64_u32 v[42:43], s[44:45], v27, s52, 0
	v_mad_u64_u32 v[44:45], s[44:45], v23, s53, 0
	v_xor_b32_e32 v23, v45, v34
	v_xor_b32_e32 v22, v43, v22
	v_mov_b32_e32 v95, 0
	v_xor_b32_e32 v34, v63, v23
	v_xor_b32_e32 v36, v64, v22
	v_mov_b32_e32 v35, v44
	v_mov_b32_e32 v37, v42
	s_branch .LBB103_74
.LBB103_77:
	s_endpgm
	.section	.rodata,"a",@progbits
	.p2align	6, 0x0
	.amdhsa_kernel _ZN2at6native12_GLOBAL__N_138distribution_binary_elementwise_kernelIZN12_GLOBAL__N_120binomial_cuda_kernelIfEEvRNS_18TensorIteratorBaseENS_15PhiloxCudaStateEEUlR25hiprandStatePhilox4_32_10ffE_23TrivialOffsetCalculatorILi2EjESB_ILi1EjEEEviT_S7_PN15function_traitsISE_E11result_typeEPKNSG_3argILi1EE4typeEPKNSJ_ILi2EE4typeET0_T1_
		.amdhsa_group_segment_fixed_size 0
		.amdhsa_private_segment_fixed_size 0
		.amdhsa_kernarg_size 328
		.amdhsa_user_sgpr_count 6
		.amdhsa_user_sgpr_private_segment_buffer 1
		.amdhsa_user_sgpr_dispatch_ptr 0
		.amdhsa_user_sgpr_queue_ptr 0
		.amdhsa_user_sgpr_kernarg_segment_ptr 1
		.amdhsa_user_sgpr_dispatch_id 0
		.amdhsa_user_sgpr_flat_scratch_init 0
		.amdhsa_user_sgpr_kernarg_preload_length 0
		.amdhsa_user_sgpr_kernarg_preload_offset 0
		.amdhsa_user_sgpr_private_segment_size 0
		.amdhsa_uses_dynamic_stack 0
		.amdhsa_system_sgpr_private_segment_wavefront_offset 0
		.amdhsa_system_sgpr_workgroup_id_x 1
		.amdhsa_system_sgpr_workgroup_id_y 0
		.amdhsa_system_sgpr_workgroup_id_z 0
		.amdhsa_system_sgpr_workgroup_info 0
		.amdhsa_system_vgpr_workitem_id 0
		.amdhsa_next_free_vgpr 110
		.amdhsa_next_free_sgpr 66
		.amdhsa_accum_offset 112
		.amdhsa_reserve_vcc 1
		.amdhsa_reserve_flat_scratch 0
		.amdhsa_float_round_mode_32 0
		.amdhsa_float_round_mode_16_64 0
		.amdhsa_float_denorm_mode_32 3
		.amdhsa_float_denorm_mode_16_64 3
		.amdhsa_dx10_clamp 1
		.amdhsa_ieee_mode 1
		.amdhsa_fp16_overflow 0
		.amdhsa_tg_split 0
		.amdhsa_exception_fp_ieee_invalid_op 0
		.amdhsa_exception_fp_denorm_src 0
		.amdhsa_exception_fp_ieee_div_zero 0
		.amdhsa_exception_fp_ieee_overflow 0
		.amdhsa_exception_fp_ieee_underflow 0
		.amdhsa_exception_fp_ieee_inexact 0
		.amdhsa_exception_int_div_zero 0
	.end_amdhsa_kernel
	.section	.text._ZN2at6native12_GLOBAL__N_138distribution_binary_elementwise_kernelIZN12_GLOBAL__N_120binomial_cuda_kernelIfEEvRNS_18TensorIteratorBaseENS_15PhiloxCudaStateEEUlR25hiprandStatePhilox4_32_10ffE_23TrivialOffsetCalculatorILi2EjESB_ILi1EjEEEviT_S7_PN15function_traitsISE_E11result_typeEPKNSG_3argILi1EE4typeEPKNSJ_ILi2EE4typeET0_T1_,"axG",@progbits,_ZN2at6native12_GLOBAL__N_138distribution_binary_elementwise_kernelIZN12_GLOBAL__N_120binomial_cuda_kernelIfEEvRNS_18TensorIteratorBaseENS_15PhiloxCudaStateEEUlR25hiprandStatePhilox4_32_10ffE_23TrivialOffsetCalculatorILi2EjESB_ILi1EjEEEviT_S7_PN15function_traitsISE_E11result_typeEPKNSG_3argILi1EE4typeEPKNSJ_ILi2EE4typeET0_T1_,comdat
.Lfunc_end103:
	.size	_ZN2at6native12_GLOBAL__N_138distribution_binary_elementwise_kernelIZN12_GLOBAL__N_120binomial_cuda_kernelIfEEvRNS_18TensorIteratorBaseENS_15PhiloxCudaStateEEUlR25hiprandStatePhilox4_32_10ffE_23TrivialOffsetCalculatorILi2EjESB_ILi1EjEEEviT_S7_PN15function_traitsISE_E11result_typeEPKNSG_3argILi1EE4typeEPKNSJ_ILi2EE4typeET0_T1_, .Lfunc_end103-_ZN2at6native12_GLOBAL__N_138distribution_binary_elementwise_kernelIZN12_GLOBAL__N_120binomial_cuda_kernelIfEEvRNS_18TensorIteratorBaseENS_15PhiloxCudaStateEEUlR25hiprandStatePhilox4_32_10ffE_23TrivialOffsetCalculatorILi2EjESB_ILi1EjEEEviT_S7_PN15function_traitsISE_E11result_typeEPKNSG_3argILi1EE4typeEPKNSJ_ILi2EE4typeET0_T1_
                                        ; -- End function
	.section	.AMDGPU.csdata,"",@progbits
; Kernel info:
; codeLenInByte = 12032
; NumSgprs: 70
; NumVgprs: 110
; NumAgprs: 0
; TotalNumVgprs: 110
; ScratchSize: 0
; MemoryBound: 0
; FloatMode: 240
; IeeeMode: 1
; LDSByteSize: 0 bytes/workgroup (compile time only)
; SGPRBlocks: 8
; VGPRBlocks: 13
; NumSGPRsForWavesPerEU: 70
; NumVGPRsForWavesPerEU: 110
; AccumOffset: 112
; Occupancy: 4
; WaveLimiterHint : 0
; COMPUTE_PGM_RSRC2:SCRATCH_EN: 0
; COMPUTE_PGM_RSRC2:USER_SGPR: 6
; COMPUTE_PGM_RSRC2:TRAP_HANDLER: 0
; COMPUTE_PGM_RSRC2:TGID_X_EN: 1
; COMPUTE_PGM_RSRC2:TGID_Y_EN: 0
; COMPUTE_PGM_RSRC2:TGID_Z_EN: 0
; COMPUTE_PGM_RSRC2:TIDIG_COMP_CNT: 0
; COMPUTE_PGM_RSRC3_GFX90A:ACCUM_OFFSET: 27
; COMPUTE_PGM_RSRC3_GFX90A:TG_SPLIT: 0
	.section	.text._ZN2at6native12_GLOBAL__N_138distribution_binary_elementwise_kernelIZN12_GLOBAL__N_120binomial_cuda_kernelIfEEvRNS_18TensorIteratorBaseENS_15PhiloxCudaStateEEUlR25hiprandStatePhilox4_32_10ffE_16OffsetCalculatorILi2EjLb0EESB_ILi1EjLb0EEEEviT_S7_PN15function_traitsISE_E11result_typeEPKNSG_3argILi1EE4typeEPKNSJ_ILi2EE4typeET0_T1_,"axG",@progbits,_ZN2at6native12_GLOBAL__N_138distribution_binary_elementwise_kernelIZN12_GLOBAL__N_120binomial_cuda_kernelIfEEvRNS_18TensorIteratorBaseENS_15PhiloxCudaStateEEUlR25hiprandStatePhilox4_32_10ffE_16OffsetCalculatorILi2EjLb0EESB_ILi1EjLb0EEEEviT_S7_PN15function_traitsISE_E11result_typeEPKNSG_3argILi1EE4typeEPKNSJ_ILi2EE4typeET0_T1_,comdat
	.globl	_ZN2at6native12_GLOBAL__N_138distribution_binary_elementwise_kernelIZN12_GLOBAL__N_120binomial_cuda_kernelIfEEvRNS_18TensorIteratorBaseENS_15PhiloxCudaStateEEUlR25hiprandStatePhilox4_32_10ffE_16OffsetCalculatorILi2EjLb0EESB_ILi1EjLb0EEEEviT_S7_PN15function_traitsISE_E11result_typeEPKNSG_3argILi1EE4typeEPKNSJ_ILi2EE4typeET0_T1_ ; -- Begin function _ZN2at6native12_GLOBAL__N_138distribution_binary_elementwise_kernelIZN12_GLOBAL__N_120binomial_cuda_kernelIfEEvRNS_18TensorIteratorBaseENS_15PhiloxCudaStateEEUlR25hiprandStatePhilox4_32_10ffE_16OffsetCalculatorILi2EjLb0EESB_ILi1EjLb0EEEEviT_S7_PN15function_traitsISE_E11result_typeEPKNSG_3argILi1EE4typeEPKNSJ_ILi2EE4typeET0_T1_
	.p2align	8
	.type	_ZN2at6native12_GLOBAL__N_138distribution_binary_elementwise_kernelIZN12_GLOBAL__N_120binomial_cuda_kernelIfEEvRNS_18TensorIteratorBaseENS_15PhiloxCudaStateEEUlR25hiprandStatePhilox4_32_10ffE_16OffsetCalculatorILi2EjLb0EESB_ILi1EjLb0EEEEviT_S7_PN15function_traitsISE_E11result_typeEPKNSG_3argILi1EE4typeEPKNSJ_ILi2EE4typeET0_T1_,@function
_ZN2at6native12_GLOBAL__N_138distribution_binary_elementwise_kernelIZN12_GLOBAL__N_120binomial_cuda_kernelIfEEvRNS_18TensorIteratorBaseENS_15PhiloxCudaStateEEUlR25hiprandStatePhilox4_32_10ffE_16OffsetCalculatorILi2EjLb0EESB_ILi1EjLb0EEEEviT_S7_PN15function_traitsISE_E11result_typeEPKNSG_3argILi1EE4typeEPKNSJ_ILi2EE4typeET0_T1_: ; @_ZN2at6native12_GLOBAL__N_138distribution_binary_elementwise_kernelIZN12_GLOBAL__N_120binomial_cuda_kernelIfEEvRNS_18TensorIteratorBaseENS_15PhiloxCudaStateEEUlR25hiprandStatePhilox4_32_10ffE_16OffsetCalculatorILi2EjLb0EESB_ILi1EjLb0EEEEviT_S7_PN15function_traitsISE_E11result_typeEPKNSG_3argILi1EE4typeEPKNSJ_ILi2EE4typeET0_T1_
; %bb.0:
	s_load_dword s7, s[4:5], 0x20
	s_load_dwordx4 s[0:3], s[4:5], 0x8
	s_waitcnt lgkmcnt(0)
	s_bitcmp0_b32 s7, 0
	v_pk_mov_b32 v[26:27], s[2:3], s[2:3] op_sel:[0,1]
	v_pk_mov_b32 v[50:51], s[0:1], s[0:1] op_sel:[0,1]
	s_cbranch_scc1 .LBB104_2
; %bb.1:
	v_pk_mov_b32 v[2:3], s[2:3], s[2:3] op_sel:[0,1]
	flat_load_dwordx2 v[2:3], v[2:3]
	v_pk_mov_b32 v[4:5], s[0:1], s[0:1] op_sel:[0,1]
	flat_load_dwordx2 v[50:51], v[4:5]
	s_load_dwordx2 s[0:1], s[4:5], 0x18
	s_waitcnt lgkmcnt(0)
	v_mov_b32_e32 v1, s1
	s_waitcnt vmcnt(0)
	v_add_co_u32_e32 v26, vcc, s0, v2
	v_addc_co_u32_e32 v27, vcc, v3, v1, vcc
.LBB104_2:
	s_load_dword s0, s[4:5], 0x0
	s_load_dwordx4 s[28:31], s[4:5], 0x28
	s_load_dwordx2 s[34:35], s[4:5], 0x38
	s_load_dword s7, s[4:5], 0x294
	s_lshl_b32 s33, s6, 10
	s_waitcnt lgkmcnt(0)
	s_sub_i32 s0, s0, s33
	s_min_i32 s74, s0, 0x400
	v_cmp_gt_i32_e64 s[0:1], s0, v0
                                        ; implicit-def: $vgpr5
                                        ; implicit-def: $vgpr7
	s_and_saveexec_b64 s[52:53], s[0:1]
                                        ; implicit-def: $vgpr12_vgpr13_vgpr14_vgpr15
                                        ; implicit-def: $vgpr20_vgpr21_vgpr22_vgpr23
                                        ; implicit-def: $vgpr8_vgpr9_vgpr10_vgpr11
                                        ; implicit-def: $vgpr14_vgpr15_vgpr16_vgpr17
                                        ; implicit-def: $vgpr22_vgpr23_vgpr24_vgpr25
                                        ; implicit-def: $vgpr16_vgpr17_vgpr18_vgpr19
	s_cbranch_execz .LBB104_20
; %bb.3:
	s_load_dwordx8 s[20:27], s[4:5], 0x40
	s_add_u32 s54, s4, 64
	s_addc_u32 s55, s5, 0
	s_load_dwordx4 s[44:47], s[4:5], 0x104
	s_waitcnt lgkmcnt(0)
	s_mov_b32 s27, 0
	s_add_i32 s10, s20, -1
	s_cmp_gt_u32 s10, 1
	s_cselect_b64 s[2:3], -1, 0
	s_cmp_lg_u32 s20, 0
	s_cselect_b64 s[8:9], -1, 0
	s_add_u32 s56, s4, 0x104
	s_addc_u32 s57, s5, 0
	s_min_u32 s11, s10, 15
	s_cmp_gt_u32 s20, 1
	s_cselect_b64 s[58:59], -1, 0
	s_add_i32 s12, s11, 1
	s_mov_b32 s20, s25
	s_and_b32 s25, s12, 3
	s_cmp_lg_u32 s10, 2
	s_cselect_b64 s[10:11], -1, 0
	s_and_b32 s68, s12, 28
	s_cmp_lg_u32 s25, 0
	v_cndmask_b32_e64 v1, 0, 1, s[2:3]
	v_cndmask_b32_e64 v2, 0, 1, s[8:9]
	;; [unrolled: 1-line block ×3, first 2 shown]
	s_mov_b64 s[60:61], 0
	s_cselect_b64 s[62:63], -1, 0
	v_cmp_ne_u32_e64 s[2:3], 1, v1
	v_cmp_ne_u32_e64 s[10:11], 1, v2
	v_cmp_ne_u32_e64 s[8:9], 1, v3
	v_mov_b32_e32 v11, 0
	v_mov_b32_e32 v1, v0
                                        ; implicit-def: $vgpr14_vgpr15_vgpr16_vgpr17
                                        ; implicit-def: $vgpr4_vgpr5_vgpr6_vgpr7
                                        ; implicit-def: $vgpr20_vgpr21_vgpr22_vgpr23
                                        ; implicit-def: $vgpr8
                                        ; implicit-def: $vgpr12
                                        ; implicit-def: $vgpr16_vgpr17_vgpr18_vgpr19
                                        ; implicit-def: $vgpr22_vgpr23_vgpr24_vgpr25
                                        ; implicit-def: $vgpr2_vgpr3_vgpr4_vgpr5
	s_branch .LBB104_5
.LBB104_4:                              ;   in Loop: Header=BB104_5 Depth=1
	v_lshlrev_b64 v[16:17], 2, v[10:11]
	v_mov_b32_e32 v3, s31
	v_add_co_u32_e32 v16, vcc, s30, v16
	v_addc_co_u32_e32 v17, vcc, v3, v17, vcc
	v_mov_b32_e32 v3, v11
	v_lshlrev_b64 v[2:3], 2, v[2:3]
	v_mov_b32_e32 v6, s35
	v_add_co_u32_e32 v2, vcc, s34, v2
	v_addc_co_u32_e32 v3, vcc, v6, v3, vcc
	global_load_dword v4, v[16:17], off
	s_cmp_eq_u32 s27, 0
	global_load_dword v2, v[2:3], off
	s_cselect_b64 s[12:13], -1, 0
	s_cmp_eq_u32 s27, 1
	s_cselect_b64 s[14:15], -1, 0
	s_cmp_eq_u32 s27, 2
	;; [unrolled: 2-line block ×3, first 2 shown]
	s_cselect_b64 s[18:19], -1, 0
	s_add_i32 s38, s27, 1
	v_add_u32_e32 v1, 0x100, v1
	s_cmp_gt_u32 s27, 2
	v_cmp_le_i32_e32 vcc, s74, v1
	s_cselect_b64 s[36:37], -1, 0
	s_or_b64 s[36:37], s[36:37], vcc
	s_and_b64 s[36:37], exec, s[36:37]
	s_or_b64 s[60:61], s[36:37], s[60:61]
	s_mov_b32 s27, s38
	s_waitcnt vmcnt(1)
	v_cndmask_b32_e64 v8, v8, v4, s[12:13]
	v_cndmask_b32_e64 v21, v21, v4, s[14:15]
	;; [unrolled: 1-line block ×4, first 2 shown]
	s_waitcnt vmcnt(0)
	v_cndmask_b32_e64 v12, v12, v2, s[12:13]
	v_cndmask_b32_e64 v15, v15, v2, s[14:15]
	;; [unrolled: 1-line block ×4, first 2 shown]
	s_andn2_b64 exec, exec, s[60:61]
	s_cbranch_execz .LBB104_19
.LBB104_5:                              ; =>This Loop Header: Depth=1
                                        ;     Child Loop BB104_9 Depth 2
                                        ;     Child Loop BB104_14 Depth 2
	s_and_b64 vcc, exec, s[2:3]
	v_add_u32_e32 v3, s33, v1
	s_cbranch_vccnz .LBB104_11
; %bb.6:                                ;   in Loop: Header=BB104_5 Depth=1
	s_mov_b32 s14, 0
	s_and_b64 vcc, exec, s[10:11]
	v_mov_b32_e32 v2, 0
	v_mov_b32_e32 v10, 0
	s_cbranch_vccnz .LBB104_16
; %bb.7:                                ;   in Loop: Header=BB104_5 Depth=1
	s_and_b64 vcc, exec, s[8:9]
	s_cbranch_vccnz .LBB104_12
; %bb.8:                                ;   in Loop: Header=BB104_5 Depth=1
	v_mov_b32_e32 v10, 0
	s_mov_b32 s69, 0
	s_mov_b64 s[64:65], s[54:55]
	s_mov_b64 s[66:67], s[56:57]
	v_mov_b32_e32 v4, v3
	v_mov_b32_e32 v2, v10
.LBB104_9:                              ;   Parent Loop BB104_5 Depth=1
                                        ; =>  This Inner Loop Header: Depth=2
	s_load_dwordx8 s[36:43], s[64:65], 0x4
	s_load_dwordx4 s[48:51], s[64:65], 0x24
	s_load_dwordx8 s[12:19], s[66:67], 0x0
	s_add_u32 s64, s64, 48
	s_addc_u32 s65, s65, 0
	s_waitcnt lgkmcnt(0)
	v_mul_hi_u32 v6, s37, v4
	v_add_u32_e32 v6, v4, v6
	v_lshrrev_b32_e32 v6, s38, v6
	v_mul_lo_u32 v9, v6, s36
	v_mul_hi_u32 v13, s40, v6
	v_sub_u32_e32 v4, v4, v9
	v_add_u32_e32 v9, v6, v13
	v_lshrrev_b32_e32 v9, s41, v9
	v_mul_lo_u32 v14, v9, s39
	v_mul_hi_u32 v16, s43, v9
	v_sub_u32_e32 v6, v6, v14
	v_add_u32_e32 v14, v9, v16
	v_mul_lo_u32 v13, v4, s13
	v_mul_lo_u32 v4, v4, s12
	;; [unrolled: 1-line block ×4, first 2 shown]
	v_lshrrev_b32_e32 v14, s48, v14
	v_add3_u32 v6, v4, v10, v6
	v_mul_lo_u32 v4, v14, s42
	v_mul_hi_u32 v10, s50, v14
	v_sub_u32_e32 v4, v9, v4
	v_add_u32_e32 v9, v14, v10
	v_add3_u32 v2, v13, v2, v16
	v_mul_lo_u32 v10, v4, s16
	v_mul_lo_u32 v13, v4, s17
	v_lshrrev_b32_e32 v4, s51, v9
	s_add_i32 s69, s69, 4
	v_mul_lo_u32 v9, v4, s49
	s_add_u32 s66, s66, 32
	v_sub_u32_e32 v9, v14, v9
	s_addc_u32 s67, s67, 0
	v_mul_lo_u32 v14, v9, s18
	v_mul_lo_u32 v9, v9, s19
	s_cmp_lg_u32 s68, s69
	v_add3_u32 v2, v13, v2, v9
	v_add3_u32 v10, v10, v6, v14
	s_cbranch_scc1 .LBB104_9
; %bb.10:                               ;   in Loop: Header=BB104_5 Depth=1
	v_mov_b32_e32 v16, v10
	v_mov_b32_e32 v17, v2
	s_mov_b32 s14, s68
	s_andn2_b64 vcc, exec, s[62:63]
	s_cbranch_vccz .LBB104_13
	s_branch .LBB104_16
.LBB104_11:                             ;   in Loop: Header=BB104_5 Depth=1
                                        ; implicit-def: $vgpr2
	s_branch .LBB104_17
.LBB104_12:                             ;   in Loop: Header=BB104_5 Depth=1
	s_mov_b32 s15, s14
	v_pk_mov_b32 v[16:17], s[14:15], s[14:15] op_sel:[0,1]
                                        ; implicit-def: $vgpr2
	v_mov_b32_e32 v4, v3
	s_andn2_b64 vcc, exec, s[62:63]
	s_cbranch_vccnz .LBB104_16
.LBB104_13:                             ;   in Loop: Header=BB104_5 Depth=1
	s_lshl_b32 s12, s14, 3
	s_add_u32 s12, s56, s12
	s_addc_u32 s13, s57, 0
	s_mul_i32 s14, s14, 12
	s_add_u32 s14, s54, s14
	s_addc_u32 s15, s55, 0
	s_mov_b32 s16, s25
.LBB104_14:                             ;   Parent Loop BB104_5 Depth=1
                                        ; =>  This Inner Loop Header: Depth=2
	s_load_dwordx2 s[18:19], s[14:15], 0x4
	s_load_dword s17, s[14:15], 0xc
	s_load_dwordx2 s[36:37], s[12:13], 0x0
	s_add_u32 s14, s14, 12
	s_addc_u32 s15, s15, 0
	s_waitcnt lgkmcnt(0)
	v_mul_hi_u32 v6, s19, v4
	v_add_u32_e32 v6, v4, v6
	v_lshrrev_b32_e32 v6, s17, v6
	v_mul_lo_u32 v9, v6, s18
	v_mov_b32_e32 v2, v17
	s_add_u32 s12, s12, 8
	v_sub_u32_e32 v9, v4, v9
	s_addc_u32 s13, s13, 0
	s_add_i32 s16, s16, -1
	v_mad_u64_u32 v[22:23], s[18:19], v9, s37, v[2:3]
	v_mad_u64_u32 v[16:17], s[18:19], v9, s36, v[16:17]
	s_cmp_lg_u32 s16, 0
	v_mov_b32_e32 v4, v6
	v_mov_b32_e32 v17, v22
	s_cbranch_scc1 .LBB104_14
; %bb.15:                               ;   in Loop: Header=BB104_5 Depth=1
	v_mov_b32_e32 v2, v17
	v_mov_b32_e32 v10, v16
.LBB104_16:                             ;   in Loop: Header=BB104_5 Depth=1
	s_cbranch_execnz .LBB104_4
.LBB104_17:                             ;   in Loop: Header=BB104_5 Depth=1
	v_mul_hi_u32 v2, s22, v3
	v_add_u32_e32 v2, v3, v2
	v_lshrrev_b32_e32 v4, s23, v2
	v_mul_lo_u32 v2, v4, s21
	v_sub_u32_e32 v3, v3, v2
	v_mul_lo_u32 v2, v3, s45
	s_andn2_b64 vcc, exec, s[58:59]
	v_mul_lo_u32 v10, v3, s44
	s_cbranch_vccnz .LBB104_4
; %bb.18:                               ;   in Loop: Header=BB104_5 Depth=1
	v_mul_hi_u32 v3, s20, v4
	v_add_u32_e32 v3, v4, v3
	v_lshrrev_b32_e32 v3, s26, v3
	v_mul_lo_u32 v3, v3, s24
	v_sub_u32_e32 v3, v4, v3
	v_mad_u64_u32 v[16:17], s[12:13], v3, s46, v[10:11]
	v_mad_u64_u32 v[2:3], s[12:13], v3, s47, v[2:3]
	v_mov_b32_e32 v10, v16
	s_branch .LBB104_4
.LBB104_19:
	s_or_b64 exec, exec, s[60:61]
.LBB104_20:
	s_or_b64 exec, exec, s[52:53]
	s_and_saveexec_b64 s[2:3], s[0:1]
	s_cbranch_execz .LBB104_105
; %bb.21:
	s_and_b32 s0, 0xffff, s7
	s_mul_i32 s6, s6, s0
	v_add_u32_e32 v28, s6, v0
	v_and_b32_e32 v16, 3, v26
	v_alignbit_b32 v26, v27, v26, 2
	s_mov_b32 s76, 0xd2511f53
	s_mov_b32 s77, 0xcd9e8d57
	v_mad_u64_u32 v[10:11], s[0:1], v26, s76, 0
	v_mad_u64_u32 v[22:23], s[0:1], v28, s77, 0
	v_lshrrev_b32_e32 v27, 2, v27
	s_mov_b32 s0, 0x9e3779b9
	v_xor_b32_e32 v6, v50, v23
	v_mov_b32_e32 v2, v51
	v_xor_b32_e32 v3, v11, v51
	v_add_co_u32_e32 v1, vcc, s0, v50
	s_mov_b32 s0, 0xbb67ae85
	v_xor_b32_e32 v6, v6, v27
	v_add_co_u32_e32 v4, vcc, s0, v2
	v_mad_u64_u32 v[30:31], s[0:1], v6, s76, 0
	v_mad_u64_u32 v[32:33], s[0:1], v3, s77, 0
	v_xor_b32_e32 v3, v33, v1
	v_xor_b32_e32 v6, v4, v31
	s_mov_b32 s0, 0x3c6ef372
	v_xor_b32_e32 v3, v3, v22
	v_xor_b32_e32 v13, v6, v10
	v_add_co_u32_e32 v6, vcc, s0, v50
	s_mov_b32 s0, 0x76cf5d0a
	v_add_co_u32_e32 v9, vcc, s0, v2
	v_mad_u64_u32 v[10:11], s[0:1], v3, s76, 0
	v_mad_u64_u32 v[22:23], s[0:1], v13, s77, 0
	v_xor_b32_e32 v3, v6, v23
	v_xor_b32_e32 v11, v9, v11
	s_mov_b32 s0, 0xdaa66d2b
	v_xor_b32_e32 v3, v3, v32
	v_xor_b32_e32 v11, v11, v30
	v_add_co_u32_e32 v13, vcc, s0, v50
	s_mov_b32 s0, 0x32370b8f
	;; [unrolled: 10-line block ×7, first 2 shown]
	s_load_dwordx8 s[8:15], s[4:5], 0x184
	v_add_co_u32_e32 v62, vcc, s0, v2
	v_mad_u64_u32 v[2:3], s[0:1], v3, s76, 0
	v_mad_u64_u32 v[10:11], s[0:1], v10, s77, 0
	v_xor_b32_e32 v11, v61, v11
	v_xor_b32_e32 v3, v62, v3
	;; [unrolled: 1-line block ×4, first 2 shown]
	v_mad_u64_u32 v[22:23], s[0:1], v11, s76, 0
	v_mad_u64_u32 v[30:31], s[0:1], v3, s77, 0
	s_add_u32 s24, s4, 0x184
	s_addc_u32 s25, s5, 0
	s_waitcnt lgkmcnt(0)
	s_add_i32 s0, s8, -1
	s_cmp_gt_u32 s0, 1
	s_cselect_b64 s[26:27], -1, 0
	s_cmp_lg_u32 s8, 0
	s_cselect_b64 s[30:31], -1, 0
	s_add_u32 s34, s4, 0x248
	s_addc_u32 s35, s5, 0
	s_min_u32 s1, s0, 15
	s_cmp_gt_u32 s8, 1
	s_cselect_b64 s[38:39], -1, 0
	s_add_i32 s1, s1, 1
	s_load_dwordx2 s[36:37], s[4:5], 0x248
	s_mov_b32 s8, s13
	s_and_b32 s13, s1, 3
	s_cmp_lg_u32 s0, 2
	v_mov_b32_e32 v29, 0
	s_cselect_b64 s[40:41], -1, 0
	s_and_b32 s15, s1, 28
	v_add_u32_e32 v63, 0x8ff34781, v50
	v_add_u32_e32 v64, 0x96a522ad, v51
	v_xor_b32_e32 v3, v31, v10
	v_xor_b32_e32 v2, v23, v2
	v_mov_b32_e32 v35, v30
	s_cmp_lg_u32 s13, 0
	s_mov_b32 s46, 0x66666666
	s_mov_b32 s48, 0xa3d70a3d
	;; [unrolled: 1-line block ×11, first 2 shown]
	v_pk_mov_b32 v[32:33], v[28:29], v[28:29] op_sel:[0,1]
	s_mov_b32 s75, 0
	v_xor_b32_e32 v34, v63, v3
	v_xor_b32_e32 v36, v64, v2
	v_mov_b32_e32 v37, v22
	v_add_u32_e32 v65, 0x9e3779b9, v50
	v_add_u32_e32 v66, 0xbb67ae85, v51
	;; [unrolled: 1-line block ×16, first 2 shown]
	s_mov_b64 s[42:43], 0
	s_cselect_b64 s[44:45], -1, 0
	s_mov_b32 s78, 0x41200000
	s_mov_b32 s79, 0xf800000
	v_mov_b32_e32 v81, 0x260
	s_mov_b32 s47, 0x40146666
	s_mov_b32 s49, 0x40043d70
	;; [unrolled: 1-line block ×17, first 2 shown]
	v_mov_b32_e32 v82, 0x3f2aaada
	s_mov_b32 s85, 0x3f317218
	s_mov_b32 s86, 0xff800000
	v_mov_b32_e32 v2, 0x66666666
	v_mov_b32_e32 v3, 0x3ff26666
	;; [unrolled: 1-line block ×8, first 2 shown]
	v_mov_b32_e32 v17, 1.0
	v_pk_mov_b32 v[30:31], v[26:27], v[26:27] op_sel:[0,1]
	s_branch .LBB104_28
.LBB104_22:                             ;   in Loop: Header=BB104_28 Depth=1
	s_or_b64 exec, exec, s[2:3]
.LBB104_23:                             ;   in Loop: Header=BB104_28 Depth=1
	s_or_b64 exec, exec, s[0:1]
	v_sub_f32_e32 v27, v87, v55
	v_mov_b32_e32 v16, v96
.LBB104_24:                             ;   in Loop: Header=BB104_28 Depth=1
	s_or_b64 exec, exec, s[20:21]
	v_mov_b32_e32 v96, v16
.LBB104_25:                             ;   in Loop: Header=BB104_28 Depth=1
	s_or_b64 exec, exec, s[18:19]
	v_mov_b32_e32 v87, v27
	v_mov_b32_e32 v16, v96
.LBB104_26:                             ;   in Loop: Header=BB104_28 Depth=1
	s_or_b64 exec, exec, s[16:17]
	v_mov_b32_e32 v23, v87
.LBB104_27:                             ;   in Loop: Header=BB104_28 Depth=1
	s_or_b64 exec, exec, s[6:7]
	v_lshlrev_b64 v[26:27], 2, v[28:29]
	v_mov_b32_e32 v22, s29
	v_add_co_u32_e32 v26, vcc, s28, v26
	s_add_i32 s2, s75, 1
	v_addc_co_u32_e32 v27, vcc, v22, v27, vcc
	v_add_u32_e32 v0, 0x100, v0
	s_cmp_gt_u32 s75, 2
	s_cselect_b64 s[0:1], -1, 0
	v_cmp_le_i32_e32 vcc, s74, v0
	s_or_b64 s[0:1], s[0:1], vcc
	s_and_b64 s[0:1], exec, s[0:1]
	s_or_b64 s[42:43], s[0:1], s[42:43]
	s_mov_b32 s75, s2
	global_store_dword v[26:27], v23, off
	s_andn2_b64 exec, exec, s[42:43]
	s_cbranch_execz .LBB104_105
.LBB104_28:                             ; =>This Loop Header: Depth=1
                                        ;     Child Loop BB104_32 Depth 2
                                        ;     Child Loop BB104_36 Depth 2
	;; [unrolled: 1-line block ×6, first 2 shown]
	s_andn2_b64 vcc, exec, s[26:27]
	v_add_u32_e32 v26, s33, v0
	s_cbranch_vccnz .LBB104_38
; %bb.29:                               ;   in Loop: Header=BB104_28 Depth=1
	s_andn2_b64 vcc, exec, s[30:31]
	s_cbranch_vccnz .LBB104_39
; %bb.30:                               ;   in Loop: Header=BB104_28 Depth=1
	s_mov_b32 s2, 0
	s_andn2_b64 vcc, exec, s[40:41]
	v_mov_b32_e32 v22, 0
	v_mov_b32_e32 v27, v26
	s_cbranch_vccnz .LBB104_34
; %bb.31:                               ;   in Loop: Header=BB104_28 Depth=1
	s_mov_b32 s60, 0
	v_mov_b32_e32 v22, 0
	s_mov_b64 s[70:71], s[24:25]
	s_mov_b64 s[72:73], s[34:35]
	v_mov_b32_e32 v27, v26
.LBB104_32:                             ;   Parent Loop BB104_28 Depth=1
                                        ; =>  This Inner Loop Header: Depth=2
	s_load_dwordx8 s[0:7], s[70:71], 0x4
	s_load_dwordx4 s[16:19], s[70:71], 0x24
	s_load_dwordx4 s[20:23], s[72:73], 0x0
	s_add_u32 s70, s70, 48
	s_addc_u32 s71, s71, 0
	s_waitcnt lgkmcnt(0)
	v_mul_hi_u32 v23, s1, v27
	v_add_u32_e32 v23, v27, v23
	v_lshrrev_b32_e32 v23, s2, v23
	v_mul_lo_u32 v28, v23, s0
	v_mul_hi_u32 v38, s4, v23
	v_sub_u32_e32 v27, v27, v28
	v_add_u32_e32 v28, v23, v38
	v_lshrrev_b32_e32 v28, s5, v28
	v_mul_lo_u32 v38, v28, s3
	v_mul_hi_u32 v39, s7, v28
	v_sub_u32_e32 v23, v23, v38
	v_add_u32_e32 v38, v28, v39
	v_mul_lo_u32 v27, v27, s20
	v_mul_lo_u32 v23, v23, s21
	v_lshrrev_b32_e32 v38, s16, v38
	v_add3_u32 v22, v27, v22, v23
	v_mul_hi_u32 v27, s18, v38
	v_add_u32_e32 v27, v38, v27
	v_mul_lo_u32 v23, v38, s6
	v_lshrrev_b32_e32 v27, s19, v27
	s_add_i32 s60, s60, 4
	v_sub_u32_e32 v23, v28, v23
	v_mul_lo_u32 v28, v27, s17
	s_add_u32 s72, s72, 16
	v_sub_u32_e32 v28, v38, v28
	s_addc_u32 s73, s73, 0
	v_mul_lo_u32 v23, v23, s22
	v_mul_lo_u32 v28, v28, s23
	s_cmp_lg_u32 s15, s60
	v_add3_u32 v22, v23, v22, v28
	s_cbranch_scc1 .LBB104_32
; %bb.33:                               ;   in Loop: Header=BB104_28 Depth=1
	s_mov_b32 s2, s15
.LBB104_34:                             ;   in Loop: Header=BB104_28 Depth=1
	s_andn2_b64 vcc, exec, s[44:45]
	s_cbranch_vccnz .LBB104_37
; %bb.35:                               ;   in Loop: Header=BB104_28 Depth=1
	s_lshl_b32 s0, s2, 2
	s_add_u32 s0, s34, s0
	s_addc_u32 s1, s35, 0
	s_mul_i32 s2, s2, 12
	s_add_u32 s2, s24, s2
	s_addc_u32 s3, s25, 0
	s_mov_b32 s4, s13
.LBB104_36:                             ;   Parent Loop BB104_28 Depth=1
                                        ; =>  This Inner Loop Header: Depth=2
	s_load_dwordx2 s[6:7], s[2:3], 0x4
	s_load_dword s5, s[2:3], 0xc
	s_load_dword s16, s[0:1], 0x0
	s_add_u32 s2, s2, 12
	s_addc_u32 s3, s3, 0
	s_waitcnt lgkmcnt(0)
	v_mul_hi_u32 v23, s7, v27
	v_add_u32_e32 v23, v27, v23
	v_lshrrev_b32_e32 v23, s5, v23
	s_add_u32 s0, s0, 4
	v_mul_lo_u32 v28, v23, s6
	s_addc_u32 s1, s1, 0
	s_add_i32 s4, s4, -1
	v_sub_u32_e32 v28, v27, v28
	s_cmp_lg_u32 s4, 0
	v_mov_b32_e32 v27, v23
	v_mad_u64_u32 v[22:23], s[6:7], v28, s16, v[22:23]
	s_cbranch_scc1 .LBB104_36
.LBB104_37:                             ;   in Loop: Header=BB104_28 Depth=1
	v_mov_b32_e32 v28, v22
	s_cbranch_execz .LBB104_40
	s_branch .LBB104_42
.LBB104_38:                             ;   in Loop: Header=BB104_28 Depth=1
	s_branch .LBB104_40
.LBB104_39:                             ;   in Loop: Header=BB104_28 Depth=1
	v_mov_b32_e32 v28, 0
	s_cbranch_execnz .LBB104_42
.LBB104_40:                             ;   in Loop: Header=BB104_28 Depth=1
	v_mul_hi_u32 v22, s10, v26
	v_add_u32_e32 v22, v26, v22
	v_lshrrev_b32_e32 v22, s11, v22
	v_mul_lo_u32 v23, v22, s9
	v_sub_u32_e32 v23, v26, v23
	s_andn2_b64 vcc, exec, s[38:39]
	s_waitcnt lgkmcnt(0)
	v_mul_lo_u32 v28, v23, s36
	s_cbranch_vccnz .LBB104_42
; %bb.41:                               ;   in Loop: Header=BB104_28 Depth=1
	v_mul_hi_u32 v23, s8, v22
	v_add_u32_e32 v23, v22, v23
	v_lshrrev_b32_e32 v23, s14, v23
	v_mul_lo_u32 v23, v23, s12
	v_sub_u32_e32 v22, v22, v23
	v_mad_u64_u32 v[22:23], s[0:1], v22, s37, v[28:29]
	v_mov_b32_e32 v28, v22
.LBB104_42:                             ;   in Loop: Header=BB104_28 Depth=1
	s_cmp_eq_u32 s75, 1
	s_cselect_b64 vcc, -1, 0
	s_cmp_eq_u32 s75, 2
	v_cndmask_b32_e32 v22, v8, v21, vcc
	s_cselect_b64 s[0:1], -1, 0
	s_cmp_eq_u32 s75, 3
	v_cndmask_b32_e64 v22, v22, v24, s[0:1]
	s_cselect_b64 s[2:3], -1, 0
	v_cndmask_b32_e64 v87, v22, v5, s[2:3]
	v_cndmask_b32_e32 v22, v12, v15, vcc
	v_cndmask_b32_e64 v22, v22, v18, s[0:1]
	v_cndmask_b32_e64 v22, v22, v7, s[2:3]
	v_max_f32_e32 v23, v22, v22
	v_max_f32_e32 v26, v87, v87
	v_min_f32_e32 v23, v26, v23
	v_cmp_nge_f32_e32 vcc, 0, v23
	v_mov_b32_e32 v23, 0
	s_and_saveexec_b64 s[6:7], vcc
	s_cbranch_execz .LBB104_27
; %bb.43:                               ;   in Loop: Header=BB104_28 Depth=1
	v_cmp_nle_f32_e32 vcc, 1.0, v22
	s_and_saveexec_b64 s[16:17], vcc
	s_cbranch_execz .LBB104_26
; %bb.44:                               ;   in Loop: Header=BB104_28 Depth=1
	v_cmp_ge_f32_e32 vcc, 0.5, v22
                                        ; implicit-def: $vgpr27
                                        ; implicit-def: $vgpr96
	s_and_saveexec_b64 s[0:1], vcc
	s_xor_b64 s[18:19], exec, s[0:1]
	s_cbranch_execz .LBB104_75
; %bb.45:                               ;   in Loop: Header=BB104_28 Depth=1
	v_mul_f32_e32 v23, v87, v22
	v_cmp_le_f32_e32 vcc, s78, v23
                                        ; implicit-def: $vgpr27
                                        ; implicit-def: $vgpr96
	s_and_saveexec_b64 s[0:1], vcc
	s_xor_b64 s[20:21], exec, s[0:1]
	s_cbranch_execz .LBB104_68
; %bb.46:                               ;   in Loop: Header=BB104_28 Depth=1
	v_sub_f32_e32 v52, 1.0, v22
	v_mul_f32_e32 v26, v23, v52
	v_mul_f32_e32 v27, 0x4f800000, v26
	v_cmp_gt_f32_e32 vcc, s79, v26
	v_cndmask_b32_e32 v26, v26, v27, vcc
	v_sqrt_f32_e32 v27, v26
	v_pk_mov_b32 v[42:43], v[10:11], v[10:11] op_sel:[0,1]
	v_cvt_f64_f32_e32 v[44:45], v22
	v_add_f32_e32 v89, 0.5, v23
	v_add_u32_e32 v38, -1, v27
	v_add_u32_e32 v39, 1, v27
	v_fma_f32 v40, -v38, v27, v26
	v_fma_f32 v41, -v39, v27, v26
	v_cmp_ge_f32_e64 s[0:1], 0, v40
	v_cndmask_b32_e64 v27, v27, v38, s[0:1]
	v_cmp_lt_f32_e64 s[0:1], 0, v41
	v_cndmask_b32_e64 v27, v27, v39, s[0:1]
	v_mul_f32_e32 v38, 0x37800000, v27
	v_cndmask_b32_e32 v27, v27, v38, vcc
	v_cmp_class_f32_e32 vcc, v26, v81
	v_cndmask_b32_e32 v26, v27, v26, vcc
	v_cvt_f64_f32_e32 v[38:39], v26
	v_pk_mov_b32 v[26:27], v[2:3], v[2:3] op_sel:[0,1]
	v_fmac_f64_e32 v[26:27], s[48:49], v[38:39]
	v_cvt_f32_f64_e32 v26, v[26:27]
	v_cvt_f64_f32_e32 v[40:41], v26
	v_div_scale_f64 v[46:47], s[0:1], v[40:41], v[40:41], s[54:55]
	v_rcp_f64_e32 v[48:49], v[46:47]
	v_fmac_f64_e32 v[42:43], s[50:51], v[40:41]
	v_fmac_f64_e32 v[42:43], s[52:53], v[44:45]
	v_cvt_f32_f64_e32 v88, v[42:43]
	v_fma_f64 v[42:43], -v[46:47], v[48:49], 1.0
	v_fmac_f64_e32 v[48:49], v[48:49], v[42:43]
	v_fma_f64 v[42:43], -v[46:47], v[48:49], 1.0
	v_fmac_f64_e32 v[48:49], v[48:49], v[42:43]
	v_div_scale_f64 v[42:43], vcc, s[54:55], v[40:41], s[54:55]
	v_mul_f64 v[44:45], v[42:43], v[48:49]
	v_div_scale_f32 v23, s[0:1], v52, v52, v22
	v_fma_f64 v[42:43], -v[46:47], v[44:45], v[42:43]
	v_rcp_f32_e32 v27, v23
	v_div_fmas_f64 v[42:43], v[42:43], v[48:49], v[44:45]
	v_div_fixup_f64 v[42:43], v[42:43], v[40:41], s[54:55]
	v_add_f64 v[42:43], v[42:43], s[56:57]
	v_cvt_f32_f64_e32 v90, v[42:43]
	v_fma_f32 v42, -v23, v27, 1.0
	v_fmac_f32_e32 v27, v42, v27
	v_div_scale_f32 v42, vcc, v22, v52, v22
	v_mul_f32_e32 v46, v42, v27
	v_fma_f32 v43, -v23, v46, v42
	v_fmac_f32_e32 v46, v43, v27
	v_fma_f32 v23, -v23, v46, v42
	v_div_scale_f64 v[42:43], s[0:1], v[40:41], v[40:41], s[46:47]
	v_rcp_f64_e32 v[44:45], v[42:43]
	v_div_fmas_f32 v23, v23, v27, v46
	v_add_f32_e32 v92, 1.0, v87
	v_div_fixup_f32 v91, v23, v52, v22
	v_fma_f64 v[46:47], -v[42:43], v[44:45], 1.0
	v_fmac_f64_e32 v[44:45], v[44:45], v[46:47]
	v_fma_f64 v[46:47], -v[42:43], v[44:45], 1.0
	v_fmac_f64_e32 v[44:45], v[44:45], v[46:47]
	v_div_scale_f64 v[46:47], vcc, s[46:47], v[40:41], s[46:47]
	v_mul_f32_e32 v22, v22, v92
	v_mul_f64 v[48:49], v[46:47], v[44:45]
	v_floor_f32_e32 v27, v22
	v_fma_f64 v[42:43], -v[42:43], v[48:49], v[46:47]
	v_sub_f32_e32 v54, v87, v27
	v_div_fmas_f64 v[42:43], v[42:43], v[44:45], v[48:49]
	v_add_f32_e32 v93, 1.0, v54
	v_div_fixup_f64 v[40:41], v[42:43], v[40:41], s[46:47]
	v_add_f32_e32 v52, 1.0, v27
	v_mul_f32_e32 v42, v91, v93
	v_div_scale_f32 v43, s[0:1], v42, v42, v52
	v_rcp_f32_e32 v44, v43
	v_add_f64 v[22:23], v[40:41], s[58:59]
	v_mul_f64 v[22:23], v[22:23], v[38:39]
	v_cvt_f32_f64_e32 v94, v[22:23]
	v_fma_f32 v22, -v43, v44, 1.0
	v_fmac_f32_e32 v44, v22, v44
	v_div_scale_f32 v22, vcc, v52, v42, v52
	v_mul_f32_e32 v23, v22, v44
	v_fma_f32 v38, -v43, v23, v22
	v_fmac_f32_e32 v23, v38, v44
	v_fma_f32 v22, -v43, v23, v22
	v_div_fmas_f32 v22, v22, v44, v23
	v_div_fixup_f32 v22, v22, v42, v52
	v_cmp_gt_f32_e64 s[0:1], s80, v22
	v_cndmask_b32_e64 v23, 1.0, v83, s[0:1]
	v_mul_f32_e32 v22, v22, v23
	v_log_f32_e32 v48, v22
	v_mul_f32_e32 v38, v52, v52
	v_cvt_f64_f32_e32 v[38:39], v38
	s_mov_b32 s60, s62
	v_div_scale_f64 v[40:41], s[2:3], v[38:39], v[38:39], s[60:61]
	v_rcp_f64_e32 v[42:43], v[40:41]
	v_mul_f32_e32 v44, 0x3f317217, v48
	v_fma_f32 v45, v48, s81, -v44
	v_fmac_f32_e32 v45, 0x3377d1cf, v48
	v_add_f32_e32 v49, v44, v45
	v_fma_f64 v[44:45], -v[40:41], v[42:43], 1.0
	v_fmac_f64_e32 v[42:43], v[42:43], v[44:45]
	v_fma_f64 v[44:45], -v[40:41], v[42:43], 1.0
	v_fmac_f64_e32 v[42:43], v[42:43], v[44:45]
	v_div_scale_f64 v[44:45], vcc, s[60:61], v[38:39], s[60:61]
	v_mul_f64 v[46:47], v[44:45], v[42:43]
	v_fma_f64 v[40:41], -v[40:41], v[46:47], v[44:45]
	v_cvt_f64_f32_e32 v[22:23], v27
	s_nop 0
	v_div_fmas_f64 v[40:41], v[40:41], v[42:43], v[46:47]
	v_div_fixup_f64 v[40:41], v[40:41], v[38:39], s[60:61]
	v_add_f64 v[40:41], -v[40:41], s[64:65]
	v_div_scale_f64 v[42:43], s[2:3], v[38:39], v[38:39], v[40:41]
	v_rcp_f64_e32 v[44:45], v[42:43]
	v_cmp_lt_f32_e64 vcc, |v48|, s82
	v_cndmask_b32_e32 v46, v48, v49, vcc
	v_cndmask_b32_e64 v47, 0, v84, s[0:1]
	v_sub_f32_e32 v53, v46, v47
	v_fma_f64 v[46:47], -v[42:43], v[44:45], 1.0
	v_fmac_f64_e32 v[44:45], v[44:45], v[46:47]
	v_fma_f64 v[46:47], -v[42:43], v[44:45], 1.0
	v_fmac_f64_e32 v[44:45], v[44:45], v[46:47]
	v_div_scale_f64 v[46:47], vcc, v[40:41], v[38:39], v[40:41]
	v_mul_f64 v[48:49], v[46:47], v[44:45]
	v_fma_f64 v[42:43], -v[42:43], v[48:49], v[46:47]
	v_add_f64 v[22:23], v[22:23], 0.5
	s_nop 0
	v_div_fmas_f64 v[42:43], v[42:43], v[44:45], v[48:49]
	v_div_fixup_f64 v[38:39], v[42:43], v[38:39], v[40:41]
	v_add_f64 v[38:39], -v[38:39], s[66:67]
	v_cvt_f64_f32_e32 v[40:41], v52
	v_div_scale_f64 v[42:43], s[0:1], v[40:41], v[40:41], v[38:39]
	v_rcp_f64_e32 v[44:45], v[42:43]
	v_cvt_f64_f32_e32 v[46:47], v53
	v_mul_f64 v[22:23], v[22:23], v[46:47]
	v_cmp_gt_f32_e64 s[0:1], s78, v27
	v_fma_f64 v[46:47], -v[42:43], v[44:45], 1.0
	v_fmac_f64_e32 v[44:45], v[44:45], v[46:47]
	v_fma_f64 v[46:47], -v[42:43], v[44:45], 1.0
	v_fmac_f64_e32 v[44:45], v[44:45], v[46:47]
	v_div_scale_f64 v[46:47], vcc, v[38:39], v[40:41], v[38:39]
	v_mul_f64 v[48:49], v[46:47], v[44:45]
	v_fma_f64 v[42:43], -v[42:43], v[48:49], v[46:47]
	s_getpc_b64 s[4:5]
	s_add_u32 s4, s4, _ZZN12_GLOBAL__N_120stirling_approx_tailIfEET_S1_E11kTailValues.const@rel32@lo+4
	s_addc_u32 s5, s5, _ZZN12_GLOBAL__N_120stirling_approx_tailIfEET_S1_E11kTailValues.const@rel32@hi+12
	v_div_fmas_f64 v[42:43], v[42:43], v[44:45], v[48:49]
	v_div_fixup_f64 v[38:39], v[42:43], v[40:41], v[38:39]
	v_cvt_f32_f64_e32 v97, v[38:39]
	v_mul_f32_e32 v38, 0x2f800000, v27
	v_floor_f32_e32 v45, v38
	v_mul_f32_e32 v38, v93, v93
	v_cvt_f64_f32_e32 v[38:39], v38
	v_div_scale_f64 v[40:41], s[2:3], v[38:39], v[38:39], s[60:61]
	v_rcp_f64_e32 v[42:43], v[40:41]
	v_fmac_f32_e32 v27, 0xcf800000, v45
	v_cvt_u32_f32_e32 v44, v27
	v_cvt_u32_f32_e32 v45, v45
	v_fma_f64 v[46:47], -v[40:41], v[42:43], 1.0
	v_fmac_f64_e32 v[42:43], v[42:43], v[46:47]
	v_fma_f64 v[46:47], -v[40:41], v[42:43], 1.0
	v_fmac_f64_e32 v[42:43], v[42:43], v[46:47]
	v_div_scale_f64 v[46:47], vcc, s[60:61], v[38:39], s[60:61]
	v_mul_f64 v[48:49], v[46:47], v[42:43]
	v_fma_f64 v[40:41], -v[40:41], v[48:49], v[46:47]
	v_lshlrev_b64 v[44:45], 2, v[44:45]
	s_nop 0
	v_div_fmas_f64 v[40:41], v[40:41], v[42:43], v[48:49]
	v_div_fixup_f64 v[40:41], v[40:41], v[38:39], s[60:61]
	v_add_f64 v[40:41], -v[40:41], s[64:65]
	v_div_scale_f64 v[42:43], s[2:3], v[38:39], v[38:39], v[40:41]
	v_rcp_f64_e32 v[46:47], v[42:43]
	v_mov_b32_e32 v27, s5
	v_add_f32_e32 v95, v88, v88
	s_mov_b64 s[22:23], 0
	v_fma_f64 v[48:49], -v[42:43], v[46:47], 1.0
	v_fmac_f64_e32 v[46:47], v[46:47], v[48:49]
	v_fma_f64 v[48:49], -v[42:43], v[46:47], 1.0
	v_fmac_f64_e32 v[46:47], v[46:47], v[48:49]
	v_div_scale_f64 v[48:49], vcc, v[40:41], v[38:39], v[40:41]
	v_mul_f64 v[52:53], v[48:49], v[46:47]
	v_fma_f64 v[42:43], -v[42:43], v[52:53], v[48:49]
	s_mov_b64 s[70:71], 0
	s_nop 0
	v_div_fmas_f64 v[42:43], v[42:43], v[46:47], v[52:53]
	v_div_fixup_f64 v[38:39], v[42:43], v[38:39], v[40:41]
	v_add_f64 v[38:39], -v[38:39], s[66:67]
	v_cvt_f64_f32_e32 v[40:41], v93
	v_div_scale_f64 v[42:43], s[2:3], v[40:41], v[40:41], v[38:39]
	v_rcp_f64_e32 v[46:47], v[42:43]
	v_add_co_u32_e32 v52, vcc, s4, v44
	v_addc_co_u32_e32 v53, vcc, v45, v27, vcc
	v_fma_f64 v[44:45], -v[42:43], v[46:47], 1.0
	v_fmac_f64_e32 v[46:47], v[46:47], v[44:45]
	v_fma_f64 v[44:45], -v[42:43], v[46:47], 1.0
	v_fmac_f64_e32 v[46:47], v[46:47], v[44:45]
	v_div_scale_f64 v[44:45], vcc, v[38:39], v[40:41], v[38:39]
	v_mul_f64 v[48:49], v[44:45], v[46:47]
	v_fma_f64 v[42:43], -v[42:43], v[48:49], v[44:45]
	v_trunc_f32_e32 v44, v54
	v_mul_f32_e32 v45, 0x2f800000, v44
	v_floor_f32_e32 v45, v45
	v_fmac_f32_e32 v44, 0xcf800000, v45
	v_cvt_u32_f32_e32 v44, v44
	v_cvt_u32_f32_e32 v45, v45
	v_div_fmas_f64 v[42:43], v[42:43], v[46:47], v[48:49]
	v_div_fixup_f64 v[38:39], v[42:43], v[40:41], v[38:39]
	v_cvt_f32_f64_e32 v98, v[38:39]
	v_lshlrev_b64 v[38:39], 2, v[44:45]
	v_cmp_gt_f32_e64 s[2:3], s78, v54
	v_add_co_u32_e32 v54, vcc, s4, v38
	v_pk_mov_b32 v[44:45], v[36:37], v[36:37] op_sel:[0,1]
	v_addc_co_u32_e32 v55, vcc, v39, v27, vcc
	v_pk_mov_b32 v[42:43], v[34:35], v[34:35] op_sel:[0,1]
	s_branch .LBB104_49
.LBB104_47:                             ;   in Loop: Header=BB104_49 Depth=2
	s_or_b64 exec, exec, s[4:5]
	v_div_scale_f32 v48, s[4:5], v47, v47, v93
	v_rcp_f32_e32 v49, v48
	v_div_scale_f32 v100, vcc, v93, v47, v93
	v_mul_f32_e32 v16, v16, v94
	v_fma_f32 v101, -v48, v49, 1.0
	v_fmac_f32_e32 v49, v101, v49
	v_mul_f32_e32 v101, v100, v49
	v_fma_f32 v102, -v48, v101, v100
	v_fmac_f32_e32 v101, v102, v49
	v_fma_f32 v48, -v48, v101, v100
	v_div_fmas_f32 v48, v48, v49, v101
	v_div_fixup_f32 v48, v48, v47, v93
	v_cmp_gt_f32_e32 vcc, s80, v48
	v_cndmask_b32_e32 v49, 1.0, v83, vcc
	v_mul_f32_e32 v48, v48, v49
	v_log_f32_e32 v48, v48
	v_mul_f32_e32 v47, v91, v47
	v_mul_f32_e32 v49, 0x3f317217, v48
	v_fma_f32 v100, v48, s81, -v49
	v_fmac_f32_e32 v100, 0x3377d1cf, v48
	v_add_f32_e32 v49, v49, v100
	v_cmp_lt_f32_e64 s[4:5], |v48|, s82
	v_cndmask_b32_e64 v48, v48, v49, s[4:5]
	v_div_scale_f32 v100, s[4:5], v44, v44, v47
	v_rcp_f32_e32 v101, v100
	v_cndmask_b32_e32 v49, 0, v84, vcc
	v_sub_f32_e32 v48, v48, v49
	v_mul_f32_e32 v48, v92, v48
	v_fma_f32 v102, -v100, v101, 1.0
	v_fmac_f32_e32 v101, v102, v101
	v_div_scale_f32 v102, vcc, v47, v44, v47
	v_mul_f32_e32 v103, v102, v101
	v_fma_f32 v104, -v100, v103, v102
	v_fmac_f32_e32 v103, v104, v101
	v_fma_f32 v100, -v100, v103, v102
	v_div_fmas_f32 v100, v100, v101, v103
	v_div_fixup_f32 v44, v100, v44, v47
	v_cmp_gt_f32_e32 vcc, s80, v44
	v_cndmask_b32_e32 v47, 1.0, v83, vcc
	v_mul_f32_e32 v44, v44, v47
	v_log_f32_e32 v44, v44
	v_cvt_f64_f32_e32 v[48:49], v48
	v_cvt_f64_f32_e32 v[100:101], v27
	v_add_f64 v[48:49], v[22:23], v[48:49]
	v_mul_f32_e32 v47, 0x3f317217, v44
	v_fma_f32 v102, v44, s81, -v47
	v_fmac_f32_e32 v102, 0x3377d1cf, v44
	v_add_f32_e32 v47, v47, v102
	v_cmp_lt_f32_e64 s[4:5], |v44|, s82
	v_cndmask_b32_e64 v44, v44, v47, s[4:5]
	v_cndmask_b32_e32 v47, 0, v84, vcc
	v_sub_f32_e32 v44, v44, v47
	v_mul_f32_e32 v47, v99, v99
	v_div_scale_f32 v99, s[4:5], v47, v47, v88
	v_rcp_f32_e32 v104, v99
	v_cvt_f64_f32_e32 v[102:103], v44
	v_add_f64 v[100:101], v[100:101], 0.5
	v_fmac_f64_e32 v[48:49], v[100:101], v[102:103]
	v_fma_f32 v44, -v99, v104, 1.0
	v_fmac_f32_e32 v104, v44, v104
	v_div_scale_f32 v44, vcc, v88, v47, v88
	v_mul_f32_e32 v100, v44, v104
	v_fma_f32 v101, -v99, v100, v44
	v_fmac_f32_e32 v100, v101, v104
	v_fma_f32 v44, -v99, v100, v44
	v_div_fmas_f32 v44, v44, v104, v100
	v_div_fixup_f32 v44, v44, v47, v88
	v_add_f32_e32 v44, v44, v26
	v_div_scale_f32 v47, s[4:5], v44, v44, v16
	v_rcp_f32_e32 v99, v47
	s_waitcnt vmcnt(0)
	v_cvt_f64_f32_e32 v[100:101], v42
	v_add_f64 v[48:49], v[48:49], v[100:101]
	v_cvt_f64_f32_e32 v[42:43], v43
	v_fma_f32 v100, -v47, v99, 1.0
	v_fmac_f32_e32 v99, v100, v99
	v_div_scale_f32 v100, vcc, v16, v44, v16
	v_mul_f32_e32 v101, v100, v99
	v_fma_f32 v102, -v47, v101, v100
	v_fmac_f32_e32 v101, v102, v99
	v_fma_f32 v47, -v47, v101, v100
	v_div_fmas_f32 v47, v47, v99, v101
	v_div_fixup_f32 v16, v47, v44, v16
	v_cmp_gt_f32_e32 vcc, s80, v16
	v_cndmask_b32_e32 v44, 1.0, v83, vcc
	v_mul_f32_e32 v16, v16, v44
	v_log_f32_e32 v16, v16
	v_add_f64 v[42:43], v[48:49], v[42:43]
	v_cvt_f64_f32_e32 v[44:45], v45
	v_add_f64 v[42:43], v[42:43], -v[44:45]
	v_mul_f32_e32 v44, 0x3f317217, v16
	v_fma_f32 v45, v16, s81, -v44
	v_fmac_f32_e32 v45, 0x3377d1cf, v16
	v_add_f32_e32 v44, v44, v45
	v_cmp_lt_f32_e64 s[4:5], |v16|, s82
	v_cndmask_b32_e64 v16, v16, v44, s[4:5]
	v_cndmask_b32_e32 v44, 0, v84, vcc
	v_sub_f32_e32 v16, v16, v44
	v_cvt_f64_f32_e32 v[44:45], v46
	v_add_f64 v[42:43], v[42:43], -v[44:45]
	v_cvt_f32_f64_e32 v42, v[42:43]
	v_cmp_le_f32_e32 vcc, v16, v42
	s_orn2_b64 s[4:5], vcc, exec
.LBB104_48:                             ;   in Loop: Header=BB104_49 Depth=2
	s_or_b64 exec, exec, s[70:71]
	s_and_b64 s[4:5], exec, s[4:5]
	v_pk_mov_b32 v[44:45], v[40:41], v[40:41] op_sel:[0,1]
	s_or_b64 s[22:23], s[4:5], s[22:23]
	s_mov_b64 s[70:71], 0
	v_mov_b32_e32 v16, v96
	v_pk_mov_b32 v[42:43], v[38:39], v[38:39] op_sel:[0,1]
	s_andn2_b64 exec, exec, s[22:23]
	s_cbranch_execz .LBB104_67
.LBB104_49:                             ;   Parent Loop BB104_28 Depth=1
                                        ; =>  This Inner Loop Header: Depth=2
	v_add_u32_e32 v100, 1, v16
	v_pk_mov_b32 v[48:49], v[44:45], v[44:45] op_sel:[0,1]
	v_cmp_eq_u32_e32 vcc, 4, v100
	v_pk_mov_b32 v[46:47], v[42:43], v[42:43] op_sel:[0,1]
	s_and_saveexec_b64 s[4:5], vcc
	s_cbranch_execz .LBB104_51
; %bb.50:                               ;   in Loop: Header=BB104_49 Depth=2
	v_add_co_u32_e32 v30, vcc, 1, v30
	v_cndmask_b32_e64 v27, 0, 1, vcc
	v_addc_co_u32_e32 v31, vcc, 0, v31, vcc
	v_cmp_eq_u32_e32 vcc, 0, v31
	v_cndmask_b32_e32 v27, 0, v27, vcc
	v_add_u32_e32 v32, v27, v32
	v_cmp_eq_u32_e32 vcc, 0, v32
	v_cndmask_b32_e32 v27, 0, v27, vcc
	v_mad_u64_u32 v[34:35], s[72:73], v30, s76, 0
	v_mad_u64_u32 v[36:37], s[72:73], v32, s77, 0
	v_add_u32_e32 v33, v27, v33
	v_xor_b32_e32 v27, v37, v50
	v_xor_b32_e32 v35, v35, v51
	v_xor_b32_e32 v27, v31, v27
	v_xor_b32_e32 v35, v33, v35
	v_mad_u64_u32 v[38:39], s[72:73], v27, s76, 0
	v_mad_u64_u32 v[40:41], s[72:73], v35, s77, 0
	v_xor_b32_e32 v27, v41, v36
	v_xor_b32_e32 v34, v39, v34
	v_xor_b32_e32 v27, v65, v27
	v_xor_b32_e32 v36, v66, v34
	v_mad_u64_u32 v[34:35], s[72:73], v27, s76, 0
	v_mad_u64_u32 v[36:37], s[72:73], v36, s77, 0
	;; [unrolled: 6-line block ×9, first 2 shown]
	v_xor_b32_e32 v27, v41, v34
	v_xor_b32_e32 v34, v63, v27
	;; [unrolled: 1-line block ×4, first 2 shown]
	v_mov_b32_e32 v37, v38
	v_mov_b32_e32 v35, v40
	v_pk_mov_b32 v[48:49], v[36:37], v[36:37] op_sel:[0,1]
	v_mov_b32_e32 v100, 0
	v_pk_mov_b32 v[46:47], v[34:35], v[34:35] op_sel:[0,1]
.LBB104_51:                             ;   in Loop: Header=BB104_49 Depth=2
	s_or_b64 exec, exec, s[4:5]
	v_add_u32_e32 v96, 1, v100
	v_pk_mov_b32 v[38:39], v[46:47], v[46:47] op_sel:[0,1]
	v_cmp_eq_u32_e32 vcc, 4, v96
	v_pk_mov_b32 v[40:41], v[48:49], v[48:49] op_sel:[0,1]
	s_and_saveexec_b64 s[4:5], vcc
	s_cbranch_execz .LBB104_53
; %bb.52:                               ;   in Loop: Header=BB104_49 Depth=2
	v_add_co_u32_e32 v30, vcc, 1, v30
	v_cndmask_b32_e64 v27, 0, 1, vcc
	v_addc_co_u32_e32 v31, vcc, 0, v31, vcc
	v_cmp_eq_u32_e32 vcc, 0, v31
	v_cndmask_b32_e32 v27, 0, v27, vcc
	v_add_u32_e32 v32, v27, v32
	v_cmp_eq_u32_e32 vcc, 0, v32
	v_cndmask_b32_e32 v27, 0, v27, vcc
	v_mad_u64_u32 v[34:35], s[72:73], v30, s76, 0
	v_mad_u64_u32 v[36:37], s[72:73], v32, s77, 0
	v_add_u32_e32 v33, v27, v33
	v_xor_b32_e32 v27, v37, v50
	v_xor_b32_e32 v35, v35, v51
	v_xor_b32_e32 v27, v31, v27
	v_xor_b32_e32 v35, v33, v35
	v_mad_u64_u32 v[38:39], s[72:73], v27, s76, 0
	v_mad_u64_u32 v[40:41], s[72:73], v35, s77, 0
	v_xor_b32_e32 v27, v41, v36
	v_xor_b32_e32 v34, v39, v34
	v_xor_b32_e32 v27, v65, v27
	v_xor_b32_e32 v36, v66, v34
	v_mad_u64_u32 v[34:35], s[72:73], v27, s76, 0
	v_mad_u64_u32 v[36:37], s[72:73], v36, s77, 0
	;; [unrolled: 6-line block ×9, first 2 shown]
	v_xor_b32_e32 v27, v41, v34
	v_xor_b32_e32 v34, v63, v27
	;; [unrolled: 1-line block ×4, first 2 shown]
	v_mov_b32_e32 v37, v38
	v_mov_b32_e32 v35, v40
	v_pk_mov_b32 v[40:41], v[36:37], v[36:37] op_sel:[0,1]
	v_mov_b32_e32 v96, 0
	v_pk_mov_b32 v[38:39], v[34:35], v[34:35] op_sel:[0,1]
.LBB104_53:                             ;   in Loop: Header=BB104_49 Depth=2
	s_or_b64 exec, exec, s[4:5]
	v_cmp_eq_u32_e32 vcc, 1, v16
	v_cndmask_b32_e32 v27, v42, v43, vcc
	v_cmp_eq_u32_e32 vcc, 2, v16
	v_cndmask_b32_e32 v27, v27, v44, vcc
	;; [unrolled: 2-line block ×3, first 2 shown]
	v_and_b32_e32 v16, 0xffffff, v16
	v_cvt_f32_u32_e32 v16, v16
	v_fma_f32 v16, v16, s83, -0.5
	v_sub_f32_e64 v99, 0.5, |v16|
	v_div_scale_f32 v27, s[4:5], v99, v99, v95
	v_rcp_f32_e32 v42, v27
	v_div_scale_f32 v43, vcc, v95, v99, v95
	v_fma_f32 v44, -v27, v42, 1.0
	v_fmac_f32_e32 v42, v44, v42
	v_mul_f32_e32 v44, v43, v42
	v_fma_f32 v45, -v27, v44, v43
	v_fmac_f32_e32 v44, v45, v42
	v_fma_f32 v27, -v27, v44, v43
	v_div_fmas_f32 v27, v27, v42, v44
	v_div_fixup_f32 v27, v27, v99, v95
	v_add_f32_e32 v27, v27, v26
	v_fma_f32 v16, v16, v27, v89
	v_floor_f32_e32 v27, v16
	v_cmp_ngt_f32_e32 vcc, 0, v27
	v_cmp_ngt_f32_e64 s[4:5], v27, v87
	s_and_b64 s[4:5], vcc, s[4:5]
	s_and_b64 s[4:5], exec, s[4:5]
	v_pk_mov_b32 v[44:45], v[40:41], v[40:41] op_sel:[0,1]
	s_or_b64 s[70:71], s[4:5], s[70:71]
	v_mov_b32_e32 v16, v96
	v_pk_mov_b32 v[42:43], v[38:39], v[38:39] op_sel:[0,1]
	s_andn2_b64 exec, exec, s[70:71]
	s_cbranch_execnz .LBB104_49
; %bb.54:                               ;   in Loop: Header=BB104_49 Depth=2
	s_or_b64 exec, exec, s[70:71]
	v_cmp_eq_u32_e32 vcc, 1, v100
	v_cndmask_b32_e32 v16, v46, v47, vcc
	v_cmp_eq_u32_e32 vcc, 2, v100
	v_cndmask_b32_e32 v16, v16, v48, vcc
	;; [unrolled: 2-line block ×3, first 2 shown]
	v_and_b32_e32 v16, 0xffffff, v16
	v_cvt_f32_u32_e32 v16, v16
	v_cvt_f64_f32_e32 v[42:43], v99
	v_cmp_nle_f64_e32 vcc, s[68:69], v[42:43]
	v_mul_f32_e32 v16, 0x33800000, v16
	v_cmp_nle_f32_e64 s[4:5], v16, v90
	s_or_b64 s[72:73], vcc, s[4:5]
	s_mov_b64 s[4:5], -1
	s_and_saveexec_b64 s[70:71], s[72:73]
	s_cbranch_execz .LBB104_48
; %bb.55:                               ;   in Loop: Header=BB104_49 Depth=2
	v_mov_b32_e32 v42, v97
	s_and_saveexec_b64 s[4:5], s[0:1]
	s_cbranch_execz .LBB104_57
; %bb.56:                               ;   in Loop: Header=BB104_49 Depth=2
	global_load_dword v42, v[52:53], off
.LBB104_57:                             ;   in Loop: Header=BB104_49 Depth=2
	s_or_b64 exec, exec, s[4:5]
	v_mov_b32_e32 v43, v98
	s_and_saveexec_b64 s[4:5], s[2:3]
	s_cbranch_execz .LBB104_59
; %bb.58:                               ;   in Loop: Header=BB104_49 Depth=2
	global_load_dword v43, v[54:55], off
.LBB104_59:                             ;   in Loop: Header=BB104_49 Depth=2
	s_or_b64 exec, exec, s[4:5]
	v_add_f32_e32 v44, 1.0, v27
	v_cmp_ngt_f32_e32 vcc, s78, v27
                                        ; implicit-def: $vgpr45
	s_and_saveexec_b64 s[4:5], vcc
	s_xor_b64 s[4:5], exec, s[4:5]
	s_cbranch_execz .LBB104_61
; %bb.60:                               ;   in Loop: Header=BB104_49 Depth=2
	v_mul_f32_e32 v45, v44, v44
	v_cvt_f64_f32_e32 v[46:47], v45
	v_div_scale_f64 v[48:49], s[72:73], v[46:47], v[46:47], s[62:63]
	v_rcp_f64_e32 v[100:101], v[48:49]
	v_div_scale_f64 v[102:103], vcc, s[62:63], v[46:47], s[62:63]
	v_fma_f64 v[104:105], -v[48:49], v[100:101], 1.0
	v_fmac_f64_e32 v[100:101], v[100:101], v[104:105]
	v_fma_f64 v[104:105], -v[48:49], v[100:101], 1.0
	v_fmac_f64_e32 v[100:101], v[100:101], v[104:105]
	v_mul_f64 v[104:105], v[102:103], v[100:101]
	v_fma_f64 v[48:49], -v[48:49], v[104:105], v[102:103]
	v_div_fmas_f64 v[48:49], v[48:49], v[100:101], v[104:105]
	v_div_fixup_f64 v[48:49], v[48:49], v[46:47], s[62:63]
	v_add_f64 v[48:49], v[48:49], s[64:65]
	v_div_scale_f64 v[100:101], s[72:73], v[46:47], v[46:47], v[48:49]
	v_rcp_f64_e32 v[102:103], v[100:101]
	v_fma_f64 v[104:105], -v[100:101], v[102:103], 1.0
	v_fmac_f64_e32 v[102:103], v[102:103], v[104:105]
	v_fma_f64 v[104:105], -v[100:101], v[102:103], 1.0
	v_fmac_f64_e32 v[102:103], v[102:103], v[104:105]
	v_div_scale_f64 v[104:105], vcc, v[48:49], v[46:47], v[48:49]
	v_mul_f64 v[106:107], v[104:105], v[102:103]
	v_fma_f64 v[100:101], -v[100:101], v[106:107], v[104:105]
	s_nop 1
	v_div_fmas_f64 v[100:101], v[100:101], v[102:103], v[106:107]
	v_div_fixup_f64 v[46:47], v[100:101], v[46:47], v[48:49]
	v_add_f64 v[46:47], -v[46:47], s[66:67]
	v_cvt_f64_f32_e32 v[48:49], v44
	v_div_scale_f64 v[100:101], s[72:73], v[48:49], v[48:49], v[46:47]
	v_rcp_f64_e32 v[102:103], v[100:101]
	v_fma_f64 v[104:105], -v[100:101], v[102:103], 1.0
	v_fmac_f64_e32 v[102:103], v[102:103], v[104:105]
	v_fma_f64 v[104:105], -v[100:101], v[102:103], 1.0
	v_fmac_f64_e32 v[102:103], v[102:103], v[104:105]
	v_div_scale_f64 v[104:105], vcc, v[46:47], v[48:49], v[46:47]
	v_mul_f64 v[106:107], v[104:105], v[102:103]
	v_fma_f64 v[100:101], -v[100:101], v[106:107], v[104:105]
	s_nop 1
	v_div_fmas_f64 v[100:101], v[100:101], v[102:103], v[106:107]
	v_div_fixup_f64 v[46:47], v[100:101], v[48:49], v[46:47]
	v_cvt_f32_f64_e32 v45, v[46:47]
.LBB104_61:                             ;   in Loop: Header=BB104_49 Depth=2
	s_andn2_saveexec_b64 s[4:5], s[4:5]
	s_cbranch_execz .LBB104_63
; %bb.62:                               ;   in Loop: Header=BB104_49 Depth=2
	v_trunc_f32_e32 v45, v27
	v_mul_f32_e32 v46, 0x2f800000, v45
	v_floor_f32_e32 v46, v46
	v_fmac_f32_e32 v45, 0xcf800000, v46
	v_cvt_u32_f32_e32 v47, v46
	v_cvt_u32_f32_e32 v46, v45
	s_getpc_b64 s[72:73]
	s_add_u32 s72, s72, _ZZN12_GLOBAL__N_120stirling_approx_tailIfEET_S1_E11kTailValues.const@rel32@lo+4
	s_addc_u32 s73, s73, _ZZN12_GLOBAL__N_120stirling_approx_tailIfEET_S1_E11kTailValues.const@rel32@hi+12
	v_mov_b32_e32 v45, s73
	v_lshlrev_b64 v[46:47], 2, v[46:47]
	v_add_co_u32_e32 v46, vcc, s72, v46
	v_addc_co_u32_e32 v47, vcc, v47, v45, vcc
	global_load_dword v45, v[46:47], off
.LBB104_63:                             ;   in Loop: Header=BB104_49 Depth=2
	s_or_b64 exec, exec, s[4:5]
	v_sub_f32_e32 v48, v87, v27
	v_add_f32_e32 v47, 1.0, v48
	v_cmp_ngt_f32_e32 vcc, s78, v48
                                        ; implicit-def: $vgpr46
	s_and_saveexec_b64 s[4:5], vcc
	s_xor_b64 s[4:5], exec, s[4:5]
	s_cbranch_execz .LBB104_65
; %bb.64:                               ;   in Loop: Header=BB104_49 Depth=2
	v_mul_f32_e32 v46, v47, v47
	v_cvt_f64_f32_e32 v[48:49], v46
	v_div_scale_f64 v[100:101], s[72:73], v[48:49], v[48:49], s[62:63]
	v_rcp_f64_e32 v[102:103], v[100:101]
	v_div_scale_f64 v[104:105], vcc, s[62:63], v[48:49], s[62:63]
	v_fma_f64 v[106:107], -v[100:101], v[102:103], 1.0
	v_fmac_f64_e32 v[102:103], v[102:103], v[106:107]
	v_fma_f64 v[106:107], -v[100:101], v[102:103], 1.0
	v_fmac_f64_e32 v[102:103], v[102:103], v[106:107]
	v_mul_f64 v[106:107], v[104:105], v[102:103]
	v_fma_f64 v[100:101], -v[100:101], v[106:107], v[104:105]
	v_div_fmas_f64 v[100:101], v[100:101], v[102:103], v[106:107]
	v_div_fixup_f64 v[100:101], v[100:101], v[48:49], s[62:63]
	v_add_f64 v[100:101], v[100:101], s[64:65]
	v_div_scale_f64 v[102:103], s[72:73], v[48:49], v[48:49], v[100:101]
	v_rcp_f64_e32 v[104:105], v[102:103]
	v_fma_f64 v[106:107], -v[102:103], v[104:105], 1.0
	v_fmac_f64_e32 v[104:105], v[104:105], v[106:107]
	v_fma_f64 v[106:107], -v[102:103], v[104:105], 1.0
	v_fmac_f64_e32 v[104:105], v[104:105], v[106:107]
	v_div_scale_f64 v[106:107], vcc, v[100:101], v[48:49], v[100:101]
	v_mul_f64 v[108:109], v[106:107], v[104:105]
	v_fma_f64 v[102:103], -v[102:103], v[108:109], v[106:107]
	s_nop 1
	v_div_fmas_f64 v[102:103], v[102:103], v[104:105], v[108:109]
	v_div_fixup_f64 v[48:49], v[102:103], v[48:49], v[100:101]
	v_add_f64 v[48:49], -v[48:49], s[66:67]
	v_cvt_f64_f32_e32 v[100:101], v47
	v_div_scale_f64 v[102:103], s[72:73], v[100:101], v[100:101], v[48:49]
	v_rcp_f64_e32 v[104:105], v[102:103]
	v_fma_f64 v[106:107], -v[102:103], v[104:105], 1.0
	v_fmac_f64_e32 v[104:105], v[104:105], v[106:107]
	v_fma_f64 v[106:107], -v[102:103], v[104:105], 1.0
	v_fmac_f64_e32 v[104:105], v[104:105], v[106:107]
	v_div_scale_f64 v[106:107], vcc, v[48:49], v[100:101], v[48:49]
	v_mul_f64 v[108:109], v[106:107], v[104:105]
	v_fma_f64 v[102:103], -v[102:103], v[108:109], v[106:107]
	s_nop 1
	v_div_fmas_f64 v[102:103], v[102:103], v[104:105], v[108:109]
	v_div_fixup_f64 v[48:49], v[102:103], v[100:101], v[48:49]
	v_cvt_f32_f64_e32 v46, v[48:49]
                                        ; implicit-def: $vgpr48
.LBB104_65:                             ;   in Loop: Header=BB104_49 Depth=2
	s_andn2_saveexec_b64 s[4:5], s[4:5]
	s_cbranch_execz .LBB104_47
; %bb.66:                               ;   in Loop: Header=BB104_49 Depth=2
	v_trunc_f32_e32 v46, v48
	v_mul_f32_e32 v48, 0x2f800000, v46
	v_floor_f32_e32 v48, v48
	v_fmac_f32_e32 v46, 0xcf800000, v48
	v_cvt_u32_f32_e32 v49, v48
	v_cvt_u32_f32_e32 v48, v46
	s_getpc_b64 s[72:73]
	s_add_u32 s72, s72, _ZZN12_GLOBAL__N_120stirling_approx_tailIfEET_S1_E11kTailValues.const@rel32@lo+4
	s_addc_u32 s73, s73, _ZZN12_GLOBAL__N_120stirling_approx_tailIfEET_S1_E11kTailValues.const@rel32@hi+12
	v_mov_b32_e32 v46, s73
	v_lshlrev_b64 v[48:49], 2, v[48:49]
	v_add_co_u32_e32 v48, vcc, s72, v48
	v_addc_co_u32_e32 v49, vcc, v49, v46, vcc
	global_load_dword v46, v[48:49], off
	s_branch .LBB104_47
.LBB104_67:                             ;   in Loop: Header=BB104_28 Depth=1
	s_or_b64 exec, exec, s[22:23]
                                        ; implicit-def: $vgpr87
                                        ; implicit-def: $vgpr16
                                        ; implicit-def: $vgpr22
.LBB104_68:                             ;   in Loop: Header=BB104_28 Depth=1
	s_andn2_saveexec_b64 s[0:1], s[20:21]
	s_cbranch_execz .LBB104_74
; %bb.69:                               ;   in Loop: Header=BB104_28 Depth=1
	v_sub_f32_e32 v23, 1.0, v22
	v_add_f32_e32 v26, -1.0, v23
	v_sub_f32_e32 v27, v26, v23
	v_add_f32_e32 v27, 1.0, v27
	v_sub_f32_e64 v26, -v22, v26
	v_add_f32_e32 v38, v26, v27
	v_frexp_mant_f32_e32 v39, v23
	v_cvt_f64_f32_e32 v[26:27], v23
	v_frexp_exp_i32_f64_e32 v26, v[26:27]
	v_cmp_gt_f32_e32 vcc, s84, v39
	v_subbrev_co_u32_e32 v26, vcc, 0, v26, vcc
	v_sub_u32_e32 v27, 0, v26
	v_ldexp_f32 v23, v23, v27
	v_ldexp_f32 v27, v38, v27
	v_add_f32_e32 v38, -1.0, v23
	v_add_f32_e32 v41, 1.0, v23
	v_add_f32_e32 v39, 1.0, v38
	v_add_f32_e32 v42, -1.0, v41
	v_sub_f32_e32 v39, v23, v39
	v_sub_f32_e32 v23, v23, v42
	v_add_f32_e32 v23, v27, v23
	v_add_f32_e32 v39, v27, v39
	;; [unrolled: 1-line block ×3, first 2 shown]
	v_rcp_f32_e32 v42, v27
	v_add_f32_e32 v40, v38, v39
	v_sub_f32_e32 v38, v40, v38
	v_sub_f32_e32 v38, v39, v38
	;; [unrolled: 1-line block ×4, first 2 shown]
	v_mul_f32_e32 v39, v40, v42
	v_mul_f32_e32 v41, v27, v39
	v_fma_f32 v43, v39, v27, -v41
	v_fmac_f32_e32 v43, v39, v23
	v_add_f32_e32 v44, v41, v43
	v_sub_f32_e32 v45, v40, v44
	v_sub_f32_e32 v40, v40, v45
	;; [unrolled: 1-line block ×4, first 2 shown]
	v_add_f32_e32 v38, v38, v40
	v_sub_f32_e32 v40, v41, v43
	v_add_f32_e32 v38, v40, v38
	v_add_f32_e32 v40, v45, v38
	v_mul_f32_e32 v41, v42, v40
	v_mul_f32_e32 v43, v27, v41
	v_fma_f32 v27, v41, v27, -v43
	v_fmac_f32_e32 v27, v41, v23
	v_sub_f32_e32 v23, v45, v40
	v_add_f32_e32 v23, v38, v23
	v_add_f32_e32 v38, v43, v27
	v_sub_f32_e32 v44, v40, v38
	v_sub_f32_e32 v40, v40, v44
	;; [unrolled: 1-line block ×4, first 2 shown]
	v_add_f32_e32 v23, v23, v38
	v_sub_f32_e32 v27, v43, v27
	v_cvt_f32_i32_e32 v26, v26
	v_add_f32_e32 v23, v27, v23
	v_add_f32_e32 v27, v39, v41
	;; [unrolled: 1-line block ×3, first 2 shown]
	v_sub_f32_e32 v38, v27, v39
	v_mul_f32_e32 v23, v42, v23
	v_sub_f32_e32 v38, v41, v38
	v_add_f32_e32 v23, v38, v23
	v_mul_f32_e32 v41, 0x3f317218, v26
	v_add_f32_e32 v38, v27, v23
	v_fma_f32 v42, v26, s85, -v41
	v_mul_f32_e32 v39, v38, v38
	v_mov_b32_e32 v40, 0x3ecc95a3
	v_fmac_f32_e32 v42, 0xb102e308, v26
	v_sub_f32_e32 v26, v38, v27
	v_fmac_f32_e32 v40, 0x3e9b6dac, v39
	v_sub_f32_e32 v23, v23, v26
	v_add_f32_e32 v26, v41, v42
	v_fma_f32 v40, v39, v40, v82
	v_sub_f32_e32 v27, v26, v41
	v_ldexp_f32 v41, v38, 1
	v_mul_f32_e32 v38, v38, v39
	v_mul_f32_e32 v38, v38, v40
	v_add_f32_e32 v39, v41, v38
	v_sub_f32_e32 v40, v39, v41
	v_ldexp_f32 v23, v23, 1
	v_sub_f32_e32 v38, v38, v40
	v_add_f32_e32 v23, v23, v38
	v_add_f32_e32 v38, v39, v23
	v_sub_f32_e32 v39, v38, v39
	v_sub_f32_e32 v23, v23, v39
	v_add_f32_e32 v39, v26, v38
	v_sub_f32_e32 v40, v39, v26
	v_sub_f32_e32 v41, v39, v40
	;; [unrolled: 1-line block ×5, first 2 shown]
	v_add_f32_e32 v26, v38, v26
	v_add_f32_e32 v38, v27, v23
	v_sub_f32_e32 v40, v38, v27
	v_sub_f32_e32 v41, v38, v40
	v_sub_f32_e32 v27, v27, v41
	v_sub_f32_e32 v23, v23, v40
	v_add_f32_e32 v26, v38, v26
	v_add_f32_e32 v23, v23, v27
	;; [unrolled: 1-line block ×3, first 2 shown]
	v_sub_f32_e32 v38, v27, v39
	v_sub_f32_e32 v26, v26, v38
	v_add_f32_e32 v23, v23, v26
	v_add_f32_e32 v23, v27, v23
	v_cmp_eq_f32_e32 vcc, s86, v22
	v_cndmask_b32_e64 v23, v23, -v22, vcc
	v_cmp_nlt_f32_e32 vcc, 1.0, v22
	v_cndmask_b32_e32 v23, v85, v23, vcc
	v_cmp_neq_f32_e32 vcc, 1.0, v22
	v_cndmask_b32_e32 v23, v86, v23, vcc
	v_cmp_lt_f32_e64 s[2:3], |v22|, s83
	v_mov_b32_e32 v26, 0
	v_pk_mov_b32 v[40:41], v[36:37], v[36:37] op_sel:[0,1]
	v_cndmask_b32_e64 v42, v23, -v22, s[2:3]
	s_mov_b64 s[2:3], 0
	v_pk_mov_b32 v[38:39], v[34:35], v[34:35] op_sel:[0,1]
	v_mov_b32_e32 v23, v26
	s_branch .LBB104_71
.LBB104_70:                             ;   in Loop: Header=BB104_71 Depth=2
	s_or_b64 exec, exec, s[4:5]
	v_cmp_eq_u32_e32 vcc, 1, v16
	v_cndmask_b32_e32 v22, v38, v39, vcc
	v_cmp_eq_u32_e32 vcc, 2, v16
	v_cndmask_b32_e32 v22, v22, v40, vcc
	;; [unrolled: 2-line block ×3, first 2 shown]
	v_and_b32_e32 v16, 0xffffff, v16
	v_cvt_f32_u32_e32 v16, v16
	v_mul_f32_e32 v16, 0x33800000, v16
	v_cmp_gt_f32_e32 vcc, s80, v16
	v_cndmask_b32_e32 v22, 1.0, v83, vcc
	v_mul_f32_e32 v16, v16, v22
	v_log_f32_e32 v16, v16
	v_cndmask_b32_e32 v22, 0, v84, vcc
	v_mul_f32_e32 v23, 0x3f317217, v16
	v_fma_f32 v38, v16, s81, -v23
	v_fmac_f32_e32 v38, 0x3377d1cf, v16
	v_add_f32_e32 v23, v23, v38
	v_cmp_lt_f32_e64 vcc, |v16|, s82
	v_cndmask_b32_e32 v16, v16, v23, vcc
	v_sub_f32_e32 v16, v16, v22
	v_div_scale_f32 v22, s[4:5], v42, v42, v16
	v_rcp_f32_e32 v23, v22
	v_div_scale_f32 v38, vcc, v16, v42, v16
	v_fma_f32 v39, -v22, v23, 1.0
	v_fmac_f32_e32 v23, v39, v23
	v_mul_f32_e32 v39, v38, v23
	v_fma_f32 v40, -v22, v39, v38
	v_fmac_f32_e32 v39, v40, v23
	v_fma_f32 v22, -v22, v39, v38
	v_div_fmas_f32 v22, v22, v23, v39
	v_div_fixup_f32 v16, v22, v42, v16
	v_ceil_f32_e32 v16, v16
	v_pk_add_f32 v[22:23], v[26:27], v[16:17]
	v_cmp_gt_f32_e32 vcc, v22, v87
	v_pk_mov_b32 v[40:41], v[36:37], v[36:37] op_sel:[0,1]
	s_or_b64 s[2:3], vcc, s[2:3]
	v_mov_b32_e32 v16, v96
	v_pk_mov_b32 v[38:39], v[34:35], v[34:35] op_sel:[0,1]
	v_mov_b32_e32 v26, v22
	s_andn2_b64 exec, exec, s[2:3]
	s_cbranch_execz .LBB104_73
.LBB104_71:                             ;   Parent Loop BB104_28 Depth=1
                                        ; =>  This Inner Loop Header: Depth=2
	v_add_u32_e32 v96, 1, v16
	v_mov_b32_e32 v27, v23
	v_cmp_eq_u32_e32 vcc, 4, v96
	s_and_saveexec_b64 s[4:5], vcc
	s_cbranch_execz .LBB104_70
; %bb.72:                               ;   in Loop: Header=BB104_71 Depth=2
	v_add_co_u32_e32 v30, vcc, 1, v30
	v_cndmask_b32_e64 v22, 0, 1, vcc
	v_addc_co_u32_e32 v31, vcc, 0, v31, vcc
	v_cmp_eq_u32_e32 vcc, 0, v31
	v_cndmask_b32_e32 v22, 0, v22, vcc
	v_add_u32_e32 v32, v22, v32
	v_cmp_eq_u32_e32 vcc, 0, v32
	v_cndmask_b32_e32 v22, 0, v22, vcc
	v_add_u32_e32 v33, v22, v33
	v_mad_u64_u32 v[22:23], s[20:21], v30, s76, 0
	v_mad_u64_u32 v[34:35], s[20:21], v32, s77, 0
	v_xor_b32_e32 v23, v23, v51
	v_xor_b32_e32 v35, v35, v50
	v_xor_b32_e32 v23, v33, v23
	v_xor_b32_e32 v35, v31, v35
	v_mad_u64_u32 v[44:45], s[20:21], v23, s77, 0
	v_mad_u64_u32 v[36:37], s[20:21], v35, s76, 0
	v_xor_b32_e32 v23, v1, v45
	v_xor_b32_e32 v23, v23, v34
	v_xor_b32_e32 v34, v4, v37
	v_xor_b32_e32 v34, v34, v22
	;; [unrolled: 6-line block ×9, first 2 shown]
	v_mad_u64_u32 v[44:45], s[20:21], v35, s76, 0
	v_mad_u64_u32 v[46:47], s[20:21], v23, s77, 0
	v_xor_b32_e32 v23, v47, v34
	v_xor_b32_e32 v22, v45, v22
	v_mov_b32_e32 v96, 0
	v_xor_b32_e32 v34, v63, v23
	v_xor_b32_e32 v36, v64, v22
	v_mov_b32_e32 v35, v46
	v_mov_b32_e32 v37, v44
	s_branch .LBB104_70
.LBB104_73:                             ;   in Loop: Header=BB104_28 Depth=1
	s_or_b64 exec, exec, s[2:3]
.LBB104_74:                             ;   in Loop: Header=BB104_28 Depth=1
	s_or_b64 exec, exec, s[0:1]
                                        ; implicit-def: $vgpr16
                                        ; implicit-def: $vgpr22
                                        ; implicit-def: $vgpr87
.LBB104_75:                             ;   in Loop: Header=BB104_28 Depth=1
	s_andn2_saveexec_b64 s[18:19], s[18:19]
	s_cbranch_execz .LBB104_25
; %bb.76:                               ;   in Loop: Header=BB104_28 Depth=1
	v_cmp_lt_f32_e32 vcc, 0.5, v22
	v_mov_b32_e32 v27, 0x7fc00000
	s_and_saveexec_b64 s[20:21], vcc
	s_cbranch_execz .LBB104_24
; %bb.77:                               ;   in Loop: Header=BB104_28 Depth=1
	v_sub_f32_e32 v22, 1.0, v22
	v_mul_f32_e32 v23, v87, v22
	v_cmp_le_f32_e32 vcc, s78, v23
                                        ; implicit-def: $vgpr55
                                        ; implicit-def: $vgpr96
	s_and_saveexec_b64 s[0:1], vcc
	s_xor_b64 s[22:23], exec, s[0:1]
	s_cbranch_execz .LBB104_100
; %bb.78:                               ;   in Loop: Header=BB104_28 Depth=1
	v_sub_f32_e32 v48, 1.0, v22
	v_mul_f32_e32 v26, v23, v48
	v_mul_f32_e32 v27, 0x4f800000, v26
	v_cmp_gt_f32_e32 vcc, s79, v26
	v_cndmask_b32_e32 v26, v26, v27, vcc
	v_sqrt_f32_e32 v27, v26
	v_cvt_f64_f32_e32 v[42:43], v22
	v_add_f32_e32 v89, 0.5, v23
	v_add_f32_e32 v92, 1.0, v87
	v_add_u32_e32 v38, -1, v27
	v_fma_f32 v40, -v38, v27, v26
	v_add_u32_e32 v39, 1, v27
	v_cmp_ge_f32_e64 s[0:1], 0, v40
	v_cndmask_b32_e64 v38, v27, v38, s[0:1]
	v_fma_f32 v27, -v39, v27, v26
	v_cmp_lt_f32_e64 s[0:1], 0, v27
	v_cndmask_b32_e64 v27, v38, v39, s[0:1]
	v_mul_f32_e32 v38, 0x37800000, v27
	v_cndmask_b32_e32 v27, v27, v38, vcc
	v_cmp_class_f32_e32 vcc, v26, v81
	v_cndmask_b32_e32 v26, v27, v26, vcc
	v_cvt_f64_f32_e32 v[26:27], v26
	v_pk_mov_b32 v[38:39], v[2:3], v[2:3] op_sel:[0,1]
	v_fmac_f64_e32 v[38:39], s[48:49], v[26:27]
	v_cvt_f32_f64_e32 v54, v[38:39]
	v_cvt_f64_f32_e32 v[38:39], v54
	v_div_scale_f64 v[44:45], s[0:1], v[38:39], v[38:39], s[54:55]
	v_rcp_f64_e32 v[46:47], v[44:45]
	v_pk_mov_b32 v[40:41], v[10:11], v[10:11] op_sel:[0,1]
	v_fmac_f64_e32 v[40:41], s[50:51], v[38:39]
	v_fmac_f64_e32 v[40:41], s[52:53], v[42:43]
	v_cvt_f32_f64_e32 v88, v[40:41]
	v_fma_f64 v[40:41], -v[44:45], v[46:47], 1.0
	v_fmac_f64_e32 v[46:47], v[46:47], v[40:41]
	v_fma_f64 v[40:41], -v[44:45], v[46:47], 1.0
	v_fmac_f64_e32 v[46:47], v[46:47], v[40:41]
	v_div_scale_f64 v[40:41], vcc, s[54:55], v[38:39], s[54:55]
	v_mul_f64 v[42:43], v[40:41], v[46:47]
	v_div_scale_f32 v23, s[0:1], v48, v48, v22
	v_fma_f64 v[40:41], -v[44:45], v[42:43], v[40:41]
	v_rcp_f32_e32 v44, v23
	v_div_fmas_f64 v[40:41], v[40:41], v[46:47], v[42:43]
	v_div_fixup_f64 v[40:41], v[40:41], v[38:39], s[54:55]
	v_add_f64 v[40:41], v[40:41], s[56:57]
	v_cvt_f32_f64_e32 v90, v[40:41]
	v_fma_f32 v40, -v23, v44, 1.0
	v_fmac_f32_e32 v44, v40, v44
	v_div_scale_f32 v40, vcc, v22, v48, v22
	v_mul_f32_e32 v45, v40, v44
	v_fma_f32 v41, -v23, v45, v40
	v_fmac_f32_e32 v45, v41, v44
	v_fma_f32 v23, -v23, v45, v40
	v_div_scale_f64 v[40:41], s[0:1], v[38:39], v[38:39], s[46:47]
	v_rcp_f64_e32 v[42:43], v[40:41]
	v_div_fmas_f32 v23, v23, v44, v45
	v_div_fixup_f32 v91, v23, v48, v22
	v_mul_f32_e32 v22, v92, v22
	v_fma_f64 v[44:45], -v[40:41], v[42:43], 1.0
	v_fmac_f64_e32 v[42:43], v[42:43], v[44:45]
	v_fma_f64 v[44:45], -v[40:41], v[42:43], 1.0
	v_fmac_f64_e32 v[42:43], v[42:43], v[44:45]
	v_div_scale_f64 v[44:45], vcc, s[46:47], v[38:39], s[46:47]
	v_mul_f64 v[46:47], v[44:45], v[42:43]
	v_floor_f32_e32 v48, v22
	v_fma_f64 v[40:41], -v[40:41], v[46:47], v[44:45]
	v_sub_f32_e32 v52, v87, v48
	v_div_fmas_f64 v[40:41], v[40:41], v[42:43], v[46:47]
	v_add_f32_e32 v93, 1.0, v52
	v_div_fixup_f64 v[38:39], v[40:41], v[38:39], s[46:47]
	v_add_f32_e32 v49, 1.0, v48
	v_mul_f32_e32 v40, v91, v93
	v_div_scale_f32 v41, s[0:1], v40, v40, v49
	v_rcp_f32_e32 v42, v41
	v_add_f64 v[22:23], v[38:39], s[58:59]
	v_mul_f64 v[22:23], v[22:23], v[26:27]
	v_cvt_f32_f64_e32 v94, v[22:23]
	v_fma_f32 v22, -v41, v42, 1.0
	v_fmac_f32_e32 v42, v22, v42
	v_div_scale_f32 v22, vcc, v49, v40, v49
	v_mul_f32_e32 v23, v22, v42
	v_fma_f32 v26, -v41, v23, v22
	v_fmac_f32_e32 v23, v26, v42
	v_fma_f32 v22, -v41, v23, v22
	v_div_fmas_f32 v22, v22, v42, v23
	v_div_fixup_f32 v22, v22, v40, v49
	v_cmp_gt_f32_e64 s[0:1], s80, v22
	v_cndmask_b32_e64 v23, 1.0, v83, s[0:1]
	v_mul_f32_e32 v22, v22, v23
	v_log_f32_e32 v46, v22
	v_mul_f32_e32 v26, v49, v49
	v_cvt_f64_f32_e32 v[26:27], v26
	s_mov_b32 s60, s62
	v_div_scale_f64 v[38:39], s[2:3], v[26:27], v[26:27], s[60:61]
	v_rcp_f64_e32 v[40:41], v[38:39]
	v_mul_f32_e32 v42, 0x3f317217, v46
	v_fma_f32 v43, v46, s81, -v42
	v_fmac_f32_e32 v43, 0x3377d1cf, v46
	v_add_f32_e32 v47, v42, v43
	v_fma_f64 v[42:43], -v[38:39], v[40:41], 1.0
	v_fmac_f64_e32 v[40:41], v[40:41], v[42:43]
	v_fma_f64 v[42:43], -v[38:39], v[40:41], 1.0
	v_fmac_f64_e32 v[40:41], v[40:41], v[42:43]
	v_div_scale_f64 v[42:43], vcc, s[60:61], v[26:27], s[60:61]
	v_mul_f64 v[44:45], v[42:43], v[40:41]
	v_fma_f64 v[38:39], -v[38:39], v[44:45], v[42:43]
	v_cvt_f64_f32_e32 v[22:23], v48
	s_nop 0
	v_div_fmas_f64 v[38:39], v[38:39], v[40:41], v[44:45]
	v_div_fixup_f64 v[38:39], v[38:39], v[26:27], s[60:61]
	v_add_f64 v[38:39], -v[38:39], s[64:65]
	v_div_scale_f64 v[40:41], s[2:3], v[26:27], v[26:27], v[38:39]
	v_rcp_f64_e32 v[42:43], v[40:41]
	v_cmp_lt_f32_e64 vcc, |v46|, s82
	v_cndmask_b32_e32 v44, v46, v47, vcc
	v_cndmask_b32_e64 v45, 0, v84, s[0:1]
	v_sub_f32_e32 v53, v44, v45
	v_fma_f64 v[44:45], -v[40:41], v[42:43], 1.0
	v_fmac_f64_e32 v[42:43], v[42:43], v[44:45]
	v_fma_f64 v[44:45], -v[40:41], v[42:43], 1.0
	v_fmac_f64_e32 v[42:43], v[42:43], v[44:45]
	v_div_scale_f64 v[44:45], vcc, v[38:39], v[26:27], v[38:39]
	v_mul_f64 v[46:47], v[44:45], v[42:43]
	v_fma_f64 v[40:41], -v[40:41], v[46:47], v[44:45]
	v_add_f64 v[22:23], v[22:23], 0.5
	s_nop 0
	v_div_fmas_f64 v[40:41], v[40:41], v[42:43], v[46:47]
	v_div_fixup_f64 v[26:27], v[40:41], v[26:27], v[38:39]
	v_add_f64 v[26:27], -v[26:27], s[66:67]
	v_cvt_f64_f32_e32 v[38:39], v49
	v_div_scale_f64 v[40:41], s[0:1], v[38:39], v[38:39], v[26:27]
	v_rcp_f64_e32 v[42:43], v[40:41]
	v_cvt_f64_f32_e32 v[44:45], v53
	v_mul_f64 v[22:23], v[22:23], v[44:45]
	v_cmp_gt_f32_e64 s[0:1], s78, v48
	v_fma_f64 v[44:45], -v[40:41], v[42:43], 1.0
	v_fmac_f64_e32 v[42:43], v[42:43], v[44:45]
	v_fma_f64 v[44:45], -v[40:41], v[42:43], 1.0
	v_fmac_f64_e32 v[42:43], v[42:43], v[44:45]
	v_div_scale_f64 v[44:45], vcc, v[26:27], v[38:39], v[26:27]
	v_mul_f64 v[46:47], v[44:45], v[42:43]
	v_fma_f64 v[40:41], -v[40:41], v[46:47], v[44:45]
	s_getpc_b64 s[4:5]
	s_add_u32 s4, s4, _ZZN12_GLOBAL__N_120stirling_approx_tailIfEET_S1_E11kTailValues.const@rel32@lo+4
	s_addc_u32 s5, s5, _ZZN12_GLOBAL__N_120stirling_approx_tailIfEET_S1_E11kTailValues.const@rel32@hi+12
	v_div_fmas_f64 v[40:41], v[40:41], v[42:43], v[46:47]
	v_div_fixup_f64 v[26:27], v[40:41], v[38:39], v[26:27]
	v_cvt_f32_f64_e32 v97, v[26:27]
	v_mul_f32_e32 v26, 0x2f800000, v48
	v_floor_f32_e32 v43, v26
	v_mul_f32_e32 v26, v93, v93
	v_cvt_f64_f32_e32 v[26:27], v26
	v_div_scale_f64 v[38:39], s[2:3], v[26:27], v[26:27], s[60:61]
	v_rcp_f64_e32 v[40:41], v[38:39]
	v_fmac_f32_e32 v48, 0xcf800000, v43
	v_cvt_u32_f32_e32 v42, v48
	v_cvt_u32_f32_e32 v43, v43
	v_fma_f64 v[44:45], -v[38:39], v[40:41], 1.0
	v_fmac_f64_e32 v[40:41], v[40:41], v[44:45]
	v_fma_f64 v[44:45], -v[38:39], v[40:41], 1.0
	v_fmac_f64_e32 v[40:41], v[40:41], v[44:45]
	v_div_scale_f64 v[44:45], vcc, s[60:61], v[26:27], s[60:61]
	v_mul_f64 v[46:47], v[44:45], v[40:41]
	v_fma_f64 v[38:39], -v[38:39], v[46:47], v[44:45]
	v_lshlrev_b64 v[42:43], 2, v[42:43]
	s_nop 0
	v_div_fmas_f64 v[38:39], v[38:39], v[40:41], v[46:47]
	v_div_fixup_f64 v[38:39], v[38:39], v[26:27], s[60:61]
	v_add_f64 v[38:39], -v[38:39], s[64:65]
	v_div_scale_f64 v[40:41], s[2:3], v[26:27], v[26:27], v[38:39]
	v_rcp_f64_e32 v[44:45], v[40:41]
	v_mov_b32_e32 v53, s5
	v_add_f32_e32 v95, v88, v88
	s_mov_b64 s[70:71], 0
	v_fma_f64 v[46:47], -v[40:41], v[44:45], 1.0
	v_fmac_f64_e32 v[44:45], v[44:45], v[46:47]
	v_fma_f64 v[46:47], -v[40:41], v[44:45], 1.0
	v_fmac_f64_e32 v[44:45], v[44:45], v[46:47]
	v_div_scale_f64 v[46:47], vcc, v[38:39], v[26:27], v[38:39]
	v_mul_f64 v[48:49], v[46:47], v[44:45]
	v_fma_f64 v[40:41], -v[40:41], v[48:49], v[46:47]
	s_mov_b64 s[72:73], 0
	s_nop 0
	v_div_fmas_f64 v[40:41], v[40:41], v[44:45], v[48:49]
	v_div_fixup_f64 v[26:27], v[40:41], v[26:27], v[38:39]
	v_add_f64 v[38:39], -v[26:27], s[66:67]
	v_cvt_f64_f32_e32 v[40:41], v93
	v_div_scale_f64 v[44:45], s[2:3], v[40:41], v[40:41], v[38:39]
	v_rcp_f64_e32 v[46:47], v[44:45]
	v_add_co_u32_e32 v26, vcc, s4, v42
	v_addc_co_u32_e32 v27, vcc, v43, v53, vcc
	v_fma_f64 v[42:43], -v[44:45], v[46:47], 1.0
	v_fmac_f64_e32 v[46:47], v[46:47], v[42:43]
	v_fma_f64 v[42:43], -v[44:45], v[46:47], 1.0
	v_fmac_f64_e32 v[46:47], v[46:47], v[42:43]
	v_div_scale_f64 v[42:43], vcc, v[38:39], v[40:41], v[38:39]
	v_mul_f64 v[48:49], v[42:43], v[46:47]
	v_fma_f64 v[42:43], -v[44:45], v[48:49], v[42:43]
	v_trunc_f32_e32 v44, v52
	v_mul_f32_e32 v45, 0x2f800000, v44
	v_floor_f32_e32 v45, v45
	v_fmac_f32_e32 v44, 0xcf800000, v45
	v_cvt_u32_f32_e32 v44, v44
	v_cvt_u32_f32_e32 v45, v45
	v_div_fmas_f64 v[42:43], v[42:43], v[46:47], v[48:49]
	v_div_fixup_f64 v[38:39], v[42:43], v[40:41], v[38:39]
	v_cvt_f32_f64_e32 v98, v[38:39]
	v_lshlrev_b64 v[38:39], 2, v[44:45]
	v_cmp_gt_f32_e64 s[2:3], s78, v52
	v_add_co_u32_e32 v52, vcc, s4, v38
	v_pk_mov_b32 v[44:45], v[36:37], v[36:37] op_sel:[0,1]
	v_addc_co_u32_e32 v53, vcc, v39, v53, vcc
	v_pk_mov_b32 v[42:43], v[34:35], v[34:35] op_sel:[0,1]
	s_branch .LBB104_81
.LBB104_79:                             ;   in Loop: Header=BB104_81 Depth=2
	s_or_b64 exec, exec, s[4:5]
	v_div_scale_f32 v48, s[4:5], v47, v47, v93
	v_rcp_f32_e32 v49, v48
	v_div_scale_f32 v100, vcc, v93, v47, v93
	v_mul_f32_e32 v16, v16, v94
	v_fma_f32 v101, -v48, v49, 1.0
	v_fmac_f32_e32 v49, v101, v49
	v_mul_f32_e32 v101, v100, v49
	v_fma_f32 v102, -v48, v101, v100
	v_fmac_f32_e32 v101, v102, v49
	v_fma_f32 v48, -v48, v101, v100
	v_div_fmas_f32 v48, v48, v49, v101
	v_div_fixup_f32 v48, v48, v47, v93
	v_cmp_gt_f32_e32 vcc, s80, v48
	v_cndmask_b32_e32 v49, 1.0, v83, vcc
	v_mul_f32_e32 v48, v48, v49
	v_log_f32_e32 v48, v48
	v_mul_f32_e32 v47, v91, v47
	v_mul_f32_e32 v49, 0x3f317217, v48
	v_fma_f32 v100, v48, s81, -v49
	v_fmac_f32_e32 v100, 0x3377d1cf, v48
	v_add_f32_e32 v49, v49, v100
	v_cmp_lt_f32_e64 s[4:5], |v48|, s82
	v_cndmask_b32_e64 v48, v48, v49, s[4:5]
	v_div_scale_f32 v100, s[4:5], v44, v44, v47
	v_rcp_f32_e32 v101, v100
	v_cndmask_b32_e32 v49, 0, v84, vcc
	v_sub_f32_e32 v48, v48, v49
	v_mul_f32_e32 v48, v92, v48
	v_fma_f32 v102, -v100, v101, 1.0
	v_fmac_f32_e32 v101, v102, v101
	v_div_scale_f32 v102, vcc, v47, v44, v47
	v_mul_f32_e32 v103, v102, v101
	v_fma_f32 v104, -v100, v103, v102
	v_fmac_f32_e32 v103, v104, v101
	v_fma_f32 v100, -v100, v103, v102
	v_div_fmas_f32 v100, v100, v101, v103
	v_div_fixup_f32 v44, v100, v44, v47
	v_cmp_gt_f32_e32 vcc, s80, v44
	v_cndmask_b32_e32 v47, 1.0, v83, vcc
	v_mul_f32_e32 v44, v44, v47
	v_log_f32_e32 v44, v44
	v_cvt_f64_f32_e32 v[48:49], v48
	v_cvt_f64_f32_e32 v[100:101], v55
	v_add_f64 v[48:49], v[22:23], v[48:49]
	v_mul_f32_e32 v47, 0x3f317217, v44
	v_fma_f32 v102, v44, s81, -v47
	v_fmac_f32_e32 v102, 0x3377d1cf, v44
	v_add_f32_e32 v47, v47, v102
	v_cmp_lt_f32_e64 s[4:5], |v44|, s82
	v_cndmask_b32_e64 v44, v44, v47, s[4:5]
	v_cndmask_b32_e32 v47, 0, v84, vcc
	v_sub_f32_e32 v44, v44, v47
	v_mul_f32_e32 v47, v99, v99
	v_div_scale_f32 v99, s[4:5], v47, v47, v88
	v_rcp_f32_e32 v104, v99
	v_cvt_f64_f32_e32 v[102:103], v44
	v_add_f64 v[100:101], v[100:101], 0.5
	v_fmac_f64_e32 v[48:49], v[100:101], v[102:103]
	v_fma_f32 v44, -v99, v104, 1.0
	v_fmac_f32_e32 v104, v44, v104
	v_div_scale_f32 v44, vcc, v88, v47, v88
	v_mul_f32_e32 v100, v44, v104
	v_fma_f32 v101, -v99, v100, v44
	v_fmac_f32_e32 v100, v101, v104
	v_fma_f32 v44, -v99, v100, v44
	v_div_fmas_f32 v44, v44, v104, v100
	v_div_fixup_f32 v44, v44, v47, v88
	v_add_f32_e32 v44, v44, v54
	v_div_scale_f32 v47, s[4:5], v44, v44, v16
	v_rcp_f32_e32 v99, v47
	s_waitcnt vmcnt(0)
	v_cvt_f64_f32_e32 v[100:101], v42
	v_add_f64 v[48:49], v[48:49], v[100:101]
	v_cvt_f64_f32_e32 v[42:43], v43
	v_fma_f32 v100, -v47, v99, 1.0
	v_fmac_f32_e32 v99, v100, v99
	v_div_scale_f32 v100, vcc, v16, v44, v16
	v_mul_f32_e32 v101, v100, v99
	v_fma_f32 v102, -v47, v101, v100
	v_fmac_f32_e32 v101, v102, v99
	v_fma_f32 v47, -v47, v101, v100
	v_div_fmas_f32 v47, v47, v99, v101
	v_div_fixup_f32 v16, v47, v44, v16
	v_cmp_gt_f32_e32 vcc, s80, v16
	v_cndmask_b32_e32 v44, 1.0, v83, vcc
	v_mul_f32_e32 v16, v16, v44
	v_log_f32_e32 v16, v16
	v_add_f64 v[42:43], v[48:49], v[42:43]
	v_cvt_f64_f32_e32 v[44:45], v45
	v_add_f64 v[42:43], v[42:43], -v[44:45]
	v_mul_f32_e32 v44, 0x3f317217, v16
	v_fma_f32 v45, v16, s81, -v44
	v_fmac_f32_e32 v45, 0x3377d1cf, v16
	v_add_f32_e32 v44, v44, v45
	v_cmp_lt_f32_e64 s[4:5], |v16|, s82
	v_cndmask_b32_e64 v16, v16, v44, s[4:5]
	v_cndmask_b32_e32 v44, 0, v84, vcc
	v_sub_f32_e32 v16, v16, v44
	v_cvt_f64_f32_e32 v[44:45], v46
	v_add_f64 v[42:43], v[42:43], -v[44:45]
	v_cvt_f32_f64_e32 v42, v[42:43]
	v_cmp_le_f32_e32 vcc, v16, v42
	s_orn2_b64 s[4:5], vcc, exec
.LBB104_80:                             ;   in Loop: Header=BB104_81 Depth=2
	s_or_b64 exec, exec, s[72:73]
	s_and_b64 s[4:5], exec, s[4:5]
	v_pk_mov_b32 v[44:45], v[40:41], v[40:41] op_sel:[0,1]
	s_or_b64 s[70:71], s[4:5], s[70:71]
	s_mov_b64 s[72:73], 0
	v_mov_b32_e32 v16, v96
	v_pk_mov_b32 v[42:43], v[38:39], v[38:39] op_sel:[0,1]
	s_andn2_b64 exec, exec, s[70:71]
	s_cbranch_execz .LBB104_99
.LBB104_81:                             ;   Parent Loop BB104_28 Depth=1
                                        ; =>  This Inner Loop Header: Depth=2
	v_add_u32_e32 v100, 1, v16
	v_pk_mov_b32 v[48:49], v[44:45], v[44:45] op_sel:[0,1]
	v_cmp_eq_u32_e32 vcc, 4, v100
	v_pk_mov_b32 v[46:47], v[42:43], v[42:43] op_sel:[0,1]
	s_and_saveexec_b64 s[4:5], vcc
	s_cbranch_execz .LBB104_83
; %bb.82:                               ;   in Loop: Header=BB104_81 Depth=2
	v_add_co_u32_e32 v30, vcc, 1, v30
	v_cndmask_b32_e64 v34, 0, 1, vcc
	v_addc_co_u32_e32 v31, vcc, 0, v31, vcc
	v_cmp_eq_u32_e32 vcc, 0, v31
	v_cndmask_b32_e32 v34, 0, v34, vcc
	v_add_u32_e32 v32, v34, v32
	v_cmp_eq_u32_e32 vcc, 0, v32
	v_cndmask_b32_e32 v34, 0, v34, vcc
	v_add_u32_e32 v33, v34, v33
	v_mad_u64_u32 v[34:35], s[88:89], v30, s76, 0
	v_mad_u64_u32 v[36:37], s[88:89], v32, s77, 0
	v_xor_b32_e32 v37, v37, v50
	v_xor_b32_e32 v35, v35, v51
	v_xor_b32_e32 v37, v31, v37
	v_xor_b32_e32 v35, v33, v35
	v_mad_u64_u32 v[38:39], s[88:89], v37, s76, 0
	v_mad_u64_u32 v[40:41], s[88:89], v35, s77, 0
	v_xor_b32_e32 v35, v41, v36
	v_xor_b32_e32 v34, v39, v34
	v_xor_b32_e32 v35, v65, v35
	v_xor_b32_e32 v36, v66, v34
	;; [unrolled: 6-line block ×9, first 2 shown]
	v_mad_u64_u32 v[38:39], s[88:89], v35, s76, 0
	v_mad_u64_u32 v[40:41], s[88:89], v37, s77, 0
	v_xor_b32_e32 v35, v39, v36
	v_xor_b32_e32 v34, v41, v34
	v_xor_b32_e32 v36, v64, v35
	v_mov_b32_e32 v37, v38
	v_xor_b32_e32 v34, v63, v34
	v_mov_b32_e32 v35, v40
	v_pk_mov_b32 v[48:49], v[36:37], v[36:37] op_sel:[0,1]
	v_mov_b32_e32 v100, 0
	v_pk_mov_b32 v[46:47], v[34:35], v[34:35] op_sel:[0,1]
.LBB104_83:                             ;   in Loop: Header=BB104_81 Depth=2
	s_or_b64 exec, exec, s[4:5]
	v_add_u32_e32 v96, 1, v100
	v_pk_mov_b32 v[38:39], v[46:47], v[46:47] op_sel:[0,1]
	v_cmp_eq_u32_e32 vcc, 4, v96
	v_pk_mov_b32 v[40:41], v[48:49], v[48:49] op_sel:[0,1]
	s_and_saveexec_b64 s[4:5], vcc
	s_cbranch_execz .LBB104_85
; %bb.84:                               ;   in Loop: Header=BB104_81 Depth=2
	v_add_co_u32_e32 v30, vcc, 1, v30
	v_cndmask_b32_e64 v34, 0, 1, vcc
	v_addc_co_u32_e32 v31, vcc, 0, v31, vcc
	v_cmp_eq_u32_e32 vcc, 0, v31
	v_cndmask_b32_e32 v34, 0, v34, vcc
	v_add_u32_e32 v32, v34, v32
	v_cmp_eq_u32_e32 vcc, 0, v32
	v_cndmask_b32_e32 v34, 0, v34, vcc
	v_add_u32_e32 v33, v34, v33
	v_mad_u64_u32 v[34:35], s[88:89], v30, s76, 0
	v_mad_u64_u32 v[36:37], s[88:89], v32, s77, 0
	v_xor_b32_e32 v37, v37, v50
	v_xor_b32_e32 v35, v35, v51
	v_xor_b32_e32 v37, v31, v37
	v_xor_b32_e32 v35, v33, v35
	v_mad_u64_u32 v[38:39], s[88:89], v37, s76, 0
	v_mad_u64_u32 v[40:41], s[88:89], v35, s77, 0
	v_xor_b32_e32 v35, v41, v36
	v_xor_b32_e32 v34, v39, v34
	v_xor_b32_e32 v35, v65, v35
	v_xor_b32_e32 v36, v66, v34
	;; [unrolled: 6-line block ×9, first 2 shown]
	v_mad_u64_u32 v[38:39], s[88:89], v35, s76, 0
	v_mad_u64_u32 v[40:41], s[88:89], v37, s77, 0
	v_xor_b32_e32 v35, v39, v36
	v_xor_b32_e32 v34, v41, v34
	v_xor_b32_e32 v36, v64, v35
	v_mov_b32_e32 v37, v38
	v_xor_b32_e32 v34, v63, v34
	v_mov_b32_e32 v35, v40
	v_pk_mov_b32 v[40:41], v[36:37], v[36:37] op_sel:[0,1]
	v_mov_b32_e32 v96, 0
	v_pk_mov_b32 v[38:39], v[34:35], v[34:35] op_sel:[0,1]
.LBB104_85:                             ;   in Loop: Header=BB104_81 Depth=2
	s_or_b64 exec, exec, s[4:5]
	v_cmp_eq_u32_e32 vcc, 1, v16
	v_cndmask_b32_e32 v42, v42, v43, vcc
	v_cmp_eq_u32_e32 vcc, 2, v16
	v_cndmask_b32_e32 v42, v42, v44, vcc
	;; [unrolled: 2-line block ×3, first 2 shown]
	v_and_b32_e32 v16, 0xffffff, v16
	v_cvt_f32_u32_e32 v16, v16
	v_fma_f32 v16, v16, s83, -0.5
	v_sub_f32_e64 v99, 0.5, |v16|
	v_div_scale_f32 v42, s[4:5], v99, v99, v95
	v_rcp_f32_e32 v43, v42
	v_div_scale_f32 v44, vcc, v95, v99, v95
	v_fma_f32 v45, -v42, v43, 1.0
	v_fmac_f32_e32 v43, v45, v43
	v_mul_f32_e32 v45, v44, v43
	v_fma_f32 v55, -v42, v45, v44
	v_fmac_f32_e32 v45, v55, v43
	v_fma_f32 v42, -v42, v45, v44
	v_div_fmas_f32 v42, v42, v43, v45
	v_div_fixup_f32 v42, v42, v99, v95
	v_add_f32_e32 v42, v42, v54
	v_fma_f32 v16, v16, v42, v89
	v_floor_f32_e32 v55, v16
	v_cmp_ngt_f32_e32 vcc, 0, v55
	v_cmp_ngt_f32_e64 s[4:5], v55, v87
	s_and_b64 s[4:5], vcc, s[4:5]
	s_and_b64 s[4:5], exec, s[4:5]
	v_pk_mov_b32 v[44:45], v[40:41], v[40:41] op_sel:[0,1]
	s_or_b64 s[72:73], s[4:5], s[72:73]
	v_mov_b32_e32 v16, v96
	v_pk_mov_b32 v[42:43], v[38:39], v[38:39] op_sel:[0,1]
	s_andn2_b64 exec, exec, s[72:73]
	s_cbranch_execnz .LBB104_81
; %bb.86:                               ;   in Loop: Header=BB104_81 Depth=2
	s_or_b64 exec, exec, s[72:73]
	v_cmp_eq_u32_e32 vcc, 1, v100
	v_cndmask_b32_e32 v16, v46, v47, vcc
	v_cmp_eq_u32_e32 vcc, 2, v100
	v_cndmask_b32_e32 v16, v16, v48, vcc
	;; [unrolled: 2-line block ×3, first 2 shown]
	v_and_b32_e32 v16, 0xffffff, v16
	v_cvt_f32_u32_e32 v16, v16
	v_cvt_f64_f32_e32 v[42:43], v99
	v_cmp_nle_f64_e32 vcc, s[68:69], v[42:43]
	v_mul_f32_e32 v16, 0x33800000, v16
	v_cmp_nle_f32_e64 s[4:5], v16, v90
	s_or_b64 s[88:89], vcc, s[4:5]
	s_mov_b64 s[4:5], -1
	s_and_saveexec_b64 s[72:73], s[88:89]
	s_cbranch_execz .LBB104_80
; %bb.87:                               ;   in Loop: Header=BB104_81 Depth=2
	v_mov_b32_e32 v42, v97
	s_and_saveexec_b64 s[4:5], s[0:1]
	s_cbranch_execz .LBB104_89
; %bb.88:                               ;   in Loop: Header=BB104_81 Depth=2
	global_load_dword v42, v[26:27], off
.LBB104_89:                             ;   in Loop: Header=BB104_81 Depth=2
	s_or_b64 exec, exec, s[4:5]
	v_mov_b32_e32 v43, v98
	s_and_saveexec_b64 s[4:5], s[2:3]
	s_cbranch_execz .LBB104_91
; %bb.90:                               ;   in Loop: Header=BB104_81 Depth=2
	global_load_dword v43, v[52:53], off
.LBB104_91:                             ;   in Loop: Header=BB104_81 Depth=2
	s_or_b64 exec, exec, s[4:5]
	v_add_f32_e32 v44, 1.0, v55
	v_cmp_ngt_f32_e32 vcc, s78, v55
                                        ; implicit-def: $vgpr45
	s_and_saveexec_b64 s[4:5], vcc
	s_xor_b64 s[4:5], exec, s[4:5]
	s_cbranch_execz .LBB104_93
; %bb.92:                               ;   in Loop: Header=BB104_81 Depth=2
	v_mul_f32_e32 v45, v44, v44
	v_cvt_f64_f32_e32 v[46:47], v45
	v_div_scale_f64 v[48:49], s[88:89], v[46:47], v[46:47], s[62:63]
	v_rcp_f64_e32 v[100:101], v[48:49]
	v_div_scale_f64 v[102:103], vcc, s[62:63], v[46:47], s[62:63]
	v_fma_f64 v[104:105], -v[48:49], v[100:101], 1.0
	v_fmac_f64_e32 v[100:101], v[100:101], v[104:105]
	v_fma_f64 v[104:105], -v[48:49], v[100:101], 1.0
	v_fmac_f64_e32 v[100:101], v[100:101], v[104:105]
	v_mul_f64 v[104:105], v[102:103], v[100:101]
	v_fma_f64 v[48:49], -v[48:49], v[104:105], v[102:103]
	v_div_fmas_f64 v[48:49], v[48:49], v[100:101], v[104:105]
	v_div_fixup_f64 v[48:49], v[48:49], v[46:47], s[62:63]
	v_add_f64 v[48:49], v[48:49], s[64:65]
	v_div_scale_f64 v[100:101], s[88:89], v[46:47], v[46:47], v[48:49]
	v_rcp_f64_e32 v[102:103], v[100:101]
	v_fma_f64 v[104:105], -v[100:101], v[102:103], 1.0
	v_fmac_f64_e32 v[102:103], v[102:103], v[104:105]
	v_fma_f64 v[104:105], -v[100:101], v[102:103], 1.0
	v_fmac_f64_e32 v[102:103], v[102:103], v[104:105]
	v_div_scale_f64 v[104:105], vcc, v[48:49], v[46:47], v[48:49]
	v_mul_f64 v[106:107], v[104:105], v[102:103]
	v_fma_f64 v[100:101], -v[100:101], v[106:107], v[104:105]
	s_nop 1
	v_div_fmas_f64 v[100:101], v[100:101], v[102:103], v[106:107]
	v_div_fixup_f64 v[46:47], v[100:101], v[46:47], v[48:49]
	v_add_f64 v[46:47], -v[46:47], s[66:67]
	v_cvt_f64_f32_e32 v[48:49], v44
	v_div_scale_f64 v[100:101], s[88:89], v[48:49], v[48:49], v[46:47]
	v_rcp_f64_e32 v[102:103], v[100:101]
	v_fma_f64 v[104:105], -v[100:101], v[102:103], 1.0
	v_fmac_f64_e32 v[102:103], v[102:103], v[104:105]
	v_fma_f64 v[104:105], -v[100:101], v[102:103], 1.0
	v_fmac_f64_e32 v[102:103], v[102:103], v[104:105]
	v_div_scale_f64 v[104:105], vcc, v[46:47], v[48:49], v[46:47]
	v_mul_f64 v[106:107], v[104:105], v[102:103]
	v_fma_f64 v[100:101], -v[100:101], v[106:107], v[104:105]
	s_nop 1
	v_div_fmas_f64 v[100:101], v[100:101], v[102:103], v[106:107]
	v_div_fixup_f64 v[46:47], v[100:101], v[48:49], v[46:47]
	v_cvt_f32_f64_e32 v45, v[46:47]
.LBB104_93:                             ;   in Loop: Header=BB104_81 Depth=2
	s_andn2_saveexec_b64 s[4:5], s[4:5]
	s_cbranch_execz .LBB104_95
; %bb.94:                               ;   in Loop: Header=BB104_81 Depth=2
	v_trunc_f32_e32 v45, v55
	v_mul_f32_e32 v46, 0x2f800000, v45
	v_floor_f32_e32 v46, v46
	v_fmac_f32_e32 v45, 0xcf800000, v46
	v_cvt_u32_f32_e32 v47, v46
	v_cvt_u32_f32_e32 v46, v45
	s_getpc_b64 s[88:89]
	s_add_u32 s88, s88, _ZZN12_GLOBAL__N_120stirling_approx_tailIfEET_S1_E11kTailValues.const@rel32@lo+4
	s_addc_u32 s89, s89, _ZZN12_GLOBAL__N_120stirling_approx_tailIfEET_S1_E11kTailValues.const@rel32@hi+12
	v_mov_b32_e32 v45, s89
	v_lshlrev_b64 v[46:47], 2, v[46:47]
	v_add_co_u32_e32 v46, vcc, s88, v46
	v_addc_co_u32_e32 v47, vcc, v47, v45, vcc
	global_load_dword v45, v[46:47], off
.LBB104_95:                             ;   in Loop: Header=BB104_81 Depth=2
	s_or_b64 exec, exec, s[4:5]
	v_sub_f32_e32 v48, v87, v55
	v_add_f32_e32 v47, 1.0, v48
	v_cmp_ngt_f32_e32 vcc, s78, v48
                                        ; implicit-def: $vgpr46
	s_and_saveexec_b64 s[4:5], vcc
	s_xor_b64 s[4:5], exec, s[4:5]
	s_cbranch_execz .LBB104_97
; %bb.96:                               ;   in Loop: Header=BB104_81 Depth=2
	v_mul_f32_e32 v46, v47, v47
	v_cvt_f64_f32_e32 v[48:49], v46
	v_div_scale_f64 v[100:101], s[88:89], v[48:49], v[48:49], s[62:63]
	v_rcp_f64_e32 v[102:103], v[100:101]
	v_div_scale_f64 v[104:105], vcc, s[62:63], v[48:49], s[62:63]
	v_fma_f64 v[106:107], -v[100:101], v[102:103], 1.0
	v_fmac_f64_e32 v[102:103], v[102:103], v[106:107]
	v_fma_f64 v[106:107], -v[100:101], v[102:103], 1.0
	v_fmac_f64_e32 v[102:103], v[102:103], v[106:107]
	v_mul_f64 v[106:107], v[104:105], v[102:103]
	v_fma_f64 v[100:101], -v[100:101], v[106:107], v[104:105]
	v_div_fmas_f64 v[100:101], v[100:101], v[102:103], v[106:107]
	v_div_fixup_f64 v[100:101], v[100:101], v[48:49], s[62:63]
	v_add_f64 v[100:101], v[100:101], s[64:65]
	v_div_scale_f64 v[102:103], s[88:89], v[48:49], v[48:49], v[100:101]
	v_rcp_f64_e32 v[104:105], v[102:103]
	v_fma_f64 v[106:107], -v[102:103], v[104:105], 1.0
	v_fmac_f64_e32 v[104:105], v[104:105], v[106:107]
	v_fma_f64 v[106:107], -v[102:103], v[104:105], 1.0
	v_fmac_f64_e32 v[104:105], v[104:105], v[106:107]
	v_div_scale_f64 v[106:107], vcc, v[100:101], v[48:49], v[100:101]
	v_mul_f64 v[108:109], v[106:107], v[104:105]
	v_fma_f64 v[102:103], -v[102:103], v[108:109], v[106:107]
	s_nop 1
	v_div_fmas_f64 v[102:103], v[102:103], v[104:105], v[108:109]
	v_div_fixup_f64 v[48:49], v[102:103], v[48:49], v[100:101]
	v_add_f64 v[48:49], -v[48:49], s[66:67]
	v_cvt_f64_f32_e32 v[100:101], v47
	v_div_scale_f64 v[102:103], s[88:89], v[100:101], v[100:101], v[48:49]
	v_rcp_f64_e32 v[104:105], v[102:103]
	v_fma_f64 v[106:107], -v[102:103], v[104:105], 1.0
	v_fmac_f64_e32 v[104:105], v[104:105], v[106:107]
	v_fma_f64 v[106:107], -v[102:103], v[104:105], 1.0
	v_fmac_f64_e32 v[104:105], v[104:105], v[106:107]
	v_div_scale_f64 v[106:107], vcc, v[48:49], v[100:101], v[48:49]
	v_mul_f64 v[108:109], v[106:107], v[104:105]
	v_fma_f64 v[102:103], -v[102:103], v[108:109], v[106:107]
	s_nop 1
	v_div_fmas_f64 v[102:103], v[102:103], v[104:105], v[108:109]
	v_div_fixup_f64 v[48:49], v[102:103], v[100:101], v[48:49]
	v_cvt_f32_f64_e32 v46, v[48:49]
                                        ; implicit-def: $vgpr48
.LBB104_97:                             ;   in Loop: Header=BB104_81 Depth=2
	s_andn2_saveexec_b64 s[4:5], s[4:5]
	s_cbranch_execz .LBB104_79
; %bb.98:                               ;   in Loop: Header=BB104_81 Depth=2
	v_trunc_f32_e32 v46, v48
	v_mul_f32_e32 v48, 0x2f800000, v46
	v_floor_f32_e32 v48, v48
	v_fmac_f32_e32 v46, 0xcf800000, v48
	v_cvt_u32_f32_e32 v49, v48
	v_cvt_u32_f32_e32 v48, v46
	s_getpc_b64 s[88:89]
	s_add_u32 s88, s88, _ZZN12_GLOBAL__N_120stirling_approx_tailIfEET_S1_E11kTailValues.const@rel32@lo+4
	s_addc_u32 s89, s89, _ZZN12_GLOBAL__N_120stirling_approx_tailIfEET_S1_E11kTailValues.const@rel32@hi+12
	v_mov_b32_e32 v46, s89
	v_lshlrev_b64 v[48:49], 2, v[48:49]
	v_add_co_u32_e32 v48, vcc, s88, v48
	v_addc_co_u32_e32 v49, vcc, v49, v46, vcc
	global_load_dword v46, v[48:49], off
	s_branch .LBB104_79
.LBB104_99:                             ;   in Loop: Header=BB104_28 Depth=1
	s_or_b64 exec, exec, s[70:71]
                                        ; implicit-def: $vgpr16
                                        ; implicit-def: $vgpr22
.LBB104_100:                            ;   in Loop: Header=BB104_28 Depth=1
	s_andn2_saveexec_b64 s[0:1], s[22:23]
	s_cbranch_execz .LBB104_23
; %bb.101:                              ;   in Loop: Header=BB104_28 Depth=1
	v_sub_f32_e32 v23, 1.0, v22
	v_add_f32_e32 v26, -1.0, v23
	v_sub_f32_e32 v27, v26, v23
	v_add_f32_e32 v27, 1.0, v27
	v_sub_f32_e64 v26, -v22, v26
	v_add_f32_e32 v38, v26, v27
	v_frexp_mant_f32_e32 v39, v23
	v_cvt_f64_f32_e32 v[26:27], v23
	v_frexp_exp_i32_f64_e32 v26, v[26:27]
	v_cmp_gt_f32_e32 vcc, s84, v39
	v_subbrev_co_u32_e32 v26, vcc, 0, v26, vcc
	v_sub_u32_e32 v27, 0, v26
	v_ldexp_f32 v23, v23, v27
	v_ldexp_f32 v27, v38, v27
	v_add_f32_e32 v38, -1.0, v23
	v_add_f32_e32 v41, 1.0, v23
	v_add_f32_e32 v39, 1.0, v38
	v_add_f32_e32 v42, -1.0, v41
	v_sub_f32_e32 v39, v23, v39
	v_sub_f32_e32 v23, v23, v42
	v_add_f32_e32 v23, v27, v23
	v_add_f32_e32 v39, v27, v39
	;; [unrolled: 1-line block ×3, first 2 shown]
	v_rcp_f32_e32 v42, v27
	v_add_f32_e32 v40, v38, v39
	v_sub_f32_e32 v38, v40, v38
	v_sub_f32_e32 v38, v39, v38
	;; [unrolled: 1-line block ×4, first 2 shown]
	v_mul_f32_e32 v39, v40, v42
	v_mul_f32_e32 v41, v27, v39
	v_fma_f32 v43, v39, v27, -v41
	v_fmac_f32_e32 v43, v39, v23
	v_add_f32_e32 v44, v41, v43
	v_sub_f32_e32 v45, v40, v44
	v_sub_f32_e32 v40, v40, v45
	;; [unrolled: 1-line block ×4, first 2 shown]
	v_add_f32_e32 v38, v38, v40
	v_sub_f32_e32 v40, v41, v43
	v_add_f32_e32 v38, v40, v38
	v_add_f32_e32 v40, v45, v38
	v_mul_f32_e32 v41, v42, v40
	v_mul_f32_e32 v43, v27, v41
	v_fma_f32 v27, v41, v27, -v43
	v_fmac_f32_e32 v27, v41, v23
	v_sub_f32_e32 v23, v45, v40
	v_add_f32_e32 v23, v38, v23
	v_add_f32_e32 v38, v43, v27
	v_sub_f32_e32 v44, v40, v38
	v_sub_f32_e32 v40, v40, v44
	;; [unrolled: 1-line block ×4, first 2 shown]
	v_add_f32_e32 v23, v23, v38
	v_sub_f32_e32 v27, v43, v27
	v_cvt_f32_i32_e32 v26, v26
	v_add_f32_e32 v23, v27, v23
	v_add_f32_e32 v27, v39, v41
	;; [unrolled: 1-line block ×3, first 2 shown]
	v_sub_f32_e32 v38, v27, v39
	v_mul_f32_e32 v23, v42, v23
	v_sub_f32_e32 v38, v41, v38
	v_add_f32_e32 v23, v38, v23
	v_mul_f32_e32 v41, 0x3f317218, v26
	v_add_f32_e32 v38, v27, v23
	v_fma_f32 v42, v26, s85, -v41
	v_mul_f32_e32 v39, v38, v38
	v_mov_b32_e32 v40, 0x3ecc95a3
	v_fmac_f32_e32 v42, 0xb102e308, v26
	v_sub_f32_e32 v26, v38, v27
	v_fmac_f32_e32 v40, 0x3e9b6dac, v39
	v_sub_f32_e32 v23, v23, v26
	v_add_f32_e32 v26, v41, v42
	v_fma_f32 v40, v39, v40, v82
	v_sub_f32_e32 v27, v26, v41
	v_ldexp_f32 v41, v38, 1
	v_mul_f32_e32 v38, v38, v39
	v_mul_f32_e32 v38, v38, v40
	v_add_f32_e32 v39, v41, v38
	v_sub_f32_e32 v40, v39, v41
	v_ldexp_f32 v23, v23, 1
	v_sub_f32_e32 v38, v38, v40
	v_add_f32_e32 v23, v23, v38
	v_add_f32_e32 v38, v39, v23
	v_sub_f32_e32 v39, v38, v39
	v_sub_f32_e32 v23, v23, v39
	v_add_f32_e32 v39, v26, v38
	v_sub_f32_e32 v40, v39, v26
	v_sub_f32_e32 v41, v39, v40
	;; [unrolled: 1-line block ×5, first 2 shown]
	v_add_f32_e32 v26, v38, v26
	v_add_f32_e32 v38, v27, v23
	v_sub_f32_e32 v40, v38, v27
	v_sub_f32_e32 v41, v38, v40
	;; [unrolled: 1-line block ×4, first 2 shown]
	v_add_f32_e32 v26, v38, v26
	v_add_f32_e32 v23, v23, v27
	;; [unrolled: 1-line block ×3, first 2 shown]
	v_sub_f32_e32 v38, v27, v39
	v_sub_f32_e32 v26, v26, v38
	v_add_f32_e32 v23, v23, v26
	v_add_f32_e32 v23, v27, v23
	v_cmp_eq_f32_e32 vcc, s86, v22
	v_cndmask_b32_e64 v23, v23, -v22, vcc
	v_cmp_nlt_f32_e32 vcc, 1.0, v22
	v_cndmask_b32_e32 v23, v85, v23, vcc
	v_cmp_neq_f32_e32 vcc, 1.0, v22
	v_cndmask_b32_e32 v23, v86, v23, vcc
	v_cmp_lt_f32_e64 s[2:3], |v22|, s83
	v_mov_b32_e32 v54, 0
	v_pk_mov_b32 v[40:41], v[36:37], v[36:37] op_sel:[0,1]
	v_cndmask_b32_e64 v26, v23, -v22, s[2:3]
	s_mov_b64 s[2:3], 0
	v_pk_mov_b32 v[38:39], v[34:35], v[34:35] op_sel:[0,1]
	v_mov_b32_e32 v23, v54
	s_branch .LBB104_103
.LBB104_102:                            ;   in Loop: Header=BB104_103 Depth=2
	s_or_b64 exec, exec, s[4:5]
	v_cmp_eq_u32_e32 vcc, 1, v16
	v_cndmask_b32_e32 v22, v38, v39, vcc
	v_cmp_eq_u32_e32 vcc, 2, v16
	v_cndmask_b32_e32 v22, v22, v40, vcc
	;; [unrolled: 2-line block ×3, first 2 shown]
	v_and_b32_e32 v16, 0xffffff, v16
	v_cvt_f32_u32_e32 v16, v16
	v_mul_f32_e32 v16, 0x33800000, v16
	v_cmp_gt_f32_e32 vcc, s80, v16
	v_cndmask_b32_e32 v22, 1.0, v83, vcc
	v_mul_f32_e32 v16, v16, v22
	v_log_f32_e32 v16, v16
	v_cndmask_b32_e32 v22, 0, v84, vcc
	v_mul_f32_e32 v23, 0x3f317217, v16
	v_fma_f32 v27, v16, s81, -v23
	v_fmac_f32_e32 v27, 0x3377d1cf, v16
	v_add_f32_e32 v23, v23, v27
	v_cmp_lt_f32_e64 vcc, |v16|, s82
	v_cndmask_b32_e32 v16, v16, v23, vcc
	v_sub_f32_e32 v16, v16, v22
	v_div_scale_f32 v22, s[4:5], v26, v26, v16
	v_rcp_f32_e32 v23, v22
	v_div_scale_f32 v27, vcc, v16, v26, v16
	v_fma_f32 v38, -v22, v23, 1.0
	v_fmac_f32_e32 v23, v38, v23
	v_mul_f32_e32 v38, v27, v23
	v_fma_f32 v39, -v22, v38, v27
	v_fmac_f32_e32 v38, v39, v23
	v_fma_f32 v22, -v22, v38, v27
	v_div_fmas_f32 v22, v22, v23, v38
	v_div_fixup_f32 v16, v22, v26, v16
	v_ceil_f32_e32 v16, v16
	v_pk_add_f32 v[22:23], v[54:55], v[16:17]
	v_cmp_gt_f32_e32 vcc, v22, v87
	v_pk_mov_b32 v[40:41], v[36:37], v[36:37] op_sel:[0,1]
	s_or_b64 s[2:3], vcc, s[2:3]
	v_mov_b32_e32 v16, v96
	v_pk_mov_b32 v[38:39], v[34:35], v[34:35] op_sel:[0,1]
	v_mov_b32_e32 v54, v22
	s_andn2_b64 exec, exec, s[2:3]
	s_cbranch_execz .LBB104_22
.LBB104_103:                            ;   Parent Loop BB104_28 Depth=1
                                        ; =>  This Inner Loop Header: Depth=2
	v_add_u32_e32 v96, 1, v16
	v_mov_b32_e32 v55, v23
	v_cmp_eq_u32_e32 vcc, 4, v96
	s_and_saveexec_b64 s[4:5], vcc
	s_cbranch_execz .LBB104_102
; %bb.104:                              ;   in Loop: Header=BB104_103 Depth=2
	v_add_co_u32_e32 v30, vcc, 1, v30
	v_cndmask_b32_e64 v22, 0, 1, vcc
	v_addc_co_u32_e32 v31, vcc, 0, v31, vcc
	v_cmp_eq_u32_e32 vcc, 0, v31
	v_cndmask_b32_e32 v22, 0, v22, vcc
	v_add_u32_e32 v32, v22, v32
	v_cmp_eq_u32_e32 vcc, 0, v32
	v_cndmask_b32_e32 v22, 0, v22, vcc
	v_add_u32_e32 v33, v22, v33
	v_mad_u64_u32 v[22:23], s[22:23], v30, s76, 0
	v_mad_u64_u32 v[34:35], s[22:23], v32, s77, 0
	v_xor_b32_e32 v27, v35, v50
	v_xor_b32_e32 v23, v23, v51
	v_xor_b32_e32 v27, v31, v27
	v_xor_b32_e32 v23, v33, v23
	v_mad_u64_u32 v[36:37], s[22:23], v27, s76, 0
	v_mad_u64_u32 v[42:43], s[22:23], v23, s77, 0
	v_xor_b32_e32 v23, v1, v43
	v_xor_b32_e32 v27, v4, v37
	v_xor_b32_e32 v23, v23, v34
	v_xor_b32_e32 v27, v27, v22
	;; [unrolled: 6-line block ×9, first 2 shown]
	v_mad_u64_u32 v[42:43], s[22:23], v27, s76, 0
	v_mad_u64_u32 v[44:45], s[22:23], v23, s77, 0
	v_xor_b32_e32 v23, v45, v34
	v_xor_b32_e32 v22, v43, v22
	v_mov_b32_e32 v96, 0
	v_xor_b32_e32 v34, v63, v23
	v_xor_b32_e32 v36, v64, v22
	v_mov_b32_e32 v35, v44
	v_mov_b32_e32 v37, v42
	s_branch .LBB104_102
.LBB104_105:
	s_endpgm
	.section	.rodata,"a",@progbits
	.p2align	6, 0x0
	.amdhsa_kernel _ZN2at6native12_GLOBAL__N_138distribution_binary_elementwise_kernelIZN12_GLOBAL__N_120binomial_cuda_kernelIfEEvRNS_18TensorIteratorBaseENS_15PhiloxCudaStateEEUlR25hiprandStatePhilox4_32_10ffE_16OffsetCalculatorILi2EjLb0EESB_ILi1EjLb0EEEEviT_S7_PN15function_traitsISE_E11result_typeEPKNSG_3argILi1EE4typeEPKNSJ_ILi2EE4typeET0_T1_
		.amdhsa_group_segment_fixed_size 0
		.amdhsa_private_segment_fixed_size 0
		.amdhsa_kernarg_size 904
		.amdhsa_user_sgpr_count 6
		.amdhsa_user_sgpr_private_segment_buffer 1
		.amdhsa_user_sgpr_dispatch_ptr 0
		.amdhsa_user_sgpr_queue_ptr 0
		.amdhsa_user_sgpr_kernarg_segment_ptr 1
		.amdhsa_user_sgpr_dispatch_id 0
		.amdhsa_user_sgpr_flat_scratch_init 0
		.amdhsa_user_sgpr_kernarg_preload_length 0
		.amdhsa_user_sgpr_kernarg_preload_offset 0
		.amdhsa_user_sgpr_private_segment_size 0
		.amdhsa_uses_dynamic_stack 0
		.amdhsa_system_sgpr_private_segment_wavefront_offset 0
		.amdhsa_system_sgpr_workgroup_id_x 1
		.amdhsa_system_sgpr_workgroup_id_y 0
		.amdhsa_system_sgpr_workgroup_id_z 0
		.amdhsa_system_sgpr_workgroup_info 0
		.amdhsa_system_vgpr_workitem_id 0
		.amdhsa_next_free_vgpr 110
		.amdhsa_next_free_sgpr 90
		.amdhsa_accum_offset 112
		.amdhsa_reserve_vcc 1
		.amdhsa_reserve_flat_scratch 0
		.amdhsa_float_round_mode_32 0
		.amdhsa_float_round_mode_16_64 0
		.amdhsa_float_denorm_mode_32 3
		.amdhsa_float_denorm_mode_16_64 3
		.amdhsa_dx10_clamp 1
		.amdhsa_ieee_mode 1
		.amdhsa_fp16_overflow 0
		.amdhsa_tg_split 0
		.amdhsa_exception_fp_ieee_invalid_op 0
		.amdhsa_exception_fp_denorm_src 0
		.amdhsa_exception_fp_ieee_div_zero 0
		.amdhsa_exception_fp_ieee_overflow 0
		.amdhsa_exception_fp_ieee_underflow 0
		.amdhsa_exception_fp_ieee_inexact 0
		.amdhsa_exception_int_div_zero 0
	.end_amdhsa_kernel
	.section	.text._ZN2at6native12_GLOBAL__N_138distribution_binary_elementwise_kernelIZN12_GLOBAL__N_120binomial_cuda_kernelIfEEvRNS_18TensorIteratorBaseENS_15PhiloxCudaStateEEUlR25hiprandStatePhilox4_32_10ffE_16OffsetCalculatorILi2EjLb0EESB_ILi1EjLb0EEEEviT_S7_PN15function_traitsISE_E11result_typeEPKNSG_3argILi1EE4typeEPKNSJ_ILi2EE4typeET0_T1_,"axG",@progbits,_ZN2at6native12_GLOBAL__N_138distribution_binary_elementwise_kernelIZN12_GLOBAL__N_120binomial_cuda_kernelIfEEvRNS_18TensorIteratorBaseENS_15PhiloxCudaStateEEUlR25hiprandStatePhilox4_32_10ffE_16OffsetCalculatorILi2EjLb0EESB_ILi1EjLb0EEEEviT_S7_PN15function_traitsISE_E11result_typeEPKNSG_3argILi1EE4typeEPKNSJ_ILi2EE4typeET0_T1_,comdat
.Lfunc_end104:
	.size	_ZN2at6native12_GLOBAL__N_138distribution_binary_elementwise_kernelIZN12_GLOBAL__N_120binomial_cuda_kernelIfEEvRNS_18TensorIteratorBaseENS_15PhiloxCudaStateEEUlR25hiprandStatePhilox4_32_10ffE_16OffsetCalculatorILi2EjLb0EESB_ILi1EjLb0EEEEviT_S7_PN15function_traitsISE_E11result_typeEPKNSG_3argILi1EE4typeEPKNSJ_ILi2EE4typeET0_T1_, .Lfunc_end104-_ZN2at6native12_GLOBAL__N_138distribution_binary_elementwise_kernelIZN12_GLOBAL__N_120binomial_cuda_kernelIfEEvRNS_18TensorIteratorBaseENS_15PhiloxCudaStateEEUlR25hiprandStatePhilox4_32_10ffE_16OffsetCalculatorILi2EjLb0EESB_ILi1EjLb0EEEEviT_S7_PN15function_traitsISE_E11result_typeEPKNSG_3argILi1EE4typeEPKNSJ_ILi2EE4typeET0_T1_
                                        ; -- End function
	.section	.AMDGPU.csdata,"",@progbits
; Kernel info:
; codeLenInByte = 13444
; NumSgprs: 94
; NumVgprs: 110
; NumAgprs: 0
; TotalNumVgprs: 110
; ScratchSize: 0
; MemoryBound: 0
; FloatMode: 240
; IeeeMode: 1
; LDSByteSize: 0 bytes/workgroup (compile time only)
; SGPRBlocks: 11
; VGPRBlocks: 13
; NumSGPRsForWavesPerEU: 94
; NumVGPRsForWavesPerEU: 110
; AccumOffset: 112
; Occupancy: 4
; WaveLimiterHint : 1
; COMPUTE_PGM_RSRC2:SCRATCH_EN: 0
; COMPUTE_PGM_RSRC2:USER_SGPR: 6
; COMPUTE_PGM_RSRC2:TRAP_HANDLER: 0
; COMPUTE_PGM_RSRC2:TGID_X_EN: 1
; COMPUTE_PGM_RSRC2:TGID_Y_EN: 0
; COMPUTE_PGM_RSRC2:TGID_Z_EN: 0
; COMPUTE_PGM_RSRC2:TIDIG_COMP_CNT: 0
; COMPUTE_PGM_RSRC3_GFX90A:ACCUM_OFFSET: 27
; COMPUTE_PGM_RSRC3_GFX90A:TG_SPLIT: 0
	.section	.text._ZN2at6native12_GLOBAL__N_138distribution_binary_elementwise_kernelIZN12_GLOBAL__N_120binomial_cuda_kernelIN3c104HalfEEEvRNS_18TensorIteratorBaseENS_15PhiloxCudaStateEEUlR25hiprandStatePhilox4_32_10S6_S6_E_23TrivialOffsetCalculatorILi2EjESD_ILi1EjEEEviT_S9_PN15function_traitsISG_E11result_typeEPKNSI_3argILi1EE4typeEPKNSL_ILi2EE4typeET0_T1_,"axG",@progbits,_ZN2at6native12_GLOBAL__N_138distribution_binary_elementwise_kernelIZN12_GLOBAL__N_120binomial_cuda_kernelIN3c104HalfEEEvRNS_18TensorIteratorBaseENS_15PhiloxCudaStateEEUlR25hiprandStatePhilox4_32_10S6_S6_E_23TrivialOffsetCalculatorILi2EjESD_ILi1EjEEEviT_S9_PN15function_traitsISG_E11result_typeEPKNSI_3argILi1EE4typeEPKNSL_ILi2EE4typeET0_T1_,comdat
	.globl	_ZN2at6native12_GLOBAL__N_138distribution_binary_elementwise_kernelIZN12_GLOBAL__N_120binomial_cuda_kernelIN3c104HalfEEEvRNS_18TensorIteratorBaseENS_15PhiloxCudaStateEEUlR25hiprandStatePhilox4_32_10S6_S6_E_23TrivialOffsetCalculatorILi2EjESD_ILi1EjEEEviT_S9_PN15function_traitsISG_E11result_typeEPKNSI_3argILi1EE4typeEPKNSL_ILi2EE4typeET0_T1_ ; -- Begin function _ZN2at6native12_GLOBAL__N_138distribution_binary_elementwise_kernelIZN12_GLOBAL__N_120binomial_cuda_kernelIN3c104HalfEEEvRNS_18TensorIteratorBaseENS_15PhiloxCudaStateEEUlR25hiprandStatePhilox4_32_10S6_S6_E_23TrivialOffsetCalculatorILi2EjESD_ILi1EjEEEviT_S9_PN15function_traitsISG_E11result_typeEPKNSI_3argILi1EE4typeEPKNSL_ILi2EE4typeET0_T1_
	.p2align	8
	.type	_ZN2at6native12_GLOBAL__N_138distribution_binary_elementwise_kernelIZN12_GLOBAL__N_120binomial_cuda_kernelIN3c104HalfEEEvRNS_18TensorIteratorBaseENS_15PhiloxCudaStateEEUlR25hiprandStatePhilox4_32_10S6_S6_E_23TrivialOffsetCalculatorILi2EjESD_ILi1EjEEEviT_S9_PN15function_traitsISG_E11result_typeEPKNSI_3argILi1EE4typeEPKNSL_ILi2EE4typeET0_T1_,@function
_ZN2at6native12_GLOBAL__N_138distribution_binary_elementwise_kernelIZN12_GLOBAL__N_120binomial_cuda_kernelIN3c104HalfEEEvRNS_18TensorIteratorBaseENS_15PhiloxCudaStateEEUlR25hiprandStatePhilox4_32_10S6_S6_E_23TrivialOffsetCalculatorILi2EjESD_ILi1EjEEEviT_S9_PN15function_traitsISG_E11result_typeEPKNSI_3argILi1EE4typeEPKNSL_ILi2EE4typeET0_T1_: ; @_ZN2at6native12_GLOBAL__N_138distribution_binary_elementwise_kernelIZN12_GLOBAL__N_120binomial_cuda_kernelIN3c104HalfEEEvRNS_18TensorIteratorBaseENS_15PhiloxCudaStateEEUlR25hiprandStatePhilox4_32_10S6_S6_E_23TrivialOffsetCalculatorILi2EjESD_ILi1EjEEEviT_S9_PN15function_traitsISG_E11result_typeEPKNSI_3argILi1EE4typeEPKNSL_ILi2EE4typeET0_T1_
; %bb.0:
	s_load_dword s9, s[6:7], 0x20
	s_load_dwordx4 s[0:3], s[6:7], 0x8
	s_waitcnt lgkmcnt(0)
	s_bitcmp0_b32 s9, 0
	v_pk_mov_b32 v[4:5], s[2:3], s[2:3] op_sel:[0,1]
	v_pk_mov_b32 v[24:25], s[0:1], s[0:1] op_sel:[0,1]
	s_cbranch_scc1 .LBB105_2
; %bb.1:
	v_pk_mov_b32 v[2:3], s[2:3], s[2:3] op_sel:[0,1]
	flat_load_dwordx2 v[2:3], v[2:3]
	v_pk_mov_b32 v[4:5], s[0:1], s[0:1] op_sel:[0,1]
	flat_load_dwordx2 v[24:25], v[4:5]
	s_load_dwordx2 s[0:1], s[6:7], 0x18
	s_waitcnt lgkmcnt(0)
	v_mov_b32_e32 v1, s1
	s_waitcnt vmcnt(0)
	v_add_co_u32_e32 v4, vcc, s0, v2
	v_addc_co_u32_e32 v5, vcc, v3, v1, vcc
.LBB105_2:
	s_load_dword s0, s[6:7], 0x0
	s_lshl_b32 s33, s8, 10
	v_and_b32_e32 v34, 0x3ff, v0
	s_waitcnt lgkmcnt(0)
	s_sub_i32 s0, s0, s33
	v_cmp_gt_i32_e32 vcc, s0, v34
	s_and_saveexec_b64 s[2:3], vcc
	s_cbranch_execz .LBB105_79
; %bb.3:
	s_load_dwordx2 s[2:3], s[4:5], 0x4
	s_min_i32 s56, s0, 0x400
	s_load_dword s4, s[6:7], 0x54
	s_load_dwordx4 s[12:15], s[6:7], 0x28
	s_load_dwordx2 s[0:1], s[6:7], 0x38
	v_bfe_u32 v2, v0, 10, 10
	v_bfe_u32 v0, v0, 20, 10
	s_waitcnt lgkmcnt(0)
	s_lshr_b32 s2, s2, 16
	s_mul_i32 s2, s2, s3
	v_mul_lo_u32 v1, s2, v34
	v_mad_u32_u24 v1, v2, s3, v1
	v_add_lshl_u32 v35, v1, v0, 3
	v_add_u32_e32 v36, 0x2000, v35
	s_mov_b32 s5, 0
	s_mov_b64 s[2:3], 0
	v_mov_b32_e32 v1, 0
	v_mov_b32_e32 v2, s15
	;; [unrolled: 1-line block ×6, first 2 shown]
.LBB105_4:                              ; =>This Inner Loop Header: Depth=1
	v_add_u32_e32 v0, s33, v8
	v_lshlrev_b64 v[10:11], 1, v[0:1]
	v_add_co_u32_e32 v12, vcc, s14, v10
	v_addc_co_u32_e32 v13, vcc, v2, v11, vcc
	v_add_co_u32_e32 v10, vcc, s0, v10
	v_addc_co_u32_e32 v11, vcc, v3, v11, vcc
	global_load_ushort v0, v[12:13], off
	global_load_ushort v9, v[10:11], off
	s_add_i32 s1, s5, 1
	v_add_u32_e32 v8, 0x100, v8
	s_cmp_gt_u32 s5, 2
	v_cmp_le_i32_e32 vcc, s56, v8
	s_cselect_b64 s[6:7], -1, 0
	s_or_b64 s[6:7], s[6:7], vcc
	s_and_b64 s[6:7], exec, s[6:7]
	s_mov_b32 s5, s1
	s_or_b64 s[2:3], s[6:7], s[2:3]
	s_waitcnt vmcnt(1)
	ds_write_b16 v7, v0
	s_waitcnt vmcnt(0)
	ds_write_b16 v6, v9
	v_add_u32_e32 v7, 2, v7
	v_add_u32_e32 v6, 2, v6
	s_andn2_b64 exec, exec, s[2:3]
	s_cbranch_execnz .LBB105_4
; %bb.5:
	s_or_b64 exec, exec, s[2:3]
	s_and_b32 s0, 0xffff, s4
	s_mul_i32 s8, s8, s0
	v_add_u32_e32 v2, s8, v34
	v_alignbit_b32 v0, v5, v4, 2
	s_mov_b32 s58, 0xd2511f53
	s_mov_b32 s59, 0xcd9e8d57
	v_and_b32_e32 v78, 3, v4
	v_lshrrev_b32_e32 v1, 2, v5
	v_mad_u64_u32 v[4:5], s[0:1], v0, s58, 0
	v_mad_u64_u32 v[8:9], s[0:1], v2, s59, 0
	s_mov_b32 s0, 0x9e3779b9
	v_xor_b32_e32 v7, v24, v9
	v_mov_b32_e32 v6, v25
	v_xor_b32_e32 v5, v5, v25
	v_add_co_u32_e32 v37, vcc, s0, v24
	s_mov_b32 s0, 0xbb67ae85
	v_xor_b32_e32 v7, v7, v1
	v_add_co_u32_e32 v38, vcc, s0, v6
	v_mad_u64_u32 v[10:11], s[0:1], v7, s58, 0
	v_mad_u64_u32 v[12:13], s[0:1], v5, s59, 0
	v_xor_b32_e32 v5, v13, v37
	v_xor_b32_e32 v7, v38, v11
	s_mov_b32 s0, 0x3c6ef372
	v_xor_b32_e32 v5, v5, v8
	v_xor_b32_e32 v7, v7, v4
	v_add_co_u32_e32 v39, vcc, s0, v24
	s_mov_b32 s0, 0x76cf5d0a
	v_add_co_u32_e32 v40, vcc, s0, v6
	v_mad_u64_u32 v[4:5], s[0:1], v5, s58, 0
	v_mad_u64_u32 v[8:9], s[0:1], v7, s59, 0
	v_xor_b32_e32 v7, v39, v9
	v_xor_b32_e32 v5, v5, v40
	s_mov_b32 s0, 0xdaa66d2b
	v_xor_b32_e32 v7, v7, v12
	v_xor_b32_e32 v5, v5, v10
	v_add_co_u32_e32 v41, vcc, s0, v24
	s_mov_b32 s0, 0x32370b8f
	v_add_co_u32_e32 v42, vcc, s0, v6
	v_mad_u64_u32 v[10:11], s[0:1], v7, s58, 0
	v_mad_u64_u32 v[12:13], s[0:1], v5, s59, 0
	v_xor_b32_e32 v5, v13, v41
	v_xor_b32_e32 v7, v42, v11
	s_mov_b32 s0, 0x78dde6e4
	v_xor_b32_e32 v5, v5, v8
	v_xor_b32_e32 v7, v7, v4
	v_add_co_u32_e32 v43, vcc, s0, v24
	s_mov_b32 s0, 0xed9eba14
	v_add_co_u32_e32 v44, vcc, s0, v6
	v_mad_u64_u32 v[4:5], s[0:1], v5, s58, 0
	v_mad_u64_u32 v[8:9], s[0:1], v7, s59, 0
	v_xor_b32_e32 v7, v43, v9
	v_xor_b32_e32 v5, v5, v44
	s_mov_b32 s0, 0x1715609d
	v_xor_b32_e32 v7, v7, v12
	v_xor_b32_e32 v5, v5, v10
	v_add_co_u32_e32 v45, vcc, s0, v24
	s_mov_b32 s0, 0xa9066899
	v_add_co_u32_e32 v46, vcc, s0, v6
	v_mad_u64_u32 v[10:11], s[0:1], v7, s58, 0
	v_mad_u64_u32 v[12:13], s[0:1], v5, s59, 0
	v_xor_b32_e32 v5, v13, v45
	v_xor_b32_e32 v7, v46, v11
	s_mov_b32 s0, 0xb54cda56
	v_xor_b32_e32 v5, v5, v8
	v_xor_b32_e32 v7, v7, v4
	v_add_co_u32_e32 v47, vcc, s0, v24
	s_mov_b32 s0, 0x646e171e
	v_add_co_u32_e32 v48, vcc, s0, v6
	v_mad_u64_u32 v[4:5], s[0:1], v5, s58, 0
	v_mad_u64_u32 v[8:9], s[0:1], v7, s59, 0
	v_xor_b32_e32 v7, v47, v9
	v_xor_b32_e32 v5, v5, v48
	s_mov_b32 s0, 0x5384540f
	v_xor_b32_e32 v7, v7, v12
	v_xor_b32_e32 v5, v5, v10
	v_add_co_u32_e32 v49, vcc, s0, v24
	s_mov_b32 s0, 0x1fd5c5a3
	v_add_co_u32_e32 v50, vcc, s0, v6
	v_mad_u64_u32 v[10:11], s[0:1], v7, s58, 0
	v_mad_u64_u32 v[12:13], s[0:1], v5, s59, 0
	v_xor_b32_e32 v5, v13, v49
	v_xor_b32_e32 v7, v50, v11
	s_mov_b32 s0, 0xf1bbcdc8
	v_xor_b32_e32 v5, v5, v8
	v_xor_b32_e32 v7, v7, v4
	v_add_co_u32_e32 v51, vcc, s0, v24
	s_mov_b32 s0, 0xdb3d7428
	v_add_co_u32_e32 v52, vcc, s0, v6
	v_mad_u64_u32 v[4:5], s[0:1], v5, s58, 0
	v_mad_u64_u32 v[6:7], s[0:1], v7, s59, 0
	v_xor_b32_e32 v7, v51, v7
	v_xor_b32_e32 v5, v5, v52
	;; [unrolled: 1-line block ×4, first 2 shown]
	v_mad_u64_u32 v[12:13], s[0:1], v7, s58, 0
	v_mad_u64_u32 v[14:15], s[0:1], v5, s59, 0
	v_mov_b32_e32 v3, 0
	v_add_u32_e32 v53, 0x8ff34781, v24
	v_add_u32_e32 v54, 0x96a522ad, v25
	v_xor_b32_e32 v5, v6, v15
	v_xor_b32_e32 v4, v13, v4
	;; [unrolled: 1-line block ×4, first 2 shown]
	s_mov_b32 s8, 0x66666666
	s_mov_b32 s10, 0xa3d70a3d
	;; [unrolled: 1-line block ×11, first 2 shown]
	v_pk_mov_b32 v[6:7], v[2:3], v[2:3] op_sel:[0,1]
	s_mov_b32 s57, 0
	v_mov_b32_e32 v9, v14
	v_mov_b32_e32 v11, v12
	v_add_u32_e32 v55, 0x9e3779b9, v24
	v_add_u32_e32 v56, 0xbb67ae85, v25
	;; [unrolled: 1-line block ×16, first 2 shown]
	s_mov_b64 s[6:7], 0
	s_movk_i32 s60, 0x4900
	s_mov_b32 s61, 0xf800000
	v_mov_b32_e32 v71, 0x260
	s_mov_b32 s9, 0x40146666
	s_mov_b32 s11, 0x40043d70
	;; [unrolled: 1-line block ×18, first 2 shown]
	v_mov_b32_e32 v72, 0x3f2aaada
	s_mov_b32 s68, 0x3f317218
	s_mov_b32 s69, 0xfc00
	v_mov_b32_e32 v26, 0x66666666
	v_mov_b32_e32 v27, 0x3ff26666
	;; [unrolled: 1-line block ×8, first 2 shown]
	v_pk_mov_b32 v[4:5], v[0:1], v[0:1] op_sel:[0,1]
	s_branch .LBB105_13
.LBB105_6:                              ;   in Loop: Header=BB105_13 Depth=1
	s_or_b64 exec, exec, s[2:3]
	v_sub_f16_e32 v79, v77, v16
.LBB105_7:                              ;   in Loop: Header=BB105_13 Depth=1
	s_or_b64 exec, exec, s[0:1]
	v_mov_b32_e32 v78, v88
.LBB105_8:                              ;   in Loop: Header=BB105_13 Depth=1
	s_or_b64 exec, exec, s[44:45]
	v_mov_b32_e32 v88, v78
.LBB105_9:                              ;   in Loop: Header=BB105_13 Depth=1
	s_or_b64 exec, exec, s[42:43]
	v_mov_b32_e32 v77, v79
	v_mov_b32_e32 v78, v88
.LBB105_10:                             ;   in Loop: Header=BB105_13 Depth=1
	s_or_b64 exec, exec, s[40:41]
	v_mov_b32_e32 v0, v77
.LBB105_11:                             ;   in Loop: Header=BB105_13 Depth=1
	s_or_b64 exec, exec, s[38:39]
.LBB105_12:                             ;   in Loop: Header=BB105_13 Depth=1
	s_or_b64 exec, exec, s[36:37]
	v_add_u32_e32 v2, s33, v34
	v_lshlrev_b64 v[12:13], 1, v[2:3]
	v_mov_b32_e32 v1, s13
	v_add_co_u32_e32 v12, vcc, s12, v12
	s_add_i32 s2, s57, 1
	v_addc_co_u32_e32 v13, vcc, v1, v13, vcc
	v_add_u32_e32 v34, 0x100, v34
	s_cmp_gt_u32 s57, 2
	s_cselect_b64 s[0:1], -1, 0
	v_cmp_le_i32_e32 vcc, s56, v34
	s_or_b64 s[0:1], s[0:1], vcc
	s_and_b64 s[0:1], exec, s[0:1]
	s_or_b64 s[6:7], s[0:1], s[6:7]
	s_mov_b32 s57, s2
	global_store_short v[12:13], v0, off
	s_andn2_b64 exec, exec, s[6:7]
	s_cbranch_execz .LBB105_79
.LBB105_13:                             ; =>This Loop Header: Depth=1
                                        ;     Child Loop BB105_21 Depth 2
                                        ;     Child Loop BB105_43 Depth 2
	;; [unrolled: 1-line block ×4, first 2 shown]
	v_lshl_add_u32 v0, s57, 1, v36
	ds_read_u16 v77, v0
	v_mov_b32_e32 v0, v3
	s_waitcnt lgkmcnt(0)
	v_cmp_nge_f16_e32 vcc, 0, v77
	s_and_saveexec_b64 s[36:37], vcc
	s_cbranch_execz .LBB105_12
; %bb.14:                               ;   in Loop: Header=BB105_13 Depth=1
	v_lshl_add_u32 v0, s57, 1, v35
	ds_read_u16 v1, v0
	v_mov_b32_e32 v0, 0
	s_waitcnt lgkmcnt(0)
	v_cmp_nge_f16_e32 vcc, 0, v1
	s_and_saveexec_b64 s[38:39], vcc
	s_cbranch_execz .LBB105_11
; %bb.15:                               ;   in Loop: Header=BB105_13 Depth=1
	v_cmp_nle_f16_e32 vcc, 1.0, v1
	s_and_saveexec_b64 s[40:41], vcc
	s_cbranch_execz .LBB105_10
; %bb.16:                               ;   in Loop: Header=BB105_13 Depth=1
	v_cvt_f32_f16_e32 v0, v77
	v_cmp_ge_f16_e32 vcc, 0.5, v1
                                        ; implicit-def: $vgpr79
                                        ; implicit-def: $vgpr88
	s_and_saveexec_b64 s[0:1], vcc
	s_xor_b64 s[42:43], exec, s[0:1]
	s_cbranch_execz .LBB105_47
; %bb.17:                               ;   in Loop: Header=BB105_13 Depth=1
	v_mul_f16_e32 v2, v1, v77
	v_cmp_le_f16_e32 vcc, s60, v2
                                        ; implicit-def: $vgpr79
                                        ; implicit-def: $vgpr88
	s_and_saveexec_b64 s[0:1], vcc
	s_xor_b64 s[44:45], exec, s[0:1]
	s_cbranch_execz .LBB105_40
; %bb.18:                               ;   in Loop: Header=BB105_13 Depth=1
	v_sub_f16_e32 v30, 1.0, v1
	v_mul_f16_e32 v12, v2, v30
	v_cvt_f32_f16_e32 v12, v12
	v_cvt_f32_f16_e32 v31, v1
	;; [unrolled: 1-line block ×3, first 2 shown]
	s_mov_b32 s24, s26
	v_mul_f32_e32 v13, 0x4f800000, v12
	v_cmp_gt_f32_e32 vcc, s61, v12
	v_cndmask_b32_e32 v14, v12, v13, vcc
	v_rsq_f32_e32 v15, v14
	v_pk_mov_b32 v[12:13], v[26:27], v[26:27] op_sel:[0,1]
	v_cvt_f64_f32_e32 v[18:19], v31
	v_add_f32_e32 v82, 0.5, v2
	v_mul_f32_e32 v16, v14, v15
	v_mul_f32_e32 v15, 0.5, v15
	v_fma_f32 v17, -v15, v16, 0.5
	v_fmac_f32_e32 v16, v16, v17
	v_fmac_f32_e32 v15, v15, v17
	v_fma_f32 v17, -v16, v16, v14
	v_fmac_f32_e32 v16, v17, v15
	v_mul_f32_e32 v15, 0x37800000, v16
	v_cndmask_b32_e32 v15, v16, v15, vcc
	v_cmp_class_f32_e32 vcc, v14, v71
	v_cndmask_b32_e32 v14, v15, v14, vcc
	v_cvt_f64_f32_e32 v[14:15], v14
	v_fmac_f64_e32 v[12:13], s[10:11], v[14:15]
	v_cvt_f32_f64_e32 v80, v[12:13]
	v_cvt_f64_f32_e32 v[12:13], v80
	v_div_scale_f64 v[20:21], s[0:1], v[12:13], v[12:13], s[18:19]
	v_rcp_f64_e32 v[22:23], v[20:21]
	v_pk_mov_b32 v[16:17], v[28:29], v[28:29] op_sel:[0,1]
	v_fmac_f64_e32 v[16:17], s[14:15], v[12:13]
	v_fmac_f64_e32 v[16:17], s[16:17], v[18:19]
	v_cvt_f32_f64_e32 v81, v[16:17]
	v_fma_f64 v[16:17], -v[20:21], v[22:23], 1.0
	v_fmac_f64_e32 v[22:23], v[22:23], v[16:17]
	v_cvt_f32_f16_e32 v2, v30
	v_fma_f64 v[16:17], -v[20:21], v[22:23], 1.0
	v_fmac_f64_e32 v[22:23], v[22:23], v[16:17]
	v_div_scale_f64 v[16:17], vcc, s[18:19], v[12:13], s[18:19]
	v_mul_f64 v[18:19], v[16:17], v[22:23]
	v_fma_f64 v[16:17], -v[20:21], v[18:19], v[16:17]
	v_rcp_f32_e32 v20, v2
	s_nop 0
	v_div_fmas_f64 v[16:17], v[16:17], v[22:23], v[18:19]
	v_div_fixup_f64 v[16:17], v[16:17], v[12:13], s[18:19]
	v_add_f64 v[16:17], v[16:17], s[20:21]
	v_mul_f32_e32 v18, v31, v20
	v_mad_f32 v19, -v2, v18, v31
	v_mac_f32_e32 v18, v19, v20
	v_mad_f32 v2, -v2, v18, v31
	v_mul_f32_e32 v2, v2, v20
	v_and_b32_e32 v2, 0xff800000, v2
	v_add_f32_e32 v2, v2, v18
	v_cvt_f16_f32_e32 v2, v2
	v_div_scale_f64 v[18:19], s[0:1], v[12:13], v[12:13], s[8:9]
	v_rcp_f64_e32 v[20:21], v[18:19]
	v_div_fixup_f16 v2, v2, v30, v1
	v_cvt_f32_f16_e32 v84, v2
	v_add_f16_e32 v2, 1.0, v77
	v_mul_f16_e32 v1, v2, v1
	v_cvt_f32_f64_e32 v83, v[16:17]
	v_fma_f64 v[16:17], -v[18:19], v[20:21], 1.0
	v_floor_f16_e32 v32, v1
	v_fmac_f64_e32 v[20:21], v[20:21], v[16:17]
	v_cvt_f32_f16_e32 v33, v32
	v_fma_f64 v[16:17], -v[18:19], v[20:21], 1.0
	v_fmac_f64_e32 v[20:21], v[20:21], v[16:17]
	v_div_scale_f64 v[16:17], vcc, s[8:9], v[12:13], s[8:9]
	v_mul_f64 v[22:23], v[16:17], v[20:21]
	v_fma_f64 v[16:17], -v[18:19], v[22:23], v[16:17]
	v_sub_f32_e32 v88, v0, v33
	s_nop 0
	v_div_fmas_f64 v[16:17], v[16:17], v[20:21], v[22:23]
	v_add_f32_e32 v85, 1.0, v88
	v_div_fixup_f64 v[12:13], v[16:17], v[12:13], s[8:9]
	v_add_f32_e32 v79, 1.0, v33
	v_mul_f32_e32 v16, v85, v84
	v_div_scale_f32 v17, s[0:1], v16, v16, v79
	v_rcp_f32_e32 v18, v17
	v_add_f64 v[0:1], v[12:13], s[22:23]
	v_mul_f64 v[0:1], v[0:1], v[14:15]
	v_cvt_f32_f64_e32 v86, v[0:1]
	v_fma_f32 v0, -v17, v18, 1.0
	v_fmac_f32_e32 v18, v0, v18
	v_div_scale_f32 v0, vcc, v79, v16, v79
	v_mul_f32_e32 v1, v0, v18
	v_fma_f32 v12, -v17, v1, v0
	v_fmac_f32_e32 v1, v12, v18
	v_fma_f32 v0, -v17, v1, v0
	v_div_fmas_f32 v0, v0, v18, v1
	v_div_fixup_f32 v0, v0, v16, v79
	v_cmp_gt_f32_e64 s[0:1], s62, v0
	v_cndmask_b32_e64 v1, 1.0, v73, s[0:1]
	v_mul_f32_e32 v0, v0, v1
	v_log_f32_e32 v18, v0
	v_mul_f32_e32 v12, v79, v79
	v_cvt_f64_f32_e32 v[12:13], v12
	v_div_scale_f64 v[14:15], s[2:3], v[12:13], v[12:13], s[24:25]
	v_mul_f32_e32 v19, 0x3f317217, v18
	v_rcp_f64_e32 v[16:17], v[14:15]
	v_fma_f32 v20, v18, s63, -v19
	v_fmac_f32_e32 v20, 0x3377d1cf, v18
	v_add_f32_e32 v19, v19, v20
	v_cmp_lt_f32_e64 vcc, |v18|, s64
	v_cndmask_b32_e32 v22, v18, v19, vcc
	v_fma_f64 v[18:19], -v[14:15], v[16:17], 1.0
	v_fmac_f64_e32 v[16:17], v[16:17], v[18:19]
	v_fma_f64 v[18:19], -v[14:15], v[16:17], 1.0
	v_fmac_f64_e32 v[16:17], v[16:17], v[18:19]
	v_div_scale_f64 v[18:19], vcc, s[24:25], v[12:13], s[24:25]
	v_mul_f64 v[20:21], v[18:19], v[16:17]
	v_fma_f64 v[14:15], -v[14:15], v[20:21], v[18:19]
	v_cvt_f64_f32_e32 v[0:1], v33
	s_nop 0
	v_div_fmas_f64 v[14:15], v[14:15], v[16:17], v[20:21]
	v_div_fixup_f64 v[14:15], v[14:15], v[12:13], s[24:25]
	v_add_f64 v[14:15], -v[14:15], s[28:29]
	v_div_scale_f64 v[16:17], s[2:3], v[12:13], v[12:13], v[14:15]
	v_rcp_f64_e32 v[18:19], v[16:17]
	v_cndmask_b32_e64 v20, 0, v74, s[0:1]
	v_sub_f32_e32 v20, v22, v20
	v_add_f64 v[0:1], v[0:1], 0.5
	v_fma_f64 v[22:23], -v[16:17], v[18:19], 1.0
	v_fmac_f64_e32 v[18:19], v[18:19], v[22:23]
	v_fma_f64 v[22:23], -v[16:17], v[18:19], 1.0
	v_fmac_f64_e32 v[18:19], v[18:19], v[22:23]
	v_div_scale_f64 v[22:23], vcc, v[14:15], v[12:13], v[14:15]
	v_mul_f64 v[30:31], v[22:23], v[18:19]
	v_fma_f64 v[16:17], -v[16:17], v[30:31], v[22:23]
	v_cvt_f64_f32_e32 v[20:21], v20
	s_nop 0
	v_div_fmas_f64 v[16:17], v[16:17], v[18:19], v[30:31]
	v_div_fixup_f64 v[12:13], v[16:17], v[12:13], v[14:15]
	v_add_f64 v[12:13], -v[12:13], s[30:31]
	v_cvt_f64_f32_e32 v[14:15], v79
	v_div_scale_f64 v[16:17], s[0:1], v[14:15], v[14:15], v[12:13]
	v_rcp_f64_e32 v[18:19], v[16:17]
	v_mul_f64 v[0:1], v[0:1], v[20:21]
	v_cvt_f32_f16_e32 v89, v2
	v_mul_f32_e32 v2, v85, v85
	v_fma_f64 v[20:21], -v[16:17], v[18:19], 1.0
	v_fmac_f64_e32 v[18:19], v[18:19], v[20:21]
	v_fma_f64 v[20:21], -v[16:17], v[18:19], 1.0
	v_fmac_f64_e32 v[18:19], v[18:19], v[20:21]
	v_div_scale_f64 v[20:21], vcc, v[12:13], v[14:15], v[12:13]
	v_mul_f64 v[22:23], v[20:21], v[18:19]
	v_fma_f64 v[16:17], -v[16:17], v[22:23], v[20:21]
	s_getpc_b64 s[4:5]
	s_add_u32 s4, s4, _ZZN12_GLOBAL__N_120stirling_approx_tailIfEET_S1_E11kTailValues.const@rel32@lo+4
	s_addc_u32 s5, s5, _ZZN12_GLOBAL__N_120stirling_approx_tailIfEET_S1_E11kTailValues.const@rel32@hi+12
	v_div_fmas_f64 v[16:17], v[16:17], v[18:19], v[22:23]
	v_cvt_f64_f32_e32 v[18:19], v2
	v_div_scale_f64 v[20:21], s[2:3], v[18:19], v[18:19], s[24:25]
	v_rcp_f64_e32 v[22:23], v[20:21]
	v_div_fixup_f64 v[12:13], v[16:17], v[14:15], v[12:13]
	v_cvt_f32_f64_e32 v90, v[12:13]
	v_cvt_u32_f32_e32 v2, v33
	v_fma_f64 v[12:13], -v[20:21], v[22:23], 1.0
	v_fmac_f64_e32 v[22:23], v[22:23], v[12:13]
	v_fma_f64 v[12:13], -v[20:21], v[22:23], 1.0
	v_fmac_f64_e32 v[22:23], v[22:23], v[12:13]
	v_div_scale_f64 v[12:13], vcc, s[24:25], v[18:19], s[24:25]
	v_mul_f64 v[14:15], v[12:13], v[22:23]
	v_fma_f64 v[12:13], -v[20:21], v[14:15], v[12:13]
	v_lshlrev_b64 v[20:21], 2, v[2:3]
	s_nop 0
	v_div_fmas_f64 v[12:13], v[12:13], v[22:23], v[14:15]
	v_div_fixup_f64 v[12:13], v[12:13], v[18:19], s[24:25]
	v_add_f64 v[12:13], -v[12:13], s[28:29]
	v_div_scale_f64 v[14:15], s[2:3], v[18:19], v[18:19], v[12:13]
	v_rcp_f64_e32 v[16:17], v[14:15]
	v_mov_b32_e32 v2, s5
	v_cmp_gt_f16_e64 s[0:1], s60, v32
	v_add_f32_e32 v87, v81, v81
	v_fma_f64 v[22:23], -v[14:15], v[16:17], 1.0
	v_fmac_f64_e32 v[16:17], v[16:17], v[22:23]
	v_fma_f64 v[22:23], -v[14:15], v[16:17], 1.0
	v_fmac_f64_e32 v[16:17], v[16:17], v[22:23]
	v_div_scale_f64 v[22:23], vcc, v[12:13], v[18:19], v[12:13]
	v_mul_f64 v[30:31], v[22:23], v[16:17]
	v_fma_f64 v[14:15], -v[14:15], v[30:31], v[22:23]
	s_mov_b64 s[46:47], 0
	s_nop 0
	v_div_fmas_f64 v[14:15], v[14:15], v[16:17], v[30:31]
	v_div_fixup_f64 v[12:13], v[14:15], v[18:19], v[12:13]
	v_add_f64 v[12:13], -v[12:13], s[30:31]
	v_cvt_f64_f32_e32 v[14:15], v85
	v_div_scale_f64 v[16:17], s[2:3], v[14:15], v[14:15], v[12:13]
	v_rcp_f64_e32 v[18:19], v[16:17]
	v_add_co_u32_e32 v30, vcc, s4, v20
	v_addc_co_u32_e32 v31, vcc, v21, v2, vcc
	v_fma_f64 v[20:21], -v[16:17], v[18:19], 1.0
	v_fmac_f64_e32 v[18:19], v[18:19], v[20:21]
	v_fma_f64 v[20:21], -v[16:17], v[18:19], 1.0
	v_fmac_f64_e32 v[18:19], v[18:19], v[20:21]
	v_div_scale_f64 v[20:21], vcc, v[12:13], v[14:15], v[12:13]
	v_mul_f64 v[22:23], v[20:21], v[18:19]
	v_fma_f64 v[16:17], -v[16:17], v[22:23], v[20:21]
	v_trunc_f32_e32 v20, v88
	v_mul_f32_e32 v21, 0x2f800000, v20
	v_floor_f32_e32 v21, v21
	v_fmac_f32_e32 v20, 0xcf800000, v21
	v_cvt_u32_f32_e32 v20, v20
	v_cvt_u32_f32_e32 v21, v21
	v_div_fmas_f64 v[16:17], v[16:17], v[18:19], v[22:23]
	v_div_fixup_f64 v[12:13], v[16:17], v[14:15], v[12:13]
	v_cvt_f32_f64_e32 v91, v[12:13]
	v_lshlrev_b64 v[12:13], 2, v[20:21]
	v_add_co_u32_e32 v32, vcc, s4, v12
	v_pk_mov_b32 v[18:19], v[10:11], v[10:11] op_sel:[0,1]
	v_cmp_gt_f32_e64 s[2:3], s65, v88
	v_addc_co_u32_e32 v33, vcc, v13, v2, vcc
	s_mov_b64 s[48:49], 0
	v_pk_mov_b32 v[16:17], v[8:9], v[8:9] op_sel:[0,1]
	s_branch .LBB105_21
.LBB105_19:                             ;   in Loop: Header=BB105_21 Depth=2
	s_or_b64 exec, exec, s[4:5]
	v_add_f16_e32 v21, 1.0, v21
	v_cvt_f32_f16_e32 v21, v21
	v_div_scale_f32 v22, s[4:5], v21, v21, v85
	v_rcp_f32_e32 v23, v22
	v_div_scale_f32 v78, vcc, v85, v21, v85
	v_fma_f32 v93, -v22, v23, 1.0
	v_fmac_f32_e32 v23, v93, v23
	v_mul_f32_e32 v93, v78, v23
	v_fma_f32 v94, -v22, v93, v78
	v_fmac_f32_e32 v93, v94, v23
	v_fma_f32 v22, -v22, v93, v78
	v_div_fmas_f32 v22, v22, v23, v93
	v_div_fixup_f32 v22, v22, v21, v85
	v_cmp_gt_f32_e32 vcc, s62, v22
	v_cndmask_b32_e32 v23, 1.0, v73, vcc
	v_mul_f32_e32 v22, v22, v23
	v_log_f32_e32 v22, v22
	v_add_f16_e32 v23, 1.0, v79
	v_cvt_f32_f16_e32 v78, v23
	v_cndmask_b32_e32 v23, 0, v74, vcc
	v_mul_f32_e32 v93, 0x3f317217, v22
	v_fma_f32 v94, v22, s63, -v93
	v_fmac_f32_e32 v94, 0x3377d1cf, v22
	v_add_f32_e32 v93, v93, v94
	v_cmp_lt_f32_e64 vcc, |v22|, s64
	v_mul_f32_e32 v21, v84, v21
	v_cndmask_b32_e32 v22, v22, v93, vcc
	v_div_scale_f32 v93, s[4:5], v78, v78, v21
	v_rcp_f32_e32 v94, v93
	v_sub_f32_e32 v22, v22, v23
	v_mul_f32_e32 v22, v22, v89
	v_cvt_f64_f32_e32 v[22:23], v22
	v_fma_f32 v95, -v93, v94, 1.0
	v_fmac_f32_e32 v94, v95, v94
	v_div_scale_f32 v95, vcc, v21, v78, v21
	v_mul_f32_e32 v96, v95, v94
	v_fma_f32 v97, -v93, v96, v95
	v_fmac_f32_e32 v96, v97, v94
	v_fma_f32 v93, -v93, v96, v95
	v_div_fmas_f32 v93, v93, v94, v96
	v_div_fixup_f32 v21, v93, v78, v21
	v_cmp_gt_f32_e32 vcc, s62, v21
	v_cndmask_b32_e32 v78, 1.0, v73, vcc
	v_mul_f32_e32 v21, v21, v78
	v_log_f32_e32 v21, v21
	v_cvt_f64_f32_e32 v[94:95], v19
	v_add_f64 v[22:23], v[0:1], v[22:23]
	v_add_f64 v[94:95], v[94:95], 0.5
	v_mul_f32_e32 v19, 0x3f317217, v21
	v_fma_f32 v78, v21, s63, -v19
	v_fmac_f32_e32 v78, 0x3377d1cf, v21
	v_add_f32_e32 v19, v19, v78
	v_cmp_lt_f32_e64 s[4:5], |v21|, s64
	v_cndmask_b32_e64 v19, v21, v19, s[4:5]
	v_cndmask_b32_e32 v21, 0, v74, vcc
	v_sub_f32_e32 v19, v19, v21
	v_mul_f32_e32 v21, v92, v92
	v_div_scale_f32 v78, s[4:5], v21, v21, v81
	v_rcp_f32_e32 v96, v78
	v_cvt_f64_f32_e32 v[92:93], v19
	v_fmac_f64_e32 v[22:23], v[94:95], v[92:93]
	v_mul_f32_e32 v92, v16, v86
	v_fma_f32 v16, -v78, v96, 1.0
	v_fmac_f32_e32 v96, v16, v96
	v_div_scale_f32 v16, vcc, v81, v21, v81
	v_mul_f32_e32 v19, v16, v96
	v_fma_f32 v93, -v78, v19, v16
	v_fmac_f32_e32 v19, v93, v96
	v_fma_f32 v16, -v78, v19, v16
	v_div_fmas_f32 v16, v16, v96, v19
	v_div_fixup_f32 v16, v16, v21, v81
	v_add_f32_e32 v21, v16, v80
	v_div_scale_f32 v78, s[4:5], v21, v21, v92
	v_rcp_f32_e32 v93, v78
	s_waitcnt vmcnt(0)
	v_cvt_f64_f32_e32 v[16:17], v17
	v_add_f64 v[16:17], v[22:23], v[16:17]
	v_cvt_f64_f32_e32 v[18:19], v18
	v_fma_f32 v22, -v78, v93, 1.0
	v_fmac_f32_e32 v93, v22, v93
	v_div_scale_f32 v22, vcc, v92, v21, v92
	v_mul_f32_e32 v23, v22, v93
	v_fma_f32 v94, -v78, v23, v22
	v_fmac_f32_e32 v23, v94, v93
	v_fma_f32 v22, -v78, v23, v22
	v_div_fmas_f32 v22, v22, v93, v23
	v_div_fixup_f32 v21, v22, v21, v92
	v_cmp_gt_f32_e32 vcc, s62, v21
	v_cndmask_b32_e32 v22, 1.0, v73, vcc
	v_mul_f32_e32 v21, v21, v22
	v_log_f32_e32 v21, v21
	v_add_f64 v[16:17], v[16:17], v[18:19]
	v_cvt_f64_f32_e32 v[18:19], v20
	v_add_f64 v[16:17], v[16:17], -v[18:19]
	v_mul_f32_e32 v18, 0x3f317217, v21
	v_fma_f32 v19, v21, s63, -v18
	v_fmac_f32_e32 v19, 0x3377d1cf, v21
	v_add_f32_e32 v18, v18, v19
	v_cmp_lt_f32_e64 s[4:5], |v21|, s64
	v_cndmask_b32_e64 v18, v21, v18, s[4:5]
	v_cndmask_b32_e32 v19, 0, v74, vcc
	v_sub_f32_e32 v20, v18, v19
	v_cvt_f64_f32_e32 v[18:19], v2
	v_add_f64 v[16:17], v[16:17], -v[18:19]
	v_cvt_f32_f64_e32 v2, v[16:17]
	v_cmp_le_f32_e32 vcc, v20, v2
	s_orn2_b64 s[4:5], vcc, exec
.LBB105_20:                             ;   in Loop: Header=BB105_21 Depth=2
	s_or_b64 exec, exec, s[48:49]
	s_and_b64 s[4:5], exec, s[4:5]
	v_pk_mov_b32 v[18:19], v[14:15], v[14:15] op_sel:[0,1]
	s_or_b64 s[46:47], s[4:5], s[46:47]
	s_mov_b64 s[48:49], 0
	v_mov_b32_e32 v78, v88
	v_pk_mov_b32 v[16:17], v[12:13], v[12:13] op_sel:[0,1]
	s_andn2_b64 exec, exec, s[46:47]
	s_cbranch_execz .LBB105_39
.LBB105_21:                             ;   Parent Loop BB105_13 Depth=1
                                        ; =>  This Inner Loop Header: Depth=2
	v_add_u32_e32 v2, 1, v78
	v_pk_mov_b32 v[22:23], v[18:19], v[18:19] op_sel:[0,1]
	v_cmp_eq_u32_e32 vcc, 4, v2
	v_pk_mov_b32 v[20:21], v[16:17], v[16:17] op_sel:[0,1]
	s_and_saveexec_b64 s[4:5], vcc
	s_cbranch_execz .LBB105_23
; %bb.22:                               ;   in Loop: Header=BB105_21 Depth=2
	v_add_co_u32_e32 v4, vcc, 1, v4
	v_cndmask_b32_e64 v8, 0, 1, vcc
	v_addc_co_u32_e32 v5, vcc, 0, v5, vcc
	v_cmp_eq_u32_e32 vcc, 0, v5
	v_cndmask_b32_e32 v8, 0, v8, vcc
	v_add_u32_e32 v6, v8, v6
	v_cmp_eq_u32_e32 vcc, 0, v6
	v_cndmask_b32_e32 v8, 0, v8, vcc
	v_add_u32_e32 v7, v8, v7
	v_mad_u64_u32 v[8:9], s[50:51], v4, s58, 0
	v_mad_u64_u32 v[10:11], s[50:51], v6, s59, 0
	v_xor_b32_e32 v11, v11, v24
	v_xor_b32_e32 v9, v9, v25
	v_xor_b32_e32 v11, v5, v11
	v_xor_b32_e32 v9, v7, v9
	v_mad_u64_u32 v[12:13], s[50:51], v11, s58, 0
	v_mad_u64_u32 v[14:15], s[50:51], v9, s59, 0
	v_xor_b32_e32 v9, v15, v10
	v_xor_b32_e32 v8, v13, v8
	v_xor_b32_e32 v9, v55, v9
	v_xor_b32_e32 v10, v56, v8
	;; [unrolled: 6-line block ×9, first 2 shown]
	v_mad_u64_u32 v[12:13], s[50:51], v9, s58, 0
	v_mad_u64_u32 v[14:15], s[50:51], v11, s59, 0
	v_xor_b32_e32 v9, v13, v10
	v_xor_b32_e32 v8, v15, v8
	;; [unrolled: 1-line block ×3, first 2 shown]
	v_mov_b32_e32 v11, v12
	v_xor_b32_e32 v8, v53, v8
	v_mov_b32_e32 v9, v14
	v_pk_mov_b32 v[22:23], v[10:11], v[10:11] op_sel:[0,1]
	v_mov_b32_e32 v2, 0
	v_pk_mov_b32 v[20:21], v[8:9], v[8:9] op_sel:[0,1]
.LBB105_23:                             ;   in Loop: Header=BB105_21 Depth=2
	s_or_b64 exec, exec, s[4:5]
	v_add_u32_e32 v88, 1, v2
	v_pk_mov_b32 v[12:13], v[20:21], v[20:21] op_sel:[0,1]
	v_cmp_eq_u32_e32 vcc, 4, v88
	v_pk_mov_b32 v[14:15], v[22:23], v[22:23] op_sel:[0,1]
	s_and_saveexec_b64 s[4:5], vcc
	s_cbranch_execz .LBB105_25
; %bb.24:                               ;   in Loop: Header=BB105_21 Depth=2
	v_add_co_u32_e32 v4, vcc, 1, v4
	v_cndmask_b32_e64 v8, 0, 1, vcc
	v_addc_co_u32_e32 v5, vcc, 0, v5, vcc
	v_cmp_eq_u32_e32 vcc, 0, v5
	v_cndmask_b32_e32 v8, 0, v8, vcc
	v_add_u32_e32 v6, v8, v6
	v_cmp_eq_u32_e32 vcc, 0, v6
	v_cndmask_b32_e32 v8, 0, v8, vcc
	v_add_u32_e32 v7, v8, v7
	v_mad_u64_u32 v[8:9], s[50:51], v4, s58, 0
	v_mad_u64_u32 v[10:11], s[50:51], v6, s59, 0
	v_xor_b32_e32 v11, v11, v24
	v_xor_b32_e32 v9, v9, v25
	v_xor_b32_e32 v11, v5, v11
	v_xor_b32_e32 v9, v7, v9
	v_mad_u64_u32 v[12:13], s[50:51], v11, s58, 0
	v_mad_u64_u32 v[14:15], s[50:51], v9, s59, 0
	v_xor_b32_e32 v9, v15, v10
	v_xor_b32_e32 v8, v13, v8
	v_xor_b32_e32 v9, v55, v9
	v_xor_b32_e32 v10, v56, v8
	;; [unrolled: 6-line block ×9, first 2 shown]
	v_mad_u64_u32 v[12:13], s[50:51], v9, s58, 0
	v_mad_u64_u32 v[14:15], s[50:51], v11, s59, 0
	v_xor_b32_e32 v9, v13, v10
	v_xor_b32_e32 v8, v15, v8
	;; [unrolled: 1-line block ×3, first 2 shown]
	v_mov_b32_e32 v11, v12
	v_xor_b32_e32 v8, v53, v8
	v_mov_b32_e32 v9, v14
	v_pk_mov_b32 v[14:15], v[10:11], v[10:11] op_sel:[0,1]
	v_mov_b32_e32 v88, 0
	v_pk_mov_b32 v[12:13], v[8:9], v[8:9] op_sel:[0,1]
.LBB105_25:                             ;   in Loop: Header=BB105_21 Depth=2
	s_or_b64 exec, exec, s[4:5]
	v_cmp_eq_u32_e32 vcc, 1, v78
	v_cndmask_b32_e32 v16, v16, v17, vcc
	v_cmp_eq_u32_e32 vcc, 2, v78
	v_cndmask_b32_e32 v16, v16, v18, vcc
	;; [unrolled: 2-line block ×3, first 2 shown]
	v_and_b32_e32 v16, 0xffffff, v16
	v_cvt_f32_u32_e32 v16, v16
	v_fma_f32 v16, v16, s66, -0.5
	v_sub_f32_e64 v92, 0.5, |v16|
	v_div_scale_f32 v17, s[4:5], v92, v92, v87
	v_rcp_f32_e32 v18, v17
	v_div_scale_f32 v19, vcc, v87, v92, v87
	v_fma_f32 v78, -v17, v18, 1.0
	v_fmac_f32_e32 v18, v78, v18
	v_mul_f32_e32 v78, v19, v18
	v_fma_f32 v79, -v17, v78, v19
	v_fmac_f32_e32 v78, v79, v18
	v_fma_f32 v17, -v17, v78, v19
	v_div_fmas_f32 v17, v17, v18, v78
	v_div_fixup_f32 v17, v17, v92, v87
	v_add_f32_e32 v17, v17, v80
	v_fma_f32 v16, v16, v17, v82
	v_floor_f32_e32 v16, v16
	v_cvt_f16_f32_e32 v79, v16
	v_pk_mov_b32 v[18:19], v[14:15], v[14:15] op_sel:[0,1]
	v_mov_b32_e32 v78, v88
	v_pk_mov_b32 v[16:17], v[12:13], v[12:13] op_sel:[0,1]
	v_cmp_ngt_f16_e32 vcc, 0, v79
	v_cmp_ngt_f16_e64 s[4:5], v79, v77
	s_and_b64 s[4:5], vcc, s[4:5]
	s_and_b64 s[4:5], exec, s[4:5]
	s_or_b64 s[48:49], s[4:5], s[48:49]
	s_andn2_b64 exec, exec, s[48:49]
	s_cbranch_execnz .LBB105_21
; %bb.26:                               ;   in Loop: Header=BB105_21 Depth=2
	s_or_b64 exec, exec, s[48:49]
	v_cmp_eq_u32_e32 vcc, 1, v2
	v_cndmask_b32_e32 v16, v20, v21, vcc
	v_cmp_eq_u32_e32 vcc, 2, v2
	v_cndmask_b32_e32 v16, v16, v22, vcc
	;; [unrolled: 2-line block ×3, first 2 shown]
	v_and_b32_e32 v2, 0xffffff, v2
	v_cvt_f32_u32_e32 v2, v2
	v_cvt_f64_f32_e32 v[18:19], v92
	v_cmp_nle_f64_e32 vcc, s[34:35], v[18:19]
	v_mul_f32_e32 v16, 0x33800000, v2
	v_cmp_nle_f32_e64 s[4:5], v16, v83
	s_or_b64 s[50:51], vcc, s[4:5]
	s_mov_b64 s[4:5], -1
	s_and_saveexec_b64 s[48:49], s[50:51]
	s_cbranch_execz .LBB105_20
; %bb.27:                               ;   in Loop: Header=BB105_21 Depth=2
	v_mov_b32_e32 v17, v90
	s_and_saveexec_b64 s[4:5], s[0:1]
	s_cbranch_execz .LBB105_29
; %bb.28:                               ;   in Loop: Header=BB105_21 Depth=2
	global_load_dword v17, v[30:31], off
.LBB105_29:                             ;   in Loop: Header=BB105_21 Depth=2
	s_or_b64 exec, exec, s[4:5]
	v_mov_b32_e32 v18, v91
	s_and_saveexec_b64 s[4:5], s[2:3]
	s_cbranch_execz .LBB105_31
; %bb.30:                               ;   in Loop: Header=BB105_21 Depth=2
	global_load_dword v18, v[32:33], off
.LBB105_31:                             ;   in Loop: Header=BB105_21 Depth=2
	s_or_b64 exec, exec, s[4:5]
	v_cvt_f32_f16_e32 v19, v79
	v_cmp_ngt_f16_e32 vcc, s60, v79
                                        ; implicit-def: $vgpr20
	s_and_saveexec_b64 s[4:5], vcc
	s_xor_b64 s[4:5], exec, s[4:5]
	s_cbranch_execz .LBB105_33
; %bb.32:                               ;   in Loop: Header=BB105_21 Depth=2
	v_add_f32_e32 v2, 1.0, v19
	v_mul_f32_e32 v20, v2, v2
	v_cvt_f64_f32_e32 v[20:21], v20
	v_div_scale_f64 v[22:23], s[50:51], v[20:21], v[20:21], s[26:27]
	v_rcp_f64_e32 v[94:95], v[22:23]
	v_div_scale_f64 v[96:97], vcc, s[26:27], v[20:21], s[26:27]
	v_fma_f64 v[98:99], -v[22:23], v[94:95], 1.0
	v_fmac_f64_e32 v[94:95], v[94:95], v[98:99]
	v_fma_f64 v[98:99], -v[22:23], v[94:95], 1.0
	v_fmac_f64_e32 v[94:95], v[94:95], v[98:99]
	v_mul_f64 v[98:99], v[96:97], v[94:95]
	v_fma_f64 v[22:23], -v[22:23], v[98:99], v[96:97]
	v_div_fmas_f64 v[22:23], v[22:23], v[94:95], v[98:99]
	v_div_fixup_f64 v[22:23], v[22:23], v[20:21], s[26:27]
	v_add_f64 v[22:23], v[22:23], s[28:29]
	v_div_scale_f64 v[94:95], s[50:51], v[20:21], v[20:21], v[22:23]
	v_rcp_f64_e32 v[96:97], v[94:95]
	v_fma_f64 v[98:99], -v[94:95], v[96:97], 1.0
	v_fmac_f64_e32 v[96:97], v[96:97], v[98:99]
	v_fma_f64 v[98:99], -v[94:95], v[96:97], 1.0
	v_fmac_f64_e32 v[96:97], v[96:97], v[98:99]
	v_div_scale_f64 v[98:99], vcc, v[22:23], v[20:21], v[22:23]
	v_mul_f64 v[100:101], v[98:99], v[96:97]
	v_fma_f64 v[94:95], -v[94:95], v[100:101], v[98:99]
	s_nop 1
	v_div_fmas_f64 v[94:95], v[94:95], v[96:97], v[100:101]
	v_div_fixup_f64 v[20:21], v[94:95], v[20:21], v[22:23]
	v_add_f64 v[20:21], -v[20:21], s[30:31]
	v_cvt_f64_f32_e32 v[22:23], v2
	v_div_scale_f64 v[94:95], s[50:51], v[22:23], v[22:23], v[20:21]
	v_rcp_f64_e32 v[96:97], v[94:95]
	v_fma_f64 v[98:99], -v[94:95], v[96:97], 1.0
	v_fmac_f64_e32 v[96:97], v[96:97], v[98:99]
	v_fma_f64 v[98:99], -v[94:95], v[96:97], 1.0
	v_fmac_f64_e32 v[96:97], v[96:97], v[98:99]
	v_div_scale_f64 v[98:99], vcc, v[20:21], v[22:23], v[20:21]
	v_mul_f64 v[100:101], v[98:99], v[96:97]
	v_fma_f64 v[94:95], -v[94:95], v[100:101], v[98:99]
	s_nop 1
	v_div_fmas_f64 v[94:95], v[94:95], v[96:97], v[100:101]
	v_div_fixup_f64 v[20:21], v[94:95], v[22:23], v[20:21]
	v_cvt_f32_f64_e32 v20, v[20:21]
.LBB105_33:                             ;   in Loop: Header=BB105_21 Depth=2
	s_andn2_saveexec_b64 s[4:5], s[4:5]
	s_cbranch_execz .LBB105_35
; %bb.34:                               ;   in Loop: Header=BB105_21 Depth=2
	v_cvt_u32_f32_e32 v2, v19
	s_getpc_b64 s[50:51]
	s_add_u32 s50, s50, _ZZN12_GLOBAL__N_120stirling_approx_tailIfEET_S1_E11kTailValues.const@rel32@lo+4
	s_addc_u32 s51, s51, _ZZN12_GLOBAL__N_120stirling_approx_tailIfEET_S1_E11kTailValues.const@rel32@hi+12
	v_mov_b32_e32 v22, s51
	v_lshlrev_b64 v[20:21], 2, v[2:3]
	v_add_co_u32_e32 v20, vcc, s50, v20
	v_addc_co_u32_e32 v21, vcc, v21, v22, vcc
	global_load_dword v20, v[20:21], off
.LBB105_35:                             ;   in Loop: Header=BB105_21 Depth=2
	s_or_b64 exec, exec, s[4:5]
	v_sub_f16_e32 v21, v77, v79
	v_cvt_f32_f16_e32 v22, v21
	v_cmp_ngt_f16_e32 vcc, s60, v21
                                        ; implicit-def: $vgpr2
	s_and_saveexec_b64 s[4:5], vcc
	s_xor_b64 s[4:5], exec, s[4:5]
	s_cbranch_execz .LBB105_37
; %bb.36:                               ;   in Loop: Header=BB105_21 Depth=2
	v_add_f32_e32 v2, 1.0, v22
	v_mul_f32_e32 v22, v2, v2
	v_cvt_f64_f32_e32 v[22:23], v22
	v_div_scale_f64 v[94:95], s[50:51], v[22:23], v[22:23], s[26:27]
	v_rcp_f64_e32 v[96:97], v[94:95]
	v_div_scale_f64 v[98:99], vcc, s[26:27], v[22:23], s[26:27]
	v_fma_f64 v[100:101], -v[94:95], v[96:97], 1.0
	v_fmac_f64_e32 v[96:97], v[96:97], v[100:101]
	v_fma_f64 v[100:101], -v[94:95], v[96:97], 1.0
	v_fmac_f64_e32 v[96:97], v[96:97], v[100:101]
	v_mul_f64 v[100:101], v[98:99], v[96:97]
	v_fma_f64 v[94:95], -v[94:95], v[100:101], v[98:99]
	v_div_fmas_f64 v[94:95], v[94:95], v[96:97], v[100:101]
	v_div_fixup_f64 v[94:95], v[94:95], v[22:23], s[26:27]
	v_add_f64 v[94:95], v[94:95], s[28:29]
	v_div_scale_f64 v[96:97], s[50:51], v[22:23], v[22:23], v[94:95]
	v_rcp_f64_e32 v[98:99], v[96:97]
	v_fma_f64 v[100:101], -v[96:97], v[98:99], 1.0
	v_fmac_f64_e32 v[98:99], v[98:99], v[100:101]
	v_fma_f64 v[100:101], -v[96:97], v[98:99], 1.0
	v_fmac_f64_e32 v[98:99], v[98:99], v[100:101]
	v_div_scale_f64 v[100:101], vcc, v[94:95], v[22:23], v[94:95]
	v_mul_f64 v[102:103], v[100:101], v[98:99]
	v_fma_f64 v[96:97], -v[96:97], v[102:103], v[100:101]
	s_nop 1
	v_div_fmas_f64 v[96:97], v[96:97], v[98:99], v[102:103]
	v_div_fixup_f64 v[22:23], v[96:97], v[22:23], v[94:95]
	v_add_f64 v[22:23], -v[22:23], s[30:31]
	v_cvt_f64_f32_e32 v[94:95], v2
	v_div_scale_f64 v[96:97], s[50:51], v[94:95], v[94:95], v[22:23]
	v_rcp_f64_e32 v[98:99], v[96:97]
	v_fma_f64 v[100:101], -v[96:97], v[98:99], 1.0
	v_fmac_f64_e32 v[98:99], v[98:99], v[100:101]
	v_fma_f64 v[100:101], -v[96:97], v[98:99], 1.0
	v_fmac_f64_e32 v[98:99], v[98:99], v[100:101]
	v_div_scale_f64 v[100:101], vcc, v[22:23], v[94:95], v[22:23]
	v_mul_f64 v[102:103], v[100:101], v[98:99]
	v_fma_f64 v[96:97], -v[96:97], v[102:103], v[100:101]
	s_nop 1
	v_div_fmas_f64 v[96:97], v[96:97], v[98:99], v[102:103]
	v_div_fixup_f64 v[22:23], v[96:97], v[94:95], v[22:23]
	v_cvt_f32_f64_e32 v2, v[22:23]
                                        ; implicit-def: $vgpr22
.LBB105_37:                             ;   in Loop: Header=BB105_21 Depth=2
	s_andn2_saveexec_b64 s[4:5], s[4:5]
	s_cbranch_execz .LBB105_19
; %bb.38:                               ;   in Loop: Header=BB105_21 Depth=2
	v_cvt_u32_f32_e32 v2, v22
	s_getpc_b64 s[50:51]
	s_add_u32 s50, s50, _ZZN12_GLOBAL__N_120stirling_approx_tailIfEET_S1_E11kTailValues.const@rel32@lo+4
	s_addc_u32 s51, s51, _ZZN12_GLOBAL__N_120stirling_approx_tailIfEET_S1_E11kTailValues.const@rel32@hi+12
	v_mov_b32_e32 v78, s51
	v_lshlrev_b64 v[22:23], 2, v[2:3]
	v_add_co_u32_e32 v22, vcc, s50, v22
	v_addc_co_u32_e32 v23, vcc, v23, v78, vcc
	global_load_dword v2, v[22:23], off
	s_branch .LBB105_19
.LBB105_39:                             ;   in Loop: Header=BB105_13 Depth=1
	s_or_b64 exec, exec, s[46:47]
                                        ; implicit-def: $vgpr0
                                        ; implicit-def: $vgpr78
                                        ; implicit-def: $vgpr1
.LBB105_40:                             ;   in Loop: Header=BB105_13 Depth=1
	s_andn2_saveexec_b64 s[0:1], s[44:45]
	s_cbranch_execz .LBB105_46
; %bb.41:                               ;   in Loop: Header=BB105_13 Depth=1
	v_cvt_f32_f16_e64 v2, -v1
	s_mov_b64 s[2:3], 0
	v_add_f32_e32 v14, 1.0, v2
	v_frexp_mant_f32_e32 v16, v14
	v_cvt_f64_f32_e32 v[12:13], v14
	v_add_f32_e32 v15, -1.0, v14
	v_frexp_exp_i32_f64_e32 v12, v[12:13]
	v_cmp_gt_f32_e32 vcc, s67, v16
	v_sub_f32_e32 v17, v15, v14
	v_subbrev_co_u32_e32 v12, vcc, 0, v12, vcc
	v_sub_f32_e32 v15, v2, v15
	v_add_f32_e32 v17, 1.0, v17
	v_sub_u32_e32 v13, 0, v12
	v_add_f32_e32 v15, v15, v17
	v_ldexp_f32 v14, v14, v13
	v_ldexp_f32 v13, v15, v13
	v_add_f32_e32 v15, -1.0, v14
	v_add_f32_e32 v18, 1.0, v14
	v_add_f32_e32 v16, 1.0, v15
	v_add_f32_e32 v19, -1.0, v18
	v_sub_f32_e32 v16, v14, v16
	v_sub_f32_e32 v14, v14, v19
	v_add_f32_e32 v16, v13, v16
	v_add_f32_e32 v13, v13, v14
	;; [unrolled: 1-line block ×3, first 2 shown]
	v_rcp_f32_e32 v19, v14
	v_add_f32_e32 v17, v15, v16
	v_sub_f32_e32 v15, v17, v15
	v_sub_f32_e32 v15, v16, v15
	;; [unrolled: 1-line block ×4, first 2 shown]
	v_mul_f32_e32 v16, v17, v19
	v_mul_f32_e32 v18, v14, v16
	v_fma_f32 v20, v16, v14, -v18
	v_fmac_f32_e32 v20, v16, v13
	v_add_f32_e32 v21, v18, v20
	v_sub_f32_e32 v22, v17, v21
	v_sub_f32_e32 v17, v17, v22
	;; [unrolled: 1-line block ×4, first 2 shown]
	v_add_f32_e32 v15, v15, v17
	v_sub_f32_e32 v17, v18, v20
	v_add_f32_e32 v15, v17, v15
	v_add_f32_e32 v17, v22, v15
	v_mul_f32_e32 v18, v19, v17
	v_mul_f32_e32 v20, v14, v18
	v_fma_f32 v14, v18, v14, -v20
	v_fmac_f32_e32 v14, v18, v13
	v_sub_f32_e32 v13, v22, v17
	v_add_f32_e32 v13, v15, v13
	v_add_f32_e32 v15, v20, v14
	v_sub_f32_e32 v21, v17, v15
	v_sub_f32_e32 v17, v17, v21
	;; [unrolled: 1-line block ×4, first 2 shown]
	v_add_f32_e32 v13, v13, v15
	v_sub_f32_e32 v14, v20, v14
	v_cvt_f32_i32_e32 v12, v12
	v_add_f32_e32 v13, v14, v13
	v_add_f32_e32 v14, v16, v18
	;; [unrolled: 1-line block ×3, first 2 shown]
	v_sub_f32_e32 v15, v14, v16
	v_mul_f32_e32 v13, v19, v13
	v_sub_f32_e32 v15, v18, v15
	v_add_f32_e32 v13, v15, v13
	v_mul_f32_e32 v18, 0x3f317218, v12
	v_add_f32_e32 v15, v14, v13
	v_fma_f32 v19, v12, s68, -v18
	v_mul_f32_e32 v16, v15, v15
	v_mov_b32_e32 v17, 0x3ecc95a3
	v_fmac_f32_e32 v19, 0xb102e308, v12
	v_sub_f32_e32 v12, v15, v14
	v_fmac_f32_e32 v17, 0x3e9b6dac, v16
	v_sub_f32_e32 v12, v13, v12
	v_add_f32_e32 v13, v18, v19
	v_fma_f32 v17, v16, v17, v72
	v_sub_f32_e32 v14, v13, v18
	v_ldexp_f32 v18, v15, 1
	v_mul_f32_e32 v15, v15, v16
	v_mul_f32_e32 v15, v15, v17
	v_add_f32_e32 v16, v18, v15
	v_sub_f32_e32 v17, v16, v18
	v_ldexp_f32 v12, v12, 1
	v_sub_f32_e32 v15, v15, v17
	v_add_f32_e32 v12, v12, v15
	v_add_f32_e32 v15, v16, v12
	v_sub_f32_e32 v16, v15, v16
	v_sub_f32_e32 v12, v12, v16
	v_add_f32_e32 v16, v13, v15
	v_sub_f32_e32 v17, v16, v13
	v_sub_f32_e32 v18, v16, v17
	;; [unrolled: 1-line block ×5, first 2 shown]
	v_add_f32_e32 v13, v15, v13
	v_add_f32_e32 v15, v14, v12
	v_sub_f32_e32 v17, v15, v14
	v_sub_f32_e32 v18, v15, v17
	v_sub_f32_e32 v14, v14, v18
	v_sub_f32_e32 v12, v12, v17
	v_add_f32_e32 v13, v15, v13
	v_add_f32_e32 v12, v12, v14
	;; [unrolled: 1-line block ×3, first 2 shown]
	v_sub_f32_e32 v15, v14, v16
	v_sub_f32_e32 v13, v13, v15
	v_add_f32_e32 v12, v12, v13
	v_add_f32_e32 v12, v14, v12
	v_cmp_nlt_f16_e32 vcc, 1.0, v1
	v_cndmask_b32_e32 v12, v75, v12, vcc
	v_cmp_neq_f16_e32 vcc, 1.0, v1
	v_cndmask_b32_e32 v1, v76, v12, vcc
	v_cmp_lt_f32_e64 vcc, |v2|, s66
	v_pk_mov_b32 v[14:15], v[10:11], v[10:11] op_sel:[0,1]
	v_cndmask_b32_e32 v1, v1, v2, vcc
	v_mov_b32_e32 v16, 0
	v_mov_b32_e32 v2, 0
	v_pk_mov_b32 v[12:13], v[8:9], v[8:9] op_sel:[0,1]
	s_branch .LBB105_43
.LBB105_42:                             ;   in Loop: Header=BB105_43 Depth=2
	s_or_b64 exec, exec, s[4:5]
	v_cmp_eq_u32_e32 vcc, 1, v78
	v_cndmask_b32_e32 v12, v12, v13, vcc
	v_cmp_eq_u32_e32 vcc, 2, v78
	v_cndmask_b32_e32 v12, v12, v14, vcc
	;; [unrolled: 2-line block ×3, first 2 shown]
	v_and_b32_e32 v12, 0xffffff, v12
	v_cvt_f32_u32_e32 v12, v12
	v_mov_b32_e32 v78, v88
	v_mul_f32_e32 v12, 0x33800000, v12
	v_cmp_gt_f32_e32 vcc, s62, v12
	v_cndmask_b32_e32 v13, 1.0, v73, vcc
	v_mul_f32_e32 v12, v12, v13
	v_log_f32_e32 v12, v12
	v_cndmask_b32_e32 v13, 0, v74, vcc
	v_mul_f32_e32 v14, 0x3f317217, v12
	v_fma_f32 v15, v12, s63, -v14
	v_fmac_f32_e32 v15, 0x3377d1cf, v12
	v_add_f32_e32 v14, v14, v15
	v_cmp_lt_f32_e64 vcc, |v12|, s64
	v_cndmask_b32_e32 v12, v12, v14, vcc
	v_sub_f32_e32 v12, v12, v13
	v_div_scale_f32 v13, s[4:5], v1, v1, v12
	v_rcp_f32_e32 v14, v13
	v_div_scale_f32 v15, vcc, v12, v1, v12
	v_fma_f32 v16, -v13, v14, 1.0
	v_fmac_f32_e32 v14, v16, v14
	v_mul_f32_e32 v16, v15, v14
	v_fma_f32 v17, -v13, v16, v15
	v_fmac_f32_e32 v16, v17, v14
	v_fma_f32 v13, -v13, v16, v15
	v_div_fmas_f32 v13, v13, v14, v16
	v_div_fixup_f32 v12, v13, v1, v12
	v_ceil_f32_e32 v12, v12
	v_add_f32_e32 v2, v2, v12
	v_cmp_gt_f32_e32 vcc, v2, v0
	v_pk_mov_b32 v[14:15], v[10:11], v[10:11] op_sel:[0,1]
	v_add_f16_e32 v16, 1.0, v79
	s_or_b64 s[2:3], vcc, s[2:3]
	v_pk_mov_b32 v[12:13], v[8:9], v[8:9] op_sel:[0,1]
	s_andn2_b64 exec, exec, s[2:3]
	s_cbranch_execz .LBB105_45
.LBB105_43:                             ;   Parent Loop BB105_13 Depth=1
                                        ; =>  This Inner Loop Header: Depth=2
	v_add_u32_e32 v88, 1, v78
	v_mov_b32_e32 v79, v16
	v_cmp_eq_u32_e32 vcc, 4, v88
	s_and_saveexec_b64 s[4:5], vcc
	s_cbranch_execz .LBB105_42
; %bb.44:                               ;   in Loop: Header=BB105_43 Depth=2
	v_add_co_u32_e32 v4, vcc, 1, v4
	v_cndmask_b32_e64 v8, 0, 1, vcc
	v_addc_co_u32_e32 v5, vcc, 0, v5, vcc
	v_cmp_eq_u32_e32 vcc, 0, v5
	v_cndmask_b32_e32 v8, 0, v8, vcc
	v_add_u32_e32 v6, v8, v6
	v_cmp_eq_u32_e32 vcc, 0, v6
	v_cndmask_b32_e32 v8, 0, v8, vcc
	v_add_u32_e32 v7, v8, v7
	v_mad_u64_u32 v[8:9], s[44:45], v4, s58, 0
	v_mad_u64_u32 v[10:11], s[44:45], v6, s59, 0
	v_xor_b32_e32 v9, v9, v25
	v_xor_b32_e32 v11, v11, v24
	v_xor_b32_e32 v9, v7, v9
	v_xor_b32_e32 v11, v5, v11
	v_mad_u64_u32 v[18:19], s[44:45], v9, s59, 0
	v_mad_u64_u32 v[16:17], s[44:45], v11, s58, 0
	v_xor_b32_e32 v9, v37, v19
	v_xor_b32_e32 v9, v9, v10
	v_xor_b32_e32 v10, v38, v17
	v_xor_b32_e32 v10, v10, v8
	;; [unrolled: 6-line block ×9, first 2 shown]
	v_mad_u64_u32 v[16:17], s[44:45], v9, s58, 0
	v_mad_u64_u32 v[18:19], s[44:45], v11, s59, 0
	v_xor_b32_e32 v8, v19, v8
	v_xor_b32_e32 v9, v17, v10
	v_mov_b32_e32 v88, 0
	v_xor_b32_e32 v8, v53, v8
	v_xor_b32_e32 v10, v54, v9
	v_mov_b32_e32 v9, v18
	v_mov_b32_e32 v11, v16
	s_branch .LBB105_42
.LBB105_45:                             ;   in Loop: Header=BB105_13 Depth=1
	s_or_b64 exec, exec, s[2:3]
.LBB105_46:                             ;   in Loop: Header=BB105_13 Depth=1
	s_or_b64 exec, exec, s[0:1]
                                        ; implicit-def: $vgpr78
                                        ; implicit-def: $vgpr1
                                        ; implicit-def: $vgpr77
                                        ; implicit-def: $vgpr0
.LBB105_47:                             ;   in Loop: Header=BB105_13 Depth=1
	s_andn2_saveexec_b64 s[42:43], s[42:43]
	s_cbranch_execz .LBB105_9
; %bb.48:                               ;   in Loop: Header=BB105_13 Depth=1
	v_cmp_lt_f16_e32 vcc, 0.5, v1
	v_mov_b32_e32 v79, 0x7e00
	s_and_saveexec_b64 s[44:45], vcc
	s_cbranch_execz .LBB105_8
; %bb.49:                               ;   in Loop: Header=BB105_13 Depth=1
	v_sub_f16_e32 v1, 1.0, v1
	v_mul_f16_e32 v2, v1, v77
	v_cmp_le_f16_e32 vcc, s60, v2
                                        ; implicit-def: $vgpr79
                                        ; implicit-def: $vgpr88
	s_and_saveexec_b64 s[0:1], vcc
	s_xor_b64 s[46:47], exec, s[0:1]
	s_cbranch_execz .LBB105_74
; %bb.50:                               ;   in Loop: Header=BB105_13 Depth=1
	v_sub_f16_e32 v30, 1.0, v1
	v_mul_f16_e32 v12, v2, v30
	v_cvt_f32_f16_e32 v12, v12
	v_cvt_f32_f16_e32 v31, v1
	;; [unrolled: 1-line block ×3, first 2 shown]
	s_mov_b32 s24, s26
	v_mul_f32_e32 v13, 0x4f800000, v12
	v_cmp_gt_f32_e32 vcc, s61, v12
	v_cndmask_b32_e32 v14, v12, v13, vcc
	v_rsq_f32_e32 v15, v14
	v_pk_mov_b32 v[12:13], v[26:27], v[26:27] op_sel:[0,1]
	v_cvt_f64_f32_e32 v[18:19], v31
	v_add_f32_e32 v82, 0.5, v2
	v_mul_f32_e32 v16, v14, v15
	v_mul_f32_e32 v15, 0.5, v15
	v_fma_f32 v17, -v15, v16, 0.5
	v_fmac_f32_e32 v16, v16, v17
	v_fmac_f32_e32 v15, v15, v17
	v_fma_f32 v17, -v16, v16, v14
	v_fmac_f32_e32 v16, v17, v15
	v_mul_f32_e32 v15, 0x37800000, v16
	v_cndmask_b32_e32 v15, v16, v15, vcc
	v_cmp_class_f32_e32 vcc, v14, v71
	v_cndmask_b32_e32 v14, v15, v14, vcc
	v_cvt_f64_f32_e32 v[14:15], v14
	v_fmac_f64_e32 v[12:13], s[10:11], v[14:15]
	v_cvt_f32_f64_e32 v80, v[12:13]
	v_cvt_f64_f32_e32 v[12:13], v80
	v_div_scale_f64 v[20:21], s[0:1], v[12:13], v[12:13], s[18:19]
	v_rcp_f64_e32 v[22:23], v[20:21]
	v_pk_mov_b32 v[16:17], v[28:29], v[28:29] op_sel:[0,1]
	v_fmac_f64_e32 v[16:17], s[14:15], v[12:13]
	v_fmac_f64_e32 v[16:17], s[16:17], v[18:19]
	v_cvt_f32_f64_e32 v81, v[16:17]
	v_fma_f64 v[16:17], -v[20:21], v[22:23], 1.0
	v_fmac_f64_e32 v[22:23], v[22:23], v[16:17]
	v_cvt_f32_f16_e32 v2, v30
	v_fma_f64 v[16:17], -v[20:21], v[22:23], 1.0
	v_fmac_f64_e32 v[22:23], v[22:23], v[16:17]
	v_div_scale_f64 v[16:17], vcc, s[18:19], v[12:13], s[18:19]
	v_mul_f64 v[18:19], v[16:17], v[22:23]
	v_fma_f64 v[16:17], -v[20:21], v[18:19], v[16:17]
	v_rcp_f32_e32 v20, v2
	s_nop 0
	v_div_fmas_f64 v[16:17], v[16:17], v[22:23], v[18:19]
	v_div_fixup_f64 v[16:17], v[16:17], v[12:13], s[18:19]
	v_add_f64 v[16:17], v[16:17], s[20:21]
	v_mul_f32_e32 v18, v31, v20
	v_mad_f32 v19, -v2, v18, v31
	v_mac_f32_e32 v18, v19, v20
	v_mad_f32 v2, -v2, v18, v31
	v_mul_f32_e32 v2, v2, v20
	v_and_b32_e32 v2, 0xff800000, v2
	v_add_f32_e32 v2, v2, v18
	v_cvt_f16_f32_e32 v2, v2
	v_div_scale_f64 v[18:19], s[0:1], v[12:13], v[12:13], s[8:9]
	v_rcp_f64_e32 v[20:21], v[18:19]
	v_div_fixup_f16 v2, v2, v30, v1
	v_cvt_f32_f16_e32 v84, v2
	v_add_f16_e32 v2, 1.0, v77
	v_mul_f16_e32 v1, v2, v1
	v_cvt_f32_f64_e32 v83, v[16:17]
	v_fma_f64 v[16:17], -v[18:19], v[20:21], 1.0
	v_floor_f16_e32 v32, v1
	v_fmac_f64_e32 v[20:21], v[20:21], v[16:17]
	v_cvt_f32_f16_e32 v33, v32
	v_fma_f64 v[16:17], -v[18:19], v[20:21], 1.0
	v_fmac_f64_e32 v[20:21], v[20:21], v[16:17]
	v_div_scale_f64 v[16:17], vcc, s[8:9], v[12:13], s[8:9]
	v_mul_f64 v[22:23], v[16:17], v[20:21]
	v_fma_f64 v[16:17], -v[18:19], v[22:23], v[16:17]
	v_sub_f32_e32 v88, v0, v33
	s_nop 0
	v_div_fmas_f64 v[16:17], v[16:17], v[20:21], v[22:23]
	v_add_f32_e32 v85, 1.0, v88
	v_div_fixup_f64 v[12:13], v[16:17], v[12:13], s[8:9]
	v_add_f32_e32 v79, 1.0, v33
	v_mul_f32_e32 v16, v85, v84
	v_div_scale_f32 v17, s[0:1], v16, v16, v79
	v_rcp_f32_e32 v18, v17
	v_add_f64 v[0:1], v[12:13], s[22:23]
	v_mul_f64 v[0:1], v[0:1], v[14:15]
	v_cvt_f32_f64_e32 v86, v[0:1]
	v_fma_f32 v0, -v17, v18, 1.0
	v_fmac_f32_e32 v18, v0, v18
	v_div_scale_f32 v0, vcc, v79, v16, v79
	v_mul_f32_e32 v1, v0, v18
	v_fma_f32 v12, -v17, v1, v0
	v_fmac_f32_e32 v1, v12, v18
	v_fma_f32 v0, -v17, v1, v0
	v_div_fmas_f32 v0, v0, v18, v1
	v_div_fixup_f32 v0, v0, v16, v79
	v_cmp_gt_f32_e64 s[0:1], s62, v0
	v_cndmask_b32_e64 v1, 1.0, v73, s[0:1]
	v_mul_f32_e32 v0, v0, v1
	v_log_f32_e32 v18, v0
	v_mul_f32_e32 v12, v79, v79
	v_cvt_f64_f32_e32 v[12:13], v12
	v_div_scale_f64 v[14:15], s[2:3], v[12:13], v[12:13], s[24:25]
	v_mul_f32_e32 v19, 0x3f317217, v18
	v_rcp_f64_e32 v[16:17], v[14:15]
	v_fma_f32 v20, v18, s63, -v19
	v_fmac_f32_e32 v20, 0x3377d1cf, v18
	v_add_f32_e32 v19, v19, v20
	v_cmp_lt_f32_e64 vcc, |v18|, s64
	v_cndmask_b32_e32 v22, v18, v19, vcc
	v_fma_f64 v[18:19], -v[14:15], v[16:17], 1.0
	v_fmac_f64_e32 v[16:17], v[16:17], v[18:19]
	v_fma_f64 v[18:19], -v[14:15], v[16:17], 1.0
	v_fmac_f64_e32 v[16:17], v[16:17], v[18:19]
	v_div_scale_f64 v[18:19], vcc, s[24:25], v[12:13], s[24:25]
	v_mul_f64 v[20:21], v[18:19], v[16:17]
	v_fma_f64 v[14:15], -v[14:15], v[20:21], v[18:19]
	v_cvt_f64_f32_e32 v[0:1], v33
	s_nop 0
	v_div_fmas_f64 v[14:15], v[14:15], v[16:17], v[20:21]
	v_div_fixup_f64 v[14:15], v[14:15], v[12:13], s[24:25]
	v_add_f64 v[14:15], -v[14:15], s[28:29]
	v_div_scale_f64 v[16:17], s[2:3], v[12:13], v[12:13], v[14:15]
	v_rcp_f64_e32 v[18:19], v[16:17]
	v_cndmask_b32_e64 v20, 0, v74, s[0:1]
	v_sub_f32_e32 v20, v22, v20
	v_add_f64 v[0:1], v[0:1], 0.5
	v_fma_f64 v[22:23], -v[16:17], v[18:19], 1.0
	v_fmac_f64_e32 v[18:19], v[18:19], v[22:23]
	v_fma_f64 v[22:23], -v[16:17], v[18:19], 1.0
	v_fmac_f64_e32 v[18:19], v[18:19], v[22:23]
	v_div_scale_f64 v[22:23], vcc, v[14:15], v[12:13], v[14:15]
	v_mul_f64 v[30:31], v[22:23], v[18:19]
	v_fma_f64 v[16:17], -v[16:17], v[30:31], v[22:23]
	v_cvt_f64_f32_e32 v[20:21], v20
	s_nop 0
	v_div_fmas_f64 v[16:17], v[16:17], v[18:19], v[30:31]
	v_div_fixup_f64 v[12:13], v[16:17], v[12:13], v[14:15]
	v_add_f64 v[12:13], -v[12:13], s[30:31]
	v_cvt_f64_f32_e32 v[14:15], v79
	v_div_scale_f64 v[16:17], s[0:1], v[14:15], v[14:15], v[12:13]
	v_rcp_f64_e32 v[18:19], v[16:17]
	v_mul_f64 v[0:1], v[0:1], v[20:21]
	v_cvt_f32_f16_e32 v89, v2
	v_mul_f32_e32 v2, v85, v85
	v_fma_f64 v[20:21], -v[16:17], v[18:19], 1.0
	v_fmac_f64_e32 v[18:19], v[18:19], v[20:21]
	v_fma_f64 v[20:21], -v[16:17], v[18:19], 1.0
	v_fmac_f64_e32 v[18:19], v[18:19], v[20:21]
	v_div_scale_f64 v[20:21], vcc, v[12:13], v[14:15], v[12:13]
	v_mul_f64 v[22:23], v[20:21], v[18:19]
	v_fma_f64 v[16:17], -v[16:17], v[22:23], v[20:21]
	s_getpc_b64 s[4:5]
	s_add_u32 s4, s4, _ZZN12_GLOBAL__N_120stirling_approx_tailIfEET_S1_E11kTailValues.const@rel32@lo+4
	s_addc_u32 s5, s5, _ZZN12_GLOBAL__N_120stirling_approx_tailIfEET_S1_E11kTailValues.const@rel32@hi+12
	v_div_fmas_f64 v[16:17], v[16:17], v[18:19], v[22:23]
	v_cvt_f64_f32_e32 v[18:19], v2
	v_div_scale_f64 v[20:21], s[2:3], v[18:19], v[18:19], s[24:25]
	v_rcp_f64_e32 v[22:23], v[20:21]
	v_div_fixup_f64 v[12:13], v[16:17], v[14:15], v[12:13]
	v_cvt_f32_f64_e32 v90, v[12:13]
	v_cvt_u32_f32_e32 v2, v33
	v_fma_f64 v[12:13], -v[20:21], v[22:23], 1.0
	v_fmac_f64_e32 v[22:23], v[22:23], v[12:13]
	v_fma_f64 v[12:13], -v[20:21], v[22:23], 1.0
	v_fmac_f64_e32 v[22:23], v[22:23], v[12:13]
	v_div_scale_f64 v[12:13], vcc, s[24:25], v[18:19], s[24:25]
	v_mul_f64 v[14:15], v[12:13], v[22:23]
	v_fma_f64 v[12:13], -v[20:21], v[14:15], v[12:13]
	v_lshlrev_b64 v[20:21], 2, v[2:3]
	s_nop 0
	v_div_fmas_f64 v[12:13], v[12:13], v[22:23], v[14:15]
	v_div_fixup_f64 v[12:13], v[12:13], v[18:19], s[24:25]
	v_add_f64 v[12:13], -v[12:13], s[28:29]
	v_div_scale_f64 v[14:15], s[2:3], v[18:19], v[18:19], v[12:13]
	v_rcp_f64_e32 v[16:17], v[14:15]
	v_mov_b32_e32 v2, s5
	v_cmp_gt_f16_e64 s[0:1], s60, v32
	v_add_f32_e32 v87, v81, v81
	v_fma_f64 v[22:23], -v[14:15], v[16:17], 1.0
	v_fmac_f64_e32 v[16:17], v[16:17], v[22:23]
	v_fma_f64 v[22:23], -v[14:15], v[16:17], 1.0
	v_fmac_f64_e32 v[16:17], v[16:17], v[22:23]
	v_div_scale_f64 v[22:23], vcc, v[12:13], v[18:19], v[12:13]
	v_mul_f64 v[30:31], v[22:23], v[16:17]
	v_fma_f64 v[14:15], -v[14:15], v[30:31], v[22:23]
	s_mov_b64 s[50:51], 0
	s_nop 0
	v_div_fmas_f64 v[14:15], v[14:15], v[16:17], v[30:31]
	v_div_fixup_f64 v[12:13], v[14:15], v[18:19], v[12:13]
	v_add_f64 v[12:13], -v[12:13], s[30:31]
	v_cvt_f64_f32_e32 v[14:15], v85
	v_div_scale_f64 v[16:17], s[2:3], v[14:15], v[14:15], v[12:13]
	v_rcp_f64_e32 v[18:19], v[16:17]
	v_add_co_u32_e32 v30, vcc, s4, v20
	v_addc_co_u32_e32 v31, vcc, v21, v2, vcc
	v_fma_f64 v[20:21], -v[16:17], v[18:19], 1.0
	v_fmac_f64_e32 v[18:19], v[18:19], v[20:21]
	v_fma_f64 v[20:21], -v[16:17], v[18:19], 1.0
	v_fmac_f64_e32 v[18:19], v[18:19], v[20:21]
	v_div_scale_f64 v[20:21], vcc, v[12:13], v[14:15], v[12:13]
	v_mul_f64 v[22:23], v[20:21], v[18:19]
	v_fma_f64 v[16:17], -v[16:17], v[22:23], v[20:21]
	v_trunc_f32_e32 v20, v88
	v_mul_f32_e32 v21, 0x2f800000, v20
	v_floor_f32_e32 v21, v21
	v_fmac_f32_e32 v20, 0xcf800000, v21
	v_cvt_u32_f32_e32 v20, v20
	v_cvt_u32_f32_e32 v21, v21
	v_div_fmas_f64 v[16:17], v[16:17], v[18:19], v[22:23]
	v_div_fixup_f64 v[12:13], v[16:17], v[14:15], v[12:13]
	v_cvt_f32_f64_e32 v91, v[12:13]
	v_lshlrev_b64 v[12:13], 2, v[20:21]
	v_add_co_u32_e32 v32, vcc, s4, v12
	v_pk_mov_b32 v[18:19], v[10:11], v[10:11] op_sel:[0,1]
	v_cmp_gt_f32_e64 s[2:3], s65, v88
	v_addc_co_u32_e32 v33, vcc, v13, v2, vcc
	s_mov_b64 s[54:55], 0
	v_pk_mov_b32 v[16:17], v[8:9], v[8:9] op_sel:[0,1]
                                        ; implicit-def: $sgpr48_sgpr49
                                        ; implicit-def: $sgpr52_sgpr53
	s_branch .LBB105_53
.LBB105_51:                             ;   in Loop: Header=BB105_53 Depth=2
	s_or_b64 exec, exec, s[4:5]
	v_add_f16_e32 v21, 1.0, v79
	v_cvt_f32_f16_e32 v21, v21
	s_andn2_b64 s[52:53], s[52:53], exec
	v_div_scale_f32 v22, s[4:5], v21, v21, v85
	v_rcp_f32_e32 v23, v22
	v_div_scale_f32 v78, vcc, v85, v21, v85
	v_fma_f32 v94, -v22, v23, 1.0
	v_fmac_f32_e32 v23, v94, v23
	v_mul_f32_e32 v94, v78, v23
	v_fma_f32 v95, -v22, v94, v78
	v_fmac_f32_e32 v94, v95, v23
	v_fma_f32 v22, -v22, v94, v78
	v_div_fmas_f32 v22, v22, v23, v94
	v_div_fixup_f32 v22, v22, v21, v85
	v_cmp_gt_f32_e32 vcc, s62, v22
	v_cndmask_b32_e32 v23, 1.0, v73, vcc
	v_mul_f32_e32 v22, v22, v23
	v_log_f32_e32 v22, v22
	v_add_f16_e32 v23, 1.0, v92
	v_cvt_f32_f16_e32 v78, v23
	v_cndmask_b32_e32 v23, 0, v74, vcc
	v_mul_f32_e32 v94, 0x3f317217, v22
	v_fma_f32 v95, v22, s63, -v94
	v_fmac_f32_e32 v95, 0x3377d1cf, v22
	v_add_f32_e32 v94, v94, v95
	v_cmp_lt_f32_e64 vcc, |v22|, s64
	v_mul_f32_e32 v21, v84, v21
	v_cndmask_b32_e32 v22, v22, v94, vcc
	v_div_scale_f32 v94, s[4:5], v78, v78, v21
	v_rcp_f32_e32 v95, v94
	v_sub_f32_e32 v22, v22, v23
	v_mul_f32_e32 v22, v22, v89
	v_cvt_f64_f32_e32 v[22:23], v22
	v_fma_f32 v96, -v94, v95, 1.0
	v_fmac_f32_e32 v95, v96, v95
	v_div_scale_f32 v96, vcc, v21, v78, v21
	v_mul_f32_e32 v97, v96, v95
	v_fma_f32 v98, -v94, v97, v96
	v_fmac_f32_e32 v97, v98, v95
	v_fma_f32 v94, -v94, v97, v96
	v_div_fmas_f32 v94, v94, v95, v97
	v_div_fixup_f32 v21, v94, v78, v21
	v_cmp_gt_f32_e32 vcc, s62, v21
	v_cndmask_b32_e32 v78, 1.0, v73, vcc
	v_mul_f32_e32 v21, v21, v78
	v_log_f32_e32 v21, v21
	v_cvt_f64_f32_e32 v[94:95], v19
	v_add_f64 v[22:23], v[0:1], v[22:23]
	v_add_f64 v[94:95], v[94:95], 0.5
	v_mul_f32_e32 v19, 0x3f317217, v21
	v_fma_f32 v78, v21, s63, -v19
	v_fmac_f32_e32 v78, 0x3377d1cf, v21
	v_add_f32_e32 v19, v19, v78
	v_cmp_lt_f32_e64 s[4:5], |v21|, s64
	v_cndmask_b32_e64 v19, v21, v19, s[4:5]
	v_cndmask_b32_e32 v21, 0, v74, vcc
	v_sub_f32_e32 v19, v19, v21
	v_mul_f32_e32 v21, v93, v93
	v_div_scale_f32 v78, s[4:5], v21, v21, v81
	v_rcp_f32_e32 v93, v78
	v_cvt_f64_f32_e32 v[96:97], v19
	v_fmac_f64_e32 v[22:23], v[94:95], v[96:97]
	v_mul_f32_e32 v94, v16, v86
	v_fma_f32 v16, -v78, v93, 1.0
	v_fmac_f32_e32 v93, v16, v93
	v_div_scale_f32 v16, vcc, v81, v21, v81
	v_mul_f32_e32 v19, v16, v93
	v_fma_f32 v95, -v78, v19, v16
	v_fmac_f32_e32 v19, v95, v93
	v_fma_f32 v16, -v78, v19, v16
	v_div_fmas_f32 v16, v16, v93, v19
	v_div_fixup_f32 v16, v16, v21, v81
	v_add_f32_e32 v21, v16, v80
	v_div_scale_f32 v78, s[4:5], v21, v21, v94
	v_rcp_f32_e32 v93, v78
	s_waitcnt vmcnt(0)
	v_cvt_f64_f32_e32 v[16:17], v17
	v_add_f64 v[16:17], v[22:23], v[16:17]
	v_cvt_f64_f32_e32 v[18:19], v18
	v_fma_f32 v22, -v78, v93, 1.0
	v_fmac_f32_e32 v93, v22, v93
	v_div_scale_f32 v22, vcc, v94, v21, v94
	v_mul_f32_e32 v23, v22, v93
	v_fma_f32 v95, -v78, v23, v22
	v_fmac_f32_e32 v23, v95, v93
	v_fma_f32 v22, -v78, v23, v22
	v_div_fmas_f32 v22, v22, v93, v23
	v_div_fixup_f32 v21, v22, v21, v94
	v_cmp_gt_f32_e32 vcc, s62, v21
	v_cndmask_b32_e32 v22, 1.0, v73, vcc
	v_mul_f32_e32 v21, v21, v22
	v_log_f32_e32 v21, v21
	v_add_f64 v[16:17], v[16:17], v[18:19]
	v_cvt_f64_f32_e32 v[18:19], v20
	v_add_f64 v[16:17], v[16:17], -v[18:19]
	v_mul_f32_e32 v18, 0x3f317217, v21
	v_fma_f32 v19, v21, s63, -v18
	v_fmac_f32_e32 v19, 0x3377d1cf, v21
	v_add_f32_e32 v18, v18, v19
	v_cmp_lt_f32_e64 s[4:5], |v21|, s64
	v_cndmask_b32_e64 v18, v21, v18, s[4:5]
	v_cndmask_b32_e32 v19, 0, v74, vcc
	v_sub_f32_e32 v20, v18, v19
	v_cvt_f64_f32_e32 v[18:19], v2
	v_add_f64 v[16:17], v[16:17], -v[18:19]
	v_cvt_f32_f64_e32 v2, v[16:17]
	v_cmp_le_f32_e32 vcc, v20, v2
	s_orn2_b64 s[4:5], vcc, exec
.LBB105_52:                             ;   in Loop: Header=BB105_53 Depth=2
	s_or_b64 exec, exec, s[54:55]
	s_and_b64 s[4:5], exec, s[4:5]
	s_or_b64 s[50:51], s[4:5], s[50:51]
	s_andn2_b64 s[4:5], s[48:49], exec
	s_and_b64 s[48:49], s[52:53], exec
	v_pk_mov_b32 v[18:19], v[14:15], v[14:15] op_sel:[0,1]
	s_or_b64 s[48:49], s[4:5], s[48:49]
	s_mov_b64 s[54:55], 0
	v_mov_b32_e32 v78, v88
	v_pk_mov_b32 v[16:17], v[12:13], v[12:13] op_sel:[0,1]
	s_andn2_b64 exec, exec, s[50:51]
	s_cbranch_execz .LBB105_71
.LBB105_53:                             ;   Parent Loop BB105_13 Depth=1
                                        ; =>  This Inner Loop Header: Depth=2
	v_add_u32_e32 v2, 1, v78
	v_pk_mov_b32 v[22:23], v[18:19], v[18:19] op_sel:[0,1]
	v_cmp_eq_u32_e32 vcc, 4, v2
	v_pk_mov_b32 v[20:21], v[16:17], v[16:17] op_sel:[0,1]
	s_and_saveexec_b64 s[4:5], vcc
	s_cbranch_execz .LBB105_55
; %bb.54:                               ;   in Loop: Header=BB105_53 Depth=2
	v_add_co_u32_e32 v4, vcc, 1, v4
	v_cndmask_b32_e64 v8, 0, 1, vcc
	v_addc_co_u32_e32 v5, vcc, 0, v5, vcc
	v_cmp_eq_u32_e32 vcc, 0, v5
	v_cndmask_b32_e32 v8, 0, v8, vcc
	v_add_u32_e32 v6, v8, v6
	v_cmp_eq_u32_e32 vcc, 0, v6
	v_cndmask_b32_e32 v8, 0, v8, vcc
	v_add_u32_e32 v7, v8, v7
	v_mad_u64_u32 v[8:9], s[70:71], v4, s58, 0
	v_mad_u64_u32 v[10:11], s[70:71], v6, s59, 0
	v_xor_b32_e32 v11, v11, v24
	v_xor_b32_e32 v9, v9, v25
	v_xor_b32_e32 v11, v5, v11
	v_xor_b32_e32 v9, v7, v9
	v_mad_u64_u32 v[12:13], s[70:71], v11, s58, 0
	v_mad_u64_u32 v[14:15], s[70:71], v9, s59, 0
	v_xor_b32_e32 v9, v15, v10
	v_xor_b32_e32 v8, v13, v8
	v_xor_b32_e32 v9, v55, v9
	v_xor_b32_e32 v10, v56, v8
	;; [unrolled: 6-line block ×9, first 2 shown]
	v_mad_u64_u32 v[12:13], s[70:71], v9, s58, 0
	v_mad_u64_u32 v[14:15], s[70:71], v11, s59, 0
	v_xor_b32_e32 v9, v13, v10
	v_xor_b32_e32 v8, v15, v8
	;; [unrolled: 1-line block ×3, first 2 shown]
	v_mov_b32_e32 v11, v12
	v_xor_b32_e32 v8, v53, v8
	v_mov_b32_e32 v9, v14
	v_pk_mov_b32 v[22:23], v[10:11], v[10:11] op_sel:[0,1]
	v_mov_b32_e32 v2, 0
	v_pk_mov_b32 v[20:21], v[8:9], v[8:9] op_sel:[0,1]
.LBB105_55:                             ;   in Loop: Header=BB105_53 Depth=2
	s_or_b64 exec, exec, s[4:5]
	v_add_u32_e32 v88, 1, v2
	v_pk_mov_b32 v[12:13], v[20:21], v[20:21] op_sel:[0,1]
	v_cmp_eq_u32_e32 vcc, 4, v88
	v_pk_mov_b32 v[14:15], v[22:23], v[22:23] op_sel:[0,1]
	s_and_saveexec_b64 s[4:5], vcc
	s_cbranch_execz .LBB105_57
; %bb.56:                               ;   in Loop: Header=BB105_53 Depth=2
	v_add_co_u32_e32 v4, vcc, 1, v4
	v_cndmask_b32_e64 v8, 0, 1, vcc
	v_addc_co_u32_e32 v5, vcc, 0, v5, vcc
	v_cmp_eq_u32_e32 vcc, 0, v5
	v_cndmask_b32_e32 v8, 0, v8, vcc
	v_add_u32_e32 v6, v8, v6
	v_cmp_eq_u32_e32 vcc, 0, v6
	v_cndmask_b32_e32 v8, 0, v8, vcc
	v_add_u32_e32 v7, v8, v7
	v_mad_u64_u32 v[8:9], s[70:71], v4, s58, 0
	v_mad_u64_u32 v[10:11], s[70:71], v6, s59, 0
	v_xor_b32_e32 v11, v11, v24
	v_xor_b32_e32 v9, v9, v25
	v_xor_b32_e32 v11, v5, v11
	v_xor_b32_e32 v9, v7, v9
	v_mad_u64_u32 v[12:13], s[70:71], v11, s58, 0
	v_mad_u64_u32 v[14:15], s[70:71], v9, s59, 0
	v_xor_b32_e32 v9, v15, v10
	v_xor_b32_e32 v8, v13, v8
	v_xor_b32_e32 v9, v55, v9
	v_xor_b32_e32 v10, v56, v8
	;; [unrolled: 6-line block ×9, first 2 shown]
	v_mad_u64_u32 v[12:13], s[70:71], v9, s58, 0
	v_mad_u64_u32 v[14:15], s[70:71], v11, s59, 0
	v_xor_b32_e32 v9, v13, v10
	v_xor_b32_e32 v8, v15, v8
	;; [unrolled: 1-line block ×3, first 2 shown]
	v_mov_b32_e32 v11, v12
	v_xor_b32_e32 v8, v53, v8
	v_mov_b32_e32 v9, v14
	v_pk_mov_b32 v[14:15], v[10:11], v[10:11] op_sel:[0,1]
	v_mov_b32_e32 v88, 0
	v_pk_mov_b32 v[12:13], v[8:9], v[8:9] op_sel:[0,1]
.LBB105_57:                             ;   in Loop: Header=BB105_53 Depth=2
	s_or_b64 exec, exec, s[4:5]
	v_cmp_eq_u32_e32 vcc, 1, v78
	v_cndmask_b32_e32 v16, v16, v17, vcc
	v_cmp_eq_u32_e32 vcc, 2, v78
	v_cndmask_b32_e32 v16, v16, v18, vcc
	;; [unrolled: 2-line block ×3, first 2 shown]
	v_and_b32_e32 v16, 0xffffff, v16
	v_cvt_f32_u32_e32 v16, v16
	v_fma_f32 v16, v16, s66, -0.5
	v_sub_f32_e64 v93, 0.5, |v16|
	v_div_scale_f32 v17, s[4:5], v93, v93, v87
	v_rcp_f32_e32 v18, v17
	v_div_scale_f32 v19, vcc, v87, v93, v87
	v_fma_f32 v78, -v17, v18, 1.0
	v_fmac_f32_e32 v18, v78, v18
	v_mul_f32_e32 v78, v19, v18
	v_fma_f32 v79, -v17, v78, v19
	v_fmac_f32_e32 v78, v79, v18
	v_fma_f32 v17, -v17, v78, v19
	v_div_fmas_f32 v17, v17, v18, v78
	v_div_fixup_f32 v17, v17, v93, v87
	v_add_f32_e32 v17, v17, v80
	v_fma_f32 v16, v16, v17, v82
	v_floor_f32_e32 v16, v16
	v_cvt_f16_f32_e32 v92, v16
	v_pk_mov_b32 v[18:19], v[14:15], v[14:15] op_sel:[0,1]
	v_mov_b32_e32 v78, v88
	v_pk_mov_b32 v[16:17], v[12:13], v[12:13] op_sel:[0,1]
	v_cmp_ngt_f16_e32 vcc, 0, v92
	v_cmp_ngt_f16_e64 s[4:5], v92, v77
	s_and_b64 s[4:5], vcc, s[4:5]
	s_and_b64 s[4:5], exec, s[4:5]
	s_or_b64 s[54:55], s[4:5], s[54:55]
	s_andn2_b64 exec, exec, s[54:55]
	s_cbranch_execnz .LBB105_53
; %bb.58:                               ;   in Loop: Header=BB105_53 Depth=2
	s_or_b64 exec, exec, s[54:55]
	v_cmp_eq_u32_e32 vcc, 1, v2
	v_cndmask_b32_e32 v16, v20, v21, vcc
	v_cmp_eq_u32_e32 vcc, 2, v2
	v_cndmask_b32_e32 v16, v16, v22, vcc
	;; [unrolled: 2-line block ×3, first 2 shown]
	v_and_b32_e32 v2, 0xffffff, v2
	v_cvt_f32_u32_e32 v2, v2
	v_cvt_f64_f32_e32 v[18:19], v93
	v_cmp_nle_f64_e32 vcc, s[34:35], v[18:19]
	s_or_b64 s[52:53], s[52:53], exec
	v_mul_f32_e32 v16, 0x33800000, v2
	v_cmp_nle_f32_e64 s[4:5], v16, v83
	s_or_b64 s[70:71], vcc, s[4:5]
	s_mov_b64 s[4:5], -1
                                        ; implicit-def: $vgpr79
	s_and_saveexec_b64 s[54:55], s[70:71]
	s_cbranch_execz .LBB105_52
; %bb.59:                               ;   in Loop: Header=BB105_53 Depth=2
	v_mov_b32_e32 v17, v90
	s_and_saveexec_b64 s[4:5], s[0:1]
	s_cbranch_execz .LBB105_61
; %bb.60:                               ;   in Loop: Header=BB105_53 Depth=2
	global_load_dword v17, v[30:31], off
.LBB105_61:                             ;   in Loop: Header=BB105_53 Depth=2
	s_or_b64 exec, exec, s[4:5]
	v_mov_b32_e32 v18, v91
	s_and_saveexec_b64 s[4:5], s[2:3]
	s_cbranch_execz .LBB105_63
; %bb.62:                               ;   in Loop: Header=BB105_53 Depth=2
	global_load_dword v18, v[32:33], off
.LBB105_63:                             ;   in Loop: Header=BB105_53 Depth=2
	s_or_b64 exec, exec, s[4:5]
	v_cvt_f32_f16_e32 v19, v92
	v_cmp_ngt_f16_e32 vcc, s60, v92
                                        ; implicit-def: $vgpr20
	s_and_saveexec_b64 s[4:5], vcc
	s_xor_b64 s[4:5], exec, s[4:5]
	s_cbranch_execz .LBB105_65
; %bb.64:                               ;   in Loop: Header=BB105_53 Depth=2
	v_add_f32_e32 v2, 1.0, v19
	v_mul_f32_e32 v20, v2, v2
	v_cvt_f64_f32_e32 v[20:21], v20
	v_div_scale_f64 v[22:23], s[70:71], v[20:21], v[20:21], s[26:27]
	v_rcp_f64_e32 v[78:79], v[22:23]
	v_div_scale_f64 v[94:95], vcc, s[26:27], v[20:21], s[26:27]
	v_fma_f64 v[96:97], -v[22:23], v[78:79], 1.0
	v_fmac_f64_e32 v[78:79], v[78:79], v[96:97]
	v_fma_f64 v[96:97], -v[22:23], v[78:79], 1.0
	v_fmac_f64_e32 v[78:79], v[78:79], v[96:97]
	v_mul_f64 v[96:97], v[94:95], v[78:79]
	v_fma_f64 v[22:23], -v[22:23], v[96:97], v[94:95]
	v_div_fmas_f64 v[22:23], v[22:23], v[78:79], v[96:97]
	v_div_fixup_f64 v[22:23], v[22:23], v[20:21], s[26:27]
	v_add_f64 v[22:23], v[22:23], s[28:29]
	v_div_scale_f64 v[78:79], s[70:71], v[20:21], v[20:21], v[22:23]
	v_rcp_f64_e32 v[94:95], v[78:79]
	v_fma_f64 v[96:97], -v[78:79], v[94:95], 1.0
	v_fmac_f64_e32 v[94:95], v[94:95], v[96:97]
	v_fma_f64 v[96:97], -v[78:79], v[94:95], 1.0
	v_fmac_f64_e32 v[94:95], v[94:95], v[96:97]
	v_div_scale_f64 v[96:97], vcc, v[22:23], v[20:21], v[22:23]
	v_mul_f64 v[98:99], v[96:97], v[94:95]
	v_fma_f64 v[78:79], -v[78:79], v[98:99], v[96:97]
	s_nop 1
	v_div_fmas_f64 v[78:79], v[78:79], v[94:95], v[98:99]
	v_div_fixup_f64 v[20:21], v[78:79], v[20:21], v[22:23]
	v_add_f64 v[20:21], -v[20:21], s[30:31]
	v_cvt_f64_f32_e32 v[22:23], v2
	v_div_scale_f64 v[78:79], s[70:71], v[22:23], v[22:23], v[20:21]
	v_rcp_f64_e32 v[94:95], v[78:79]
	v_fma_f64 v[96:97], -v[78:79], v[94:95], 1.0
	v_fmac_f64_e32 v[94:95], v[94:95], v[96:97]
	v_fma_f64 v[96:97], -v[78:79], v[94:95], 1.0
	v_fmac_f64_e32 v[94:95], v[94:95], v[96:97]
	v_div_scale_f64 v[96:97], vcc, v[20:21], v[22:23], v[20:21]
	v_mul_f64 v[98:99], v[96:97], v[94:95]
	v_fma_f64 v[78:79], -v[78:79], v[98:99], v[96:97]
	s_nop 1
	v_div_fmas_f64 v[78:79], v[78:79], v[94:95], v[98:99]
	v_div_fixup_f64 v[20:21], v[78:79], v[22:23], v[20:21]
	v_cvt_f32_f64_e32 v20, v[20:21]
.LBB105_65:                             ;   in Loop: Header=BB105_53 Depth=2
	s_andn2_saveexec_b64 s[4:5], s[4:5]
	s_cbranch_execz .LBB105_67
; %bb.66:                               ;   in Loop: Header=BB105_53 Depth=2
	v_cvt_u32_f32_e32 v2, v19
	s_getpc_b64 s[70:71]
	s_add_u32 s70, s70, _ZZN12_GLOBAL__N_120stirling_approx_tailIfEET_S1_E11kTailValues.const@rel32@lo+4
	s_addc_u32 s71, s71, _ZZN12_GLOBAL__N_120stirling_approx_tailIfEET_S1_E11kTailValues.const@rel32@hi+12
	v_mov_b32_e32 v22, s71
	v_lshlrev_b64 v[20:21], 2, v[2:3]
	v_add_co_u32_e32 v20, vcc, s70, v20
	v_addc_co_u32_e32 v21, vcc, v21, v22, vcc
	global_load_dword v20, v[20:21], off
.LBB105_67:                             ;   in Loop: Header=BB105_53 Depth=2
	s_or_b64 exec, exec, s[4:5]
	v_sub_f16_e32 v79, v77, v92
	v_cvt_f32_f16_e32 v21, v79
	v_cmp_ngt_f16_e32 vcc, s60, v79
                                        ; implicit-def: $vgpr2
	s_and_saveexec_b64 s[4:5], vcc
	s_xor_b64 s[4:5], exec, s[4:5]
	s_cbranch_execz .LBB105_69
; %bb.68:                               ;   in Loop: Header=BB105_53 Depth=2
	v_add_f32_e32 v2, 1.0, v21
	v_mul_f32_e32 v21, v2, v2
	v_cvt_f64_f32_e32 v[22:23], v21
	v_div_scale_f64 v[94:95], s[70:71], v[22:23], v[22:23], s[26:27]
	v_rcp_f64_e32 v[96:97], v[94:95]
	v_div_scale_f64 v[98:99], vcc, s[26:27], v[22:23], s[26:27]
                                        ; implicit-def: $vgpr21
	v_fma_f64 v[100:101], -v[94:95], v[96:97], 1.0
	v_fmac_f64_e32 v[96:97], v[96:97], v[100:101]
	v_fma_f64 v[100:101], -v[94:95], v[96:97], 1.0
	v_fmac_f64_e32 v[96:97], v[96:97], v[100:101]
	v_mul_f64 v[100:101], v[98:99], v[96:97]
	v_fma_f64 v[94:95], -v[94:95], v[100:101], v[98:99]
	v_div_fmas_f64 v[94:95], v[94:95], v[96:97], v[100:101]
	v_div_fixup_f64 v[94:95], v[94:95], v[22:23], s[26:27]
	v_add_f64 v[94:95], v[94:95], s[28:29]
	v_div_scale_f64 v[96:97], s[70:71], v[22:23], v[22:23], v[94:95]
	v_rcp_f64_e32 v[98:99], v[96:97]
	v_fma_f64 v[100:101], -v[96:97], v[98:99], 1.0
	v_fmac_f64_e32 v[98:99], v[98:99], v[100:101]
	v_fma_f64 v[100:101], -v[96:97], v[98:99], 1.0
	v_fmac_f64_e32 v[98:99], v[98:99], v[100:101]
	v_div_scale_f64 v[100:101], vcc, v[94:95], v[22:23], v[94:95]
	v_mul_f64 v[102:103], v[100:101], v[98:99]
	v_fma_f64 v[96:97], -v[96:97], v[102:103], v[100:101]
	s_nop 1
	v_div_fmas_f64 v[96:97], v[96:97], v[98:99], v[102:103]
	v_div_fixup_f64 v[22:23], v[96:97], v[22:23], v[94:95]
	v_add_f64 v[22:23], -v[22:23], s[30:31]
	v_cvt_f64_f32_e32 v[94:95], v2
	v_div_scale_f64 v[96:97], s[70:71], v[94:95], v[94:95], v[22:23]
	v_rcp_f64_e32 v[98:99], v[96:97]
	v_fma_f64 v[100:101], -v[96:97], v[98:99], 1.0
	v_fmac_f64_e32 v[98:99], v[98:99], v[100:101]
	v_fma_f64 v[100:101], -v[96:97], v[98:99], 1.0
	v_fmac_f64_e32 v[98:99], v[98:99], v[100:101]
	v_div_scale_f64 v[100:101], vcc, v[22:23], v[94:95], v[22:23]
	v_mul_f64 v[102:103], v[100:101], v[98:99]
	v_fma_f64 v[96:97], -v[96:97], v[102:103], v[100:101]
	s_nop 1
	v_div_fmas_f64 v[96:97], v[96:97], v[98:99], v[102:103]
	v_div_fixup_f64 v[22:23], v[96:97], v[94:95], v[22:23]
	v_cvt_f32_f64_e32 v2, v[22:23]
.LBB105_69:                             ;   in Loop: Header=BB105_53 Depth=2
	s_andn2_saveexec_b64 s[4:5], s[4:5]
	s_cbranch_execz .LBB105_51
; %bb.70:                               ;   in Loop: Header=BB105_53 Depth=2
	v_cvt_u32_f32_e32 v2, v21
	s_getpc_b64 s[70:71]
	s_add_u32 s70, s70, _ZZN12_GLOBAL__N_120stirling_approx_tailIfEET_S1_E11kTailValues.const@rel32@lo+4
	s_addc_u32 s71, s71, _ZZN12_GLOBAL__N_120stirling_approx_tailIfEET_S1_E11kTailValues.const@rel32@hi+12
	v_mov_b32_e32 v21, s71
	v_lshlrev_b64 v[22:23], 2, v[2:3]
	v_add_co_u32_e32 v22, vcc, s70, v22
	v_addc_co_u32_e32 v23, vcc, v23, v21, vcc
	global_load_dword v2, v[22:23], off
	s_branch .LBB105_51
.LBB105_71:                             ;   in Loop: Header=BB105_13 Depth=1
	s_or_b64 exec, exec, s[50:51]
	s_and_saveexec_b64 s[0:1], s[48:49]
	s_xor_b64 s[0:1], exec, s[0:1]
; %bb.72:                               ;   in Loop: Header=BB105_13 Depth=1
	v_sub_f16_e32 v79, v77, v92
; %bb.73:                               ;   in Loop: Header=BB105_13 Depth=1
	s_or_b64 exec, exec, s[0:1]
                                        ; implicit-def: $vgpr77
                                        ; implicit-def: $vgpr0
                                        ; implicit-def: $vgpr78
                                        ; implicit-def: $vgpr1
.LBB105_74:                             ;   in Loop: Header=BB105_13 Depth=1
	s_andn2_saveexec_b64 s[0:1], s[46:47]
	s_cbranch_execz .LBB105_7
; %bb.75:                               ;   in Loop: Header=BB105_13 Depth=1
	v_cvt_f32_f16_e64 v2, -v1
	s_mov_b64 s[2:3], 0
	v_add_f32_e32 v14, 1.0, v2
	v_frexp_mant_f32_e32 v16, v14
	v_cvt_f64_f32_e32 v[12:13], v14
	v_add_f32_e32 v15, -1.0, v14
	v_frexp_exp_i32_f64_e32 v12, v[12:13]
	v_cmp_gt_f32_e32 vcc, s67, v16
	v_sub_f32_e32 v17, v15, v14
	v_subbrev_co_u32_e32 v12, vcc, 0, v12, vcc
	v_sub_f32_e32 v15, v2, v15
	v_add_f32_e32 v17, 1.0, v17
	v_sub_u32_e32 v13, 0, v12
	v_add_f32_e32 v15, v15, v17
	v_ldexp_f32 v14, v14, v13
	v_ldexp_f32 v13, v15, v13
	v_add_f32_e32 v15, -1.0, v14
	v_add_f32_e32 v18, 1.0, v14
	v_add_f32_e32 v16, 1.0, v15
	v_add_f32_e32 v19, -1.0, v18
	v_sub_f32_e32 v16, v14, v16
	v_sub_f32_e32 v14, v14, v19
	v_add_f32_e32 v16, v13, v16
	v_add_f32_e32 v13, v13, v14
	;; [unrolled: 1-line block ×3, first 2 shown]
	v_rcp_f32_e32 v19, v14
	v_add_f32_e32 v17, v15, v16
	v_sub_f32_e32 v15, v17, v15
	v_sub_f32_e32 v15, v16, v15
	;; [unrolled: 1-line block ×4, first 2 shown]
	v_mul_f32_e32 v16, v17, v19
	v_mul_f32_e32 v18, v14, v16
	v_fma_f32 v20, v16, v14, -v18
	v_fmac_f32_e32 v20, v16, v13
	v_add_f32_e32 v21, v18, v20
	v_sub_f32_e32 v22, v17, v21
	v_sub_f32_e32 v17, v17, v22
	;; [unrolled: 1-line block ×4, first 2 shown]
	v_add_f32_e32 v15, v15, v17
	v_sub_f32_e32 v17, v18, v20
	v_add_f32_e32 v15, v17, v15
	v_add_f32_e32 v17, v22, v15
	v_mul_f32_e32 v18, v19, v17
	v_mul_f32_e32 v20, v14, v18
	v_fma_f32 v14, v18, v14, -v20
	v_fmac_f32_e32 v14, v18, v13
	v_sub_f32_e32 v13, v22, v17
	v_add_f32_e32 v13, v15, v13
	v_add_f32_e32 v15, v20, v14
	v_sub_f32_e32 v21, v17, v15
	v_sub_f32_e32 v17, v17, v21
	;; [unrolled: 1-line block ×4, first 2 shown]
	v_add_f32_e32 v13, v13, v15
	v_sub_f32_e32 v14, v20, v14
	v_cvt_f32_i32_e32 v12, v12
	v_add_f32_e32 v13, v14, v13
	v_add_f32_e32 v14, v16, v18
	;; [unrolled: 1-line block ×3, first 2 shown]
	v_sub_f32_e32 v15, v14, v16
	v_mul_f32_e32 v13, v19, v13
	v_sub_f32_e32 v15, v18, v15
	v_add_f32_e32 v13, v15, v13
	v_mul_f32_e32 v18, 0x3f317218, v12
	v_add_f32_e32 v15, v14, v13
	v_fma_f32 v19, v12, s68, -v18
	v_mul_f32_e32 v16, v15, v15
	v_mov_b32_e32 v17, 0x3ecc95a3
	v_fmac_f32_e32 v19, 0xb102e308, v12
	v_sub_f32_e32 v12, v15, v14
	v_fmac_f32_e32 v17, 0x3e9b6dac, v16
	v_sub_f32_e32 v12, v13, v12
	v_add_f32_e32 v13, v18, v19
	v_fma_f32 v17, v16, v17, v72
	v_sub_f32_e32 v14, v13, v18
	v_ldexp_f32 v18, v15, 1
	v_mul_f32_e32 v15, v15, v16
	v_mul_f32_e32 v15, v15, v17
	v_add_f32_e32 v16, v18, v15
	v_sub_f32_e32 v17, v16, v18
	v_ldexp_f32 v12, v12, 1
	v_sub_f32_e32 v15, v15, v17
	v_add_f32_e32 v12, v12, v15
	v_add_f32_e32 v15, v16, v12
	v_sub_f32_e32 v16, v15, v16
	v_sub_f32_e32 v12, v12, v16
	v_add_f32_e32 v16, v13, v15
	v_sub_f32_e32 v17, v16, v13
	v_sub_f32_e32 v18, v16, v17
	;; [unrolled: 1-line block ×5, first 2 shown]
	v_add_f32_e32 v13, v15, v13
	v_add_f32_e32 v15, v14, v12
	v_sub_f32_e32 v17, v15, v14
	v_sub_f32_e32 v18, v15, v17
	;; [unrolled: 1-line block ×4, first 2 shown]
	v_add_f32_e32 v13, v15, v13
	v_add_f32_e32 v12, v12, v14
	;; [unrolled: 1-line block ×3, first 2 shown]
	v_sub_f32_e32 v15, v14, v16
	v_sub_f32_e32 v13, v13, v15
	v_add_f32_e32 v12, v12, v13
	v_add_f32_e32 v12, v14, v12
	v_cmp_eq_f16_e32 vcc, s69, v1
	v_cndmask_b32_e32 v12, v12, v2, vcc
	v_cmp_nlt_f16_e32 vcc, 1.0, v1
	v_cndmask_b32_e32 v12, v75, v12, vcc
	v_cmp_neq_f16_e32 vcc, 1.0, v1
	v_cndmask_b32_e32 v1, v76, v12, vcc
	v_cmp_lt_f32_e64 vcc, |v2|, s66
	v_pk_mov_b32 v[14:15], v[10:11], v[10:11] op_sel:[0,1]
	v_cndmask_b32_e32 v1, v1, v2, vcc
	v_mov_b32_e32 v17, 0
	v_mov_b32_e32 v2, 0
	v_pk_mov_b32 v[12:13], v[8:9], v[8:9] op_sel:[0,1]
	s_branch .LBB105_77
.LBB105_76:                             ;   in Loop: Header=BB105_77 Depth=2
	s_or_b64 exec, exec, s[4:5]
	v_cmp_eq_u32_e32 vcc, 1, v78
	v_cndmask_b32_e32 v12, v12, v13, vcc
	v_cmp_eq_u32_e32 vcc, 2, v78
	v_cndmask_b32_e32 v12, v12, v14, vcc
	;; [unrolled: 2-line block ×3, first 2 shown]
	v_and_b32_e32 v12, 0xffffff, v12
	v_cvt_f32_u32_e32 v12, v12
	v_mov_b32_e32 v78, v88
	v_mul_f32_e32 v12, 0x33800000, v12
	v_cmp_gt_f32_e32 vcc, s62, v12
	v_cndmask_b32_e32 v13, 1.0, v73, vcc
	v_mul_f32_e32 v12, v12, v13
	v_log_f32_e32 v12, v12
	v_cndmask_b32_e32 v13, 0, v74, vcc
	v_mul_f32_e32 v14, 0x3f317217, v12
	v_fma_f32 v15, v12, s63, -v14
	v_fmac_f32_e32 v15, 0x3377d1cf, v12
	v_add_f32_e32 v14, v14, v15
	v_cmp_lt_f32_e64 vcc, |v12|, s64
	v_cndmask_b32_e32 v12, v12, v14, vcc
	v_sub_f32_e32 v12, v12, v13
	v_div_scale_f32 v13, s[4:5], v1, v1, v12
	v_rcp_f32_e32 v14, v13
	v_div_scale_f32 v15, vcc, v12, v1, v12
	v_fma_f32 v17, -v13, v14, 1.0
	v_fmac_f32_e32 v14, v17, v14
	v_mul_f32_e32 v17, v15, v14
	v_fma_f32 v18, -v13, v17, v15
	v_fmac_f32_e32 v17, v18, v14
	v_fma_f32 v13, -v13, v17, v15
	v_div_fmas_f32 v13, v13, v14, v17
	v_div_fixup_f32 v12, v13, v1, v12
	v_ceil_f32_e32 v12, v12
	v_add_f32_e32 v2, v2, v12
	v_cmp_gt_f32_e32 vcc, v2, v0
	v_pk_mov_b32 v[14:15], v[10:11], v[10:11] op_sel:[0,1]
	v_add_f16_e32 v17, 1.0, v16
	s_or_b64 s[2:3], vcc, s[2:3]
	v_pk_mov_b32 v[12:13], v[8:9], v[8:9] op_sel:[0,1]
	s_andn2_b64 exec, exec, s[2:3]
	s_cbranch_execz .LBB105_6
.LBB105_77:                             ;   Parent Loop BB105_13 Depth=1
                                        ; =>  This Inner Loop Header: Depth=2
	v_add_u32_e32 v88, 1, v78
	v_mov_b32_e32 v16, v17
	v_cmp_eq_u32_e32 vcc, 4, v88
	s_and_saveexec_b64 s[4:5], vcc
	s_cbranch_execz .LBB105_76
; %bb.78:                               ;   in Loop: Header=BB105_77 Depth=2
	v_add_co_u32_e32 v4, vcc, 1, v4
	v_cndmask_b32_e64 v8, 0, 1, vcc
	v_addc_co_u32_e32 v5, vcc, 0, v5, vcc
	v_cmp_eq_u32_e32 vcc, 0, v5
	v_cndmask_b32_e32 v8, 0, v8, vcc
	v_add_u32_e32 v6, v8, v6
	v_cmp_eq_u32_e32 vcc, 0, v6
	v_cndmask_b32_e32 v8, 0, v8, vcc
	v_add_u32_e32 v7, v8, v7
	v_mad_u64_u32 v[8:9], s[46:47], v4, s58, 0
	v_mad_u64_u32 v[10:11], s[46:47], v6, s59, 0
	v_xor_b32_e32 v9, v9, v25
	v_xor_b32_e32 v11, v11, v24
	v_xor_b32_e32 v9, v7, v9
	v_xor_b32_e32 v11, v5, v11
	v_mad_u64_u32 v[20:21], s[46:47], v9, s59, 0
	v_mad_u64_u32 v[18:19], s[46:47], v11, s58, 0
	v_xor_b32_e32 v9, v37, v21
	v_xor_b32_e32 v9, v9, v10
	v_xor_b32_e32 v10, v38, v19
	v_xor_b32_e32 v10, v10, v8
	;; [unrolled: 6-line block ×9, first 2 shown]
	v_mad_u64_u32 v[18:19], s[46:47], v9, s58, 0
	v_mad_u64_u32 v[20:21], s[46:47], v11, s59, 0
	v_xor_b32_e32 v8, v21, v8
	v_xor_b32_e32 v9, v19, v10
	v_mov_b32_e32 v88, 0
	v_xor_b32_e32 v8, v53, v8
	v_xor_b32_e32 v10, v54, v9
	v_mov_b32_e32 v9, v20
	v_mov_b32_e32 v11, v18
	s_branch .LBB105_76
.LBB105_79:
	s_endpgm
	.section	.rodata,"a",@progbits
	.p2align	6, 0x0
	.amdhsa_kernel _ZN2at6native12_GLOBAL__N_138distribution_binary_elementwise_kernelIZN12_GLOBAL__N_120binomial_cuda_kernelIN3c104HalfEEEvRNS_18TensorIteratorBaseENS_15PhiloxCudaStateEEUlR25hiprandStatePhilox4_32_10S6_S6_E_23TrivialOffsetCalculatorILi2EjESD_ILi1EjEEEviT_S9_PN15function_traitsISG_E11result_typeEPKNSI_3argILi1EE4typeEPKNSL_ILi2EE4typeET0_T1_
		.amdhsa_group_segment_fixed_size 16384
		.amdhsa_private_segment_fixed_size 0
		.amdhsa_kernarg_size 328
		.amdhsa_user_sgpr_count 8
		.amdhsa_user_sgpr_private_segment_buffer 1
		.amdhsa_user_sgpr_dispatch_ptr 1
		.amdhsa_user_sgpr_queue_ptr 0
		.amdhsa_user_sgpr_kernarg_segment_ptr 1
		.amdhsa_user_sgpr_dispatch_id 0
		.amdhsa_user_sgpr_flat_scratch_init 0
		.amdhsa_user_sgpr_kernarg_preload_length 0
		.amdhsa_user_sgpr_kernarg_preload_offset 0
		.amdhsa_user_sgpr_private_segment_size 0
		.amdhsa_uses_dynamic_stack 0
		.amdhsa_system_sgpr_private_segment_wavefront_offset 0
		.amdhsa_system_sgpr_workgroup_id_x 1
		.amdhsa_system_sgpr_workgroup_id_y 0
		.amdhsa_system_sgpr_workgroup_id_z 0
		.amdhsa_system_sgpr_workgroup_info 0
		.amdhsa_system_vgpr_workitem_id 2
		.amdhsa_next_free_vgpr 104
		.amdhsa_next_free_sgpr 72
		.amdhsa_accum_offset 104
		.amdhsa_reserve_vcc 1
		.amdhsa_reserve_flat_scratch 0
		.amdhsa_float_round_mode_32 0
		.amdhsa_float_round_mode_16_64 0
		.amdhsa_float_denorm_mode_32 3
		.amdhsa_float_denorm_mode_16_64 3
		.amdhsa_dx10_clamp 1
		.amdhsa_ieee_mode 1
		.amdhsa_fp16_overflow 0
		.amdhsa_tg_split 0
		.amdhsa_exception_fp_ieee_invalid_op 0
		.amdhsa_exception_fp_denorm_src 0
		.amdhsa_exception_fp_ieee_div_zero 0
		.amdhsa_exception_fp_ieee_overflow 0
		.amdhsa_exception_fp_ieee_underflow 0
		.amdhsa_exception_fp_ieee_inexact 0
		.amdhsa_exception_int_div_zero 0
	.end_amdhsa_kernel
	.section	.text._ZN2at6native12_GLOBAL__N_138distribution_binary_elementwise_kernelIZN12_GLOBAL__N_120binomial_cuda_kernelIN3c104HalfEEEvRNS_18TensorIteratorBaseENS_15PhiloxCudaStateEEUlR25hiprandStatePhilox4_32_10S6_S6_E_23TrivialOffsetCalculatorILi2EjESD_ILi1EjEEEviT_S9_PN15function_traitsISG_E11result_typeEPKNSI_3argILi1EE4typeEPKNSL_ILi2EE4typeET0_T1_,"axG",@progbits,_ZN2at6native12_GLOBAL__N_138distribution_binary_elementwise_kernelIZN12_GLOBAL__N_120binomial_cuda_kernelIN3c104HalfEEEvRNS_18TensorIteratorBaseENS_15PhiloxCudaStateEEUlR25hiprandStatePhilox4_32_10S6_S6_E_23TrivialOffsetCalculatorILi2EjESD_ILi1EjEEEviT_S9_PN15function_traitsISG_E11result_typeEPKNSI_3argILi1EE4typeEPKNSL_ILi2EE4typeET0_T1_,comdat
.Lfunc_end105:
	.size	_ZN2at6native12_GLOBAL__N_138distribution_binary_elementwise_kernelIZN12_GLOBAL__N_120binomial_cuda_kernelIN3c104HalfEEEvRNS_18TensorIteratorBaseENS_15PhiloxCudaStateEEUlR25hiprandStatePhilox4_32_10S6_S6_E_23TrivialOffsetCalculatorILi2EjESD_ILi1EjEEEviT_S9_PN15function_traitsISG_E11result_typeEPKNSI_3argILi1EE4typeEPKNSL_ILi2EE4typeET0_T1_, .Lfunc_end105-_ZN2at6native12_GLOBAL__N_138distribution_binary_elementwise_kernelIZN12_GLOBAL__N_120binomial_cuda_kernelIN3c104HalfEEEvRNS_18TensorIteratorBaseENS_15PhiloxCudaStateEEUlR25hiprandStatePhilox4_32_10S6_S6_E_23TrivialOffsetCalculatorILi2EjESD_ILi1EjEEEviT_S9_PN15function_traitsISG_E11result_typeEPKNSI_3argILi1EE4typeEPKNSL_ILi2EE4typeET0_T1_
                                        ; -- End function
	.section	.AMDGPU.csdata,"",@progbits
; Kernel info:
; codeLenInByte = 11900
; NumSgprs: 76
; NumVgprs: 104
; NumAgprs: 0
; TotalNumVgprs: 104
; ScratchSize: 0
; MemoryBound: 0
; FloatMode: 240
; IeeeMode: 1
; LDSByteSize: 16384 bytes/workgroup (compile time only)
; SGPRBlocks: 9
; VGPRBlocks: 12
; NumSGPRsForWavesPerEU: 76
; NumVGPRsForWavesPerEU: 104
; AccumOffset: 104
; Occupancy: 4
; WaveLimiterHint : 0
; COMPUTE_PGM_RSRC2:SCRATCH_EN: 0
; COMPUTE_PGM_RSRC2:USER_SGPR: 8
; COMPUTE_PGM_RSRC2:TRAP_HANDLER: 0
; COMPUTE_PGM_RSRC2:TGID_X_EN: 1
; COMPUTE_PGM_RSRC2:TGID_Y_EN: 0
; COMPUTE_PGM_RSRC2:TGID_Z_EN: 0
; COMPUTE_PGM_RSRC2:TIDIG_COMP_CNT: 2
; COMPUTE_PGM_RSRC3_GFX90A:ACCUM_OFFSET: 25
; COMPUTE_PGM_RSRC3_GFX90A:TG_SPLIT: 0
	.section	.text._ZN2at6native12_GLOBAL__N_138distribution_binary_elementwise_kernelIZN12_GLOBAL__N_120binomial_cuda_kernelIN3c104HalfEEEvRNS_18TensorIteratorBaseENS_15PhiloxCudaStateEEUlR25hiprandStatePhilox4_32_10S6_S6_E_16OffsetCalculatorILi2EjLb0EESD_ILi1EjLb0EEEEviT_S9_PN15function_traitsISG_E11result_typeEPKNSI_3argILi1EE4typeEPKNSL_ILi2EE4typeET0_T1_,"axG",@progbits,_ZN2at6native12_GLOBAL__N_138distribution_binary_elementwise_kernelIZN12_GLOBAL__N_120binomial_cuda_kernelIN3c104HalfEEEvRNS_18TensorIteratorBaseENS_15PhiloxCudaStateEEUlR25hiprandStatePhilox4_32_10S6_S6_E_16OffsetCalculatorILi2EjLb0EESD_ILi1EjLb0EEEEviT_S9_PN15function_traitsISG_E11result_typeEPKNSI_3argILi1EE4typeEPKNSL_ILi2EE4typeET0_T1_,comdat
	.globl	_ZN2at6native12_GLOBAL__N_138distribution_binary_elementwise_kernelIZN12_GLOBAL__N_120binomial_cuda_kernelIN3c104HalfEEEvRNS_18TensorIteratorBaseENS_15PhiloxCudaStateEEUlR25hiprandStatePhilox4_32_10S6_S6_E_16OffsetCalculatorILi2EjLb0EESD_ILi1EjLb0EEEEviT_S9_PN15function_traitsISG_E11result_typeEPKNSI_3argILi1EE4typeEPKNSL_ILi2EE4typeET0_T1_ ; -- Begin function _ZN2at6native12_GLOBAL__N_138distribution_binary_elementwise_kernelIZN12_GLOBAL__N_120binomial_cuda_kernelIN3c104HalfEEEvRNS_18TensorIteratorBaseENS_15PhiloxCudaStateEEUlR25hiprandStatePhilox4_32_10S6_S6_E_16OffsetCalculatorILi2EjLb0EESD_ILi1EjLb0EEEEviT_S9_PN15function_traitsISG_E11result_typeEPKNSI_3argILi1EE4typeEPKNSL_ILi2EE4typeET0_T1_
	.p2align	8
	.type	_ZN2at6native12_GLOBAL__N_138distribution_binary_elementwise_kernelIZN12_GLOBAL__N_120binomial_cuda_kernelIN3c104HalfEEEvRNS_18TensorIteratorBaseENS_15PhiloxCudaStateEEUlR25hiprandStatePhilox4_32_10S6_S6_E_16OffsetCalculatorILi2EjLb0EESD_ILi1EjLb0EEEEviT_S9_PN15function_traitsISG_E11result_typeEPKNSI_3argILi1EE4typeEPKNSL_ILi2EE4typeET0_T1_,@function
_ZN2at6native12_GLOBAL__N_138distribution_binary_elementwise_kernelIZN12_GLOBAL__N_120binomial_cuda_kernelIN3c104HalfEEEvRNS_18TensorIteratorBaseENS_15PhiloxCudaStateEEUlR25hiprandStatePhilox4_32_10S6_S6_E_16OffsetCalculatorILi2EjLb0EESD_ILi1EjLb0EEEEviT_S9_PN15function_traitsISG_E11result_typeEPKNSI_3argILi1EE4typeEPKNSL_ILi2EE4typeET0_T1_: ; @_ZN2at6native12_GLOBAL__N_138distribution_binary_elementwise_kernelIZN12_GLOBAL__N_120binomial_cuda_kernelIN3c104HalfEEEvRNS_18TensorIteratorBaseENS_15PhiloxCudaStateEEUlR25hiprandStatePhilox4_32_10S6_S6_E_16OffsetCalculatorILi2EjLb0EESD_ILi1EjLb0EEEEviT_S9_PN15function_traitsISG_E11result_typeEPKNSI_3argILi1EE4typeEPKNSL_ILi2EE4typeET0_T1_
; %bb.0:
	s_load_dword s9, s[6:7], 0x20
	s_load_dwordx4 s[0:3], s[6:7], 0x8
	s_waitcnt lgkmcnt(0)
	s_bitcmp0_b32 s9, 0
	v_pk_mov_b32 v[4:5], s[2:3], s[2:3] op_sel:[0,1]
	v_pk_mov_b32 v[24:25], s[0:1], s[0:1] op_sel:[0,1]
	s_cbranch_scc1 .LBB106_2
; %bb.1:
	v_pk_mov_b32 v[2:3], s[2:3], s[2:3] op_sel:[0,1]
	flat_load_dwordx2 v[2:3], v[2:3]
	v_pk_mov_b32 v[4:5], s[0:1], s[0:1] op_sel:[0,1]
	flat_load_dwordx2 v[24:25], v[4:5]
	s_load_dwordx2 s[0:1], s[6:7], 0x18
	s_waitcnt lgkmcnt(0)
	v_mov_b32_e32 v1, s1
	s_waitcnt vmcnt(0)
	v_add_co_u32_e32 v4, vcc, s0, v2
	v_addc_co_u32_e32 v5, vcc, v3, v1, vcc
.LBB106_2:
	s_load_dword s0, s[6:7], 0x0
	s_lshl_b32 s33, s8, 10
	v_and_b32_e32 v36, 0x3ff, v0
	s_waitcnt lgkmcnt(0)
	s_sub_i32 s0, s0, s33
	v_cmp_gt_i32_e32 vcc, s0, v36
	s_and_saveexec_b64 s[2:3], vcc
	s_cbranch_execz .LBB106_107
; %bb.3:
	s_min_i32 s80, s0, 0x400
	s_load_dwordx2 s[0:1], s[4:5], 0x4
	s_load_dwordx4 s[28:31], s[6:7], 0x28
	s_load_dwordx2 s[10:11], s[6:7], 0x38
	s_load_dwordx8 s[12:19], s[6:7], 0x40
	s_add_u32 s34, s6, 64
	s_addc_u32 s35, s7, 0
	s_waitcnt lgkmcnt(0)
	s_lshr_b32 s0, s0, 16
	s_mul_i32 s0, s0, s1
	s_add_i32 s4, s12, -1
	v_mul_lo_u32 v1, s0, v36
	v_bfe_u32 v2, v0, 10, 10
	s_cmp_gt_u32 s4, 1
	v_mad_u32_u24 v1, v2, s1, v1
	s_cselect_b64 s[0:1], -1, 0
	s_cmp_lg_u32 s12, 0
	s_cselect_b64 s[2:3], -1, 0
	s_add_u32 s52, s6, 0x104
	s_addc_u32 s53, s7, 0
	s_min_u32 s5, s4, 15
	s_cmp_gt_u32 s12, 1
	s_cselect_b64 s[54:55], -1, 0
	s_add_i32 s20, s5, 1
	s_mov_b32 s12, s17
	s_load_dword s9, s[6:7], 0x294
	s_load_dwordx4 s[44:47], s[6:7], 0x104
	s_and_b32 s17, s20, 3
	s_cmp_lg_u32 s4, 2
	v_bfe_u32 v0, v0, 20, 10
	s_cselect_b64 s[4:5], -1, 0
	s_and_b32 s64, s20, 28
	v_add_lshl_u32 v37, v1, v0, 3
	s_cmp_lg_u32 s17, 0
	v_cndmask_b32_e64 v0, 0, 1, s[0:1]
	v_cndmask_b32_e64 v1, 0, 1, s[2:3]
	v_cndmask_b32_e64 v2, 0, 1, s[4:5]
	v_add_u32_e32 v38, 0x2000, v37
	s_mov_b32 s19, 0
	s_mov_b64 s[56:57], 0
	s_cselect_b64 s[58:59], -1, 0
	v_cmp_ne_u32_e64 s[0:1], 1, v0
	v_cmp_ne_u32_e64 s[2:3], 1, v1
	v_cmp_ne_u32_e64 s[4:5], 1, v2
	v_mov_b32_e32 v1, 0
	v_mov_b32_e32 v8, v36
	s_branch .LBB106_5
.LBB106_4:                              ;   in Loop: Header=BB106_5 Depth=1
	v_lshlrev_b64 v[6:7], 1, v[0:1]
	v_mov_b32_e32 v0, s31
	v_add_co_u32_e32 v6, vcc, s30, v6
	v_mov_b32_e32 v3, v1
	v_addc_co_u32_e32 v7, vcc, v0, v7, vcc
	v_lshlrev_b64 v[2:3], 1, v[2:3]
	global_load_ushort v0, v[6:7], off
	v_mov_b32_e32 v6, s11
	v_add_co_u32_e32 v2, vcc, s10, v2
	v_addc_co_u32_e32 v3, vcc, v6, v3, vcc
	global_load_ushort v2, v[2:3], off
	s_lshl_b32 s20, s19, 1
	s_add_i32 s22, s19, 1
	v_add_u32_e32 v8, 0x100, v8
	s_cmp_gt_u32 s19, 2
	v_add_u32_e32 v3, s20, v38
	v_add_u32_e32 v6, s20, v37
	v_cmp_le_i32_e32 vcc, s80, v8
	s_cselect_b64 s[20:21], -1, 0
	s_or_b64 s[20:21], s[20:21], vcc
	s_and_b64 s[20:21], exec, s[20:21]
	s_or_b64 s[56:57], s[20:21], s[56:57]
	s_mov_b32 s19, s22
	s_waitcnt vmcnt(1)
	ds_write_b16 v3, v0
	s_waitcnt vmcnt(0)
	ds_write_b16 v6, v2
	s_andn2_b64 exec, exec, s[56:57]
	s_cbranch_execz .LBB106_19
.LBB106_5:                              ; =>This Loop Header: Depth=1
                                        ;     Child Loop BB106_9 Depth 2
                                        ;     Child Loop BB106_14 Depth 2
	s_and_b64 vcc, exec, s[0:1]
	v_add_u32_e32 v3, s33, v8
	s_cbranch_vccnz .LBB106_11
; %bb.6:                                ;   in Loop: Header=BB106_5 Depth=1
	s_mov_b32 s22, 0
	s_and_b64 vcc, exec, s[2:3]
	v_mov_b32_e32 v2, 0
	v_mov_b32_e32 v0, 0
	s_cbranch_vccnz .LBB106_16
; %bb.7:                                ;   in Loop: Header=BB106_5 Depth=1
	s_and_b64 vcc, exec, s[4:5]
	s_cbranch_vccnz .LBB106_12
; %bb.8:                                ;   in Loop: Header=BB106_5 Depth=1
	v_mov_b32_e32 v0, 0
	s_mov_b32 s65, 0
	s_mov_b64 s[60:61], s[34:35]
	s_mov_b64 s[62:63], s[52:53]
	v_mov_b32_e32 v9, v3
	v_mov_b32_e32 v2, v0
.LBB106_9:                              ;   Parent Loop BB106_5 Depth=1
                                        ; =>  This Inner Loop Header: Depth=2
	s_load_dwordx8 s[36:43], s[60:61], 0x4
	s_load_dwordx4 s[48:51], s[60:61], 0x24
	s_load_dwordx8 s[20:27], s[62:63], 0x0
	s_add_u32 s60, s60, 48
	s_addc_u32 s61, s61, 0
	s_waitcnt lgkmcnt(0)
	v_mul_hi_u32 v6, s37, v9
	v_add_u32_e32 v6, v9, v6
	v_lshrrev_b32_e32 v6, s38, v6
	v_mul_lo_u32 v7, v6, s36
	v_mul_hi_u32 v10, s40, v6
	v_sub_u32_e32 v7, v9, v7
	v_add_u32_e32 v9, v6, v10
	v_lshrrev_b32_e32 v9, s41, v9
	v_mul_lo_u32 v11, v9, s39
	v_mul_hi_u32 v12, s43, v9
	v_sub_u32_e32 v6, v6, v11
	v_add_u32_e32 v11, v9, v12
	v_mul_lo_u32 v10, v7, s21
	v_mul_lo_u32 v7, v7, s20
	;; [unrolled: 1-line block ×4, first 2 shown]
	v_lshrrev_b32_e32 v11, s48, v11
	v_add3_u32 v0, v7, v0, v6
	v_mul_hi_u32 v7, s50, v11
	v_mul_lo_u32 v6, v11, s42
	v_add_u32_e32 v7, v11, v7
	v_sub_u32_e32 v6, v9, v6
	v_lshrrev_b32_e32 v9, s51, v7
	s_add_i32 s65, s65, 4
	v_mul_lo_u32 v7, v9, s49
	s_add_u32 s62, s62, 32
	v_sub_u32_e32 v7, v11, v7
	s_addc_u32 s63, s63, 0
	v_add3_u32 v2, v10, v2, v12
	v_mul_lo_u32 v10, v6, s24
	v_mul_lo_u32 v6, v6, s25
	v_mul_lo_u32 v11, v7, s26
	v_mul_lo_u32 v7, v7, s27
	s_cmp_lg_u32 s64, s65
	v_add3_u32 v2, v6, v2, v7
	v_add3_u32 v0, v10, v0, v11
	s_cbranch_scc1 .LBB106_9
; %bb.10:                               ;   in Loop: Header=BB106_5 Depth=1
	v_mov_b32_e32 v6, v0
	v_mov_b32_e32 v7, v2
	s_mov_b32 s22, s64
	s_andn2_b64 vcc, exec, s[58:59]
	s_cbranch_vccz .LBB106_13
	s_branch .LBB106_16
.LBB106_11:                             ;   in Loop: Header=BB106_5 Depth=1
                                        ; implicit-def: $vgpr2
	s_branch .LBB106_17
.LBB106_12:                             ;   in Loop: Header=BB106_5 Depth=1
	s_mov_b32 s23, s22
	v_pk_mov_b32 v[6:7], s[22:23], s[22:23] op_sel:[0,1]
                                        ; implicit-def: $vgpr2
	v_mov_b32_e32 v9, v3
	s_andn2_b64 vcc, exec, s[58:59]
	s_cbranch_vccnz .LBB106_16
.LBB106_13:                             ;   in Loop: Header=BB106_5 Depth=1
	s_lshl_b32 s20, s22, 3
	s_add_u32 s20, s52, s20
	s_addc_u32 s21, s53, 0
	s_mul_i32 s22, s22, 12
	s_add_u32 s22, s34, s22
	s_addc_u32 s23, s35, 0
	s_mov_b32 s24, s17
.LBB106_14:                             ;   Parent Loop BB106_5 Depth=1
                                        ; =>  This Inner Loop Header: Depth=2
	s_load_dwordx2 s[26:27], s[22:23], 0x4
	s_load_dword s25, s[22:23], 0xc
	s_load_dwordx2 s[36:37], s[20:21], 0x0
	s_add_u32 s22, s22, 12
	v_mov_b32_e32 v0, v7
	s_waitcnt lgkmcnt(0)
	v_mul_hi_u32 v2, s27, v9
	v_add_u32_e32 v2, v9, v2
	v_lshrrev_b32_e32 v2, s25, v2
	s_addc_u32 s23, s23, 0
	v_mul_lo_u32 v7, v2, s26
	s_add_u32 s20, s20, 8
	v_sub_u32_e32 v7, v9, v7
	s_addc_u32 s21, s21, 0
	s_add_i32 s24, s24, -1
	v_mad_u64_u32 v[10:11], s[26:27], v7, s37, v[0:1]
	v_mad_u64_u32 v[6:7], s[26:27], v7, s36, v[6:7]
	s_cmp_lg_u32 s24, 0
	v_mov_b32_e32 v9, v2
	v_mov_b32_e32 v7, v10
	s_cbranch_scc1 .LBB106_14
; %bb.15:                               ;   in Loop: Header=BB106_5 Depth=1
	v_mov_b32_e32 v2, v7
	v_mov_b32_e32 v0, v6
.LBB106_16:                             ;   in Loop: Header=BB106_5 Depth=1
	s_cbranch_execnz .LBB106_4
.LBB106_17:                             ;   in Loop: Header=BB106_5 Depth=1
	v_mul_hi_u32 v0, s14, v3
	v_add_u32_e32 v0, v3, v0
	v_lshrrev_b32_e32 v6, s15, v0
	v_mul_lo_u32 v0, v6, s13
	v_sub_u32_e32 v0, v3, v0
	s_waitcnt lgkmcnt(0)
	v_mul_lo_u32 v2, v0, s45
	s_andn2_b64 vcc, exec, s[54:55]
	v_mul_lo_u32 v0, v0, s44
	s_cbranch_vccnz .LBB106_4
; %bb.18:                               ;   in Loop: Header=BB106_5 Depth=1
	v_mul_hi_u32 v3, s12, v6
	v_add_u32_e32 v3, v6, v3
	v_lshrrev_b32_e32 v3, s18, v3
	v_mul_lo_u32 v3, v3, s16
	v_sub_u32_e32 v3, v6, v3
	v_mad_u64_u32 v[6:7], s[20:21], v3, s46, v[0:1]
	v_mad_u64_u32 v[2:3], s[20:21], v3, s47, v[2:3]
	v_mov_b32_e32 v0, v6
	s_branch .LBB106_4
.LBB106_19:
	s_or_b64 exec, exec, s[56:57]
	s_waitcnt lgkmcnt(0)
	s_and_b32 s0, 0xffff, s9
	s_mul_i32 s8, s8, s0
	v_add_u32_e32 v2, s8, v36
	v_alignbit_b32 v0, v5, v4, 2
	s_mov_b32 s82, 0xd2511f53
	s_mov_b32 s83, 0xcd9e8d57
	v_and_b32_e32 v79, 3, v4
	v_lshrrev_b32_e32 v1, 2, v5
	v_mad_u64_u32 v[4:5], s[0:1], v0, s82, 0
	v_mad_u64_u32 v[8:9], s[0:1], v2, s83, 0
	s_mov_b32 s0, 0x9e3779b9
	v_xor_b32_e32 v7, v24, v9
	v_mov_b32_e32 v6, v25
	v_xor_b32_e32 v5, v5, v25
	v_add_co_u32_e32 v39, vcc, s0, v24
	s_mov_b32 s0, 0xbb67ae85
	v_xor_b32_e32 v7, v7, v1
	v_add_co_u32_e32 v40, vcc, s0, v6
	v_mad_u64_u32 v[10:11], s[0:1], v7, s82, 0
	v_mad_u64_u32 v[12:13], s[0:1], v5, s83, 0
	v_xor_b32_e32 v5, v13, v39
	v_xor_b32_e32 v7, v40, v11
	s_mov_b32 s0, 0x3c6ef372
	v_xor_b32_e32 v5, v5, v8
	v_xor_b32_e32 v7, v7, v4
	v_add_co_u32_e32 v41, vcc, s0, v24
	s_mov_b32 s0, 0x76cf5d0a
	v_add_co_u32_e32 v42, vcc, s0, v6
	v_mad_u64_u32 v[4:5], s[0:1], v5, s82, 0
	v_mad_u64_u32 v[8:9], s[0:1], v7, s83, 0
	v_xor_b32_e32 v7, v41, v9
	v_xor_b32_e32 v5, v5, v42
	s_mov_b32 s0, 0xdaa66d2b
	v_xor_b32_e32 v7, v7, v12
	v_xor_b32_e32 v5, v5, v10
	v_add_co_u32_e32 v43, vcc, s0, v24
	s_mov_b32 s0, 0x32370b8f
	;; [unrolled: 10-line block ×7, first 2 shown]
	s_load_dwordx8 s[8:15], s[6:7], 0x184
	v_add_co_u32_e32 v54, vcc, s0, v6
	v_mad_u64_u32 v[4:5], s[0:1], v5, s82, 0
	v_mad_u64_u32 v[6:7], s[0:1], v7, s83, 0
	v_xor_b32_e32 v7, v53, v7
	v_xor_b32_e32 v5, v5, v54
	;; [unrolled: 1-line block ×4, first 2 shown]
	v_mad_u64_u32 v[12:13], s[0:1], v7, s82, 0
	v_mad_u64_u32 v[14:15], s[0:1], v5, s83, 0
	s_add_u32 s24, s6, 0x184
	s_addc_u32 s25, s7, 0
	s_waitcnt lgkmcnt(0)
	s_add_i32 s0, s8, -1
	s_cmp_gt_u32 s0, 1
	s_cselect_b64 s[26:27], -1, 0
	s_cmp_lg_u32 s8, 0
	s_cselect_b64 s[30:31], -1, 0
	s_add_u32 s34, s6, 0x248
	s_addc_u32 s35, s7, 0
	s_min_u32 s1, s0, 15
	s_cmp_gt_u32 s8, 1
	s_cselect_b64 s[38:39], -1, 0
	s_add_i32 s1, s1, 1
	s_load_dwordx2 s[36:37], s[6:7], 0x248
	s_mov_b32 s8, s13
	s_and_b32 s13, s1, 3
	s_cmp_lg_u32 s0, 2
	v_mov_b32_e32 v3, 0
	v_add_u32_e32 v55, 0x8ff34781, v24
	v_add_u32_e32 v56, 0x96a522ad, v25
	v_xor_b32_e32 v5, v6, v15
	v_xor_b32_e32 v4, v13, v4
	s_cselect_b64 s[40:41], -1, 0
	s_and_b32 s15, s1, 28
	v_xor_b32_e32 v8, v55, v5
	v_xor_b32_e32 v10, v56, v4
	s_cmp_lg_u32 s13, 0
	s_mov_b32 s46, 0x66666666
	s_mov_b32 s48, 0xa3d70a3d
	;; [unrolled: 1-line block ×11, first 2 shown]
	v_pk_mov_b32 v[6:7], v[2:3], v[2:3] op_sel:[0,1]
	s_mov_b32 s81, 0
	v_mov_b32_e32 v9, v14
	v_mov_b32_e32 v11, v12
	v_add_u32_e32 v57, 0x9e3779b9, v24
	v_add_u32_e32 v58, 0xbb67ae85, v25
	v_add_u32_e32 v59, 0x3c6ef372, v24
	v_add_u32_e32 v60, 0x76cf5d0a, v25
	v_add_u32_e32 v61, 0xdaa66d2b, v24
	v_add_u32_e32 v62, 0x32370b8f, v25
	v_add_u32_e32 v63, 0x78dde6e4, v24
	v_add_u32_e32 v64, 0xed9eba14, v25
	v_add_u32_e32 v65, 0x1715609d, v24
	v_add_u32_e32 v66, 0xa9066899, v25
	v_add_u32_e32 v67, 0xb54cda56, v24
	v_add_u32_e32 v68, 0x646e171e, v25
	v_add_u32_e32 v69, 0x5384540f, v24
	v_add_u32_e32 v70, 0x1fd5c5a3, v25
	v_add_u32_e32 v71, 0xf1bbcdc8, v24
	v_add_u32_e32 v72, 0xdb3d7428, v25
	s_mov_b64 s[42:43], 0
	s_cselect_b64 s[44:45], -1, 0
	s_movk_i32 s84, 0x4900
	s_mov_b32 s85, 0xf800000
	v_mov_b32_e32 v73, 0x260
	s_mov_b32 s47, 0x40146666
	s_mov_b32 s49, 0x40043d70
	;; [unrolled: 1-line block ×18, first 2 shown]
	v_mov_b32_e32 v74, 0x3f2aaada
	s_mov_b32 s92, 0x3f317218
	s_mov_b32 s93, 0xfc00
	v_mov_b32_e32 v26, 0x66666666
	v_mov_b32_e32 v27, 0x3ff26666
	;; [unrolled: 1-line block ×8, first 2 shown]
	v_pk_mov_b32 v[4:5], v[0:1], v[0:1] op_sel:[0,1]
	s_branch .LBB106_27
.LBB106_20:                             ;   in Loop: Header=BB106_27 Depth=1
	s_or_b64 exec, exec, s[2:3]
	v_sub_f16_e32 v80, v1, v18
.LBB106_21:                             ;   in Loop: Header=BB106_27 Depth=1
	s_or_b64 exec, exec, s[0:1]
	v_mov_b32_e32 v79, v89
.LBB106_22:                             ;   in Loop: Header=BB106_27 Depth=1
	s_or_b64 exec, exec, s[22:23]
	v_mov_b32_e32 v89, v79
.LBB106_23:                             ;   in Loop: Header=BB106_27 Depth=1
	s_or_b64 exec, exec, s[20:21]
	v_mov_b32_e32 v1, v80
	v_mov_b32_e32 v79, v89
.LBB106_24:                             ;   in Loop: Header=BB106_27 Depth=1
	s_or_b64 exec, exec, s[18:19]
	v_mov_b32_e32 v2, v1
.LBB106_25:                             ;   in Loop: Header=BB106_27 Depth=1
	s_or_b64 exec, exec, s[16:17]
.LBB106_26:                             ;   in Loop: Header=BB106_27 Depth=1
	s_or_b64 exec, exec, s[6:7]
	v_mov_b32_e32 v1, v3
	v_lshlrev_b64 v[0:1], 1, v[0:1]
	v_mov_b32_e32 v12, s29
	v_add_co_u32_e32 v0, vcc, s28, v0
	s_add_i32 s2, s81, 1
	v_addc_co_u32_e32 v1, vcc, v12, v1, vcc
	v_add_u32_e32 v36, 0x100, v36
	s_cmp_gt_u32 s81, 2
	s_cselect_b64 s[0:1], -1, 0
	v_cmp_le_i32_e32 vcc, s80, v36
	s_or_b64 s[0:1], s[0:1], vcc
	s_and_b64 s[0:1], exec, s[0:1]
	s_or_b64 s[42:43], s[0:1], s[42:43]
	s_mov_b32 s81, s2
	global_store_short v[0:1], v2, off
	s_andn2_b64 exec, exec, s[42:43]
	s_cbranch_execz .LBB106_107
.LBB106_27:                             ; =>This Loop Header: Depth=1
                                        ;     Child Loop BB106_31 Depth 2
                                        ;     Child Loop BB106_35 Depth 2
	;; [unrolled: 1-line block ×6, first 2 shown]
	s_andn2_b64 vcc, exec, s[26:27]
	v_add_u32_e32 v2, s33, v36
	s_cbranch_vccnz .LBB106_36
; %bb.28:                               ;   in Loop: Header=BB106_27 Depth=1
	s_andn2_b64 vcc, exec, s[30:31]
	s_cbranch_vccnz .LBB106_37
; %bb.29:                               ;   in Loop: Header=BB106_27 Depth=1
	s_mov_b32 s2, 0
	s_andn2_b64 vcc, exec, s[40:41]
	v_mov_b32_e32 v0, 0
	v_mov_b32_e32 v12, v2
	s_cbranch_vccnz .LBB106_33
; %bb.30:                               ;   in Loop: Header=BB106_27 Depth=1
	s_mov_b32 s60, 0
	v_mov_b32_e32 v0, 0
	s_mov_b64 s[70:71], s[24:25]
	s_mov_b64 s[72:73], s[34:35]
	v_mov_b32_e32 v12, v2
.LBB106_31:                             ;   Parent Loop BB106_27 Depth=1
                                        ; =>  This Inner Loop Header: Depth=2
	s_load_dwordx8 s[0:7], s[70:71], 0x4
	s_load_dwordx4 s[16:19], s[70:71], 0x24
	s_load_dwordx4 s[20:23], s[72:73], 0x0
	s_add_u32 s70, s70, 48
	s_addc_u32 s71, s71, 0
	s_waitcnt lgkmcnt(0)
	v_mul_hi_u32 v1, s1, v12
	v_add_u32_e32 v1, v12, v1
	v_lshrrev_b32_e32 v1, s2, v1
	v_mul_lo_u32 v13, v1, s0
	v_mul_hi_u32 v14, s4, v1
	v_sub_u32_e32 v12, v12, v13
	v_add_u32_e32 v13, v1, v14
	v_lshrrev_b32_e32 v13, s5, v13
	v_mul_lo_u32 v14, v13, s3
	v_mul_hi_u32 v15, s7, v13
	v_sub_u32_e32 v1, v1, v14
	v_add_u32_e32 v14, v13, v15
	v_mul_lo_u32 v12, v12, s20
	v_mul_lo_u32 v1, v1, s21
	v_lshrrev_b32_e32 v14, s16, v14
	v_add3_u32 v0, v12, v0, v1
	v_mul_hi_u32 v12, s18, v14
	v_add_u32_e32 v12, v14, v12
	v_mul_lo_u32 v1, v14, s6
	v_lshrrev_b32_e32 v12, s19, v12
	s_add_i32 s60, s60, 4
	v_sub_u32_e32 v1, v13, v1
	v_mul_lo_u32 v13, v12, s17
	s_add_u32 s72, s72, 16
	v_sub_u32_e32 v13, v14, v13
	s_addc_u32 s73, s73, 0
	v_mul_lo_u32 v1, v1, s22
	v_mul_lo_u32 v13, v13, s23
	s_cmp_lg_u32 s15, s60
	v_add3_u32 v0, v1, v0, v13
	s_cbranch_scc1 .LBB106_31
; %bb.32:                               ;   in Loop: Header=BB106_27 Depth=1
	s_mov_b32 s2, s15
.LBB106_33:                             ;   in Loop: Header=BB106_27 Depth=1
	s_andn2_b64 vcc, exec, s[44:45]
	s_cbranch_vccnz .LBB106_38
; %bb.34:                               ;   in Loop: Header=BB106_27 Depth=1
	s_lshl_b32 s0, s2, 2
	s_add_u32 s0, s34, s0
	s_addc_u32 s1, s35, 0
	s_mul_i32 s2, s2, 12
	s_add_u32 s2, s24, s2
	s_addc_u32 s3, s25, 0
	s_mov_b32 s4, s13
.LBB106_35:                             ;   Parent Loop BB106_27 Depth=1
                                        ; =>  This Inner Loop Header: Depth=2
	s_load_dwordx2 s[6:7], s[2:3], 0x4
	s_load_dword s5, s[2:3], 0xc
	s_load_dword s16, s[0:1], 0x0
	s_add_u32 s2, s2, 12
	s_addc_u32 s3, s3, 0
	s_waitcnt lgkmcnt(0)
	v_mul_hi_u32 v1, s7, v12
	v_add_u32_e32 v1, v12, v1
	v_lshrrev_b32_e32 v1, s5, v1
	s_add_u32 s0, s0, 4
	v_mul_lo_u32 v13, v1, s6
	s_addc_u32 s1, s1, 0
	s_add_i32 s4, s4, -1
	v_sub_u32_e32 v13, v12, v13
	s_cmp_lg_u32 s4, 0
	v_mov_b32_e32 v12, v1
	v_mad_u64_u32 v[0:1], s[6:7], v13, s16, v[0:1]
	s_cbranch_scc1 .LBB106_35
	s_branch .LBB106_38
.LBB106_36:                             ;   in Loop: Header=BB106_27 Depth=1
                                        ; implicit-def: $vgpr0
	s_branch .LBB106_39
.LBB106_37:                             ;   in Loop: Header=BB106_27 Depth=1
	v_mov_b32_e32 v0, 0
.LBB106_38:                             ;   in Loop: Header=BB106_27 Depth=1
	s_cbranch_execnz .LBB106_41
.LBB106_39:                             ;   in Loop: Header=BB106_27 Depth=1
	v_mul_hi_u32 v0, s10, v2
	v_add_u32_e32 v0, v2, v0
	v_lshrrev_b32_e32 v1, s11, v0
	v_mul_lo_u32 v0, v1, s9
	v_sub_u32_e32 v0, v2, v0
	s_andn2_b64 vcc, exec, s[38:39]
	s_waitcnt lgkmcnt(0)
	v_mul_lo_u32 v0, v0, s36
	s_cbranch_vccnz .LBB106_41
; %bb.40:                               ;   in Loop: Header=BB106_27 Depth=1
	v_mul_hi_u32 v2, s8, v1
	v_add_u32_e32 v2, v1, v2
	v_lshrrev_b32_e32 v2, s14, v2
	v_mul_lo_u32 v2, v2, s12
	v_sub_u32_e32 v1, v1, v2
	v_mad_u64_u32 v[0:1], s[0:1], v1, s37, v[0:1]
.LBB106_41:                             ;   in Loop: Header=BB106_27 Depth=1
	v_lshl_add_u32 v1, s81, 1, v38
	ds_read_u16 v1, v1
	v_mov_b32_e32 v2, 0
	s_waitcnt lgkmcnt(0)
	v_cmp_nge_f16_e32 vcc, 0, v1
	s_and_saveexec_b64 s[6:7], vcc
	s_cbranch_execz .LBB106_26
; %bb.42:                               ;   in Loop: Header=BB106_27 Depth=1
	v_lshl_add_u32 v2, s81, 1, v37
	ds_read_u16 v12, v2
	v_mov_b32_e32 v2, 0
	s_waitcnt lgkmcnt(0)
	v_cmp_nge_f16_e32 vcc, 0, v12
	s_and_saveexec_b64 s[16:17], vcc
	s_cbranch_execz .LBB106_25
; %bb.43:                               ;   in Loop: Header=BB106_27 Depth=1
	v_cmp_nle_f16_e32 vcc, 1.0, v12
	s_and_saveexec_b64 s[18:19], vcc
	s_cbranch_execz .LBB106_24
; %bb.44:                               ;   in Loop: Header=BB106_27 Depth=1
	v_cvt_f32_f16_e32 v2, v1
	v_cmp_ge_f16_e32 vcc, 0.5, v12
                                        ; implicit-def: $vgpr80
                                        ; implicit-def: $vgpr89
	s_and_saveexec_b64 s[0:1], vcc
	s_xor_b64 s[20:21], exec, s[0:1]
	s_cbranch_execz .LBB106_75
; %bb.45:                               ;   in Loop: Header=BB106_27 Depth=1
	v_mul_f16_e32 v13, v12, v1
	v_cmp_le_f16_e32 vcc, s84, v13
                                        ; implicit-def: $vgpr80
                                        ; implicit-def: $vgpr89
	s_and_saveexec_b64 s[0:1], vcc
	s_xor_b64 s[22:23], exec, s[0:1]
	s_cbranch_execz .LBB106_68
; %bb.46:                               ;   in Loop: Header=BB106_27 Depth=1
	v_sub_f16_e32 v32, 1.0, v12
	v_mul_f16_e32 v14, v13, v32
	v_cvt_f32_f16_e32 v14, v14
	v_cvt_f32_f16_e32 v33, v12
	;; [unrolled: 1-line block ×3, first 2 shown]
	v_add_f16_e32 v34, 1.0, v1
	v_mul_f32_e32 v15, 0x4f800000, v14
	v_cmp_gt_f32_e32 vcc, s85, v14
	v_cndmask_b32_e32 v16, v14, v15, vcc
	v_rsq_f32_e32 v17, v16
	v_pk_mov_b32 v[14:15], v[26:27], v[26:27] op_sel:[0,1]
	v_cvt_f64_f32_e32 v[20:21], v33
	v_add_f32_e32 v83, 0.5, v13
	v_mul_f32_e32 v18, v16, v17
	v_mul_f32_e32 v17, 0.5, v17
	v_fma_f32 v19, -v17, v18, 0.5
	v_fmac_f32_e32 v18, v18, v19
	v_fmac_f32_e32 v17, v17, v19
	v_fma_f32 v19, -v18, v18, v16
	v_fmac_f32_e32 v18, v19, v17
	v_mul_f32_e32 v17, 0x37800000, v18
	v_cndmask_b32_e32 v17, v18, v17, vcc
	v_cmp_class_f32_e32 vcc, v16, v73
	v_cndmask_b32_e32 v16, v17, v16, vcc
	v_cvt_f64_f32_e32 v[16:17], v16
	v_fmac_f64_e32 v[14:15], s[48:49], v[16:17]
	v_cvt_f32_f64_e32 v81, v[14:15]
	v_cvt_f64_f32_e32 v[14:15], v81
	v_div_scale_f64 v[22:23], s[0:1], v[14:15], v[14:15], s[54:55]
	v_rcp_f64_e32 v[30:31], v[22:23]
	v_pk_mov_b32 v[18:19], v[28:29], v[28:29] op_sel:[0,1]
	v_fmac_f64_e32 v[18:19], s[50:51], v[14:15]
	v_fmac_f64_e32 v[18:19], s[52:53], v[20:21]
	v_cvt_f32_f64_e32 v82, v[18:19]
	v_fma_f64 v[18:19], -v[22:23], v[30:31], 1.0
	v_fmac_f64_e32 v[30:31], v[30:31], v[18:19]
	v_cvt_f32_f16_e32 v13, v32
	v_fma_f64 v[18:19], -v[22:23], v[30:31], 1.0
	v_fmac_f64_e32 v[30:31], v[30:31], v[18:19]
	v_div_scale_f64 v[18:19], vcc, s[54:55], v[14:15], s[54:55]
	v_mul_f64 v[20:21], v[18:19], v[30:31]
	v_fma_f64 v[18:19], -v[22:23], v[20:21], v[18:19]
	v_rcp_f32_e32 v22, v13
	s_nop 0
	v_div_fmas_f64 v[18:19], v[18:19], v[30:31], v[20:21]
	v_div_fixup_f64 v[18:19], v[18:19], v[14:15], s[54:55]
	v_add_f64 v[18:19], v[18:19], s[56:57]
	v_mul_f32_e32 v20, v33, v22
	v_mad_f32 v21, -v13, v20, v33
	v_mac_f32_e32 v20, v21, v22
	v_mad_f32 v13, -v13, v20, v33
	v_mul_f32_e32 v13, v13, v22
	v_and_b32_e32 v13, 0xff800000, v13
	v_add_f32_e32 v13, v13, v20
	v_cvt_f16_f32_e32 v13, v13
	v_div_scale_f64 v[20:21], s[0:1], v[14:15], v[14:15], s[46:47]
	v_rcp_f64_e32 v[22:23], v[20:21]
	v_div_fixup_f16 v13, v13, v32, v12
	v_mul_f16_e32 v12, v34, v12
	v_floor_f16_e32 v35, v12
	v_cvt_f32_f64_e32 v84, v[18:19]
	v_fma_f64 v[18:19], -v[20:21], v[22:23], 1.0
	v_cvt_f32_f16_e32 v80, v35
	v_fmac_f64_e32 v[22:23], v[22:23], v[18:19]
	v_cvt_f32_f16_e32 v85, v13
	v_fma_f64 v[18:19], -v[20:21], v[22:23], 1.0
	v_fmac_f64_e32 v[22:23], v[22:23], v[18:19]
	v_div_scale_f64 v[18:19], vcc, s[46:47], v[14:15], s[46:47]
	v_mul_f64 v[30:31], v[18:19], v[22:23]
	v_sub_f32_e32 v92, v2, v80
	v_fma_f64 v[18:19], -v[20:21], v[30:31], v[18:19]
	v_add_f32_e32 v86, 1.0, v92
	v_div_fmas_f64 v[12:13], v[18:19], v[22:23], v[30:31]
	v_add_f32_e32 v89, 1.0, v80
	v_mul_f32_e32 v2, v86, v85
	v_div_fixup_f64 v[12:13], v[12:13], v[14:15], s[46:47]
	v_div_scale_f32 v14, s[0:1], v2, v2, v89
	v_rcp_f32_e32 v15, v14
	v_add_f64 v[12:13], v[12:13], s[58:59]
	v_mul_f64 v[12:13], v[12:13], v[16:17]
	v_cvt_f32_f64_e32 v87, v[12:13]
	v_fma_f32 v12, -v14, v15, 1.0
	v_fmac_f32_e32 v15, v12, v15
	v_div_scale_f32 v12, vcc, v89, v2, v89
	v_mul_f32_e32 v13, v12, v15
	v_fma_f32 v16, -v14, v13, v12
	v_fmac_f32_e32 v13, v16, v15
	v_fma_f32 v12, -v14, v13, v12
	v_div_fmas_f32 v12, v12, v15, v13
	v_div_fixup_f32 v2, v12, v2, v89
	v_cmp_gt_f32_e64 s[0:1], s86, v2
	v_cndmask_b32_e64 v12, 1.0, v75, s[0:1]
	v_mul_f32_e32 v2, v2, v12
	v_log_f32_e32 v2, v2
	v_mul_f32_e32 v14, v89, v89
	v_cvt_f64_f32_e32 v[14:15], v14
	s_mov_b32 s60, s62
	v_div_scale_f64 v[16:17], s[2:3], v[14:15], v[14:15], s[60:61]
	v_mul_f32_e32 v20, 0x3f317217, v2
	v_rcp_f64_e32 v[18:19], v[16:17]
	v_fma_f32 v21, v2, s87, -v20
	v_fmac_f32_e32 v21, 0x3377d1cf, v2
	v_add_f32_e32 v20, v20, v21
	v_cmp_lt_f32_e64 vcc, |v2|, s88
	v_cndmask_b32_e32 v2, v2, v20, vcc
	v_fma_f64 v[20:21], -v[16:17], v[18:19], 1.0
	v_fmac_f64_e32 v[18:19], v[18:19], v[20:21]
	v_fma_f64 v[20:21], -v[16:17], v[18:19], 1.0
	v_fmac_f64_e32 v[18:19], v[18:19], v[20:21]
	v_div_scale_f64 v[20:21], vcc, s[60:61], v[14:15], s[60:61]
	v_mul_f64 v[22:23], v[20:21], v[18:19]
	v_fma_f64 v[16:17], -v[16:17], v[22:23], v[20:21]
	v_cvt_f64_f32_e32 v[12:13], v80
	s_nop 0
	v_div_fmas_f64 v[16:17], v[16:17], v[18:19], v[22:23]
	v_div_fixup_f64 v[16:17], v[16:17], v[14:15], s[60:61]
	v_add_f64 v[16:17], -v[16:17], s[64:65]
	v_div_scale_f64 v[18:19], s[2:3], v[14:15], v[14:15], v[16:17]
	v_rcp_f64_e32 v[20:21], v[18:19]
	v_cndmask_b32_e64 v22, 0, v76, s[0:1]
	v_sub_f32_e32 v2, v2, v22
	v_add_f64 v[12:13], v[12:13], 0.5
	v_fma_f64 v[30:31], -v[18:19], v[20:21], 1.0
	v_fmac_f64_e32 v[20:21], v[20:21], v[30:31]
	v_fma_f64 v[30:31], -v[18:19], v[20:21], 1.0
	v_fmac_f64_e32 v[20:21], v[20:21], v[30:31]
	v_div_scale_f64 v[30:31], vcc, v[16:17], v[14:15], v[16:17]
	v_mul_f64 v[32:33], v[30:31], v[20:21]
	v_fma_f64 v[18:19], -v[18:19], v[32:33], v[30:31]
	v_cvt_f64_f32_e32 v[22:23], v2
	s_nop 0
	v_div_fmas_f64 v[18:19], v[18:19], v[20:21], v[32:33]
	v_div_fixup_f64 v[14:15], v[18:19], v[14:15], v[16:17]
	v_add_f64 v[14:15], -v[14:15], s[66:67]
	v_cvt_f64_f32_e32 v[16:17], v89
	v_div_scale_f64 v[18:19], s[0:1], v[16:17], v[16:17], v[14:15]
	v_rcp_f64_e32 v[20:21], v[18:19]
	v_mul_f64 v[30:31], v[12:13], v[22:23]
	v_mul_f32_e32 v2, v86, v86
	s_getpc_b64 s[4:5]
	s_add_u32 s4, s4, _ZZN12_GLOBAL__N_120stirling_approx_tailIfEET_S1_E11kTailValues.const@rel32@lo+4
	s_addc_u32 s5, s5, _ZZN12_GLOBAL__N_120stirling_approx_tailIfEET_S1_E11kTailValues.const@rel32@hi+12
	v_fma_f64 v[12:13], -v[18:19], v[20:21], 1.0
	v_fmac_f64_e32 v[20:21], v[20:21], v[12:13]
	v_fma_f64 v[12:13], -v[18:19], v[20:21], 1.0
	v_fmac_f64_e32 v[20:21], v[20:21], v[12:13]
	v_div_scale_f64 v[12:13], vcc, v[14:15], v[16:17], v[14:15]
	v_mul_f64 v[22:23], v[12:13], v[20:21]
	v_fma_f64 v[12:13], -v[18:19], v[22:23], v[12:13]
	v_cvt_f64_f32_e32 v[18:19], v2
	s_nop 0
	v_div_fmas_f64 v[12:13], v[12:13], v[20:21], v[22:23]
	v_div_scale_f64 v[20:21], s[2:3], v[18:19], v[18:19], s[60:61]
	v_rcp_f64_e32 v[22:23], v[20:21]
	v_div_fixup_f64 v[12:13], v[12:13], v[16:17], v[14:15]
	v_cvt_f32_f64_e32 v91, v[12:13]
	v_cvt_u32_f32_e32 v2, v80
	v_fma_f64 v[12:13], -v[20:21], v[22:23], 1.0
	v_fmac_f64_e32 v[22:23], v[22:23], v[12:13]
	v_fma_f64 v[12:13], -v[20:21], v[22:23], 1.0
	v_fmac_f64_e32 v[22:23], v[22:23], v[12:13]
	v_div_scale_f64 v[12:13], vcc, s[60:61], v[18:19], s[60:61]
	v_mul_f64 v[14:15], v[12:13], v[22:23]
	v_fma_f64 v[12:13], -v[20:21], v[14:15], v[12:13]
	v_lshlrev_b64 v[20:21], 2, v[2:3]
	s_nop 0
	v_div_fmas_f64 v[12:13], v[12:13], v[22:23], v[14:15]
	v_div_fixup_f64 v[12:13], v[12:13], v[18:19], s[60:61]
	v_add_f64 v[12:13], -v[12:13], s[64:65]
	v_div_scale_f64 v[14:15], s[2:3], v[18:19], v[18:19], v[12:13]
	v_rcp_f64_e32 v[16:17], v[14:15]
	v_mov_b32_e32 v2, s5
	v_cvt_f32_f16_e32 v90, v34
	v_add_f32_e32 v88, v82, v82
	v_fma_f64 v[22:23], -v[14:15], v[16:17], 1.0
	v_fmac_f64_e32 v[16:17], v[16:17], v[22:23]
	v_fma_f64 v[22:23], -v[14:15], v[16:17], 1.0
	v_fmac_f64_e32 v[16:17], v[16:17], v[22:23]
	v_div_scale_f64 v[22:23], vcc, v[12:13], v[18:19], v[12:13]
	v_mul_f64 v[32:33], v[22:23], v[16:17]
	v_fma_f64 v[14:15], -v[14:15], v[32:33], v[22:23]
	v_cmp_gt_f16_e64 s[0:1], s84, v35
	s_nop 0
	v_div_fmas_f64 v[14:15], v[14:15], v[16:17], v[32:33]
	v_div_fixup_f64 v[12:13], v[14:15], v[18:19], v[12:13]
	v_add_f64 v[12:13], -v[12:13], s[66:67]
	v_cvt_f64_f32_e32 v[14:15], v86
	v_div_scale_f64 v[16:17], s[2:3], v[14:15], v[14:15], v[12:13]
	v_rcp_f64_e32 v[18:19], v[16:17]
	v_add_co_u32_e32 v32, vcc, s4, v20
	v_addc_co_u32_e32 v33, vcc, v21, v2, vcc
	v_fma_f64 v[20:21], -v[16:17], v[18:19], 1.0
	v_fmac_f64_e32 v[18:19], v[18:19], v[20:21]
	v_fma_f64 v[20:21], -v[16:17], v[18:19], 1.0
	v_fmac_f64_e32 v[18:19], v[18:19], v[20:21]
	v_div_scale_f64 v[20:21], vcc, v[12:13], v[14:15], v[12:13]
	v_mul_f64 v[22:23], v[20:21], v[18:19]
	v_fma_f64 v[16:17], -v[16:17], v[22:23], v[20:21]
	v_trunc_f32_e32 v20, v92
	v_mul_f32_e32 v21, 0x2f800000, v20
	v_floor_f32_e32 v21, v21
	v_fmac_f32_e32 v20, 0xcf800000, v21
	v_cvt_u32_f32_e32 v20, v20
	v_cvt_u32_f32_e32 v21, v21
	v_div_fmas_f64 v[16:17], v[16:17], v[18:19], v[22:23]
	v_div_fixup_f64 v[12:13], v[16:17], v[14:15], v[12:13]
	v_cmp_gt_f32_e64 s[2:3], s89, v92
	v_cvt_f32_f64_e32 v92, v[12:13]
	v_lshlrev_b64 v[12:13], 2, v[20:21]
	v_add_co_u32_e32 v34, vcc, s4, v12
	v_pk_mov_b32 v[18:19], v[10:11], v[10:11] op_sel:[0,1]
	v_addc_co_u32_e32 v35, vcc, v13, v2, vcc
	s_mov_b64 s[70:71], 0
	s_mov_b64 s[72:73], 0
	v_pk_mov_b32 v[16:17], v[8:9], v[8:9] op_sel:[0,1]
	s_branch .LBB106_49
.LBB106_47:                             ;   in Loop: Header=BB106_49 Depth=2
	s_or_b64 exec, exec, s[4:5]
	v_add_f16_e32 v21, 1.0, v21
	v_cvt_f32_f16_e32 v21, v21
	v_div_scale_f32 v22, s[4:5], v21, v21, v86
	v_rcp_f32_e32 v23, v22
	v_div_scale_f32 v79, vcc, v86, v21, v86
	v_fma_f32 v94, -v22, v23, 1.0
	v_fmac_f32_e32 v23, v94, v23
	v_mul_f32_e32 v94, v79, v23
	v_fma_f32 v95, -v22, v94, v79
	v_fmac_f32_e32 v94, v95, v23
	v_fma_f32 v22, -v22, v94, v79
	v_div_fmas_f32 v22, v22, v23, v94
	v_div_fixup_f32 v22, v22, v21, v86
	v_cmp_gt_f32_e32 vcc, s86, v22
	v_cndmask_b32_e32 v23, 1.0, v75, vcc
	v_mul_f32_e32 v22, v22, v23
	v_log_f32_e32 v22, v22
	v_add_f16_e32 v23, 1.0, v80
	v_cvt_f32_f16_e32 v79, v23
	v_cndmask_b32_e32 v23, 0, v76, vcc
	v_mul_f32_e32 v94, 0x3f317217, v22
	v_fma_f32 v95, v22, s87, -v94
	v_fmac_f32_e32 v95, 0x3377d1cf, v22
	v_add_f32_e32 v94, v94, v95
	v_cmp_lt_f32_e64 vcc, |v22|, s88
	v_mul_f32_e32 v21, v85, v21
	v_cndmask_b32_e32 v22, v22, v94, vcc
	v_div_scale_f32 v94, s[4:5], v79, v79, v21
	v_rcp_f32_e32 v95, v94
	v_sub_f32_e32 v22, v22, v23
	v_mul_f32_e32 v22, v22, v90
	v_cvt_f64_f32_e32 v[22:23], v22
	v_fma_f32 v96, -v94, v95, 1.0
	v_fmac_f32_e32 v95, v96, v95
	v_div_scale_f32 v96, vcc, v21, v79, v21
	v_mul_f32_e32 v97, v96, v95
	v_fma_f32 v98, -v94, v97, v96
	v_fmac_f32_e32 v97, v98, v95
	v_fma_f32 v94, -v94, v97, v96
	v_div_fmas_f32 v94, v94, v95, v97
	v_div_fixup_f32 v21, v94, v79, v21
	v_cmp_gt_f32_e32 vcc, s86, v21
	v_cndmask_b32_e32 v79, 1.0, v75, vcc
	v_mul_f32_e32 v21, v21, v79
	v_log_f32_e32 v21, v21
	v_cvt_f64_f32_e32 v[94:95], v19
	v_add_f64 v[22:23], v[30:31], v[22:23]
	v_add_f64 v[94:95], v[94:95], 0.5
	v_mul_f32_e32 v19, 0x3f317217, v21
	v_fma_f32 v79, v21, s87, -v19
	v_fmac_f32_e32 v79, 0x3377d1cf, v21
	v_add_f32_e32 v19, v19, v79
	v_cmp_lt_f32_e64 s[4:5], |v21|, s88
	v_cndmask_b32_e64 v19, v21, v19, s[4:5]
	v_cndmask_b32_e32 v21, 0, v76, vcc
	v_sub_f32_e32 v19, v19, v21
	v_mul_f32_e32 v21, v93, v93
	v_div_scale_f32 v79, s[4:5], v21, v21, v82
	v_rcp_f32_e32 v93, v79
	v_cvt_f64_f32_e32 v[96:97], v19
	v_fmac_f64_e32 v[22:23], v[94:95], v[96:97]
	v_mul_f32_e32 v94, v16, v87
	v_fma_f32 v16, -v79, v93, 1.0
	v_fmac_f32_e32 v93, v16, v93
	v_div_scale_f32 v16, vcc, v82, v21, v82
	v_mul_f32_e32 v19, v16, v93
	v_fma_f32 v95, -v79, v19, v16
	v_fmac_f32_e32 v19, v95, v93
	v_fma_f32 v16, -v79, v19, v16
	v_div_fmas_f32 v16, v16, v93, v19
	v_div_fixup_f32 v16, v16, v21, v82
	v_add_f32_e32 v21, v16, v81
	v_div_scale_f32 v79, s[4:5], v21, v21, v94
	v_rcp_f32_e32 v93, v79
	s_waitcnt vmcnt(0)
	v_cvt_f64_f32_e32 v[16:17], v17
	v_add_f64 v[16:17], v[22:23], v[16:17]
	v_cvt_f64_f32_e32 v[18:19], v18
	v_fma_f32 v22, -v79, v93, 1.0
	v_fmac_f32_e32 v93, v22, v93
	v_div_scale_f32 v22, vcc, v94, v21, v94
	v_mul_f32_e32 v23, v22, v93
	v_fma_f32 v95, -v79, v23, v22
	v_fmac_f32_e32 v23, v95, v93
	v_fma_f32 v22, -v79, v23, v22
	v_div_fmas_f32 v22, v22, v93, v23
	v_div_fixup_f32 v21, v22, v21, v94
	v_cmp_gt_f32_e32 vcc, s86, v21
	v_cndmask_b32_e32 v22, 1.0, v75, vcc
	v_mul_f32_e32 v21, v21, v22
	v_log_f32_e32 v21, v21
	v_add_f64 v[16:17], v[16:17], v[18:19]
	v_cvt_f64_f32_e32 v[18:19], v20
	v_add_f64 v[16:17], v[16:17], -v[18:19]
	v_mul_f32_e32 v18, 0x3f317217, v21
	v_fma_f32 v19, v21, s87, -v18
	v_fmac_f32_e32 v19, 0x3377d1cf, v21
	v_add_f32_e32 v18, v18, v19
	v_cmp_lt_f32_e64 s[4:5], |v21|, s88
	v_cndmask_b32_e64 v18, v21, v18, s[4:5]
	v_cndmask_b32_e32 v19, 0, v76, vcc
	v_sub_f32_e32 v20, v18, v19
	v_cvt_f64_f32_e32 v[18:19], v2
	v_add_f64 v[16:17], v[16:17], -v[18:19]
	v_cvt_f32_f64_e32 v2, v[16:17]
	v_cmp_le_f32_e32 vcc, v20, v2
	s_orn2_b64 s[4:5], vcc, exec
.LBB106_48:                             ;   in Loop: Header=BB106_49 Depth=2
	s_or_b64 exec, exec, s[72:73]
	s_and_b64 s[4:5], exec, s[4:5]
	v_pk_mov_b32 v[18:19], v[14:15], v[14:15] op_sel:[0,1]
	s_or_b64 s[70:71], s[4:5], s[70:71]
	s_mov_b64 s[72:73], 0
	v_mov_b32_e32 v79, v89
	v_pk_mov_b32 v[16:17], v[12:13], v[12:13] op_sel:[0,1]
	s_andn2_b64 exec, exec, s[70:71]
	s_cbranch_execz .LBB106_67
.LBB106_49:                             ;   Parent Loop BB106_27 Depth=1
                                        ; =>  This Inner Loop Header: Depth=2
	v_add_u32_e32 v2, 1, v79
	v_pk_mov_b32 v[22:23], v[18:19], v[18:19] op_sel:[0,1]
	v_cmp_eq_u32_e32 vcc, 4, v2
	v_pk_mov_b32 v[20:21], v[16:17], v[16:17] op_sel:[0,1]
	s_and_saveexec_b64 s[4:5], vcc
	s_cbranch_execz .LBB106_51
; %bb.50:                               ;   in Loop: Header=BB106_49 Depth=2
	v_add_co_u32_e32 v4, vcc, 1, v4
	v_cndmask_b32_e64 v8, 0, 1, vcc
	v_addc_co_u32_e32 v5, vcc, 0, v5, vcc
	v_cmp_eq_u32_e32 vcc, 0, v5
	v_cndmask_b32_e32 v8, 0, v8, vcc
	v_add_u32_e32 v6, v8, v6
	v_cmp_eq_u32_e32 vcc, 0, v6
	v_cndmask_b32_e32 v8, 0, v8, vcc
	v_add_u32_e32 v7, v8, v7
	v_mad_u64_u32 v[8:9], s[74:75], v4, s82, 0
	v_mad_u64_u32 v[10:11], s[74:75], v6, s83, 0
	v_xor_b32_e32 v11, v11, v24
	v_xor_b32_e32 v9, v9, v25
	v_xor_b32_e32 v11, v5, v11
	v_xor_b32_e32 v9, v7, v9
	v_mad_u64_u32 v[12:13], s[74:75], v11, s82, 0
	v_mad_u64_u32 v[14:15], s[74:75], v9, s83, 0
	v_xor_b32_e32 v9, v15, v10
	v_xor_b32_e32 v8, v13, v8
	v_xor_b32_e32 v9, v57, v9
	v_xor_b32_e32 v10, v58, v8
	;; [unrolled: 6-line block ×9, first 2 shown]
	v_mad_u64_u32 v[12:13], s[74:75], v9, s82, 0
	v_mad_u64_u32 v[14:15], s[74:75], v11, s83, 0
	v_xor_b32_e32 v9, v13, v10
	v_xor_b32_e32 v8, v15, v8
	v_xor_b32_e32 v10, v56, v9
	v_mov_b32_e32 v11, v12
	v_xor_b32_e32 v8, v55, v8
	v_mov_b32_e32 v9, v14
	v_pk_mov_b32 v[22:23], v[10:11], v[10:11] op_sel:[0,1]
	v_mov_b32_e32 v2, 0
	v_pk_mov_b32 v[20:21], v[8:9], v[8:9] op_sel:[0,1]
.LBB106_51:                             ;   in Loop: Header=BB106_49 Depth=2
	s_or_b64 exec, exec, s[4:5]
	v_add_u32_e32 v89, 1, v2
	v_pk_mov_b32 v[12:13], v[20:21], v[20:21] op_sel:[0,1]
	v_cmp_eq_u32_e32 vcc, 4, v89
	v_pk_mov_b32 v[14:15], v[22:23], v[22:23] op_sel:[0,1]
	s_and_saveexec_b64 s[4:5], vcc
	s_cbranch_execz .LBB106_53
; %bb.52:                               ;   in Loop: Header=BB106_49 Depth=2
	v_add_co_u32_e32 v4, vcc, 1, v4
	v_cndmask_b32_e64 v8, 0, 1, vcc
	v_addc_co_u32_e32 v5, vcc, 0, v5, vcc
	v_cmp_eq_u32_e32 vcc, 0, v5
	v_cndmask_b32_e32 v8, 0, v8, vcc
	v_add_u32_e32 v6, v8, v6
	v_cmp_eq_u32_e32 vcc, 0, v6
	v_cndmask_b32_e32 v8, 0, v8, vcc
	v_add_u32_e32 v7, v8, v7
	v_mad_u64_u32 v[8:9], s[74:75], v4, s82, 0
	v_mad_u64_u32 v[10:11], s[74:75], v6, s83, 0
	v_xor_b32_e32 v11, v11, v24
	v_xor_b32_e32 v9, v9, v25
	v_xor_b32_e32 v11, v5, v11
	v_xor_b32_e32 v9, v7, v9
	v_mad_u64_u32 v[12:13], s[74:75], v11, s82, 0
	v_mad_u64_u32 v[14:15], s[74:75], v9, s83, 0
	v_xor_b32_e32 v9, v15, v10
	v_xor_b32_e32 v8, v13, v8
	v_xor_b32_e32 v9, v57, v9
	v_xor_b32_e32 v10, v58, v8
	;; [unrolled: 6-line block ×9, first 2 shown]
	v_mad_u64_u32 v[12:13], s[74:75], v9, s82, 0
	v_mad_u64_u32 v[14:15], s[74:75], v11, s83, 0
	v_xor_b32_e32 v9, v13, v10
	v_xor_b32_e32 v8, v15, v8
	v_xor_b32_e32 v10, v56, v9
	v_mov_b32_e32 v11, v12
	v_xor_b32_e32 v8, v55, v8
	v_mov_b32_e32 v9, v14
	v_pk_mov_b32 v[14:15], v[10:11], v[10:11] op_sel:[0,1]
	v_mov_b32_e32 v89, 0
	v_pk_mov_b32 v[12:13], v[8:9], v[8:9] op_sel:[0,1]
.LBB106_53:                             ;   in Loop: Header=BB106_49 Depth=2
	s_or_b64 exec, exec, s[4:5]
	v_cmp_eq_u32_e32 vcc, 1, v79
	v_cndmask_b32_e32 v16, v16, v17, vcc
	v_cmp_eq_u32_e32 vcc, 2, v79
	v_cndmask_b32_e32 v16, v16, v18, vcc
	;; [unrolled: 2-line block ×3, first 2 shown]
	v_and_b32_e32 v16, 0xffffff, v16
	v_cvt_f32_u32_e32 v16, v16
	v_fma_f32 v16, v16, s90, -0.5
	v_sub_f32_e64 v93, 0.5, |v16|
	v_div_scale_f32 v17, s[4:5], v93, v93, v88
	v_rcp_f32_e32 v18, v17
	v_div_scale_f32 v19, vcc, v88, v93, v88
	v_fma_f32 v79, -v17, v18, 1.0
	v_fmac_f32_e32 v18, v79, v18
	v_mul_f32_e32 v79, v19, v18
	v_fma_f32 v80, -v17, v79, v19
	v_fmac_f32_e32 v79, v80, v18
	v_fma_f32 v17, -v17, v79, v19
	v_div_fmas_f32 v17, v17, v18, v79
	v_div_fixup_f32 v17, v17, v93, v88
	v_add_f32_e32 v17, v17, v81
	v_fma_f32 v16, v16, v17, v83
	v_floor_f32_e32 v16, v16
	v_cvt_f16_f32_e32 v80, v16
	v_pk_mov_b32 v[18:19], v[14:15], v[14:15] op_sel:[0,1]
	v_mov_b32_e32 v79, v89
	v_pk_mov_b32 v[16:17], v[12:13], v[12:13] op_sel:[0,1]
	v_cmp_ngt_f16_e32 vcc, 0, v80
	v_cmp_ngt_f16_e64 s[4:5], v80, v1
	s_and_b64 s[4:5], vcc, s[4:5]
	s_and_b64 s[4:5], exec, s[4:5]
	s_or_b64 s[72:73], s[4:5], s[72:73]
	s_andn2_b64 exec, exec, s[72:73]
	s_cbranch_execnz .LBB106_49
; %bb.54:                               ;   in Loop: Header=BB106_49 Depth=2
	s_or_b64 exec, exec, s[72:73]
	v_cmp_eq_u32_e32 vcc, 1, v2
	v_cndmask_b32_e32 v16, v20, v21, vcc
	v_cmp_eq_u32_e32 vcc, 2, v2
	v_cndmask_b32_e32 v16, v16, v22, vcc
	;; [unrolled: 2-line block ×3, first 2 shown]
	v_and_b32_e32 v2, 0xffffff, v2
	v_cvt_f32_u32_e32 v2, v2
	v_cvt_f64_f32_e32 v[18:19], v93
	v_cmp_nle_f64_e32 vcc, s[68:69], v[18:19]
	v_mul_f32_e32 v16, 0x33800000, v2
	v_cmp_nle_f32_e64 s[4:5], v16, v84
	s_or_b64 s[74:75], vcc, s[4:5]
	s_mov_b64 s[4:5], -1
	s_and_saveexec_b64 s[72:73], s[74:75]
	s_cbranch_execz .LBB106_48
; %bb.55:                               ;   in Loop: Header=BB106_49 Depth=2
	v_mov_b32_e32 v17, v91
	s_and_saveexec_b64 s[4:5], s[0:1]
	s_cbranch_execz .LBB106_57
; %bb.56:                               ;   in Loop: Header=BB106_49 Depth=2
	global_load_dword v17, v[32:33], off
.LBB106_57:                             ;   in Loop: Header=BB106_49 Depth=2
	s_or_b64 exec, exec, s[4:5]
	v_mov_b32_e32 v18, v92
	s_and_saveexec_b64 s[4:5], s[2:3]
	s_cbranch_execz .LBB106_59
; %bb.58:                               ;   in Loop: Header=BB106_49 Depth=2
	global_load_dword v18, v[34:35], off
.LBB106_59:                             ;   in Loop: Header=BB106_49 Depth=2
	s_or_b64 exec, exec, s[4:5]
	v_cvt_f32_f16_e32 v19, v80
	v_cmp_ngt_f16_e32 vcc, s84, v80
                                        ; implicit-def: $vgpr20
	s_and_saveexec_b64 s[4:5], vcc
	s_xor_b64 s[4:5], exec, s[4:5]
	s_cbranch_execz .LBB106_61
; %bb.60:                               ;   in Loop: Header=BB106_49 Depth=2
	v_add_f32_e32 v2, 1.0, v19
	v_mul_f32_e32 v20, v2, v2
	v_cvt_f64_f32_e32 v[20:21], v20
	v_div_scale_f64 v[22:23], s[74:75], v[20:21], v[20:21], s[62:63]
	v_rcp_f64_e32 v[94:95], v[22:23]
	v_div_scale_f64 v[96:97], vcc, s[62:63], v[20:21], s[62:63]
	v_fma_f64 v[98:99], -v[22:23], v[94:95], 1.0
	v_fmac_f64_e32 v[94:95], v[94:95], v[98:99]
	v_fma_f64 v[98:99], -v[22:23], v[94:95], 1.0
	v_fmac_f64_e32 v[94:95], v[94:95], v[98:99]
	v_mul_f64 v[98:99], v[96:97], v[94:95]
	v_fma_f64 v[22:23], -v[22:23], v[98:99], v[96:97]
	v_div_fmas_f64 v[22:23], v[22:23], v[94:95], v[98:99]
	v_div_fixup_f64 v[22:23], v[22:23], v[20:21], s[62:63]
	v_add_f64 v[22:23], v[22:23], s[64:65]
	v_div_scale_f64 v[94:95], s[74:75], v[20:21], v[20:21], v[22:23]
	v_rcp_f64_e32 v[96:97], v[94:95]
	v_fma_f64 v[98:99], -v[94:95], v[96:97], 1.0
	v_fmac_f64_e32 v[96:97], v[96:97], v[98:99]
	v_fma_f64 v[98:99], -v[94:95], v[96:97], 1.0
	v_fmac_f64_e32 v[96:97], v[96:97], v[98:99]
	v_div_scale_f64 v[98:99], vcc, v[22:23], v[20:21], v[22:23]
	v_mul_f64 v[100:101], v[98:99], v[96:97]
	v_fma_f64 v[94:95], -v[94:95], v[100:101], v[98:99]
	s_nop 1
	v_div_fmas_f64 v[94:95], v[94:95], v[96:97], v[100:101]
	v_div_fixup_f64 v[20:21], v[94:95], v[20:21], v[22:23]
	v_add_f64 v[20:21], -v[20:21], s[66:67]
	v_cvt_f64_f32_e32 v[22:23], v2
	v_div_scale_f64 v[94:95], s[74:75], v[22:23], v[22:23], v[20:21]
	v_rcp_f64_e32 v[96:97], v[94:95]
	v_fma_f64 v[98:99], -v[94:95], v[96:97], 1.0
	v_fmac_f64_e32 v[96:97], v[96:97], v[98:99]
	v_fma_f64 v[98:99], -v[94:95], v[96:97], 1.0
	v_fmac_f64_e32 v[96:97], v[96:97], v[98:99]
	v_div_scale_f64 v[98:99], vcc, v[20:21], v[22:23], v[20:21]
	v_mul_f64 v[100:101], v[98:99], v[96:97]
	v_fma_f64 v[94:95], -v[94:95], v[100:101], v[98:99]
	s_nop 1
	v_div_fmas_f64 v[94:95], v[94:95], v[96:97], v[100:101]
	v_div_fixup_f64 v[20:21], v[94:95], v[22:23], v[20:21]
	v_cvt_f32_f64_e32 v20, v[20:21]
.LBB106_61:                             ;   in Loop: Header=BB106_49 Depth=2
	s_andn2_saveexec_b64 s[4:5], s[4:5]
	s_cbranch_execz .LBB106_63
; %bb.62:                               ;   in Loop: Header=BB106_49 Depth=2
	v_cvt_u32_f32_e32 v2, v19
	s_getpc_b64 s[74:75]
	s_add_u32 s74, s74, _ZZN12_GLOBAL__N_120stirling_approx_tailIfEET_S1_E11kTailValues.const@rel32@lo+4
	s_addc_u32 s75, s75, _ZZN12_GLOBAL__N_120stirling_approx_tailIfEET_S1_E11kTailValues.const@rel32@hi+12
	v_mov_b32_e32 v22, s75
	v_lshlrev_b64 v[20:21], 2, v[2:3]
	v_add_co_u32_e32 v20, vcc, s74, v20
	v_addc_co_u32_e32 v21, vcc, v21, v22, vcc
	global_load_dword v20, v[20:21], off
.LBB106_63:                             ;   in Loop: Header=BB106_49 Depth=2
	s_or_b64 exec, exec, s[4:5]
	v_sub_f16_e32 v21, v1, v80
	v_cvt_f32_f16_e32 v22, v21
	v_cmp_ngt_f16_e32 vcc, s84, v21
                                        ; implicit-def: $vgpr2
	s_and_saveexec_b64 s[4:5], vcc
	s_xor_b64 s[4:5], exec, s[4:5]
	s_cbranch_execz .LBB106_65
; %bb.64:                               ;   in Loop: Header=BB106_49 Depth=2
	v_add_f32_e32 v2, 1.0, v22
	v_mul_f32_e32 v22, v2, v2
	v_cvt_f64_f32_e32 v[22:23], v22
	v_div_scale_f64 v[94:95], s[74:75], v[22:23], v[22:23], s[62:63]
	v_rcp_f64_e32 v[96:97], v[94:95]
	v_div_scale_f64 v[98:99], vcc, s[62:63], v[22:23], s[62:63]
	v_fma_f64 v[100:101], -v[94:95], v[96:97], 1.0
	v_fmac_f64_e32 v[96:97], v[96:97], v[100:101]
	v_fma_f64 v[100:101], -v[94:95], v[96:97], 1.0
	v_fmac_f64_e32 v[96:97], v[96:97], v[100:101]
	v_mul_f64 v[100:101], v[98:99], v[96:97]
	v_fma_f64 v[94:95], -v[94:95], v[100:101], v[98:99]
	v_div_fmas_f64 v[94:95], v[94:95], v[96:97], v[100:101]
	v_div_fixup_f64 v[94:95], v[94:95], v[22:23], s[62:63]
	v_add_f64 v[94:95], v[94:95], s[64:65]
	v_div_scale_f64 v[96:97], s[74:75], v[22:23], v[22:23], v[94:95]
	v_rcp_f64_e32 v[98:99], v[96:97]
	v_fma_f64 v[100:101], -v[96:97], v[98:99], 1.0
	v_fmac_f64_e32 v[98:99], v[98:99], v[100:101]
	v_fma_f64 v[100:101], -v[96:97], v[98:99], 1.0
	v_fmac_f64_e32 v[98:99], v[98:99], v[100:101]
	v_div_scale_f64 v[100:101], vcc, v[94:95], v[22:23], v[94:95]
	v_mul_f64 v[102:103], v[100:101], v[98:99]
	v_fma_f64 v[96:97], -v[96:97], v[102:103], v[100:101]
	s_nop 1
	v_div_fmas_f64 v[96:97], v[96:97], v[98:99], v[102:103]
	v_div_fixup_f64 v[22:23], v[96:97], v[22:23], v[94:95]
	v_add_f64 v[22:23], -v[22:23], s[66:67]
	v_cvt_f64_f32_e32 v[94:95], v2
	v_div_scale_f64 v[96:97], s[74:75], v[94:95], v[94:95], v[22:23]
	v_rcp_f64_e32 v[98:99], v[96:97]
	v_fma_f64 v[100:101], -v[96:97], v[98:99], 1.0
	v_fmac_f64_e32 v[98:99], v[98:99], v[100:101]
	v_fma_f64 v[100:101], -v[96:97], v[98:99], 1.0
	v_fmac_f64_e32 v[98:99], v[98:99], v[100:101]
	v_div_scale_f64 v[100:101], vcc, v[22:23], v[94:95], v[22:23]
	v_mul_f64 v[102:103], v[100:101], v[98:99]
	v_fma_f64 v[96:97], -v[96:97], v[102:103], v[100:101]
	s_nop 1
	v_div_fmas_f64 v[96:97], v[96:97], v[98:99], v[102:103]
	v_div_fixup_f64 v[22:23], v[96:97], v[94:95], v[22:23]
	v_cvt_f32_f64_e32 v2, v[22:23]
                                        ; implicit-def: $vgpr22
.LBB106_65:                             ;   in Loop: Header=BB106_49 Depth=2
	s_andn2_saveexec_b64 s[4:5], s[4:5]
	s_cbranch_execz .LBB106_47
; %bb.66:                               ;   in Loop: Header=BB106_49 Depth=2
	v_cvt_u32_f32_e32 v2, v22
	s_getpc_b64 s[74:75]
	s_add_u32 s74, s74, _ZZN12_GLOBAL__N_120stirling_approx_tailIfEET_S1_E11kTailValues.const@rel32@lo+4
	s_addc_u32 s75, s75, _ZZN12_GLOBAL__N_120stirling_approx_tailIfEET_S1_E11kTailValues.const@rel32@hi+12
	v_mov_b32_e32 v79, s75
	v_lshlrev_b64 v[22:23], 2, v[2:3]
	v_add_co_u32_e32 v22, vcc, s74, v22
	v_addc_co_u32_e32 v23, vcc, v23, v79, vcc
	global_load_dword v2, v[22:23], off
	s_branch .LBB106_47
.LBB106_67:                             ;   in Loop: Header=BB106_27 Depth=1
	s_or_b64 exec, exec, s[70:71]
                                        ; implicit-def: $vgpr2
                                        ; implicit-def: $vgpr79
                                        ; implicit-def: $vgpr12
.LBB106_68:                             ;   in Loop: Header=BB106_27 Depth=1
	s_andn2_saveexec_b64 s[0:1], s[22:23]
	s_cbranch_execz .LBB106_74
; %bb.69:                               ;   in Loop: Header=BB106_27 Depth=1
	v_cvt_f32_f16_e64 v1, -v12
	s_mov_b64 s[2:3], 0
	v_add_f32_e32 v13, 1.0, v1
	v_frexp_mant_f32_e32 v17, v13
	v_cvt_f64_f32_e32 v[14:15], v13
	v_add_f32_e32 v16, -1.0, v13
	v_frexp_exp_i32_f64_e32 v14, v[14:15]
	v_cmp_gt_f32_e32 vcc, s91, v17
	v_sub_f32_e32 v18, v16, v13
	v_subbrev_co_u32_e32 v14, vcc, 0, v14, vcc
	v_sub_f32_e32 v16, v1, v16
	v_add_f32_e32 v18, 1.0, v18
	v_sub_u32_e32 v15, 0, v14
	v_add_f32_e32 v16, v16, v18
	v_ldexp_f32 v13, v13, v15
	v_ldexp_f32 v15, v16, v15
	v_add_f32_e32 v16, -1.0, v13
	v_add_f32_e32 v19, 1.0, v13
	v_add_f32_e32 v17, 1.0, v16
	v_add_f32_e32 v20, -1.0, v19
	v_sub_f32_e32 v17, v13, v17
	v_sub_f32_e32 v13, v13, v20
	v_add_f32_e32 v13, v15, v13
	v_add_f32_e32 v17, v15, v17
	;; [unrolled: 1-line block ×3, first 2 shown]
	v_rcp_f32_e32 v20, v15
	v_add_f32_e32 v18, v16, v17
	v_sub_f32_e32 v16, v18, v16
	v_sub_f32_e32 v16, v17, v16
	;; [unrolled: 1-line block ×4, first 2 shown]
	v_mul_f32_e32 v17, v18, v20
	v_mul_f32_e32 v19, v15, v17
	v_fma_f32 v21, v17, v15, -v19
	v_fmac_f32_e32 v21, v17, v13
	v_add_f32_e32 v22, v19, v21
	v_sub_f32_e32 v23, v18, v22
	v_sub_f32_e32 v18, v18, v23
	;; [unrolled: 1-line block ×4, first 2 shown]
	v_add_f32_e32 v16, v16, v18
	v_sub_f32_e32 v18, v19, v21
	v_add_f32_e32 v16, v18, v16
	v_add_f32_e32 v18, v23, v16
	v_mul_f32_e32 v19, v20, v18
	v_mul_f32_e32 v21, v15, v19
	v_fma_f32 v15, v19, v15, -v21
	v_fmac_f32_e32 v15, v19, v13
	v_sub_f32_e32 v13, v23, v18
	v_add_f32_e32 v13, v16, v13
	v_add_f32_e32 v16, v21, v15
	v_sub_f32_e32 v22, v18, v16
	v_sub_f32_e32 v18, v18, v22
	;; [unrolled: 1-line block ×4, first 2 shown]
	v_add_f32_e32 v13, v13, v16
	v_sub_f32_e32 v15, v21, v15
	v_cvt_f32_i32_e32 v14, v14
	v_add_f32_e32 v13, v15, v13
	v_add_f32_e32 v15, v17, v19
	;; [unrolled: 1-line block ×3, first 2 shown]
	v_sub_f32_e32 v16, v15, v17
	v_mul_f32_e32 v13, v20, v13
	v_sub_f32_e32 v16, v19, v16
	v_add_f32_e32 v13, v16, v13
	v_mul_f32_e32 v19, 0x3f317218, v14
	v_add_f32_e32 v16, v15, v13
	v_fma_f32 v20, v14, s92, -v19
	v_mul_f32_e32 v17, v16, v16
	v_mov_b32_e32 v18, 0x3ecc95a3
	v_fmac_f32_e32 v20, 0xb102e308, v14
	v_sub_f32_e32 v14, v16, v15
	v_fmac_f32_e32 v18, 0x3e9b6dac, v17
	v_sub_f32_e32 v13, v13, v14
	v_add_f32_e32 v14, v19, v20
	v_fma_f32 v18, v17, v18, v74
	v_sub_f32_e32 v15, v14, v19
	v_ldexp_f32 v19, v16, 1
	v_mul_f32_e32 v16, v16, v17
	v_mul_f32_e32 v16, v16, v18
	v_add_f32_e32 v17, v19, v16
	v_sub_f32_e32 v18, v17, v19
	v_ldexp_f32 v13, v13, 1
	v_sub_f32_e32 v16, v16, v18
	v_add_f32_e32 v13, v13, v16
	v_add_f32_e32 v16, v17, v13
	v_sub_f32_e32 v17, v16, v17
	v_sub_f32_e32 v13, v13, v17
	v_add_f32_e32 v17, v14, v16
	v_sub_f32_e32 v18, v17, v14
	v_sub_f32_e32 v19, v17, v18
	;; [unrolled: 1-line block ×5, first 2 shown]
	v_add_f32_e32 v14, v16, v14
	v_add_f32_e32 v16, v15, v13
	v_sub_f32_e32 v18, v16, v15
	v_sub_f32_e32 v19, v16, v18
	;; [unrolled: 1-line block ×4, first 2 shown]
	v_add_f32_e32 v14, v16, v14
	v_add_f32_e32 v13, v13, v15
	;; [unrolled: 1-line block ×3, first 2 shown]
	v_sub_f32_e32 v16, v15, v17
	v_sub_f32_e32 v14, v14, v16
	v_add_f32_e32 v13, v13, v14
	v_add_f32_e32 v13, v15, v13
	v_cmp_nlt_f16_e32 vcc, 1.0, v12
	v_cndmask_b32_e32 v13, v77, v13, vcc
	v_cmp_neq_f16_e32 vcc, 1.0, v12
	v_cndmask_b32_e32 v12, v78, v13, vcc
	v_cmp_lt_f32_e64 vcc, |v1|, s90
	v_cndmask_b32_e32 v1, v12, v1, vcc
	v_pk_mov_b32 v[14:15], v[10:11], v[10:11] op_sel:[0,1]
	v_mov_b32_e32 v17, 0
	v_mov_b32_e32 v16, 0
	v_pk_mov_b32 v[12:13], v[8:9], v[8:9] op_sel:[0,1]
	s_branch .LBB106_71
.LBB106_70:                             ;   in Loop: Header=BB106_71 Depth=2
	s_or_b64 exec, exec, s[4:5]
	v_cmp_eq_u32_e32 vcc, 1, v79
	v_cndmask_b32_e32 v12, v12, v13, vcc
	v_cmp_eq_u32_e32 vcc, 2, v79
	v_cndmask_b32_e32 v12, v12, v14, vcc
	;; [unrolled: 2-line block ×3, first 2 shown]
	v_and_b32_e32 v12, 0xffffff, v12
	v_cvt_f32_u32_e32 v12, v12
	v_mov_b32_e32 v79, v89
	v_mul_f32_e32 v12, 0x33800000, v12
	v_cmp_gt_f32_e32 vcc, s86, v12
	v_cndmask_b32_e32 v13, 1.0, v75, vcc
	v_mul_f32_e32 v12, v12, v13
	v_log_f32_e32 v12, v12
	v_cndmask_b32_e32 v13, 0, v76, vcc
	v_mul_f32_e32 v14, 0x3f317217, v12
	v_fma_f32 v15, v12, s87, -v14
	v_fmac_f32_e32 v15, 0x3377d1cf, v12
	v_add_f32_e32 v14, v14, v15
	v_cmp_lt_f32_e64 vcc, |v12|, s88
	v_cndmask_b32_e32 v12, v12, v14, vcc
	v_sub_f32_e32 v12, v12, v13
	v_div_scale_f32 v13, s[4:5], v1, v1, v12
	v_rcp_f32_e32 v14, v13
	v_div_scale_f32 v15, vcc, v12, v1, v12
	v_fma_f32 v17, -v13, v14, 1.0
	v_fmac_f32_e32 v14, v17, v14
	v_mul_f32_e32 v17, v15, v14
	v_fma_f32 v18, -v13, v17, v15
	v_fmac_f32_e32 v17, v18, v14
	v_fma_f32 v13, -v13, v17, v15
	v_div_fmas_f32 v13, v13, v14, v17
	v_div_fixup_f32 v12, v13, v1, v12
	v_ceil_f32_e32 v12, v12
	v_add_f32_e32 v16, v16, v12
	v_cmp_gt_f32_e32 vcc, v16, v2
	v_pk_mov_b32 v[14:15], v[10:11], v[10:11] op_sel:[0,1]
	v_add_f16_e32 v17, 1.0, v80
	s_or_b64 s[2:3], vcc, s[2:3]
	v_pk_mov_b32 v[12:13], v[8:9], v[8:9] op_sel:[0,1]
	s_andn2_b64 exec, exec, s[2:3]
	s_cbranch_execz .LBB106_73
.LBB106_71:                             ;   Parent Loop BB106_27 Depth=1
                                        ; =>  This Inner Loop Header: Depth=2
	v_add_u32_e32 v89, 1, v79
	v_mov_b32_e32 v80, v17
	v_cmp_eq_u32_e32 vcc, 4, v89
	s_and_saveexec_b64 s[4:5], vcc
	s_cbranch_execz .LBB106_70
; %bb.72:                               ;   in Loop: Header=BB106_71 Depth=2
	v_add_co_u32_e32 v4, vcc, 1, v4
	v_cndmask_b32_e64 v8, 0, 1, vcc
	v_addc_co_u32_e32 v5, vcc, 0, v5, vcc
	v_cmp_eq_u32_e32 vcc, 0, v5
	v_cndmask_b32_e32 v8, 0, v8, vcc
	v_add_u32_e32 v6, v8, v6
	v_cmp_eq_u32_e32 vcc, 0, v6
	v_cndmask_b32_e32 v8, 0, v8, vcc
	v_add_u32_e32 v7, v8, v7
	v_mad_u64_u32 v[8:9], s[22:23], v4, s82, 0
	v_mad_u64_u32 v[10:11], s[22:23], v6, s83, 0
	v_xor_b32_e32 v9, v9, v25
	v_xor_b32_e32 v11, v11, v24
	v_xor_b32_e32 v9, v7, v9
	v_xor_b32_e32 v11, v5, v11
	v_mad_u64_u32 v[20:21], s[22:23], v9, s83, 0
	v_mad_u64_u32 v[18:19], s[22:23], v11, s82, 0
	v_xor_b32_e32 v9, v39, v21
	v_xor_b32_e32 v9, v9, v10
	v_xor_b32_e32 v10, v40, v19
	v_xor_b32_e32 v10, v10, v8
	;; [unrolled: 6-line block ×9, first 2 shown]
	v_mad_u64_u32 v[18:19], s[22:23], v9, s82, 0
	v_mad_u64_u32 v[20:21], s[22:23], v11, s83, 0
	v_xor_b32_e32 v8, v21, v8
	v_xor_b32_e32 v9, v19, v10
	v_mov_b32_e32 v89, 0
	v_xor_b32_e32 v8, v55, v8
	v_xor_b32_e32 v10, v56, v9
	v_mov_b32_e32 v9, v20
	v_mov_b32_e32 v11, v18
	s_branch .LBB106_70
.LBB106_73:                             ;   in Loop: Header=BB106_27 Depth=1
	s_or_b64 exec, exec, s[2:3]
.LBB106_74:                             ;   in Loop: Header=BB106_27 Depth=1
	s_or_b64 exec, exec, s[0:1]
                                        ; implicit-def: $vgpr79
                                        ; implicit-def: $vgpr12
                                        ; implicit-def: $vgpr1
                                        ; implicit-def: $vgpr2
.LBB106_75:                             ;   in Loop: Header=BB106_27 Depth=1
	s_andn2_saveexec_b64 s[20:21], s[20:21]
	s_cbranch_execz .LBB106_23
; %bb.76:                               ;   in Loop: Header=BB106_27 Depth=1
	v_cmp_lt_f16_e32 vcc, 0.5, v12
	v_mov_b32_e32 v80, 0x7e00
	s_and_saveexec_b64 s[22:23], vcc
	s_cbranch_execz .LBB106_22
; %bb.77:                               ;   in Loop: Header=BB106_27 Depth=1
	v_sub_f16_e32 v12, 1.0, v12
	v_mul_f16_e32 v13, v12, v1
	v_cmp_le_f16_e32 vcc, s84, v13
                                        ; implicit-def: $vgpr80
                                        ; implicit-def: $vgpr89
	s_and_saveexec_b64 s[0:1], vcc
	s_xor_b64 s[70:71], exec, s[0:1]
	s_cbranch_execz .LBB106_102
; %bb.78:                               ;   in Loop: Header=BB106_27 Depth=1
	v_sub_f16_e32 v32, 1.0, v12
	v_mul_f16_e32 v14, v13, v32
	v_cvt_f32_f16_e32 v14, v14
	v_cvt_f32_f16_e32 v33, v12
	;; [unrolled: 1-line block ×3, first 2 shown]
	v_add_f16_e32 v34, 1.0, v1
	v_mul_f32_e32 v15, 0x4f800000, v14
	v_cmp_gt_f32_e32 vcc, s85, v14
	v_cndmask_b32_e32 v16, v14, v15, vcc
	v_rsq_f32_e32 v17, v16
	v_pk_mov_b32 v[14:15], v[26:27], v[26:27] op_sel:[0,1]
	v_cvt_f64_f32_e32 v[20:21], v33
	v_add_f32_e32 v83, 0.5, v13
	v_mul_f32_e32 v18, v16, v17
	v_mul_f32_e32 v17, 0.5, v17
	v_fma_f32 v19, -v17, v18, 0.5
	v_fmac_f32_e32 v18, v18, v19
	v_fmac_f32_e32 v17, v17, v19
	v_fma_f32 v19, -v18, v18, v16
	v_fmac_f32_e32 v18, v19, v17
	v_mul_f32_e32 v17, 0x37800000, v18
	v_cndmask_b32_e32 v17, v18, v17, vcc
	v_cmp_class_f32_e32 vcc, v16, v73
	v_cndmask_b32_e32 v16, v17, v16, vcc
	v_cvt_f64_f32_e32 v[16:17], v16
	v_fmac_f64_e32 v[14:15], s[48:49], v[16:17]
	v_cvt_f32_f64_e32 v81, v[14:15]
	v_cvt_f64_f32_e32 v[14:15], v81
	v_div_scale_f64 v[22:23], s[0:1], v[14:15], v[14:15], s[54:55]
	v_rcp_f64_e32 v[30:31], v[22:23]
	v_pk_mov_b32 v[18:19], v[28:29], v[28:29] op_sel:[0,1]
	v_fmac_f64_e32 v[18:19], s[50:51], v[14:15]
	v_fmac_f64_e32 v[18:19], s[52:53], v[20:21]
	v_cvt_f32_f64_e32 v82, v[18:19]
	v_fma_f64 v[18:19], -v[22:23], v[30:31], 1.0
	v_fmac_f64_e32 v[30:31], v[30:31], v[18:19]
	v_cvt_f32_f16_e32 v13, v32
	v_fma_f64 v[18:19], -v[22:23], v[30:31], 1.0
	v_fmac_f64_e32 v[30:31], v[30:31], v[18:19]
	v_div_scale_f64 v[18:19], vcc, s[54:55], v[14:15], s[54:55]
	v_mul_f64 v[20:21], v[18:19], v[30:31]
	v_fma_f64 v[18:19], -v[22:23], v[20:21], v[18:19]
	v_rcp_f32_e32 v22, v13
	s_nop 0
	v_div_fmas_f64 v[18:19], v[18:19], v[30:31], v[20:21]
	v_div_fixup_f64 v[18:19], v[18:19], v[14:15], s[54:55]
	v_add_f64 v[18:19], v[18:19], s[56:57]
	v_mul_f32_e32 v20, v33, v22
	v_mad_f32 v21, -v13, v20, v33
	v_mac_f32_e32 v20, v21, v22
	v_mad_f32 v13, -v13, v20, v33
	v_mul_f32_e32 v13, v13, v22
	v_and_b32_e32 v13, 0xff800000, v13
	v_add_f32_e32 v13, v13, v20
	v_cvt_f16_f32_e32 v13, v13
	v_div_scale_f64 v[20:21], s[0:1], v[14:15], v[14:15], s[46:47]
	v_rcp_f64_e32 v[22:23], v[20:21]
	v_div_fixup_f16 v13, v13, v32, v12
	v_mul_f16_e32 v12, v34, v12
	v_floor_f16_e32 v35, v12
	v_cvt_f32_f64_e32 v84, v[18:19]
	v_fma_f64 v[18:19], -v[20:21], v[22:23], 1.0
	v_cvt_f32_f16_e32 v80, v35
	v_fmac_f64_e32 v[22:23], v[22:23], v[18:19]
	v_cvt_f32_f16_e32 v85, v13
	v_fma_f64 v[18:19], -v[20:21], v[22:23], 1.0
	v_fmac_f64_e32 v[22:23], v[22:23], v[18:19]
	v_div_scale_f64 v[18:19], vcc, s[46:47], v[14:15], s[46:47]
	v_mul_f64 v[30:31], v[18:19], v[22:23]
	v_sub_f32_e32 v92, v2, v80
	v_fma_f64 v[18:19], -v[20:21], v[30:31], v[18:19]
	v_add_f32_e32 v86, 1.0, v92
	v_div_fmas_f64 v[12:13], v[18:19], v[22:23], v[30:31]
	v_add_f32_e32 v89, 1.0, v80
	v_mul_f32_e32 v2, v86, v85
	v_div_fixup_f64 v[12:13], v[12:13], v[14:15], s[46:47]
	v_div_scale_f32 v14, s[0:1], v2, v2, v89
	v_rcp_f32_e32 v15, v14
	v_add_f64 v[12:13], v[12:13], s[58:59]
	v_mul_f64 v[12:13], v[12:13], v[16:17]
	v_cvt_f32_f64_e32 v87, v[12:13]
	v_fma_f32 v12, -v14, v15, 1.0
	v_fmac_f32_e32 v15, v12, v15
	v_div_scale_f32 v12, vcc, v89, v2, v89
	v_mul_f32_e32 v13, v12, v15
	v_fma_f32 v16, -v14, v13, v12
	v_fmac_f32_e32 v13, v16, v15
	v_fma_f32 v12, -v14, v13, v12
	v_div_fmas_f32 v12, v12, v15, v13
	v_div_fixup_f32 v2, v12, v2, v89
	v_cmp_gt_f32_e64 s[0:1], s86, v2
	v_cndmask_b32_e64 v12, 1.0, v75, s[0:1]
	v_mul_f32_e32 v2, v2, v12
	v_log_f32_e32 v2, v2
	v_mul_f32_e32 v14, v89, v89
	v_cvt_f64_f32_e32 v[14:15], v14
	s_mov_b32 s60, s62
	v_div_scale_f64 v[16:17], s[2:3], v[14:15], v[14:15], s[60:61]
	v_mul_f32_e32 v20, 0x3f317217, v2
	v_rcp_f64_e32 v[18:19], v[16:17]
	v_fma_f32 v21, v2, s87, -v20
	v_fmac_f32_e32 v21, 0x3377d1cf, v2
	v_add_f32_e32 v20, v20, v21
	v_cmp_lt_f32_e64 vcc, |v2|, s88
	v_cndmask_b32_e32 v2, v2, v20, vcc
	v_fma_f64 v[20:21], -v[16:17], v[18:19], 1.0
	v_fmac_f64_e32 v[18:19], v[18:19], v[20:21]
	v_fma_f64 v[20:21], -v[16:17], v[18:19], 1.0
	v_fmac_f64_e32 v[18:19], v[18:19], v[20:21]
	v_div_scale_f64 v[20:21], vcc, s[60:61], v[14:15], s[60:61]
	v_mul_f64 v[22:23], v[20:21], v[18:19]
	v_fma_f64 v[16:17], -v[16:17], v[22:23], v[20:21]
	v_cvt_f64_f32_e32 v[12:13], v80
	s_nop 0
	v_div_fmas_f64 v[16:17], v[16:17], v[18:19], v[22:23]
	v_div_fixup_f64 v[16:17], v[16:17], v[14:15], s[60:61]
	v_add_f64 v[16:17], -v[16:17], s[64:65]
	v_div_scale_f64 v[18:19], s[2:3], v[14:15], v[14:15], v[16:17]
	v_rcp_f64_e32 v[20:21], v[18:19]
	v_cndmask_b32_e64 v22, 0, v76, s[0:1]
	v_sub_f32_e32 v2, v2, v22
	v_add_f64 v[12:13], v[12:13], 0.5
	v_fma_f64 v[30:31], -v[18:19], v[20:21], 1.0
	v_fmac_f64_e32 v[20:21], v[20:21], v[30:31]
	v_fma_f64 v[30:31], -v[18:19], v[20:21], 1.0
	v_fmac_f64_e32 v[20:21], v[20:21], v[30:31]
	v_div_scale_f64 v[30:31], vcc, v[16:17], v[14:15], v[16:17]
	v_mul_f64 v[32:33], v[30:31], v[20:21]
	v_fma_f64 v[18:19], -v[18:19], v[32:33], v[30:31]
	v_cvt_f64_f32_e32 v[22:23], v2
	s_nop 0
	v_div_fmas_f64 v[18:19], v[18:19], v[20:21], v[32:33]
	v_div_fixup_f64 v[14:15], v[18:19], v[14:15], v[16:17]
	v_add_f64 v[14:15], -v[14:15], s[66:67]
	v_cvt_f64_f32_e32 v[16:17], v89
	v_div_scale_f64 v[18:19], s[0:1], v[16:17], v[16:17], v[14:15]
	v_rcp_f64_e32 v[20:21], v[18:19]
	v_mul_f64 v[30:31], v[12:13], v[22:23]
	v_mul_f32_e32 v2, v86, v86
	s_getpc_b64 s[4:5]
	s_add_u32 s4, s4, _ZZN12_GLOBAL__N_120stirling_approx_tailIfEET_S1_E11kTailValues.const@rel32@lo+4
	s_addc_u32 s5, s5, _ZZN12_GLOBAL__N_120stirling_approx_tailIfEET_S1_E11kTailValues.const@rel32@hi+12
	v_fma_f64 v[12:13], -v[18:19], v[20:21], 1.0
	v_fmac_f64_e32 v[20:21], v[20:21], v[12:13]
	v_fma_f64 v[12:13], -v[18:19], v[20:21], 1.0
	v_fmac_f64_e32 v[20:21], v[20:21], v[12:13]
	v_div_scale_f64 v[12:13], vcc, v[14:15], v[16:17], v[14:15]
	v_mul_f64 v[22:23], v[12:13], v[20:21]
	v_fma_f64 v[12:13], -v[18:19], v[22:23], v[12:13]
	v_cvt_f64_f32_e32 v[18:19], v2
	s_nop 0
	v_div_fmas_f64 v[12:13], v[12:13], v[20:21], v[22:23]
	v_div_scale_f64 v[20:21], s[2:3], v[18:19], v[18:19], s[60:61]
	v_rcp_f64_e32 v[22:23], v[20:21]
	v_div_fixup_f64 v[12:13], v[12:13], v[16:17], v[14:15]
	v_cvt_f32_f64_e32 v91, v[12:13]
	v_cvt_u32_f32_e32 v2, v80
	v_fma_f64 v[12:13], -v[20:21], v[22:23], 1.0
	v_fmac_f64_e32 v[22:23], v[22:23], v[12:13]
	v_fma_f64 v[12:13], -v[20:21], v[22:23], 1.0
	v_fmac_f64_e32 v[22:23], v[22:23], v[12:13]
	v_div_scale_f64 v[12:13], vcc, s[60:61], v[18:19], s[60:61]
	v_mul_f64 v[14:15], v[12:13], v[22:23]
	v_fma_f64 v[12:13], -v[20:21], v[14:15], v[12:13]
	v_lshlrev_b64 v[20:21], 2, v[2:3]
	s_nop 0
	v_div_fmas_f64 v[12:13], v[12:13], v[22:23], v[14:15]
	v_div_fixup_f64 v[12:13], v[12:13], v[18:19], s[60:61]
	v_add_f64 v[12:13], -v[12:13], s[64:65]
	v_div_scale_f64 v[14:15], s[2:3], v[18:19], v[18:19], v[12:13]
	v_rcp_f64_e32 v[16:17], v[14:15]
	v_mov_b32_e32 v2, s5
	v_cvt_f32_f16_e32 v90, v34
	v_add_f32_e32 v88, v82, v82
	v_fma_f64 v[22:23], -v[14:15], v[16:17], 1.0
	v_fmac_f64_e32 v[16:17], v[16:17], v[22:23]
	v_fma_f64 v[22:23], -v[14:15], v[16:17], 1.0
	v_fmac_f64_e32 v[16:17], v[16:17], v[22:23]
	v_div_scale_f64 v[22:23], vcc, v[12:13], v[18:19], v[12:13]
	v_mul_f64 v[32:33], v[22:23], v[16:17]
	v_fma_f64 v[14:15], -v[14:15], v[32:33], v[22:23]
	v_cmp_gt_f16_e64 s[0:1], s84, v35
	s_nop 0
	v_div_fmas_f64 v[14:15], v[14:15], v[16:17], v[32:33]
	v_div_fixup_f64 v[12:13], v[14:15], v[18:19], v[12:13]
	v_add_f64 v[12:13], -v[12:13], s[66:67]
	v_cvt_f64_f32_e32 v[14:15], v86
	v_div_scale_f64 v[16:17], s[2:3], v[14:15], v[14:15], v[12:13]
	v_rcp_f64_e32 v[18:19], v[16:17]
	v_add_co_u32_e32 v32, vcc, s4, v20
	v_addc_co_u32_e32 v33, vcc, v21, v2, vcc
	v_fma_f64 v[20:21], -v[16:17], v[18:19], 1.0
	v_fmac_f64_e32 v[18:19], v[18:19], v[20:21]
	v_fma_f64 v[20:21], -v[16:17], v[18:19], 1.0
	v_fmac_f64_e32 v[18:19], v[18:19], v[20:21]
	v_div_scale_f64 v[20:21], vcc, v[12:13], v[14:15], v[12:13]
	v_mul_f64 v[22:23], v[20:21], v[18:19]
	v_fma_f64 v[16:17], -v[16:17], v[22:23], v[20:21]
	v_trunc_f32_e32 v20, v92
	v_mul_f32_e32 v21, 0x2f800000, v20
	v_floor_f32_e32 v21, v21
	v_fmac_f32_e32 v20, 0xcf800000, v21
	v_cvt_u32_f32_e32 v20, v20
	v_cvt_u32_f32_e32 v21, v21
	v_div_fmas_f64 v[16:17], v[16:17], v[18:19], v[22:23]
	v_div_fixup_f64 v[12:13], v[16:17], v[14:15], v[12:13]
	v_cmp_gt_f32_e64 s[2:3], s89, v92
	v_cvt_f32_f64_e32 v92, v[12:13]
	v_lshlrev_b64 v[12:13], 2, v[20:21]
	v_add_co_u32_e32 v34, vcc, s4, v12
	v_pk_mov_b32 v[18:19], v[10:11], v[10:11] op_sel:[0,1]
	v_addc_co_u32_e32 v35, vcc, v13, v2, vcc
	s_mov_b64 s[74:75], 0
	s_mov_b64 s[78:79], 0
	v_pk_mov_b32 v[16:17], v[8:9], v[8:9] op_sel:[0,1]
                                        ; implicit-def: $sgpr72_sgpr73
                                        ; implicit-def: $sgpr76_sgpr77
	s_branch .LBB106_81
.LBB106_79:                             ;   in Loop: Header=BB106_81 Depth=2
	s_or_b64 exec, exec, s[4:5]
	v_add_f16_e32 v21, 1.0, v80
	v_cvt_f32_f16_e32 v21, v21
	s_andn2_b64 s[76:77], s[76:77], exec
	v_div_scale_f32 v22, s[4:5], v21, v21, v86
	v_rcp_f32_e32 v23, v22
	v_div_scale_f32 v79, vcc, v86, v21, v86
	v_fma_f32 v95, -v22, v23, 1.0
	v_fmac_f32_e32 v23, v95, v23
	v_mul_f32_e32 v95, v79, v23
	v_fma_f32 v96, -v22, v95, v79
	v_fmac_f32_e32 v95, v96, v23
	v_fma_f32 v22, -v22, v95, v79
	v_div_fmas_f32 v22, v22, v23, v95
	v_div_fixup_f32 v22, v22, v21, v86
	v_cmp_gt_f32_e32 vcc, s86, v22
	v_cndmask_b32_e32 v23, 1.0, v75, vcc
	v_mul_f32_e32 v22, v22, v23
	v_log_f32_e32 v22, v22
	v_add_f16_e32 v23, 1.0, v93
	v_cvt_f32_f16_e32 v79, v23
	v_cndmask_b32_e32 v23, 0, v76, vcc
	v_mul_f32_e32 v95, 0x3f317217, v22
	v_fma_f32 v96, v22, s87, -v95
	v_fmac_f32_e32 v96, 0x3377d1cf, v22
	v_add_f32_e32 v95, v95, v96
	v_cmp_lt_f32_e64 vcc, |v22|, s88
	v_mul_f32_e32 v21, v85, v21
	v_cndmask_b32_e32 v22, v22, v95, vcc
	v_div_scale_f32 v95, s[4:5], v79, v79, v21
	v_rcp_f32_e32 v96, v95
	v_sub_f32_e32 v22, v22, v23
	v_mul_f32_e32 v22, v22, v90
	v_cvt_f64_f32_e32 v[22:23], v22
	v_fma_f32 v97, -v95, v96, 1.0
	v_fmac_f32_e32 v96, v97, v96
	v_div_scale_f32 v97, vcc, v21, v79, v21
	v_mul_f32_e32 v98, v97, v96
	v_fma_f32 v99, -v95, v98, v97
	v_fmac_f32_e32 v98, v99, v96
	v_fma_f32 v95, -v95, v98, v97
	v_div_fmas_f32 v95, v95, v96, v98
	v_div_fixup_f32 v21, v95, v79, v21
	v_cmp_gt_f32_e32 vcc, s86, v21
	v_cndmask_b32_e32 v79, 1.0, v75, vcc
	v_mul_f32_e32 v21, v21, v79
	v_log_f32_e32 v21, v21
	v_cvt_f64_f32_e32 v[96:97], v19
	v_add_f64 v[22:23], v[30:31], v[22:23]
	v_add_f64 v[96:97], v[96:97], 0.5
	v_mul_f32_e32 v19, 0x3f317217, v21
	v_fma_f32 v79, v21, s87, -v19
	v_fmac_f32_e32 v79, 0x3377d1cf, v21
	v_add_f32_e32 v19, v19, v79
	v_cmp_lt_f32_e64 s[4:5], |v21|, s88
	v_cndmask_b32_e64 v19, v21, v19, s[4:5]
	v_cndmask_b32_e32 v21, 0, v76, vcc
	v_sub_f32_e32 v19, v19, v21
	v_mul_f32_e32 v21, v94, v94
	v_div_scale_f32 v79, s[4:5], v21, v21, v82
	v_rcp_f32_e32 v98, v79
	v_cvt_f64_f32_e32 v[94:95], v19
	v_fmac_f64_e32 v[22:23], v[96:97], v[94:95]
	v_mul_f32_e32 v94, v16, v87
	v_fma_f32 v16, -v79, v98, 1.0
	v_fmac_f32_e32 v98, v16, v98
	v_div_scale_f32 v16, vcc, v82, v21, v82
	v_mul_f32_e32 v19, v16, v98
	v_fma_f32 v95, -v79, v19, v16
	v_fmac_f32_e32 v19, v95, v98
	v_fma_f32 v16, -v79, v19, v16
	v_div_fmas_f32 v16, v16, v98, v19
	v_div_fixup_f32 v16, v16, v21, v82
	v_add_f32_e32 v21, v16, v81
	v_div_scale_f32 v79, s[4:5], v21, v21, v94
	v_rcp_f32_e32 v95, v79
	s_waitcnt vmcnt(0)
	v_cvt_f64_f32_e32 v[16:17], v17
	v_add_f64 v[16:17], v[22:23], v[16:17]
	v_cvt_f64_f32_e32 v[18:19], v18
	v_fma_f32 v22, -v79, v95, 1.0
	v_fmac_f32_e32 v95, v22, v95
	v_div_scale_f32 v22, vcc, v94, v21, v94
	v_mul_f32_e32 v23, v22, v95
	v_fma_f32 v96, -v79, v23, v22
	v_fmac_f32_e32 v23, v96, v95
	v_fma_f32 v22, -v79, v23, v22
	v_div_fmas_f32 v22, v22, v95, v23
	v_div_fixup_f32 v21, v22, v21, v94
	v_cmp_gt_f32_e32 vcc, s86, v21
	v_cndmask_b32_e32 v22, 1.0, v75, vcc
	v_mul_f32_e32 v21, v21, v22
	v_log_f32_e32 v21, v21
	v_add_f64 v[16:17], v[16:17], v[18:19]
	v_cvt_f64_f32_e32 v[18:19], v20
	v_add_f64 v[16:17], v[16:17], -v[18:19]
	v_mul_f32_e32 v18, 0x3f317217, v21
	v_fma_f32 v19, v21, s87, -v18
	v_fmac_f32_e32 v19, 0x3377d1cf, v21
	v_add_f32_e32 v18, v18, v19
	v_cmp_lt_f32_e64 s[4:5], |v21|, s88
	v_cndmask_b32_e64 v18, v21, v18, s[4:5]
	v_cndmask_b32_e32 v19, 0, v76, vcc
	v_sub_f32_e32 v20, v18, v19
	v_cvt_f64_f32_e32 v[18:19], v2
	v_add_f64 v[16:17], v[16:17], -v[18:19]
	v_cvt_f32_f64_e32 v2, v[16:17]
	v_cmp_le_f32_e32 vcc, v20, v2
	s_orn2_b64 s[4:5], vcc, exec
.LBB106_80:                             ;   in Loop: Header=BB106_81 Depth=2
	s_or_b64 exec, exec, s[78:79]
	s_and_b64 s[4:5], exec, s[4:5]
	s_or_b64 s[74:75], s[4:5], s[74:75]
	s_andn2_b64 s[4:5], s[72:73], exec
	s_and_b64 s[72:73], s[76:77], exec
	v_pk_mov_b32 v[18:19], v[14:15], v[14:15] op_sel:[0,1]
	s_or_b64 s[72:73], s[4:5], s[72:73]
	s_mov_b64 s[78:79], 0
	v_mov_b32_e32 v79, v89
	v_pk_mov_b32 v[16:17], v[12:13], v[12:13] op_sel:[0,1]
	s_andn2_b64 exec, exec, s[74:75]
	s_cbranch_execz .LBB106_99
.LBB106_81:                             ;   Parent Loop BB106_27 Depth=1
                                        ; =>  This Inner Loop Header: Depth=2
	v_add_u32_e32 v2, 1, v79
	v_pk_mov_b32 v[22:23], v[18:19], v[18:19] op_sel:[0,1]
	v_cmp_eq_u32_e32 vcc, 4, v2
	v_pk_mov_b32 v[20:21], v[16:17], v[16:17] op_sel:[0,1]
	s_and_saveexec_b64 s[4:5], vcc
	s_cbranch_execz .LBB106_83
; %bb.82:                               ;   in Loop: Header=BB106_81 Depth=2
	v_add_co_u32_e32 v4, vcc, 1, v4
	v_cndmask_b32_e64 v8, 0, 1, vcc
	v_addc_co_u32_e32 v5, vcc, 0, v5, vcc
	v_cmp_eq_u32_e32 vcc, 0, v5
	v_cndmask_b32_e32 v8, 0, v8, vcc
	v_add_u32_e32 v6, v8, v6
	v_cmp_eq_u32_e32 vcc, 0, v6
	v_cndmask_b32_e32 v8, 0, v8, vcc
	v_add_u32_e32 v7, v8, v7
	v_mad_u64_u32 v[8:9], s[94:95], v4, s82, 0
	v_mad_u64_u32 v[10:11], s[94:95], v6, s83, 0
	v_xor_b32_e32 v11, v11, v24
	v_xor_b32_e32 v9, v9, v25
	v_xor_b32_e32 v11, v5, v11
	v_xor_b32_e32 v9, v7, v9
	v_mad_u64_u32 v[12:13], s[94:95], v11, s82, 0
	v_mad_u64_u32 v[14:15], s[94:95], v9, s83, 0
	v_xor_b32_e32 v9, v15, v10
	v_xor_b32_e32 v8, v13, v8
	v_xor_b32_e32 v9, v57, v9
	v_xor_b32_e32 v10, v58, v8
	;; [unrolled: 6-line block ×9, first 2 shown]
	v_mad_u64_u32 v[12:13], s[94:95], v9, s82, 0
	v_mad_u64_u32 v[14:15], s[94:95], v11, s83, 0
	v_xor_b32_e32 v9, v13, v10
	v_xor_b32_e32 v8, v15, v8
	;; [unrolled: 1-line block ×3, first 2 shown]
	v_mov_b32_e32 v11, v12
	v_xor_b32_e32 v8, v55, v8
	v_mov_b32_e32 v9, v14
	v_pk_mov_b32 v[22:23], v[10:11], v[10:11] op_sel:[0,1]
	v_mov_b32_e32 v2, 0
	v_pk_mov_b32 v[20:21], v[8:9], v[8:9] op_sel:[0,1]
.LBB106_83:                             ;   in Loop: Header=BB106_81 Depth=2
	s_or_b64 exec, exec, s[4:5]
	v_add_u32_e32 v89, 1, v2
	v_pk_mov_b32 v[12:13], v[20:21], v[20:21] op_sel:[0,1]
	v_cmp_eq_u32_e32 vcc, 4, v89
	v_pk_mov_b32 v[14:15], v[22:23], v[22:23] op_sel:[0,1]
	s_and_saveexec_b64 s[4:5], vcc
	s_cbranch_execz .LBB106_85
; %bb.84:                               ;   in Loop: Header=BB106_81 Depth=2
	v_add_co_u32_e32 v4, vcc, 1, v4
	v_cndmask_b32_e64 v8, 0, 1, vcc
	v_addc_co_u32_e32 v5, vcc, 0, v5, vcc
	v_cmp_eq_u32_e32 vcc, 0, v5
	v_cndmask_b32_e32 v8, 0, v8, vcc
	v_add_u32_e32 v6, v8, v6
	v_cmp_eq_u32_e32 vcc, 0, v6
	v_cndmask_b32_e32 v8, 0, v8, vcc
	v_add_u32_e32 v7, v8, v7
	v_mad_u64_u32 v[8:9], s[94:95], v4, s82, 0
	v_mad_u64_u32 v[10:11], s[94:95], v6, s83, 0
	v_xor_b32_e32 v11, v11, v24
	v_xor_b32_e32 v9, v9, v25
	v_xor_b32_e32 v11, v5, v11
	v_xor_b32_e32 v9, v7, v9
	v_mad_u64_u32 v[12:13], s[94:95], v11, s82, 0
	v_mad_u64_u32 v[14:15], s[94:95], v9, s83, 0
	v_xor_b32_e32 v9, v15, v10
	v_xor_b32_e32 v8, v13, v8
	v_xor_b32_e32 v9, v57, v9
	v_xor_b32_e32 v10, v58, v8
	;; [unrolled: 6-line block ×9, first 2 shown]
	v_mad_u64_u32 v[12:13], s[94:95], v9, s82, 0
	v_mad_u64_u32 v[14:15], s[94:95], v11, s83, 0
	v_xor_b32_e32 v9, v13, v10
	v_xor_b32_e32 v8, v15, v8
	;; [unrolled: 1-line block ×3, first 2 shown]
	v_mov_b32_e32 v11, v12
	v_xor_b32_e32 v8, v55, v8
	v_mov_b32_e32 v9, v14
	v_pk_mov_b32 v[14:15], v[10:11], v[10:11] op_sel:[0,1]
	v_mov_b32_e32 v89, 0
	v_pk_mov_b32 v[12:13], v[8:9], v[8:9] op_sel:[0,1]
.LBB106_85:                             ;   in Loop: Header=BB106_81 Depth=2
	s_or_b64 exec, exec, s[4:5]
	v_cmp_eq_u32_e32 vcc, 1, v79
	v_cndmask_b32_e32 v16, v16, v17, vcc
	v_cmp_eq_u32_e32 vcc, 2, v79
	v_cndmask_b32_e32 v16, v16, v18, vcc
	;; [unrolled: 2-line block ×3, first 2 shown]
	v_and_b32_e32 v16, 0xffffff, v16
	v_cvt_f32_u32_e32 v16, v16
	v_fma_f32 v16, v16, s90, -0.5
	v_sub_f32_e64 v94, 0.5, |v16|
	v_div_scale_f32 v17, s[4:5], v94, v94, v88
	v_rcp_f32_e32 v18, v17
	v_div_scale_f32 v19, vcc, v88, v94, v88
	v_fma_f32 v79, -v17, v18, 1.0
	v_fmac_f32_e32 v18, v79, v18
	v_mul_f32_e32 v79, v19, v18
	v_fma_f32 v80, -v17, v79, v19
	v_fmac_f32_e32 v79, v80, v18
	v_fma_f32 v17, -v17, v79, v19
	v_div_fmas_f32 v17, v17, v18, v79
	v_div_fixup_f32 v17, v17, v94, v88
	v_add_f32_e32 v17, v17, v81
	v_fma_f32 v16, v16, v17, v83
	v_floor_f32_e32 v16, v16
	v_cvt_f16_f32_e32 v93, v16
	v_pk_mov_b32 v[18:19], v[14:15], v[14:15] op_sel:[0,1]
	v_mov_b32_e32 v79, v89
	v_pk_mov_b32 v[16:17], v[12:13], v[12:13] op_sel:[0,1]
	v_cmp_ngt_f16_e32 vcc, 0, v93
	v_cmp_ngt_f16_e64 s[4:5], v93, v1
	s_and_b64 s[4:5], vcc, s[4:5]
	s_and_b64 s[4:5], exec, s[4:5]
	s_or_b64 s[78:79], s[4:5], s[78:79]
	s_andn2_b64 exec, exec, s[78:79]
	s_cbranch_execnz .LBB106_81
; %bb.86:                               ;   in Loop: Header=BB106_81 Depth=2
	s_or_b64 exec, exec, s[78:79]
	v_cmp_eq_u32_e32 vcc, 1, v2
	v_cndmask_b32_e32 v16, v20, v21, vcc
	v_cmp_eq_u32_e32 vcc, 2, v2
	v_cndmask_b32_e32 v16, v16, v22, vcc
	;; [unrolled: 2-line block ×3, first 2 shown]
	v_and_b32_e32 v2, 0xffffff, v2
	v_cvt_f32_u32_e32 v2, v2
	v_cvt_f64_f32_e32 v[18:19], v94
	v_cmp_nle_f64_e32 vcc, s[68:69], v[18:19]
	s_or_b64 s[76:77], s[76:77], exec
	v_mul_f32_e32 v16, 0x33800000, v2
	v_cmp_nle_f32_e64 s[4:5], v16, v84
	s_or_b64 s[94:95], vcc, s[4:5]
	s_mov_b64 s[4:5], -1
                                        ; implicit-def: $vgpr80
	s_and_saveexec_b64 s[78:79], s[94:95]
	s_cbranch_execz .LBB106_80
; %bb.87:                               ;   in Loop: Header=BB106_81 Depth=2
	v_mov_b32_e32 v17, v91
	s_and_saveexec_b64 s[4:5], s[0:1]
	s_cbranch_execz .LBB106_89
; %bb.88:                               ;   in Loop: Header=BB106_81 Depth=2
	global_load_dword v17, v[32:33], off
.LBB106_89:                             ;   in Loop: Header=BB106_81 Depth=2
	s_or_b64 exec, exec, s[4:5]
	v_mov_b32_e32 v18, v92
	s_and_saveexec_b64 s[4:5], s[2:3]
	s_cbranch_execz .LBB106_91
; %bb.90:                               ;   in Loop: Header=BB106_81 Depth=2
	global_load_dword v18, v[34:35], off
.LBB106_91:                             ;   in Loop: Header=BB106_81 Depth=2
	s_or_b64 exec, exec, s[4:5]
	v_cvt_f32_f16_e32 v19, v93
	v_cmp_ngt_f16_e32 vcc, s84, v93
                                        ; implicit-def: $vgpr20
	s_and_saveexec_b64 s[4:5], vcc
	s_xor_b64 s[4:5], exec, s[4:5]
	s_cbranch_execz .LBB106_93
; %bb.92:                               ;   in Loop: Header=BB106_81 Depth=2
	v_add_f32_e32 v2, 1.0, v19
	v_mul_f32_e32 v20, v2, v2
	v_cvt_f64_f32_e32 v[20:21], v20
	v_div_scale_f64 v[22:23], s[94:95], v[20:21], v[20:21], s[62:63]
	v_rcp_f64_e32 v[96:97], v[22:23]
	v_div_scale_f64 v[98:99], vcc, s[62:63], v[20:21], s[62:63]
	v_fma_f64 v[100:101], -v[22:23], v[96:97], 1.0
	v_fmac_f64_e32 v[96:97], v[96:97], v[100:101]
	v_fma_f64 v[100:101], -v[22:23], v[96:97], 1.0
	v_fmac_f64_e32 v[96:97], v[96:97], v[100:101]
	v_mul_f64 v[100:101], v[98:99], v[96:97]
	v_fma_f64 v[22:23], -v[22:23], v[100:101], v[98:99]
	v_div_fmas_f64 v[22:23], v[22:23], v[96:97], v[100:101]
	v_div_fixup_f64 v[22:23], v[22:23], v[20:21], s[62:63]
	v_add_f64 v[22:23], v[22:23], s[64:65]
	v_div_scale_f64 v[96:97], s[94:95], v[20:21], v[20:21], v[22:23]
	v_rcp_f64_e32 v[98:99], v[96:97]
	v_fma_f64 v[100:101], -v[96:97], v[98:99], 1.0
	v_fmac_f64_e32 v[98:99], v[98:99], v[100:101]
	v_fma_f64 v[100:101], -v[96:97], v[98:99], 1.0
	v_fmac_f64_e32 v[98:99], v[98:99], v[100:101]
	v_div_scale_f64 v[100:101], vcc, v[22:23], v[20:21], v[22:23]
	v_mul_f64 v[102:103], v[100:101], v[98:99]
	v_fma_f64 v[96:97], -v[96:97], v[102:103], v[100:101]
	s_nop 1
	v_div_fmas_f64 v[96:97], v[96:97], v[98:99], v[102:103]
	v_div_fixup_f64 v[20:21], v[96:97], v[20:21], v[22:23]
	v_add_f64 v[20:21], -v[20:21], s[66:67]
	v_cvt_f64_f32_e32 v[22:23], v2
	v_div_scale_f64 v[96:97], s[94:95], v[22:23], v[22:23], v[20:21]
	v_rcp_f64_e32 v[98:99], v[96:97]
	v_fma_f64 v[100:101], -v[96:97], v[98:99], 1.0
	v_fmac_f64_e32 v[98:99], v[98:99], v[100:101]
	v_fma_f64 v[100:101], -v[96:97], v[98:99], 1.0
	v_fmac_f64_e32 v[98:99], v[98:99], v[100:101]
	v_div_scale_f64 v[100:101], vcc, v[20:21], v[22:23], v[20:21]
	v_mul_f64 v[102:103], v[100:101], v[98:99]
	v_fma_f64 v[96:97], -v[96:97], v[102:103], v[100:101]
	s_nop 1
	v_div_fmas_f64 v[96:97], v[96:97], v[98:99], v[102:103]
	v_div_fixup_f64 v[20:21], v[96:97], v[22:23], v[20:21]
	v_cvt_f32_f64_e32 v20, v[20:21]
.LBB106_93:                             ;   in Loop: Header=BB106_81 Depth=2
	s_andn2_saveexec_b64 s[4:5], s[4:5]
	s_cbranch_execz .LBB106_95
; %bb.94:                               ;   in Loop: Header=BB106_81 Depth=2
	v_cvt_u32_f32_e32 v2, v19
	s_getpc_b64 s[94:95]
	s_add_u32 s94, s94, _ZZN12_GLOBAL__N_120stirling_approx_tailIfEET_S1_E11kTailValues.const@rel32@lo+4
	s_addc_u32 s95, s95, _ZZN12_GLOBAL__N_120stirling_approx_tailIfEET_S1_E11kTailValues.const@rel32@hi+12
	v_mov_b32_e32 v22, s95
	v_lshlrev_b64 v[20:21], 2, v[2:3]
	v_add_co_u32_e32 v20, vcc, s94, v20
	v_addc_co_u32_e32 v21, vcc, v21, v22, vcc
	global_load_dword v20, v[20:21], off
.LBB106_95:                             ;   in Loop: Header=BB106_81 Depth=2
	s_or_b64 exec, exec, s[4:5]
	v_sub_f16_e32 v80, v1, v93
	v_cmp_ngt_f16_e32 vcc, s84, v80
                                        ; implicit-def: $vgpr2
	s_and_saveexec_b64 s[4:5], vcc
	s_xor_b64 s[4:5], exec, s[4:5]
	s_cbranch_execz .LBB106_97
; %bb.96:                               ;   in Loop: Header=BB106_81 Depth=2
	v_cvt_f32_f16_e32 v2, v80
	v_add_f32_e32 v2, 1.0, v2
	v_mul_f32_e32 v21, v2, v2
	v_cvt_f64_f32_e32 v[22:23], v21
	v_div_scale_f64 v[96:97], s[94:95], v[22:23], v[22:23], s[62:63]
	v_rcp_f64_e32 v[98:99], v[96:97]
	v_div_scale_f64 v[100:101], vcc, s[62:63], v[22:23], s[62:63]
	v_fma_f64 v[102:103], -v[96:97], v[98:99], 1.0
	v_fmac_f64_e32 v[98:99], v[98:99], v[102:103]
	v_fma_f64 v[102:103], -v[96:97], v[98:99], 1.0
	v_fmac_f64_e32 v[98:99], v[98:99], v[102:103]
	v_mul_f64 v[102:103], v[100:101], v[98:99]
	v_fma_f64 v[96:97], -v[96:97], v[102:103], v[100:101]
	v_div_fmas_f64 v[96:97], v[96:97], v[98:99], v[102:103]
	v_div_fixup_f64 v[96:97], v[96:97], v[22:23], s[62:63]
	v_add_f64 v[96:97], v[96:97], s[64:65]
	v_div_scale_f64 v[98:99], s[94:95], v[22:23], v[22:23], v[96:97]
	v_rcp_f64_e32 v[100:101], v[98:99]
	v_div_scale_f64 v[104:105], vcc, v[96:97], v[22:23], v[96:97]
	v_cvt_f64_f32_e32 v[102:103], v2
	v_fma_f64 v[106:107], -v[98:99], v[100:101], 1.0
	v_fmac_f64_e32 v[100:101], v[100:101], v[106:107]
	v_fma_f64 v[106:107], -v[98:99], v[100:101], 1.0
	v_fmac_f64_e32 v[100:101], v[100:101], v[106:107]
	v_mul_f64 v[106:107], v[104:105], v[100:101]
	v_fma_f64 v[98:99], -v[98:99], v[106:107], v[104:105]
	v_div_fmas_f64 v[98:99], v[98:99], v[100:101], v[106:107]
	v_div_fixup_f64 v[22:23], v[98:99], v[22:23], v[96:97]
	v_add_f64 v[22:23], -v[22:23], s[66:67]
	v_div_scale_f64 v[96:97], s[94:95], v[102:103], v[102:103], v[22:23]
	v_rcp_f64_e32 v[98:99], v[96:97]
	v_div_scale_f64 v[100:101], vcc, v[22:23], v[102:103], v[22:23]
	v_fma_f64 v[104:105], -v[96:97], v[98:99], 1.0
	v_fmac_f64_e32 v[98:99], v[98:99], v[104:105]
	v_fma_f64 v[104:105], -v[96:97], v[98:99], 1.0
	v_fmac_f64_e32 v[98:99], v[98:99], v[104:105]
	v_mul_f64 v[104:105], v[100:101], v[98:99]
	v_fma_f64 v[96:97], -v[96:97], v[104:105], v[100:101]
	v_div_fmas_f64 v[96:97], v[96:97], v[98:99], v[104:105]
	v_div_fixup_f64 v[22:23], v[96:97], v[102:103], v[22:23]
	v_cvt_f32_f64_e32 v2, v[22:23]
.LBB106_97:                             ;   in Loop: Header=BB106_81 Depth=2
	s_andn2_saveexec_b64 s[4:5], s[4:5]
	s_cbranch_execz .LBB106_79
; %bb.98:                               ;   in Loop: Header=BB106_81 Depth=2
	v_cvt_f32_f16_e32 v2, v80
	s_getpc_b64 s[94:95]
	s_add_u32 s94, s94, _ZZN12_GLOBAL__N_120stirling_approx_tailIfEET_S1_E11kTailValues.const@rel32@lo+4
	s_addc_u32 s95, s95, _ZZN12_GLOBAL__N_120stirling_approx_tailIfEET_S1_E11kTailValues.const@rel32@hi+12
	v_mov_b32_e32 v21, s95
	v_cvt_u32_f32_e32 v2, v2
	v_lshlrev_b64 v[22:23], 2, v[2:3]
	v_add_co_u32_e32 v22, vcc, s94, v22
	v_addc_co_u32_e32 v23, vcc, v23, v21, vcc
	global_load_dword v2, v[22:23], off
	s_branch .LBB106_79
.LBB106_99:                             ;   in Loop: Header=BB106_27 Depth=1
	s_or_b64 exec, exec, s[74:75]
	s_and_saveexec_b64 s[0:1], s[72:73]
	s_xor_b64 s[0:1], exec, s[0:1]
; %bb.100:                              ;   in Loop: Header=BB106_27 Depth=1
	v_sub_f16_e32 v80, v1, v93
; %bb.101:                              ;   in Loop: Header=BB106_27 Depth=1
	s_or_b64 exec, exec, s[0:1]
                                        ; implicit-def: $vgpr1
                                        ; implicit-def: $vgpr2
                                        ; implicit-def: $vgpr79
                                        ; implicit-def: $vgpr12
.LBB106_102:                            ;   in Loop: Header=BB106_27 Depth=1
	s_andn2_saveexec_b64 s[0:1], s[70:71]
	s_cbranch_execz .LBB106_21
; %bb.103:                              ;   in Loop: Header=BB106_27 Depth=1
	v_cvt_f32_f16_e64 v13, -v12
	s_mov_b64 s[2:3], 0
	v_add_f32_e32 v16, 1.0, v13
	v_frexp_mant_f32_e32 v18, v16
	v_cvt_f64_f32_e32 v[14:15], v16
	v_add_f32_e32 v17, -1.0, v16
	v_frexp_exp_i32_f64_e32 v14, v[14:15]
	v_cmp_gt_f32_e32 vcc, s91, v18
	v_sub_f32_e32 v19, v17, v16
	v_subbrev_co_u32_e32 v14, vcc, 0, v14, vcc
	v_sub_f32_e32 v17, v13, v17
	v_add_f32_e32 v19, 1.0, v19
	v_sub_u32_e32 v15, 0, v14
	v_add_f32_e32 v17, v17, v19
	v_ldexp_f32 v16, v16, v15
	v_ldexp_f32 v15, v17, v15
	v_add_f32_e32 v17, -1.0, v16
	v_add_f32_e32 v20, 1.0, v16
	v_add_f32_e32 v18, 1.0, v17
	v_add_f32_e32 v21, -1.0, v20
	v_sub_f32_e32 v18, v16, v18
	v_sub_f32_e32 v16, v16, v21
	v_add_f32_e32 v18, v15, v18
	v_add_f32_e32 v15, v15, v16
	;; [unrolled: 1-line block ×3, first 2 shown]
	v_rcp_f32_e32 v21, v16
	v_add_f32_e32 v19, v17, v18
	v_sub_f32_e32 v17, v19, v17
	v_sub_f32_e32 v17, v18, v17
	;; [unrolled: 1-line block ×4, first 2 shown]
	v_mul_f32_e32 v18, v19, v21
	v_mul_f32_e32 v20, v16, v18
	v_fma_f32 v22, v18, v16, -v20
	v_fmac_f32_e32 v22, v18, v15
	v_add_f32_e32 v23, v20, v22
	v_sub_f32_e32 v30, v19, v23
	v_sub_f32_e32 v19, v19, v30
	v_sub_f32_e32 v20, v23, v20
	v_sub_f32_e32 v19, v19, v23
	v_add_f32_e32 v17, v17, v19
	v_sub_f32_e32 v19, v20, v22
	v_add_f32_e32 v17, v19, v17
	v_add_f32_e32 v19, v30, v17
	v_mul_f32_e32 v20, v21, v19
	v_mul_f32_e32 v22, v16, v20
	v_fma_f32 v16, v20, v16, -v22
	v_fmac_f32_e32 v16, v20, v15
	v_sub_f32_e32 v15, v30, v19
	v_add_f32_e32 v15, v17, v15
	v_add_f32_e32 v17, v22, v16
	v_sub_f32_e32 v23, v19, v17
	v_sub_f32_e32 v19, v19, v23
	;; [unrolled: 1-line block ×4, first 2 shown]
	v_add_f32_e32 v15, v15, v17
	v_sub_f32_e32 v16, v22, v16
	v_cvt_f32_i32_e32 v14, v14
	v_add_f32_e32 v15, v16, v15
	v_add_f32_e32 v16, v18, v20
	;; [unrolled: 1-line block ×3, first 2 shown]
	v_sub_f32_e32 v17, v16, v18
	v_mul_f32_e32 v15, v21, v15
	v_sub_f32_e32 v17, v20, v17
	v_add_f32_e32 v15, v17, v15
	v_mul_f32_e32 v20, 0x3f317218, v14
	v_add_f32_e32 v17, v16, v15
	v_fma_f32 v21, v14, s92, -v20
	v_mul_f32_e32 v18, v17, v17
	v_mov_b32_e32 v19, 0x3ecc95a3
	v_fmac_f32_e32 v21, 0xb102e308, v14
	v_sub_f32_e32 v14, v17, v16
	v_fmac_f32_e32 v19, 0x3e9b6dac, v18
	v_sub_f32_e32 v14, v15, v14
	v_add_f32_e32 v15, v20, v21
	v_fma_f32 v19, v18, v19, v74
	v_sub_f32_e32 v16, v15, v20
	v_ldexp_f32 v20, v17, 1
	v_mul_f32_e32 v17, v17, v18
	v_mul_f32_e32 v17, v17, v19
	v_add_f32_e32 v18, v20, v17
	v_sub_f32_e32 v19, v18, v20
	v_ldexp_f32 v14, v14, 1
	v_sub_f32_e32 v17, v17, v19
	v_add_f32_e32 v14, v14, v17
	v_add_f32_e32 v17, v18, v14
	v_sub_f32_e32 v18, v17, v18
	v_sub_f32_e32 v14, v14, v18
	v_add_f32_e32 v18, v15, v17
	v_sub_f32_e32 v19, v18, v15
	v_sub_f32_e32 v20, v18, v19
	;; [unrolled: 1-line block ×5, first 2 shown]
	v_add_f32_e32 v15, v17, v15
	v_add_f32_e32 v17, v16, v14
	v_sub_f32_e32 v19, v17, v16
	v_sub_f32_e32 v20, v17, v19
	v_sub_f32_e32 v16, v16, v20
	v_sub_f32_e32 v14, v14, v19
	v_add_f32_e32 v15, v17, v15
	v_add_f32_e32 v14, v14, v16
	;; [unrolled: 1-line block ×3, first 2 shown]
	v_sub_f32_e32 v17, v16, v18
	v_sub_f32_e32 v15, v15, v17
	v_add_f32_e32 v14, v14, v15
	v_add_f32_e32 v14, v16, v14
	v_cmp_eq_f16_e32 vcc, s93, v12
	v_cndmask_b32_e32 v14, v14, v13, vcc
	v_cmp_nlt_f16_e32 vcc, 1.0, v12
	v_cndmask_b32_e32 v14, v77, v14, vcc
	v_cmp_neq_f16_e32 vcc, 1.0, v12
	v_cndmask_b32_e32 v12, v78, v14, vcc
	v_cmp_lt_f32_e64 vcc, |v13|, s90
	v_cndmask_b32_e32 v16, v12, v13, vcc
	v_pk_mov_b32 v[14:15], v[10:11], v[10:11] op_sel:[0,1]
	v_mov_b32_e32 v19, 0
	v_mov_b32_e32 v17, 0
	v_pk_mov_b32 v[12:13], v[8:9], v[8:9] op_sel:[0,1]
	s_branch .LBB106_105
.LBB106_104:                            ;   in Loop: Header=BB106_105 Depth=2
	s_or_b64 exec, exec, s[4:5]
	v_cmp_eq_u32_e32 vcc, 1, v79
	v_cndmask_b32_e32 v12, v12, v13, vcc
	v_cmp_eq_u32_e32 vcc, 2, v79
	v_cndmask_b32_e32 v12, v12, v14, vcc
	;; [unrolled: 2-line block ×3, first 2 shown]
	v_and_b32_e32 v12, 0xffffff, v12
	v_cvt_f32_u32_e32 v12, v12
	v_mov_b32_e32 v79, v89
	v_mul_f32_e32 v12, 0x33800000, v12
	v_cmp_gt_f32_e32 vcc, s86, v12
	v_cndmask_b32_e32 v13, 1.0, v75, vcc
	v_mul_f32_e32 v12, v12, v13
	v_log_f32_e32 v12, v12
	v_cndmask_b32_e32 v13, 0, v76, vcc
	v_mul_f32_e32 v14, 0x3f317217, v12
	v_fma_f32 v15, v12, s87, -v14
	v_fmac_f32_e32 v15, 0x3377d1cf, v12
	v_add_f32_e32 v14, v14, v15
	v_cmp_lt_f32_e64 vcc, |v12|, s88
	v_cndmask_b32_e32 v12, v12, v14, vcc
	v_sub_f32_e32 v12, v12, v13
	v_div_scale_f32 v13, s[4:5], v16, v16, v12
	v_rcp_f32_e32 v14, v13
	v_div_scale_f32 v15, vcc, v12, v16, v12
	v_fma_f32 v19, -v13, v14, 1.0
	v_fmac_f32_e32 v14, v19, v14
	v_mul_f32_e32 v19, v15, v14
	v_fma_f32 v20, -v13, v19, v15
	v_fmac_f32_e32 v19, v20, v14
	v_fma_f32 v13, -v13, v19, v15
	v_div_fmas_f32 v13, v13, v14, v19
	v_div_fixup_f32 v12, v13, v16, v12
	v_ceil_f32_e32 v12, v12
	v_add_f32_e32 v17, v17, v12
	v_cmp_gt_f32_e32 vcc, v17, v2
	v_pk_mov_b32 v[14:15], v[10:11], v[10:11] op_sel:[0,1]
	v_add_f16_e32 v19, 1.0, v18
	s_or_b64 s[2:3], vcc, s[2:3]
	v_pk_mov_b32 v[12:13], v[8:9], v[8:9] op_sel:[0,1]
	s_andn2_b64 exec, exec, s[2:3]
	s_cbranch_execz .LBB106_20
.LBB106_105:                            ;   Parent Loop BB106_27 Depth=1
                                        ; =>  This Inner Loop Header: Depth=2
	v_add_u32_e32 v89, 1, v79
	v_mov_b32_e32 v18, v19
	v_cmp_eq_u32_e32 vcc, 4, v89
	s_and_saveexec_b64 s[4:5], vcc
	s_cbranch_execz .LBB106_104
; %bb.106:                              ;   in Loop: Header=BB106_105 Depth=2
	v_add_co_u32_e32 v4, vcc, 1, v4
	v_cndmask_b32_e64 v8, 0, 1, vcc
	v_addc_co_u32_e32 v5, vcc, 0, v5, vcc
	v_cmp_eq_u32_e32 vcc, 0, v5
	v_cndmask_b32_e32 v8, 0, v8, vcc
	v_add_u32_e32 v6, v8, v6
	v_cmp_eq_u32_e32 vcc, 0, v6
	v_cndmask_b32_e32 v8, 0, v8, vcc
	v_add_u32_e32 v7, v8, v7
	v_mad_u64_u32 v[8:9], s[70:71], v4, s82, 0
	v_mad_u64_u32 v[10:11], s[70:71], v6, s83, 0
	v_xor_b32_e32 v9, v9, v25
	v_xor_b32_e32 v11, v11, v24
	v_xor_b32_e32 v9, v7, v9
	v_xor_b32_e32 v11, v5, v11
	v_mad_u64_u32 v[22:23], s[70:71], v9, s83, 0
	v_mad_u64_u32 v[20:21], s[70:71], v11, s82, 0
	v_xor_b32_e32 v9, v39, v23
	v_xor_b32_e32 v9, v9, v10
	v_xor_b32_e32 v10, v40, v21
	v_xor_b32_e32 v10, v10, v8
	;; [unrolled: 6-line block ×9, first 2 shown]
	v_mad_u64_u32 v[20:21], s[70:71], v9, s82, 0
	v_mad_u64_u32 v[22:23], s[70:71], v11, s83, 0
	v_xor_b32_e32 v8, v23, v8
	v_xor_b32_e32 v9, v21, v10
	v_mov_b32_e32 v89, 0
	v_xor_b32_e32 v8, v55, v8
	v_xor_b32_e32 v10, v56, v9
	v_mov_b32_e32 v9, v22
	v_mov_b32_e32 v11, v20
	s_branch .LBB106_104
.LBB106_107:
	s_endpgm
	.section	.rodata,"a",@progbits
	.p2align	6, 0x0
	.amdhsa_kernel _ZN2at6native12_GLOBAL__N_138distribution_binary_elementwise_kernelIZN12_GLOBAL__N_120binomial_cuda_kernelIN3c104HalfEEEvRNS_18TensorIteratorBaseENS_15PhiloxCudaStateEEUlR25hiprandStatePhilox4_32_10S6_S6_E_16OffsetCalculatorILi2EjLb0EESD_ILi1EjLb0EEEEviT_S9_PN15function_traitsISG_E11result_typeEPKNSI_3argILi1EE4typeEPKNSL_ILi2EE4typeET0_T1_
		.amdhsa_group_segment_fixed_size 16384
		.amdhsa_private_segment_fixed_size 0
		.amdhsa_kernarg_size 904
		.amdhsa_user_sgpr_count 8
		.amdhsa_user_sgpr_private_segment_buffer 1
		.amdhsa_user_sgpr_dispatch_ptr 1
		.amdhsa_user_sgpr_queue_ptr 0
		.amdhsa_user_sgpr_kernarg_segment_ptr 1
		.amdhsa_user_sgpr_dispatch_id 0
		.amdhsa_user_sgpr_flat_scratch_init 0
		.amdhsa_user_sgpr_kernarg_preload_length 0
		.amdhsa_user_sgpr_kernarg_preload_offset 0
		.amdhsa_user_sgpr_private_segment_size 0
		.amdhsa_uses_dynamic_stack 0
		.amdhsa_system_sgpr_private_segment_wavefront_offset 0
		.amdhsa_system_sgpr_workgroup_id_x 1
		.amdhsa_system_sgpr_workgroup_id_y 0
		.amdhsa_system_sgpr_workgroup_id_z 0
		.amdhsa_system_sgpr_workgroup_info 0
		.amdhsa_system_vgpr_workitem_id 2
		.amdhsa_next_free_vgpr 108
		.amdhsa_next_free_sgpr 96
		.amdhsa_accum_offset 108
		.amdhsa_reserve_vcc 1
		.amdhsa_reserve_flat_scratch 0
		.amdhsa_float_round_mode_32 0
		.amdhsa_float_round_mode_16_64 0
		.amdhsa_float_denorm_mode_32 3
		.amdhsa_float_denorm_mode_16_64 3
		.amdhsa_dx10_clamp 1
		.amdhsa_ieee_mode 1
		.amdhsa_fp16_overflow 0
		.amdhsa_tg_split 0
		.amdhsa_exception_fp_ieee_invalid_op 0
		.amdhsa_exception_fp_denorm_src 0
		.amdhsa_exception_fp_ieee_div_zero 0
		.amdhsa_exception_fp_ieee_overflow 0
		.amdhsa_exception_fp_ieee_underflow 0
		.amdhsa_exception_fp_ieee_inexact 0
		.amdhsa_exception_int_div_zero 0
	.end_amdhsa_kernel
	.section	.text._ZN2at6native12_GLOBAL__N_138distribution_binary_elementwise_kernelIZN12_GLOBAL__N_120binomial_cuda_kernelIN3c104HalfEEEvRNS_18TensorIteratorBaseENS_15PhiloxCudaStateEEUlR25hiprandStatePhilox4_32_10S6_S6_E_16OffsetCalculatorILi2EjLb0EESD_ILi1EjLb0EEEEviT_S9_PN15function_traitsISG_E11result_typeEPKNSI_3argILi1EE4typeEPKNSL_ILi2EE4typeET0_T1_,"axG",@progbits,_ZN2at6native12_GLOBAL__N_138distribution_binary_elementwise_kernelIZN12_GLOBAL__N_120binomial_cuda_kernelIN3c104HalfEEEvRNS_18TensorIteratorBaseENS_15PhiloxCudaStateEEUlR25hiprandStatePhilox4_32_10S6_S6_E_16OffsetCalculatorILi2EjLb0EESD_ILi1EjLb0EEEEviT_S9_PN15function_traitsISG_E11result_typeEPKNSI_3argILi1EE4typeEPKNSL_ILi2EE4typeET0_T1_,comdat
.Lfunc_end106:
	.size	_ZN2at6native12_GLOBAL__N_138distribution_binary_elementwise_kernelIZN12_GLOBAL__N_120binomial_cuda_kernelIN3c104HalfEEEvRNS_18TensorIteratorBaseENS_15PhiloxCudaStateEEUlR25hiprandStatePhilox4_32_10S6_S6_E_16OffsetCalculatorILi2EjLb0EESD_ILi1EjLb0EEEEviT_S9_PN15function_traitsISG_E11result_typeEPKNSI_3argILi1EE4typeEPKNSL_ILi2EE4typeET0_T1_, .Lfunc_end106-_ZN2at6native12_GLOBAL__N_138distribution_binary_elementwise_kernelIZN12_GLOBAL__N_120binomial_cuda_kernelIN3c104HalfEEEvRNS_18TensorIteratorBaseENS_15PhiloxCudaStateEEUlR25hiprandStatePhilox4_32_10S6_S6_E_16OffsetCalculatorILi2EjLb0EESD_ILi1EjLb0EEEEviT_S9_PN15function_traitsISG_E11result_typeEPKNSI_3argILi1EE4typeEPKNSL_ILi2EE4typeET0_T1_
                                        ; -- End function
	.section	.AMDGPU.csdata,"",@progbits
; Kernel info:
; codeLenInByte = 13316
; NumSgprs: 100
; NumVgprs: 108
; NumAgprs: 0
; TotalNumVgprs: 108
; ScratchSize: 0
; MemoryBound: 0
; FloatMode: 240
; IeeeMode: 1
; LDSByteSize: 16384 bytes/workgroup (compile time only)
; SGPRBlocks: 12
; VGPRBlocks: 13
; NumSGPRsForWavesPerEU: 100
; NumVGPRsForWavesPerEU: 108
; AccumOffset: 108
; Occupancy: 4
; WaveLimiterHint : 1
; COMPUTE_PGM_RSRC2:SCRATCH_EN: 0
; COMPUTE_PGM_RSRC2:USER_SGPR: 8
; COMPUTE_PGM_RSRC2:TRAP_HANDLER: 0
; COMPUTE_PGM_RSRC2:TGID_X_EN: 1
; COMPUTE_PGM_RSRC2:TGID_Y_EN: 0
; COMPUTE_PGM_RSRC2:TGID_Z_EN: 0
; COMPUTE_PGM_RSRC2:TIDIG_COMP_CNT: 2
; COMPUTE_PGM_RSRC3_GFX90A:ACCUM_OFFSET: 26
; COMPUTE_PGM_RSRC3_GFX90A:TG_SPLIT: 0
	.section	.text._ZN2at6native12_GLOBAL__N_138distribution_binary_elementwise_kernelIZN12_GLOBAL__N_120binomial_cuda_kernelIN3c108BFloat16EEEvRNS_18TensorIteratorBaseENS_15PhiloxCudaStateEEUlR25hiprandStatePhilox4_32_10S6_S6_E_23TrivialOffsetCalculatorILi2EjESD_ILi1EjEEEviT_S9_PN15function_traitsISG_E11result_typeEPKNSI_3argILi1EE4typeEPKNSL_ILi2EE4typeET0_T1_,"axG",@progbits,_ZN2at6native12_GLOBAL__N_138distribution_binary_elementwise_kernelIZN12_GLOBAL__N_120binomial_cuda_kernelIN3c108BFloat16EEEvRNS_18TensorIteratorBaseENS_15PhiloxCudaStateEEUlR25hiprandStatePhilox4_32_10S6_S6_E_23TrivialOffsetCalculatorILi2EjESD_ILi1EjEEEviT_S9_PN15function_traitsISG_E11result_typeEPKNSI_3argILi1EE4typeEPKNSL_ILi2EE4typeET0_T1_,comdat
	.globl	_ZN2at6native12_GLOBAL__N_138distribution_binary_elementwise_kernelIZN12_GLOBAL__N_120binomial_cuda_kernelIN3c108BFloat16EEEvRNS_18TensorIteratorBaseENS_15PhiloxCudaStateEEUlR25hiprandStatePhilox4_32_10S6_S6_E_23TrivialOffsetCalculatorILi2EjESD_ILi1EjEEEviT_S9_PN15function_traitsISG_E11result_typeEPKNSI_3argILi1EE4typeEPKNSL_ILi2EE4typeET0_T1_ ; -- Begin function _ZN2at6native12_GLOBAL__N_138distribution_binary_elementwise_kernelIZN12_GLOBAL__N_120binomial_cuda_kernelIN3c108BFloat16EEEvRNS_18TensorIteratorBaseENS_15PhiloxCudaStateEEUlR25hiprandStatePhilox4_32_10S6_S6_E_23TrivialOffsetCalculatorILi2EjESD_ILi1EjEEEviT_S9_PN15function_traitsISG_E11result_typeEPKNSI_3argILi1EE4typeEPKNSL_ILi2EE4typeET0_T1_
	.p2align	8
	.type	_ZN2at6native12_GLOBAL__N_138distribution_binary_elementwise_kernelIZN12_GLOBAL__N_120binomial_cuda_kernelIN3c108BFloat16EEEvRNS_18TensorIteratorBaseENS_15PhiloxCudaStateEEUlR25hiprandStatePhilox4_32_10S6_S6_E_23TrivialOffsetCalculatorILi2EjESD_ILi1EjEEEviT_S9_PN15function_traitsISG_E11result_typeEPKNSI_3argILi1EE4typeEPKNSL_ILi2EE4typeET0_T1_,@function
_ZN2at6native12_GLOBAL__N_138distribution_binary_elementwise_kernelIZN12_GLOBAL__N_120binomial_cuda_kernelIN3c108BFloat16EEEvRNS_18TensorIteratorBaseENS_15PhiloxCudaStateEEUlR25hiprandStatePhilox4_32_10S6_S6_E_23TrivialOffsetCalculatorILi2EjESD_ILi1EjEEEviT_S9_PN15function_traitsISG_E11result_typeEPKNSI_3argILi1EE4typeEPKNSL_ILi2EE4typeET0_T1_: ; @_ZN2at6native12_GLOBAL__N_138distribution_binary_elementwise_kernelIZN12_GLOBAL__N_120binomial_cuda_kernelIN3c108BFloat16EEEvRNS_18TensorIteratorBaseENS_15PhiloxCudaStateEEUlR25hiprandStatePhilox4_32_10S6_S6_E_23TrivialOffsetCalculatorILi2EjESD_ILi1EjEEEviT_S9_PN15function_traitsISG_E11result_typeEPKNSI_3argILi1EE4typeEPKNSL_ILi2EE4typeET0_T1_
; %bb.0:
	s_load_dword s9, s[6:7], 0x20
	s_load_dwordx4 s[0:3], s[6:7], 0x8
	s_waitcnt lgkmcnt(0)
	s_bitcmp0_b32 s9, 0
	v_pk_mov_b32 v[4:5], s[2:3], s[2:3] op_sel:[0,1]
	v_pk_mov_b32 v[24:25], s[0:1], s[0:1] op_sel:[0,1]
	s_cbranch_scc1 .LBB107_2
; %bb.1:
	v_pk_mov_b32 v[2:3], s[2:3], s[2:3] op_sel:[0,1]
	flat_load_dwordx2 v[2:3], v[2:3]
	v_pk_mov_b32 v[4:5], s[0:1], s[0:1] op_sel:[0,1]
	flat_load_dwordx2 v[24:25], v[4:5]
	s_load_dwordx2 s[0:1], s[6:7], 0x18
	s_waitcnt lgkmcnt(0)
	v_mov_b32_e32 v1, s1
	s_waitcnt vmcnt(0)
	v_add_co_u32_e32 v4, vcc, s0, v2
	v_addc_co_u32_e32 v5, vcc, v3, v1, vcc
.LBB107_2:
	s_load_dword s0, s[6:7], 0x0
	s_lshl_b32 s33, s8, 10
	v_and_b32_e32 v34, 0x3ff, v0
	s_waitcnt lgkmcnt(0)
	s_sub_i32 s0, s0, s33
	v_cmp_gt_i32_e32 vcc, s0, v34
	s_and_saveexec_b64 s[2:3], vcc
	s_cbranch_execz .LBB107_83
; %bb.3:
	s_load_dwordx2 s[2:3], s[4:5], 0x4
	s_min_i32 s56, s0, 0x400
	s_load_dword s4, s[6:7], 0x54
	s_load_dwordx4 s[12:15], s[6:7], 0x28
	s_load_dwordx2 s[0:1], s[6:7], 0x38
	v_bfe_u32 v2, v0, 10, 10
	v_bfe_u32 v0, v0, 20, 10
	s_waitcnt lgkmcnt(0)
	s_lshr_b32 s2, s2, 16
	s_mul_i32 s2, s2, s3
	v_mul_lo_u32 v1, s2, v34
	v_mad_u32_u24 v1, v2, s3, v1
	v_add_lshl_u32 v35, v1, v0, 3
	v_add_u32_e32 v36, 0x2000, v35
	s_mov_b32 s5, 0
	s_mov_b64 s[2:3], 0
	v_mov_b32_e32 v1, 0
	v_mov_b32_e32 v2, s15
	;; [unrolled: 1-line block ×6, first 2 shown]
.LBB107_4:                              ; =>This Inner Loop Header: Depth=1
	v_add_u32_e32 v0, s33, v8
	v_lshlrev_b64 v[10:11], 1, v[0:1]
	v_add_co_u32_e32 v12, vcc, s14, v10
	v_addc_co_u32_e32 v13, vcc, v2, v11, vcc
	v_add_co_u32_e32 v10, vcc, s0, v10
	v_addc_co_u32_e32 v11, vcc, v3, v11, vcc
	global_load_ushort v0, v[12:13], off
	global_load_ushort v9, v[10:11], off
	s_add_i32 s1, s5, 1
	v_add_u32_e32 v8, 0x100, v8
	s_cmp_gt_u32 s5, 2
	v_cmp_le_i32_e32 vcc, s56, v8
	s_cselect_b64 s[6:7], -1, 0
	s_or_b64 s[6:7], s[6:7], vcc
	s_and_b64 s[6:7], exec, s[6:7]
	s_mov_b32 s5, s1
	s_or_b64 s[2:3], s[6:7], s[2:3]
	s_waitcnt vmcnt(1)
	ds_write_b16 v7, v0
	s_waitcnt vmcnt(0)
	ds_write_b16 v6, v9
	v_add_u32_e32 v7, 2, v7
	v_add_u32_e32 v6, 2, v6
	s_andn2_b64 exec, exec, s[2:3]
	s_cbranch_execnz .LBB107_4
; %bb.5:
	s_or_b64 exec, exec, s[2:3]
	s_and_b32 s0, 0xffff, s4
	s_mul_i32 s8, s8, s0
	v_add_u32_e32 v2, s8, v34
	v_alignbit_b32 v0, v5, v4, 2
	s_mov_b32 s58, 0xd2511f53
	s_mov_b32 s59, 0xcd9e8d57
	v_and_b32_e32 v78, 3, v4
	v_lshrrev_b32_e32 v1, 2, v5
	v_mad_u64_u32 v[4:5], s[0:1], v0, s58, 0
	v_mad_u64_u32 v[8:9], s[0:1], v2, s59, 0
	s_mov_b32 s0, 0x9e3779b9
	v_xor_b32_e32 v7, v24, v9
	v_mov_b32_e32 v6, v25
	v_xor_b32_e32 v5, v5, v25
	v_add_co_u32_e32 v37, vcc, s0, v24
	s_mov_b32 s0, 0xbb67ae85
	v_xor_b32_e32 v7, v7, v1
	v_add_co_u32_e32 v38, vcc, s0, v6
	v_mad_u64_u32 v[10:11], s[0:1], v7, s58, 0
	v_mad_u64_u32 v[12:13], s[0:1], v5, s59, 0
	v_xor_b32_e32 v5, v13, v37
	v_xor_b32_e32 v7, v38, v11
	s_mov_b32 s0, 0x3c6ef372
	v_xor_b32_e32 v5, v5, v8
	v_xor_b32_e32 v7, v7, v4
	v_add_co_u32_e32 v39, vcc, s0, v24
	s_mov_b32 s0, 0x76cf5d0a
	v_add_co_u32_e32 v40, vcc, s0, v6
	v_mad_u64_u32 v[4:5], s[0:1], v5, s58, 0
	v_mad_u64_u32 v[8:9], s[0:1], v7, s59, 0
	v_xor_b32_e32 v7, v39, v9
	v_xor_b32_e32 v5, v5, v40
	s_mov_b32 s0, 0xdaa66d2b
	v_xor_b32_e32 v7, v7, v12
	v_xor_b32_e32 v5, v5, v10
	v_add_co_u32_e32 v41, vcc, s0, v24
	s_mov_b32 s0, 0x32370b8f
	;; [unrolled: 10-line block ×7, first 2 shown]
	v_add_co_u32_e32 v52, vcc, s0, v6
	v_mad_u64_u32 v[4:5], s[0:1], v5, s58, 0
	v_mad_u64_u32 v[6:7], s[0:1], v7, s59, 0
	v_xor_b32_e32 v7, v51, v7
	v_xor_b32_e32 v5, v5, v52
	;; [unrolled: 1-line block ×4, first 2 shown]
	v_mad_u64_u32 v[12:13], s[0:1], v7, s58, 0
	v_mad_u64_u32 v[14:15], s[0:1], v5, s59, 0
	v_mov_b32_e32 v3, 0
	v_add_u32_e32 v53, 0x8ff34781, v24
	v_add_u32_e32 v54, 0x96a522ad, v25
	v_xor_b32_e32 v5, v6, v15
	v_xor_b32_e32 v4, v13, v4
	;; [unrolled: 1-line block ×4, first 2 shown]
	s_mov_b32 s8, 0x66666666
	s_mov_b32 s10, 0xa3d70a3d
	;; [unrolled: 1-line block ×11, first 2 shown]
	v_pk_mov_b32 v[6:7], v[2:3], v[2:3] op_sel:[0,1]
	s_mov_b32 s57, 0
	v_mov_b32_e32 v9, v14
	v_mov_b32_e32 v11, v12
	v_add_u32_e32 v55, 0x9e3779b9, v24
	v_add_u32_e32 v56, 0xbb67ae85, v25
	;; [unrolled: 1-line block ×16, first 2 shown]
	s_mov_b64 s[6:7], 0
	s_movk_i32 s60, 0x7fff
	s_mov_b32 s61, 0x41200000
	s_mov_b32 s62, 0xf800000
	v_mov_b32_e32 v71, 0x260
	s_mov_b32 s9, 0x40146666
	s_mov_b32 s11, 0x40043d70
	;; [unrolled: 1-line block ×17, first 2 shown]
	v_mov_b32_e32 v72, 0x3f2aaada
	s_mov_b32 s68, 0x3f317218
	v_mov_b32_e32 v73, 0x7fc00000
	v_mov_b32_e32 v26, 0x66666666
	;; [unrolled: 1-line block ×9, first 2 shown]
	v_pk_mov_b32 v[4:5], v[0:1], v[0:1] op_sel:[0,1]
	s_branch .LBB107_13
.LBB107_6:                              ;   in Loop: Header=BB107_13 Depth=1
	s_or_b64 exec, exec, s[4:5]
	v_lshlrev_b32_e32 v0, 16, v16
	v_sub_f32_e32 v0, v2, v0
	v_bfe_u32 v1, v0, 16, 1
	v_add3_u32 v1, v0, v1, s60
	v_lshrrev_b32_e32 v1, 16, v1
	v_cmp_o_f32_e32 vcc, v0, v0
	v_cndmask_b32_e32 v87, v76, v1, vcc
.LBB107_7:                              ;   in Loop: Header=BB107_13 Depth=1
	s_or_b64 exec, exec, s[2:3]
	v_mov_b32_e32 v78, v88
.LBB107_8:                              ;   in Loop: Header=BB107_13 Depth=1
	s_or_b64 exec, exec, s[44:45]
	v_mov_b32_e32 v89, v78
.LBB107_9:                              ;   in Loop: Header=BB107_13 Depth=1
	s_or_b64 exec, exec, s[42:43]
	v_mov_b32_e32 v78, v89
.LBB107_10:                             ;   in Loop: Header=BB107_13 Depth=1
	s_or_b64 exec, exec, s[40:41]
	v_mov_b32_e32 v1, v87
.LBB107_11:                             ;   in Loop: Header=BB107_13 Depth=1
	s_or_b64 exec, exec, s[38:39]
.LBB107_12:                             ;   in Loop: Header=BB107_13 Depth=1
	s_or_b64 exec, exec, s[36:37]
	v_add_u32_e32 v2, s33, v34
	v_lshlrev_b64 v[12:13], 1, v[2:3]
	v_mov_b32_e32 v0, s13
	v_add_co_u32_e32 v12, vcc, s12, v12
	s_add_i32 s2, s57, 1
	v_addc_co_u32_e32 v13, vcc, v0, v13, vcc
	v_add_u32_e32 v34, 0x100, v34
	s_cmp_gt_u32 s57, 2
	s_cselect_b64 s[0:1], -1, 0
	v_cmp_le_i32_e32 vcc, s56, v34
	s_or_b64 s[0:1], s[0:1], vcc
	s_and_b64 s[0:1], exec, s[0:1]
	s_or_b64 s[6:7], s[0:1], s[6:7]
	s_mov_b32 s57, s2
	global_store_short v[12:13], v1, off
	s_andn2_b64 exec, exec, s[6:7]
	s_cbranch_execz .LBB107_83
.LBB107_13:                             ; =>This Loop Header: Depth=1
                                        ;     Child Loop BB107_21 Depth 2
                                        ;     Child Loop BB107_43 Depth 2
	;; [unrolled: 1-line block ×4, first 2 shown]
	v_lshl_add_u32 v0, s57, 1, v36
	ds_read_u16 v87, v0
	v_mov_b32_e32 v1, 0
	s_waitcnt lgkmcnt(0)
	v_lshlrev_b32_e32 v2, 16, v87
	v_cmp_nge_f32_e32 vcc, 0, v2
	s_and_saveexec_b64 s[36:37], vcc
	s_cbranch_execz .LBB107_12
; %bb.14:                               ;   in Loop: Header=BB107_13 Depth=1
	v_lshl_add_u32 v0, s57, 1, v35
	ds_read_u16 v0, v0
	v_mov_b32_e32 v1, 0
	s_waitcnt lgkmcnt(0)
	v_lshlrev_b32_e32 v0, 16, v0
	v_cmp_nge_f32_e32 vcc, 0, v0
	s_and_saveexec_b64 s[38:39], vcc
	s_cbranch_execz .LBB107_11
; %bb.15:                               ;   in Loop: Header=BB107_13 Depth=1
	v_cmp_nle_f32_e32 vcc, 1.0, v0
	s_and_saveexec_b64 s[40:41], vcc
	s_cbranch_execz .LBB107_10
; %bb.16:                               ;   in Loop: Header=BB107_13 Depth=1
	v_cmp_ge_f32_e32 vcc, 0.5, v0
                                        ; implicit-def: $vgpr87
                                        ; implicit-def: $vgpr89
	s_and_saveexec_b64 s[0:1], vcc
	s_xor_b64 s[42:43], exec, s[0:1]
	s_cbranch_execz .LBB107_49
; %bb.17:                               ;   in Loop: Header=BB107_13 Depth=1
	v_mul_f32_e32 v1, v2, v0
	v_bfe_u32 v12, v1, 16, 1
	v_cmp_o_f32_e32 vcc, v1, v1
	v_add3_u32 v1, v1, v12, s60
	v_and_b32_e32 v1, 0xffff0000, v1
	v_cmp_le_f32_e64 s[0:1], s61, v1
	s_and_b64 s[0:1], vcc, s[0:1]
                                        ; implicit-def: $vgpr87
                                        ; implicit-def: $vgpr89
	s_and_saveexec_b64 s[2:3], s[0:1]
	s_xor_b64 s[44:45], exec, s[2:3]
	s_cbranch_execz .LBB107_40
; %bb.18:                               ;   in Loop: Header=BB107_13 Depth=1
	v_sub_f32_e32 v12, 1.0, v0
	v_bfe_u32 v13, v12, 16, 1
	v_add3_u32 v12, v12, v13, s60
	v_and_b32_e32 v30, 0xffff0000, v12
	v_mul_f32_e32 v12, v1, v30
	v_bfe_u32 v13, v12, 16, 1
	v_add3_u32 v13, v12, v13, s60
	v_and_b32_e32 v13, 0xffff0000, v13
	v_cmp_o_f32_e32 vcc, v12, v12
	v_cndmask_b32_e32 v12, v73, v13, vcc
	v_mul_f32_e32 v13, 0x4f800000, v12
	v_cmp_gt_f32_e32 vcc, s62, v12
	v_cndmask_b32_e32 v12, v12, v13, vcc
	v_sqrt_f32_e32 v13, v12
	v_pk_mov_b32 v[16:17], v[28:29], v[28:29] op_sel:[0,1]
	v_cvt_f64_f32_e32 v[18:19], v0
	v_add_f32_e32 v81, 0.5, v1
	v_add_u32_e32 v14, -1, v13
	v_fma_f32 v15, -v14, v13, v12
	v_cmp_ge_f32_e64 s[0:1], 0, v15
	v_add_u32_e32 v15, 1, v13
	v_cndmask_b32_e64 v14, v13, v14, s[0:1]
	v_fma_f32 v13, -v15, v13, v12
	v_cmp_lt_f32_e64 s[0:1], 0, v13
	v_cndmask_b32_e64 v13, v14, v15, s[0:1]
	v_mul_f32_e32 v14, 0x37800000, v13
	v_cndmask_b32_e32 v13, v13, v14, vcc
	v_cmp_class_f32_e32 vcc, v12, v71
	v_cndmask_b32_e32 v12, v13, v12, vcc
	v_cvt_f64_f32_e32 v[12:13], v12
	v_pk_mov_b32 v[14:15], v[26:27], v[26:27] op_sel:[0,1]
	v_fmac_f64_e32 v[14:15], s[10:11], v[12:13]
	v_cvt_f32_f64_e32 v79, v[14:15]
	v_cvt_f64_f32_e32 v[14:15], v79
	v_div_scale_f64 v[20:21], s[0:1], v[14:15], v[14:15], s[18:19]
	v_rcp_f64_e32 v[22:23], v[20:21]
	v_fmac_f64_e32 v[16:17], s[14:15], v[14:15]
	v_fmac_f64_e32 v[16:17], s[16:17], v[18:19]
	v_cvt_f32_f64_e32 v80, v[16:17]
	v_fma_f64 v[16:17], -v[20:21], v[22:23], 1.0
	v_fmac_f64_e32 v[22:23], v[22:23], v[16:17]
	v_fma_f64 v[16:17], -v[20:21], v[22:23], 1.0
	v_fmac_f64_e32 v[22:23], v[22:23], v[16:17]
	v_div_scale_f64 v[16:17], vcc, s[18:19], v[14:15], s[18:19]
	v_mul_f64 v[18:19], v[16:17], v[22:23]
	v_fma_f64 v[16:17], -v[20:21], v[18:19], v[16:17]
	v_div_scale_f32 v1, s[0:1], v30, v30, v0
	s_nop 0
	v_div_fmas_f64 v[16:17], v[16:17], v[22:23], v[18:19]
	v_rcp_f32_e32 v18, v1
	v_div_fixup_f64 v[16:17], v[16:17], v[14:15], s[18:19]
	v_add_f64 v[16:17], v[16:17], s[20:21]
	v_cvt_f32_f64_e32 v82, v[16:17]
	v_fma_f32 v16, -v1, v18, 1.0
	v_fmac_f32_e32 v18, v16, v18
	v_div_scale_f32 v16, vcc, v0, v30, v0
	v_mul_f32_e32 v17, v16, v18
	v_fma_f32 v19, -v1, v17, v16
	v_fmac_f32_e32 v17, v19, v18
	v_fma_f32 v1, -v1, v17, v16
	v_div_fmas_f32 v1, v1, v18, v17
	v_div_fixup_f32 v1, v1, v30, v0
	v_bfe_u32 v16, v1, 16, 1
	v_add3_u32 v20, v1, v16, s60
	v_div_scale_f64 v[16:17], s[0:1], v[14:15], v[14:15], s[8:9]
	v_rcp_f64_e32 v[18:19], v[16:17]
	v_and_b32_e32 v20, 0xffff0000, v20
	v_cmp_o_f32_e32 vcc, v1, v1
	v_cndmask_b32_e32 v83, v73, v20, vcc
	v_fma_f64 v[20:21], -v[16:17], v[18:19], 1.0
	v_fmac_f64_e32 v[18:19], v[18:19], v[20:21]
	v_fma_f64 v[20:21], -v[16:17], v[18:19], 1.0
	v_fmac_f64_e32 v[18:19], v[18:19], v[20:21]
	v_div_scale_f64 v[20:21], vcc, s[8:9], v[14:15], s[8:9]
	v_mul_f64 v[22:23], v[20:21], v[18:19]
	v_fma_f64 v[16:17], -v[16:17], v[22:23], v[20:21]
	v_add_f32_e32 v1, 1.0, v2
	s_nop 0
	v_div_fmas_f64 v[16:17], v[16:17], v[18:19], v[22:23]
	v_div_fixup_f64 v[14:15], v[16:17], v[14:15], s[8:9]
	v_bfe_u32 v16, v1, 16, 1
	v_add3_u32 v16, v1, v16, s60
	v_and_b32_e32 v16, 0xffff0000, v16
	v_cmp_o_f32_e32 vcc, v1, v1
	v_cndmask_b32_e32 v84, v73, v16, vcc
	v_mul_f32_e32 v0, v84, v0
	v_bfe_u32 v1, v0, 16, 1
	v_add3_u32 v1, v0, v1, s60
	v_and_b32_e32 v1, 0xffff0000, v1
	v_cmp_o_f32_e32 vcc, v0, v0
	v_cndmask_b32_e32 v0, v73, v1, vcc
	v_floor_f32_e32 v30, v0
	v_sub_f32_e32 v32, v2, v30
	v_add_f32_e32 v85, 1.0, v32
	v_add_f32_e32 v31, 1.0, v30
	v_mul_f32_e32 v16, v85, v83
	v_div_scale_f32 v17, s[0:1], v16, v16, v31
	v_rcp_f32_e32 v18, v17
	v_add_f64 v[0:1], v[14:15], s[22:23]
	v_mul_f64 v[0:1], v[0:1], v[12:13]
	v_cvt_f32_f64_e32 v86, v[0:1]
	v_fma_f32 v0, -v17, v18, 1.0
	v_fmac_f32_e32 v18, v0, v18
	v_div_scale_f32 v0, vcc, v31, v16, v31
	v_mul_f32_e32 v1, v0, v18
	v_fma_f32 v12, -v17, v1, v0
	v_fmac_f32_e32 v1, v12, v18
	v_fma_f32 v0, -v17, v1, v0
	v_div_fmas_f32 v0, v0, v18, v1
	v_div_fixup_f32 v0, v0, v16, v31
	v_cmp_gt_f32_e64 s[0:1], s63, v0
	v_cndmask_b32_e64 v1, 1.0, v74, s[0:1]
	v_mul_f32_e32 v0, v0, v1
	v_log_f32_e32 v22, v0
	v_mul_f32_e32 v12, v31, v31
	v_cvt_f64_f32_e32 v[12:13], v12
	s_mov_b32 s24, s26
	v_div_scale_f64 v[14:15], s[2:3], v[12:13], v[12:13], s[24:25]
	v_rcp_f64_e32 v[16:17], v[14:15]
	v_mul_f32_e32 v18, 0x3f317217, v22
	v_fma_f32 v19, v22, s64, -v18
	v_fmac_f32_e32 v19, 0x3377d1cf, v22
	v_add_f32_e32 v23, v18, v19
	v_fma_f64 v[18:19], -v[14:15], v[16:17], 1.0
	v_fmac_f64_e32 v[16:17], v[16:17], v[18:19]
	v_fma_f64 v[18:19], -v[14:15], v[16:17], 1.0
	v_fmac_f64_e32 v[16:17], v[16:17], v[18:19]
	v_div_scale_f64 v[18:19], vcc, s[24:25], v[12:13], s[24:25]
	v_mul_f64 v[20:21], v[18:19], v[16:17]
	v_fma_f64 v[14:15], -v[14:15], v[20:21], v[18:19]
	v_cvt_f64_f32_e32 v[0:1], v30
	s_nop 0
	v_div_fmas_f64 v[14:15], v[14:15], v[16:17], v[20:21]
	v_div_fixup_f64 v[14:15], v[14:15], v[12:13], s[24:25]
	v_add_f64 v[14:15], -v[14:15], s[28:29]
	v_div_scale_f64 v[16:17], s[2:3], v[12:13], v[12:13], v[14:15]
	v_rcp_f64_e32 v[18:19], v[16:17]
	v_cmp_lt_f32_e64 vcc, |v22|, s65
	v_cndmask_b32_e32 v20, v22, v23, vcc
	v_cndmask_b32_e64 v21, 0, v75, s[0:1]
	v_sub_f32_e32 v33, v20, v21
	v_fma_f64 v[20:21], -v[16:17], v[18:19], 1.0
	v_fmac_f64_e32 v[18:19], v[18:19], v[20:21]
	v_fma_f64 v[20:21], -v[16:17], v[18:19], 1.0
	v_fmac_f64_e32 v[18:19], v[18:19], v[20:21]
	v_div_scale_f64 v[20:21], vcc, v[14:15], v[12:13], v[14:15]
	v_mul_f64 v[22:23], v[20:21], v[18:19]
	v_fma_f64 v[16:17], -v[16:17], v[22:23], v[20:21]
	v_add_f64 v[0:1], v[0:1], 0.5
	s_nop 0
	v_div_fmas_f64 v[16:17], v[16:17], v[18:19], v[22:23]
	v_div_fixup_f64 v[12:13], v[16:17], v[12:13], v[14:15]
	v_add_f64 v[12:13], -v[12:13], s[30:31]
	v_cvt_f64_f32_e32 v[14:15], v31
	v_div_scale_f64 v[16:17], s[0:1], v[14:15], v[14:15], v[12:13]
	v_rcp_f64_e32 v[18:19], v[16:17]
	v_cvt_f64_f32_e32 v[20:21], v33
	v_mul_f64 v[0:1], v[0:1], v[20:21]
	v_cmp_gt_f32_e64 s[0:1], s61, v30
	v_fma_f64 v[20:21], -v[16:17], v[18:19], 1.0
	v_fmac_f64_e32 v[18:19], v[18:19], v[20:21]
	v_fma_f64 v[20:21], -v[16:17], v[18:19], 1.0
	v_fmac_f64_e32 v[18:19], v[18:19], v[20:21]
	v_div_scale_f64 v[20:21], vcc, v[12:13], v[14:15], v[12:13]
	v_mul_f64 v[22:23], v[20:21], v[18:19]
	v_fma_f64 v[16:17], -v[16:17], v[22:23], v[20:21]
	s_getpc_b64 s[4:5]
	s_add_u32 s4, s4, _ZZN12_GLOBAL__N_120stirling_approx_tailIfEET_S1_E11kTailValues.const@rel32@lo+4
	s_addc_u32 s5, s5, _ZZN12_GLOBAL__N_120stirling_approx_tailIfEET_S1_E11kTailValues.const@rel32@hi+12
	v_div_fmas_f64 v[16:17], v[16:17], v[18:19], v[22:23]
	v_div_fixup_f64 v[12:13], v[16:17], v[14:15], v[12:13]
	v_cvt_f32_f64_e32 v90, v[12:13]
	v_mul_f32_e32 v12, 0x2f800000, v30
	v_floor_f32_e32 v19, v12
	v_mul_f32_e32 v12, v85, v85
	v_cvt_f64_f32_e32 v[12:13], v12
	v_div_scale_f64 v[14:15], s[2:3], v[12:13], v[12:13], s[24:25]
	v_rcp_f64_e32 v[16:17], v[14:15]
	v_fmac_f32_e32 v30, 0xcf800000, v19
	v_cvt_u32_f32_e32 v18, v30
	v_cvt_u32_f32_e32 v19, v19
	v_fma_f64 v[20:21], -v[14:15], v[16:17], 1.0
	v_fmac_f64_e32 v[16:17], v[16:17], v[20:21]
	v_fma_f64 v[20:21], -v[14:15], v[16:17], 1.0
	v_fmac_f64_e32 v[16:17], v[16:17], v[20:21]
	v_div_scale_f64 v[20:21], vcc, s[24:25], v[12:13], s[24:25]
	v_mul_f64 v[22:23], v[20:21], v[16:17]
	v_fma_f64 v[14:15], -v[14:15], v[22:23], v[20:21]
	v_lshlrev_b64 v[18:19], 2, v[18:19]
	s_nop 0
	v_div_fmas_f64 v[14:15], v[14:15], v[16:17], v[22:23]
	v_div_fixup_f64 v[14:15], v[14:15], v[12:13], s[24:25]
	v_add_f64 v[14:15], -v[14:15], s[28:29]
	v_div_scale_f64 v[16:17], s[2:3], v[12:13], v[12:13], v[14:15]
	v_rcp_f64_e32 v[20:21], v[16:17]
	v_mov_b32_e32 v33, s5
	v_add_f32_e32 v88, v80, v80
	s_mov_b64 s[46:47], 0
	v_fma_f64 v[22:23], -v[16:17], v[20:21], 1.0
	v_fmac_f64_e32 v[20:21], v[20:21], v[22:23]
	v_fma_f64 v[22:23], -v[16:17], v[20:21], 1.0
	v_fmac_f64_e32 v[20:21], v[20:21], v[22:23]
	v_div_scale_f64 v[22:23], vcc, v[14:15], v[12:13], v[14:15]
	v_mul_f64 v[30:31], v[22:23], v[20:21]
	v_fma_f64 v[16:17], -v[16:17], v[30:31], v[22:23]
	s_mov_b64 s[48:49], 0
	s_nop 0
	v_div_fmas_f64 v[16:17], v[16:17], v[20:21], v[30:31]
	v_div_fixup_f64 v[12:13], v[16:17], v[12:13], v[14:15]
	v_add_f64 v[12:13], -v[12:13], s[30:31]
	v_cvt_f64_f32_e32 v[14:15], v85
	v_div_scale_f64 v[16:17], s[2:3], v[14:15], v[14:15], v[12:13]
	v_rcp_f64_e32 v[20:21], v[16:17]
	v_add_co_u32_e32 v30, vcc, s4, v18
	v_addc_co_u32_e32 v31, vcc, v19, v33, vcc
	v_fma_f64 v[18:19], -v[16:17], v[20:21], 1.0
	v_fmac_f64_e32 v[20:21], v[20:21], v[18:19]
	v_fma_f64 v[18:19], -v[16:17], v[20:21], 1.0
	v_fmac_f64_e32 v[20:21], v[20:21], v[18:19]
	v_div_scale_f64 v[18:19], vcc, v[12:13], v[14:15], v[12:13]
	v_mul_f64 v[22:23], v[18:19], v[20:21]
	v_fma_f64 v[16:17], -v[16:17], v[22:23], v[18:19]
	v_trunc_f32_e32 v18, v32
	v_mul_f32_e32 v19, 0x2f800000, v18
	v_floor_f32_e32 v19, v19
	v_fmac_f32_e32 v18, 0xcf800000, v19
	v_cvt_u32_f32_e32 v18, v18
	v_cvt_u32_f32_e32 v19, v19
	v_div_fmas_f64 v[16:17], v[16:17], v[20:21], v[22:23]
	v_div_fixup_f64 v[12:13], v[16:17], v[14:15], v[12:13]
	v_cvt_f32_f64_e32 v91, v[12:13]
	v_lshlrev_b64 v[12:13], 2, v[18:19]
	v_cmp_gt_f32_e64 s[2:3], s61, v32
	v_add_co_u32_e32 v32, vcc, s4, v12
	v_pk_mov_b32 v[18:19], v[10:11], v[10:11] op_sel:[0,1]
	v_addc_co_u32_e32 v33, vcc, v13, v33, vcc
	v_pk_mov_b32 v[16:17], v[8:9], v[8:9] op_sel:[0,1]
	s_branch .LBB107_21
.LBB107_19:                             ;   in Loop: Header=BB107_21 Depth=2
	s_or_b64 exec, exec, s[4:5]
	v_bfe_u32 v23, v22, 16, 1
	v_add3_u32 v23, v22, v23, s60
	v_and_b32_e32 v23, 0xffff0000, v23
	v_cmp_o_f32_e32 vcc, v22, v22
	v_cndmask_b32_e32 v22, v73, v23, vcc
	v_div_scale_f32 v23, s[4:5], v22, v22, v85
	v_rcp_f32_e32 v78, v23
	v_fma_f32 v94, -v23, v78, 1.0
	v_fmac_f32_e32 v78, v94, v78
	v_div_scale_f32 v94, vcc, v85, v22, v85
	v_mul_f32_e32 v95, v94, v78
	v_fma_f32 v96, -v23, v95, v94
	v_fmac_f32_e32 v95, v96, v78
	v_fma_f32 v23, -v23, v95, v94
	v_div_fmas_f32 v23, v23, v78, v95
	v_div_fixup_f32 v23, v23, v22, v85
	v_cmp_gt_f32_e32 vcc, s63, v23
	v_cndmask_b32_e32 v78, 1.0, v74, vcc
	v_mul_f32_e32 v23, v23, v78
	v_log_f32_e32 v23, v23
	v_mul_f32_e32 v78, 0x3f317217, v23
	v_fma_f32 v94, v23, s64, -v78
	v_fmac_f32_e32 v94, 0x3377d1cf, v23
	v_add_f32_e32 v78, v78, v94
	v_mul_f32_e32 v94, v83, v22
	v_bfe_u32 v22, v20, 16, 1
	v_cmp_lt_f32_e64 s[4:5], |v23|, s65
	v_add3_u32 v22, v20, v22, s60
	v_cndmask_b32_e64 v23, v23, v78, s[4:5]
	v_cndmask_b32_e32 v78, 0, v75, vcc
	v_and_b32_e32 v22, 0xffff0000, v22
	v_cmp_o_f32_e32 vcc, v20, v20
	v_cndmask_b32_e32 v20, v73, v22, vcc
	v_div_scale_f32 v95, s[4:5], v20, v20, v94
	v_rcp_f32_e32 v96, v95
	v_sub_f32_e32 v22, v23, v78
	v_mul_f32_e32 v22, v84, v22
	v_cvt_f64_f32_e32 v[22:23], v22
	v_fma_f32 v78, -v95, v96, 1.0
	v_fmac_f32_e32 v96, v78, v96
	v_div_scale_f32 v78, vcc, v94, v20, v94
	v_mul_f32_e32 v97, v78, v96
	v_fma_f32 v98, -v95, v97, v78
	v_fmac_f32_e32 v97, v98, v96
	v_fma_f32 v78, -v95, v97, v78
	v_div_fmas_f32 v78, v78, v96, v97
	v_div_fixup_f32 v20, v78, v20, v94
	v_cmp_gt_f32_e32 vcc, s63, v20
	v_cndmask_b32_e32 v78, 1.0, v74, vcc
	v_mul_f32_e32 v20, v20, v78
	v_log_f32_e32 v20, v20
	v_cvt_f64_f32_e32 v[94:95], v93
	v_add_f64 v[22:23], v[0:1], v[22:23]
	v_add_f64 v[94:95], v[94:95], 0.5
	v_mul_f32_e32 v78, 0x3f317217, v20
	v_fma_f32 v93, v20, s64, -v78
	v_fmac_f32_e32 v93, 0x3377d1cf, v20
	v_add_f32_e32 v78, v78, v93
	v_cmp_lt_f32_e64 s[4:5], |v20|, s65
	v_cndmask_b32_e64 v20, v20, v78, s[4:5]
	v_cndmask_b32_e32 v78, 0, v75, vcc
	v_sub_f32_e32 v20, v20, v78
	v_mul_f32_e32 v78, v92, v92
	v_div_scale_f32 v96, s[4:5], v78, v78, v80
	v_rcp_f32_e32 v97, v96
	v_cvt_f64_f32_e32 v[92:93], v20
	v_mul_f32_e32 v20, v16, v86
	v_fmac_f64_e32 v[22:23], v[94:95], v[92:93]
	v_fma_f32 v16, -v96, v97, 1.0
	v_fmac_f32_e32 v97, v16, v97
	v_div_scale_f32 v16, vcc, v80, v78, v80
	v_mul_f32_e32 v92, v16, v97
	v_fma_f32 v93, -v96, v92, v16
	v_fmac_f32_e32 v92, v93, v97
	v_fma_f32 v16, -v96, v92, v16
	v_div_fmas_f32 v16, v16, v97, v92
	v_div_fixup_f32 v16, v16, v78, v80
	v_add_f32_e32 v78, v16, v79
	v_div_scale_f32 v92, s[4:5], v78, v78, v20
	v_rcp_f32_e32 v93, v92
	s_waitcnt vmcnt(0)
	v_cvt_f64_f32_e32 v[16:17], v17
	v_add_f64 v[16:17], v[22:23], v[16:17]
	v_cvt_f64_f32_e32 v[22:23], v18
	v_fma_f32 v18, -v92, v93, 1.0
	v_fmac_f32_e32 v93, v18, v93
	v_div_scale_f32 v18, vcc, v20, v78, v20
	v_mul_f32_e32 v94, v18, v93
	v_fma_f32 v95, -v92, v94, v18
	v_fmac_f32_e32 v94, v95, v93
	v_fma_f32 v18, -v92, v94, v18
	v_div_fmas_f32 v18, v18, v93, v94
	v_div_fixup_f32 v18, v18, v78, v20
	v_cmp_gt_f32_e32 vcc, s63, v18
	v_cndmask_b32_e32 v20, 1.0, v74, vcc
	v_mul_f32_e32 v18, v18, v20
	v_log_f32_e32 v20, v18
	v_add_f64 v[16:17], v[16:17], v[22:23]
	v_cvt_f64_f32_e32 v[18:19], v19
	v_add_f64 v[16:17], v[16:17], -v[18:19]
	v_mul_f32_e32 v18, 0x3f317217, v20
	v_fma_f32 v19, v20, s64, -v18
	v_fmac_f32_e32 v19, 0x3377d1cf, v20
	v_add_f32_e32 v18, v18, v19
	v_cmp_lt_f32_e64 s[4:5], |v20|, s65
	v_cndmask_b32_e64 v18, v20, v18, s[4:5]
	v_cndmask_b32_e32 v19, 0, v75, vcc
	v_sub_f32_e32 v20, v18, v19
	v_cvt_f64_f32_e32 v[18:19], v21
	v_add_f64 v[16:17], v[16:17], -v[18:19]
	v_cvt_f32_f64_e32 v16, v[16:17]
	v_cmp_le_f32_e32 vcc, v20, v16
	s_orn2_b64 s[4:5], vcc, exec
.LBB107_20:                             ;   in Loop: Header=BB107_21 Depth=2
	s_or_b64 exec, exec, s[48:49]
	s_and_b64 s[4:5], exec, s[4:5]
	v_pk_mov_b32 v[18:19], v[14:15], v[14:15] op_sel:[0,1]
	s_or_b64 s[46:47], s[4:5], s[46:47]
	s_mov_b64 s[48:49], 0
	v_mov_b32_e32 v78, v89
	v_pk_mov_b32 v[16:17], v[12:13], v[12:13] op_sel:[0,1]
	s_andn2_b64 exec, exec, s[46:47]
	s_cbranch_execz .LBB107_39
.LBB107_21:                             ;   Parent Loop BB107_13 Depth=1
                                        ; =>  This Inner Loop Header: Depth=2
	v_add_u32_e32 v94, 1, v78
	v_pk_mov_b32 v[22:23], v[18:19], v[18:19] op_sel:[0,1]
	v_cmp_eq_u32_e32 vcc, 4, v94
	v_pk_mov_b32 v[20:21], v[16:17], v[16:17] op_sel:[0,1]
	s_and_saveexec_b64 s[4:5], vcc
	s_cbranch_execz .LBB107_23
; %bb.22:                               ;   in Loop: Header=BB107_21 Depth=2
	v_add_co_u32_e32 v4, vcc, 1, v4
	v_cndmask_b32_e64 v8, 0, 1, vcc
	v_addc_co_u32_e32 v5, vcc, 0, v5, vcc
	v_cmp_eq_u32_e32 vcc, 0, v5
	v_cndmask_b32_e32 v8, 0, v8, vcc
	v_add_u32_e32 v6, v8, v6
	v_cmp_eq_u32_e32 vcc, 0, v6
	v_cndmask_b32_e32 v8, 0, v8, vcc
	v_add_u32_e32 v7, v8, v7
	v_mad_u64_u32 v[8:9], s[50:51], v4, s58, 0
	v_mad_u64_u32 v[10:11], s[50:51], v6, s59, 0
	v_xor_b32_e32 v11, v11, v24
	v_xor_b32_e32 v9, v9, v25
	v_xor_b32_e32 v11, v5, v11
	v_xor_b32_e32 v9, v7, v9
	v_mad_u64_u32 v[12:13], s[50:51], v11, s58, 0
	v_mad_u64_u32 v[14:15], s[50:51], v9, s59, 0
	v_xor_b32_e32 v9, v15, v10
	v_xor_b32_e32 v8, v13, v8
	v_xor_b32_e32 v9, v55, v9
	v_xor_b32_e32 v10, v56, v8
	;; [unrolled: 6-line block ×9, first 2 shown]
	v_mad_u64_u32 v[12:13], s[50:51], v9, s58, 0
	v_mad_u64_u32 v[14:15], s[50:51], v11, s59, 0
	v_xor_b32_e32 v9, v13, v10
	v_xor_b32_e32 v8, v15, v8
	;; [unrolled: 1-line block ×3, first 2 shown]
	v_mov_b32_e32 v11, v12
	v_xor_b32_e32 v8, v53, v8
	v_mov_b32_e32 v9, v14
	v_pk_mov_b32 v[22:23], v[10:11], v[10:11] op_sel:[0,1]
	v_mov_b32_e32 v94, 0
	v_pk_mov_b32 v[20:21], v[8:9], v[8:9] op_sel:[0,1]
.LBB107_23:                             ;   in Loop: Header=BB107_21 Depth=2
	s_or_b64 exec, exec, s[4:5]
	v_add_u32_e32 v89, 1, v94
	v_pk_mov_b32 v[12:13], v[20:21], v[20:21] op_sel:[0,1]
	v_cmp_eq_u32_e32 vcc, 4, v89
	v_pk_mov_b32 v[14:15], v[22:23], v[22:23] op_sel:[0,1]
	s_and_saveexec_b64 s[4:5], vcc
	s_cbranch_execz .LBB107_25
; %bb.24:                               ;   in Loop: Header=BB107_21 Depth=2
	v_add_co_u32_e32 v4, vcc, 1, v4
	v_cndmask_b32_e64 v8, 0, 1, vcc
	v_addc_co_u32_e32 v5, vcc, 0, v5, vcc
	v_cmp_eq_u32_e32 vcc, 0, v5
	v_cndmask_b32_e32 v8, 0, v8, vcc
	v_add_u32_e32 v6, v8, v6
	v_cmp_eq_u32_e32 vcc, 0, v6
	v_cndmask_b32_e32 v8, 0, v8, vcc
	v_add_u32_e32 v7, v8, v7
	v_mad_u64_u32 v[8:9], s[50:51], v4, s58, 0
	v_mad_u64_u32 v[10:11], s[50:51], v6, s59, 0
	v_xor_b32_e32 v11, v11, v24
	v_xor_b32_e32 v9, v9, v25
	v_xor_b32_e32 v11, v5, v11
	v_xor_b32_e32 v9, v7, v9
	v_mad_u64_u32 v[12:13], s[50:51], v11, s58, 0
	v_mad_u64_u32 v[14:15], s[50:51], v9, s59, 0
	v_xor_b32_e32 v9, v15, v10
	v_xor_b32_e32 v8, v13, v8
	v_xor_b32_e32 v9, v55, v9
	v_xor_b32_e32 v10, v56, v8
	;; [unrolled: 6-line block ×9, first 2 shown]
	v_mad_u64_u32 v[12:13], s[50:51], v9, s58, 0
	v_mad_u64_u32 v[14:15], s[50:51], v11, s59, 0
	v_xor_b32_e32 v9, v13, v10
	v_xor_b32_e32 v8, v15, v8
	v_xor_b32_e32 v10, v54, v9
	v_mov_b32_e32 v11, v12
	v_xor_b32_e32 v8, v53, v8
	v_mov_b32_e32 v9, v14
	v_pk_mov_b32 v[14:15], v[10:11], v[10:11] op_sel:[0,1]
	v_mov_b32_e32 v89, 0
	v_pk_mov_b32 v[12:13], v[8:9], v[8:9] op_sel:[0,1]
.LBB107_25:                             ;   in Loop: Header=BB107_21 Depth=2
	s_or_b64 exec, exec, s[4:5]
	v_cmp_eq_u32_e32 vcc, 1, v78
	v_cndmask_b32_e32 v16, v16, v17, vcc
	v_cmp_eq_u32_e32 vcc, 2, v78
	v_cndmask_b32_e32 v16, v16, v18, vcc
	;; [unrolled: 2-line block ×3, first 2 shown]
	v_and_b32_e32 v16, 0xffffff, v16
	v_cvt_f32_u32_e32 v16, v16
	v_fma_f32 v16, v16, s66, -0.5
	v_sub_f32_e64 v92, 0.5, |v16|
	v_div_scale_f32 v17, s[4:5], v92, v92, v88
	v_rcp_f32_e32 v18, v17
	v_div_scale_f32 v19, vcc, v88, v92, v88
	v_fma_f32 v78, -v17, v18, 1.0
	v_fmac_f32_e32 v18, v78, v18
	v_mul_f32_e32 v78, v19, v18
	v_fma_f32 v87, -v17, v78, v19
	v_fmac_f32_e32 v78, v87, v18
	v_fma_f32 v17, -v17, v78, v19
	v_div_fmas_f32 v17, v17, v18, v78
	v_div_fixup_f32 v17, v17, v92, v88
	v_add_f32_e32 v17, v17, v79
	v_fma_f32 v16, v16, v17, v81
	v_floor_f32_e32 v16, v16
	v_bfe_u32 v17, v16, 16, 1
	v_add3_u32 v17, v16, v17, s60
	v_lshrrev_b32_e32 v17, 16, v17
	v_cmp_o_f32_e32 vcc, v16, v16
	v_cndmask_b32_e32 v87, v76, v17, vcc
	v_lshlrev_b32_e32 v93, 16, v87
	v_cmp_ngt_f32_e32 vcc, 0, v93
	v_cmp_ngt_f32_e64 s[4:5], v93, v2
	s_and_b64 s[4:5], vcc, s[4:5]
	s_and_b64 s[4:5], exec, s[4:5]
	v_pk_mov_b32 v[18:19], v[14:15], v[14:15] op_sel:[0,1]
	s_or_b64 s[48:49], s[4:5], s[48:49]
	v_mov_b32_e32 v78, v89
	v_pk_mov_b32 v[16:17], v[12:13], v[12:13] op_sel:[0,1]
	s_andn2_b64 exec, exec, s[48:49]
	s_cbranch_execnz .LBB107_21
; %bb.26:                               ;   in Loop: Header=BB107_21 Depth=2
	s_or_b64 exec, exec, s[48:49]
	v_cmp_eq_u32_e32 vcc, 1, v94
	v_cndmask_b32_e32 v16, v20, v21, vcc
	v_cmp_eq_u32_e32 vcc, 2, v94
	v_cndmask_b32_e32 v16, v16, v22, vcc
	;; [unrolled: 2-line block ×3, first 2 shown]
	v_and_b32_e32 v16, 0xffffff, v16
	v_cvt_f32_u32_e32 v16, v16
	v_cvt_f64_f32_e32 v[18:19], v92
	v_cmp_nle_f64_e32 vcc, s[34:35], v[18:19]
	v_mul_f32_e32 v16, 0x33800000, v16
	v_cmp_nle_f32_e64 s[4:5], v16, v82
	s_or_b64 s[50:51], vcc, s[4:5]
	s_mov_b64 s[4:5], -1
	s_and_saveexec_b64 s[48:49], s[50:51]
	s_cbranch_execz .LBB107_20
; %bb.27:                               ;   in Loop: Header=BB107_21 Depth=2
	v_mov_b32_e32 v17, v90
	s_and_saveexec_b64 s[4:5], s[0:1]
	s_cbranch_execz .LBB107_29
; %bb.28:                               ;   in Loop: Header=BB107_21 Depth=2
	global_load_dword v17, v[30:31], off
.LBB107_29:                             ;   in Loop: Header=BB107_21 Depth=2
	s_or_b64 exec, exec, s[4:5]
	v_mov_b32_e32 v18, v91
	s_and_saveexec_b64 s[4:5], s[2:3]
	s_cbranch_execz .LBB107_31
; %bb.30:                               ;   in Loop: Header=BB107_21 Depth=2
	global_load_dword v18, v[32:33], off
.LBB107_31:                             ;   in Loop: Header=BB107_21 Depth=2
	s_or_b64 exec, exec, s[4:5]
	v_add_f32_e32 v20, 1.0, v93
	v_cmp_ngt_f32_e32 vcc, s61, v93
                                        ; implicit-def: $vgpr19
	s_and_saveexec_b64 s[4:5], vcc
	s_xor_b64 s[4:5], exec, s[4:5]
	s_cbranch_execz .LBB107_33
; %bb.32:                               ;   in Loop: Header=BB107_21 Depth=2
	v_mul_f32_e32 v19, v20, v20
	v_cvt_f64_f32_e32 v[22:23], v19
	v_div_scale_f64 v[94:95], s[50:51], v[22:23], v[22:23], s[26:27]
	v_rcp_f64_e32 v[96:97], v[94:95]
	v_div_scale_f64 v[98:99], vcc, s[26:27], v[22:23], s[26:27]
	v_fma_f64 v[100:101], -v[94:95], v[96:97], 1.0
	v_fmac_f64_e32 v[96:97], v[96:97], v[100:101]
	v_fma_f64 v[100:101], -v[94:95], v[96:97], 1.0
	v_fmac_f64_e32 v[96:97], v[96:97], v[100:101]
	v_mul_f64 v[100:101], v[98:99], v[96:97]
	v_fma_f64 v[94:95], -v[94:95], v[100:101], v[98:99]
	v_div_fmas_f64 v[94:95], v[94:95], v[96:97], v[100:101]
	v_div_fixup_f64 v[94:95], v[94:95], v[22:23], s[26:27]
	v_add_f64 v[94:95], v[94:95], s[28:29]
	v_div_scale_f64 v[96:97], s[50:51], v[22:23], v[22:23], v[94:95]
	v_rcp_f64_e32 v[98:99], v[96:97]
	v_fma_f64 v[100:101], -v[96:97], v[98:99], 1.0
	v_fmac_f64_e32 v[98:99], v[98:99], v[100:101]
	v_fma_f64 v[100:101], -v[96:97], v[98:99], 1.0
	v_fmac_f64_e32 v[98:99], v[98:99], v[100:101]
	v_div_scale_f64 v[100:101], vcc, v[94:95], v[22:23], v[94:95]
	v_mul_f64 v[102:103], v[100:101], v[98:99]
	v_fma_f64 v[96:97], -v[96:97], v[102:103], v[100:101]
	s_nop 1
	v_div_fmas_f64 v[96:97], v[96:97], v[98:99], v[102:103]
	v_div_fixup_f64 v[22:23], v[96:97], v[22:23], v[94:95]
	v_add_f64 v[22:23], -v[22:23], s[30:31]
	v_cvt_f64_f32_e32 v[94:95], v20
	v_div_scale_f64 v[96:97], s[50:51], v[94:95], v[94:95], v[22:23]
	v_rcp_f64_e32 v[98:99], v[96:97]
	v_fma_f64 v[100:101], -v[96:97], v[98:99], 1.0
	v_fmac_f64_e32 v[98:99], v[98:99], v[100:101]
	v_fma_f64 v[100:101], -v[96:97], v[98:99], 1.0
	v_fmac_f64_e32 v[98:99], v[98:99], v[100:101]
	v_div_scale_f64 v[100:101], vcc, v[22:23], v[94:95], v[22:23]
	v_mul_f64 v[102:103], v[100:101], v[98:99]
	v_fma_f64 v[96:97], -v[96:97], v[102:103], v[100:101]
	s_nop 1
	v_div_fmas_f64 v[96:97], v[96:97], v[98:99], v[102:103]
	v_div_fixup_f64 v[22:23], v[96:97], v[94:95], v[22:23]
	v_cvt_f32_f64_e32 v19, v[22:23]
.LBB107_33:                             ;   in Loop: Header=BB107_21 Depth=2
	s_andn2_saveexec_b64 s[4:5], s[4:5]
	s_cbranch_execz .LBB107_35
; %bb.34:                               ;   in Loop: Header=BB107_21 Depth=2
	v_trunc_f32_e32 v19, v93
	v_mul_f32_e32 v21, 0x2f800000, v19
	v_floor_f32_e32 v21, v21
	v_fmac_f32_e32 v19, 0xcf800000, v21
	v_cvt_u32_f32_e32 v23, v21
	v_cvt_u32_f32_e32 v22, v19
	s_getpc_b64 s[50:51]
	s_add_u32 s50, s50, _ZZN12_GLOBAL__N_120stirling_approx_tailIfEET_S1_E11kTailValues.const@rel32@lo+4
	s_addc_u32 s51, s51, _ZZN12_GLOBAL__N_120stirling_approx_tailIfEET_S1_E11kTailValues.const@rel32@hi+12
	v_mov_b32_e32 v19, s51
	v_lshlrev_b64 v[22:23], 2, v[22:23]
	v_add_co_u32_e32 v22, vcc, s50, v22
	v_addc_co_u32_e32 v23, vcc, v23, v19, vcc
	global_load_dword v19, v[22:23], off
.LBB107_35:                             ;   in Loop: Header=BB107_21 Depth=2
	s_or_b64 exec, exec, s[4:5]
	v_sub_f32_e32 v21, v2, v93
	v_bfe_u32 v22, v21, 16, 1
	v_add3_u32 v22, v21, v22, s60
	v_and_b32_e32 v22, 0xffff0000, v22
	v_cmp_o_f32_e32 vcc, v21, v21
	v_cndmask_b32_e32 v23, v73, v22, vcc
	v_add_f32_e32 v22, 1.0, v23
	v_cmp_ngt_f32_e32 vcc, s61, v23
                                        ; implicit-def: $vgpr21
	s_and_saveexec_b64 s[4:5], vcc
	s_xor_b64 s[4:5], exec, s[4:5]
	s_cbranch_execz .LBB107_37
; %bb.36:                               ;   in Loop: Header=BB107_21 Depth=2
	v_mul_f32_e32 v21, v22, v22
	v_cvt_f64_f32_e32 v[94:95], v21
	v_div_scale_f64 v[96:97], s[50:51], v[94:95], v[94:95], s[26:27]
	v_rcp_f64_e32 v[98:99], v[96:97]
	v_div_scale_f64 v[100:101], vcc, s[26:27], v[94:95], s[26:27]
                                        ; implicit-def: $vgpr23
	v_fma_f64 v[102:103], -v[96:97], v[98:99], 1.0
	v_fmac_f64_e32 v[98:99], v[98:99], v[102:103]
	v_fma_f64 v[102:103], -v[96:97], v[98:99], 1.0
	v_fmac_f64_e32 v[98:99], v[98:99], v[102:103]
	v_mul_f64 v[102:103], v[100:101], v[98:99]
	v_fma_f64 v[96:97], -v[96:97], v[102:103], v[100:101]
	v_div_fmas_f64 v[96:97], v[96:97], v[98:99], v[102:103]
	v_div_fixup_f64 v[96:97], v[96:97], v[94:95], s[26:27]
	v_add_f64 v[96:97], v[96:97], s[28:29]
	v_div_scale_f64 v[98:99], s[50:51], v[94:95], v[94:95], v[96:97]
	v_rcp_f64_e32 v[100:101], v[98:99]
	v_fma_f64 v[102:103], -v[98:99], v[100:101], 1.0
	v_fmac_f64_e32 v[100:101], v[100:101], v[102:103]
	v_fma_f64 v[102:103], -v[98:99], v[100:101], 1.0
	v_fmac_f64_e32 v[100:101], v[100:101], v[102:103]
	v_div_scale_f64 v[102:103], vcc, v[96:97], v[94:95], v[96:97]
	v_mul_f64 v[104:105], v[102:103], v[100:101]
	v_fma_f64 v[98:99], -v[98:99], v[104:105], v[102:103]
	s_nop 1
	v_div_fmas_f64 v[98:99], v[98:99], v[100:101], v[104:105]
	v_div_fixup_f64 v[94:95], v[98:99], v[94:95], v[96:97]
	v_add_f64 v[94:95], -v[94:95], s[30:31]
	v_cvt_f64_f32_e32 v[96:97], v22
	v_div_scale_f64 v[98:99], s[50:51], v[96:97], v[96:97], v[94:95]
	v_rcp_f64_e32 v[100:101], v[98:99]
	v_fma_f64 v[102:103], -v[98:99], v[100:101], 1.0
	v_fmac_f64_e32 v[100:101], v[100:101], v[102:103]
	v_fma_f64 v[102:103], -v[98:99], v[100:101], 1.0
	v_fmac_f64_e32 v[100:101], v[100:101], v[102:103]
	v_div_scale_f64 v[102:103], vcc, v[94:95], v[96:97], v[94:95]
	v_mul_f64 v[104:105], v[102:103], v[100:101]
	v_fma_f64 v[98:99], -v[98:99], v[104:105], v[102:103]
	s_nop 1
	v_div_fmas_f64 v[98:99], v[98:99], v[100:101], v[104:105]
	v_div_fixup_f64 v[94:95], v[98:99], v[96:97], v[94:95]
	v_cvt_f32_f64_e32 v21, v[94:95]
.LBB107_37:                             ;   in Loop: Header=BB107_21 Depth=2
	s_andn2_saveexec_b64 s[4:5], s[4:5]
	s_cbranch_execz .LBB107_19
; %bb.38:                               ;   in Loop: Header=BB107_21 Depth=2
	v_trunc_f32_e32 v21, v23
	v_mul_f32_e32 v23, 0x2f800000, v21
	v_floor_f32_e32 v23, v23
	v_fmac_f32_e32 v21, 0xcf800000, v23
	v_cvt_u32_f32_e32 v95, v23
	v_cvt_u32_f32_e32 v94, v21
	s_getpc_b64 s[50:51]
	s_add_u32 s50, s50, _ZZN12_GLOBAL__N_120stirling_approx_tailIfEET_S1_E11kTailValues.const@rel32@lo+4
	s_addc_u32 s51, s51, _ZZN12_GLOBAL__N_120stirling_approx_tailIfEET_S1_E11kTailValues.const@rel32@hi+12
	v_mov_b32_e32 v21, s51
	v_lshlrev_b64 v[94:95], 2, v[94:95]
	v_add_co_u32_e32 v94, vcc, s50, v94
	v_addc_co_u32_e32 v95, vcc, v95, v21, vcc
	global_load_dword v21, v[94:95], off
	s_branch .LBB107_19
.LBB107_39:                             ;   in Loop: Header=BB107_13 Depth=1
	s_or_b64 exec, exec, s[46:47]
                                        ; implicit-def: $vgpr2
                                        ; implicit-def: $vgpr78
                                        ; implicit-def: $vgpr0
.LBB107_40:                             ;   in Loop: Header=BB107_13 Depth=1
	s_andn2_saveexec_b64 s[2:3], s[44:45]
	s_cbranch_execz .LBB107_48
; %bb.41:                               ;   in Loop: Header=BB107_13 Depth=1
	v_xor_b32_e32 v0, 0x80000000, v0
	v_bfe_u32 v1, v0, 16, 1
	v_add3_u32 v0, v0, v1, s60
	v_and_b32_e32 v12, 0xffff0000, v0
	v_add_f32_e32 v13, 1.0, v12
	v_add_f32_e32 v0, -1.0, v13
	v_sub_f32_e32 v1, v0, v13
	v_add_f32_e32 v1, 1.0, v1
	v_sub_f32_e32 v0, v12, v0
	v_add_f32_e32 v14, v0, v1
	v_frexp_mant_f32_e32 v15, v13
	v_cvt_f64_f32_e32 v[0:1], v13
	v_frexp_exp_i32_f64_e32 v0, v[0:1]
	v_cmp_gt_f32_e32 vcc, s67, v15
	v_subbrev_co_u32_e32 v0, vcc, 0, v0, vcc
	v_sub_u32_e32 v1, 0, v0
	v_ldexp_f32 v13, v13, v1
	v_ldexp_f32 v1, v14, v1
	v_add_f32_e32 v14, -1.0, v13
	v_add_f32_e32 v17, 1.0, v13
	v_add_f32_e32 v15, 1.0, v14
	v_add_f32_e32 v18, -1.0, v17
	v_sub_f32_e32 v15, v13, v15
	v_sub_f32_e32 v13, v13, v18
	v_add_f32_e32 v15, v1, v15
	v_add_f32_e32 v1, v1, v13
	v_add_f32_e32 v13, v17, v1
	v_rcp_f32_e32 v18, v13
	v_add_f32_e32 v16, v14, v15
	v_sub_f32_e32 v14, v16, v14
	v_sub_f32_e32 v14, v15, v14
	;; [unrolled: 1-line block ×4, first 2 shown]
	v_mul_f32_e32 v15, v16, v18
	v_mul_f32_e32 v17, v13, v15
	v_fma_f32 v19, v15, v13, -v17
	v_fmac_f32_e32 v19, v15, v1
	v_add_f32_e32 v20, v17, v19
	v_sub_f32_e32 v21, v16, v20
	v_sub_f32_e32 v16, v16, v21
	;; [unrolled: 1-line block ×4, first 2 shown]
	v_add_f32_e32 v14, v14, v16
	v_sub_f32_e32 v16, v17, v19
	v_add_f32_e32 v14, v16, v14
	v_add_f32_e32 v16, v21, v14
	v_mul_f32_e32 v17, v18, v16
	v_mul_f32_e32 v19, v13, v17
	v_fma_f32 v13, v17, v13, -v19
	v_fmac_f32_e32 v13, v17, v1
	v_sub_f32_e32 v1, v21, v16
	v_add_f32_e32 v1, v14, v1
	v_add_f32_e32 v14, v19, v13
	v_sub_f32_e32 v20, v16, v14
	v_sub_f32_e32 v16, v16, v20
	;; [unrolled: 1-line block ×4, first 2 shown]
	v_add_f32_e32 v1, v1, v14
	v_sub_f32_e32 v13, v19, v13
	v_cvt_f32_i32_e32 v0, v0
	v_add_f32_e32 v1, v13, v1
	v_add_f32_e32 v13, v15, v17
	;; [unrolled: 1-line block ×3, first 2 shown]
	v_sub_f32_e32 v14, v13, v15
	v_mul_f32_e32 v1, v18, v1
	v_sub_f32_e32 v14, v17, v14
	v_add_f32_e32 v1, v14, v1
	v_mul_f32_e32 v17, 0x3f317218, v0
	v_add_f32_e32 v14, v13, v1
	v_fma_f32 v18, v0, s68, -v17
	v_mul_f32_e32 v15, v14, v14
	v_mov_b32_e32 v16, 0x3ecc95a3
	v_fmac_f32_e32 v18, 0xb102e308, v0
	v_sub_f32_e32 v0, v14, v13
	v_fmac_f32_e32 v16, 0x3e9b6dac, v15
	v_sub_f32_e32 v0, v1, v0
	v_add_f32_e32 v1, v17, v18
	v_fma_f32 v16, v15, v16, v72
	v_sub_f32_e32 v13, v1, v17
	v_ldexp_f32 v17, v14, 1
	v_mul_f32_e32 v14, v14, v15
	v_mul_f32_e32 v14, v14, v16
	v_add_f32_e32 v15, v17, v14
	v_sub_f32_e32 v16, v15, v17
	v_ldexp_f32 v0, v0, 1
	v_sub_f32_e32 v14, v14, v16
	v_add_f32_e32 v0, v0, v14
	v_add_f32_e32 v14, v15, v0
	v_sub_f32_e32 v15, v14, v15
	v_sub_f32_e32 v0, v0, v15
	v_add_f32_e32 v15, v1, v14
	v_sub_f32_e32 v16, v15, v1
	v_sub_f32_e32 v17, v15, v16
	;; [unrolled: 1-line block ×5, first 2 shown]
	v_add_f32_e32 v1, v14, v1
	v_add_f32_e32 v14, v13, v0
	v_sub_f32_e32 v16, v14, v13
	v_sub_f32_e32 v17, v14, v16
	;; [unrolled: 1-line block ×4, first 2 shown]
	v_add_f32_e32 v1, v14, v1
	v_add_f32_e32 v0, v0, v13
	;; [unrolled: 1-line block ×3, first 2 shown]
	v_sub_f32_e32 v14, v13, v15
	v_sub_f32_e32 v1, v1, v14
	v_add_f32_e32 v0, v0, v1
	v_add_f32_e32 v0, v13, v0
	v_cmp_eq_f32_e32 vcc, s65, v12
	v_cndmask_b32_e32 v0, v0, v12, vcc
	v_cmp_ngt_f32_e32 vcc, -1.0, v12
	v_cndmask_b32_e32 v0, v73, v0, vcc
	v_cmp_neq_f32_e32 vcc, -1.0, v12
	v_cndmask_b32_e32 v0, v77, v0, vcc
	v_cmp_lt_f32_e64 vcc, |v12|, s66
	v_cndmask_b32_e32 v0, v0, v12, vcc
	v_pk_mov_b32 v[14:15], v[10:11], v[10:11] op_sel:[0,1]
	s_mov_b64 s[4:5], 0
	v_mov_b32_e32 v87, 0
	v_mov_b32_e32 v1, 0
	v_pk_mov_b32 v[12:13], v[8:9], v[8:9] op_sel:[0,1]
	s_branch .LBB107_43
.LBB107_42:                             ;   in Loop: Header=BB107_43 Depth=2
	s_or_b64 exec, exec, s[44:45]
	s_and_b64 s[0:1], exec, vcc
	v_pk_mov_b32 v[14:15], v[10:11], v[10:11] op_sel:[0,1]
	s_or_b64 s[4:5], s[0:1], s[4:5]
	v_mov_b32_e32 v78, v89
	v_pk_mov_b32 v[12:13], v[8:9], v[8:9] op_sel:[0,1]
	s_andn2_b64 exec, exec, s[4:5]
	s_cbranch_execz .LBB107_47
.LBB107_43:                             ;   Parent Loop BB107_13 Depth=1
                                        ; =>  This Inner Loop Header: Depth=2
	v_add_u32_e32 v89, 1, v78
	v_cmp_eq_u32_e32 vcc, 4, v89
	s_and_saveexec_b64 s[0:1], vcc
	s_cbranch_execz .LBB107_45
; %bb.44:                               ;   in Loop: Header=BB107_43 Depth=2
	v_add_co_u32_e32 v4, vcc, 1, v4
	v_cndmask_b32_e64 v8, 0, 1, vcc
	v_addc_co_u32_e32 v5, vcc, 0, v5, vcc
	v_cmp_eq_u32_e32 vcc, 0, v5
	v_cndmask_b32_e32 v8, 0, v8, vcc
	v_add_u32_e32 v6, v8, v6
	v_cmp_eq_u32_e32 vcc, 0, v6
	v_cndmask_b32_e32 v8, 0, v8, vcc
	v_add_u32_e32 v7, v8, v7
	v_mad_u64_u32 v[8:9], s[44:45], v4, s58, 0
	v_mad_u64_u32 v[10:11], s[44:45], v6, s59, 0
	v_xor_b32_e32 v9, v9, v25
	v_xor_b32_e32 v11, v11, v24
	v_xor_b32_e32 v9, v7, v9
	v_xor_b32_e32 v11, v5, v11
	v_mad_u64_u32 v[18:19], s[44:45], v9, s59, 0
	v_mad_u64_u32 v[16:17], s[44:45], v11, s58, 0
	v_xor_b32_e32 v9, v37, v19
	v_xor_b32_e32 v9, v9, v10
	v_xor_b32_e32 v10, v38, v17
	v_xor_b32_e32 v10, v10, v8
	;; [unrolled: 6-line block ×9, first 2 shown]
	v_mad_u64_u32 v[16:17], s[44:45], v9, s58, 0
	v_mad_u64_u32 v[18:19], s[44:45], v11, s59, 0
	v_xor_b32_e32 v8, v19, v8
	v_xor_b32_e32 v9, v17, v10
	v_mov_b32_e32 v89, 0
	v_xor_b32_e32 v8, v53, v8
	v_xor_b32_e32 v10, v54, v9
	v_mov_b32_e32 v9, v18
	v_mov_b32_e32 v11, v16
.LBB107_45:                             ;   in Loop: Header=BB107_43 Depth=2
	s_or_b64 exec, exec, s[0:1]
	v_cmp_eq_u32_e32 vcc, 1, v78
	v_cndmask_b32_e32 v12, v12, v13, vcc
	v_cmp_eq_u32_e32 vcc, 2, v78
	v_cndmask_b32_e32 v12, v12, v14, vcc
	v_cmp_eq_u32_e32 vcc, 3, v78
	v_cndmask_b32_e32 v12, v12, v15, vcc
	v_and_b32_e32 v12, 0xffffff, v12
	v_cvt_f32_u32_e32 v12, v12
	v_mul_f32_e32 v12, 0x33800000, v12
	v_cmp_gt_f32_e32 vcc, s63, v12
	v_cndmask_b32_e32 v13, 1.0, v74, vcc
	v_mul_f32_e32 v12, v12, v13
	v_log_f32_e32 v12, v12
	v_cndmask_b32_e32 v13, 0, v75, vcc
	v_mul_f32_e32 v14, 0x3f317217, v12
	v_fma_f32 v15, v12, s64, -v14
	v_fmac_f32_e32 v15, 0x3377d1cf, v12
	v_add_f32_e32 v14, v14, v15
	v_cmp_lt_f32_e64 vcc, |v12|, s65
	v_cndmask_b32_e32 v12, v12, v14, vcc
	v_sub_f32_e32 v12, v12, v13
	v_div_scale_f32 v13, s[0:1], v0, v0, v12
	v_rcp_f32_e32 v14, v13
	v_div_scale_f32 v15, vcc, v12, v0, v12
	v_fma_f32 v16, -v13, v14, 1.0
	v_fmac_f32_e32 v14, v16, v14
	v_mul_f32_e32 v16, v15, v14
	v_fma_f32 v17, -v13, v16, v15
	v_fmac_f32_e32 v16, v17, v14
	v_fma_f32 v13, -v13, v16, v15
	v_div_fmas_f32 v13, v13, v14, v16
	v_div_fixup_f32 v12, v13, v0, v12
	v_ceil_f32_e32 v12, v12
	v_add_f32_e32 v1, v1, v12
	v_cmp_ngt_f32_e64 s[0:1], v1, v2
	v_cmp_gt_f32_e32 vcc, v1, v2
	s_and_saveexec_b64 s[44:45], s[0:1]
	s_cbranch_execz .LBB107_42
; %bb.46:                               ;   in Loop: Header=BB107_43 Depth=2
	v_lshlrev_b32_e32 v12, 16, v87
	v_add_f32_e32 v12, 1.0, v12
	v_bfe_u32 v13, v12, 16, 1
	v_add3_u32 v13, v12, v13, s60
	v_lshrrev_b32_e32 v13, 16, v13
	v_cmp_o_f32_e64 s[0:1], v12, v12
	v_cndmask_b32_e64 v87, v76, v13, s[0:1]
	s_branch .LBB107_42
.LBB107_47:                             ;   in Loop: Header=BB107_13 Depth=1
	s_or_b64 exec, exec, s[4:5]
.LBB107_48:                             ;   in Loop: Header=BB107_13 Depth=1
	s_or_b64 exec, exec, s[2:3]
                                        ; implicit-def: $vgpr78
                                        ; implicit-def: $vgpr0
                                        ; implicit-def: $vgpr2
.LBB107_49:                             ;   in Loop: Header=BB107_13 Depth=1
	s_andn2_saveexec_b64 s[42:43], s[42:43]
	s_cbranch_execz .LBB107_9
; %bb.50:                               ;   in Loop: Header=BB107_13 Depth=1
	v_cmp_lt_f32_e32 vcc, 0.5, v0
	v_mov_b32_e32 v87, 0x7fc0
	s_and_saveexec_b64 s[44:45], vcc
	s_cbranch_execz .LBB107_8
; %bb.51:                               ;   in Loop: Header=BB107_13 Depth=1
	v_sub_f32_e32 v0, 1.0, v0
	v_bfe_u32 v1, v0, 16, 1
	v_add3_u32 v0, v0, v1, s60
	v_and_b32_e32 v0, 0xffff0000, v0
	v_mul_f32_e32 v1, v2, v0
	v_bfe_u32 v12, v1, 16, 1
	v_cmp_o_f32_e32 vcc, v1, v1
	v_add3_u32 v1, v1, v12, s60
	v_and_b32_e32 v1, 0xffff0000, v1
	v_cmp_le_f32_e64 s[0:1], s61, v1
	s_and_b64 s[0:1], vcc, s[0:1]
                                        ; implicit-def: $vgpr87
                                        ; implicit-def: $vgpr88
	s_and_saveexec_b64 s[2:3], s[0:1]
	s_xor_b64 s[46:47], exec, s[2:3]
	s_cbranch_execz .LBB107_76
; %bb.52:                               ;   in Loop: Header=BB107_13 Depth=1
	v_sub_f32_e32 v12, 1.0, v0
	v_bfe_u32 v13, v12, 16, 1
	v_add3_u32 v13, v12, v13, s60
	v_and_b32_e32 v13, 0xffff0000, v13
	v_cmp_o_f32_e32 vcc, v12, v12
	v_cndmask_b32_e32 v30, v73, v13, vcc
	v_mul_f32_e32 v12, v30, v1
	v_bfe_u32 v13, v12, 16, 1
	v_add3_u32 v13, v12, v13, s60
	v_and_b32_e32 v13, 0xffff0000, v13
	v_cmp_o_f32_e32 vcc, v12, v12
	v_cndmask_b32_e32 v12, v73, v13, vcc
	v_mul_f32_e32 v13, 0x4f800000, v12
	v_cmp_gt_f32_e32 vcc, s62, v12
	v_cndmask_b32_e32 v12, v12, v13, vcc
	v_sqrt_f32_e32 v13, v12
	v_pk_mov_b32 v[16:17], v[28:29], v[28:29] op_sel:[0,1]
	v_cvt_f64_f32_e32 v[18:19], v0
	v_add_f32_e32 v81, 0.5, v1
	v_add_u32_e32 v14, -1, v13
	v_fma_f32 v15, -v14, v13, v12
	v_cmp_ge_f32_e64 s[0:1], 0, v15
	v_add_u32_e32 v15, 1, v13
	v_cndmask_b32_e64 v14, v13, v14, s[0:1]
	v_fma_f32 v13, -v15, v13, v12
	v_cmp_lt_f32_e64 s[0:1], 0, v13
	v_cndmask_b32_e64 v13, v14, v15, s[0:1]
	v_mul_f32_e32 v14, 0x37800000, v13
	v_cndmask_b32_e32 v13, v13, v14, vcc
	v_cmp_class_f32_e32 vcc, v12, v71
	v_cndmask_b32_e32 v12, v13, v12, vcc
	v_cvt_f64_f32_e32 v[12:13], v12
	v_pk_mov_b32 v[14:15], v[26:27], v[26:27] op_sel:[0,1]
	v_fmac_f64_e32 v[14:15], s[10:11], v[12:13]
	v_cvt_f32_f64_e32 v79, v[14:15]
	v_cvt_f64_f32_e32 v[14:15], v79
	v_div_scale_f64 v[20:21], s[0:1], v[14:15], v[14:15], s[18:19]
	v_rcp_f64_e32 v[22:23], v[20:21]
	v_fmac_f64_e32 v[16:17], s[14:15], v[14:15]
	v_fmac_f64_e32 v[16:17], s[16:17], v[18:19]
	v_cvt_f32_f64_e32 v80, v[16:17]
	v_fma_f64 v[16:17], -v[20:21], v[22:23], 1.0
	v_fmac_f64_e32 v[22:23], v[22:23], v[16:17]
	v_fma_f64 v[16:17], -v[20:21], v[22:23], 1.0
	v_fmac_f64_e32 v[22:23], v[22:23], v[16:17]
	v_div_scale_f64 v[16:17], vcc, s[18:19], v[14:15], s[18:19]
	v_mul_f64 v[18:19], v[16:17], v[22:23]
	v_fma_f64 v[16:17], -v[20:21], v[18:19], v[16:17]
	v_div_scale_f32 v1, s[0:1], v30, v30, v0
	s_nop 0
	v_div_fmas_f64 v[16:17], v[16:17], v[22:23], v[18:19]
	v_rcp_f32_e32 v18, v1
	v_div_fixup_f64 v[16:17], v[16:17], v[14:15], s[18:19]
	v_add_f64 v[16:17], v[16:17], s[20:21]
	v_cvt_f32_f64_e32 v82, v[16:17]
	v_fma_f32 v16, -v1, v18, 1.0
	v_fmac_f32_e32 v18, v16, v18
	v_div_scale_f32 v16, vcc, v0, v30, v0
	v_mul_f32_e32 v17, v16, v18
	v_fma_f32 v19, -v1, v17, v16
	v_fmac_f32_e32 v17, v19, v18
	v_fma_f32 v1, -v1, v17, v16
	v_div_fmas_f32 v1, v1, v18, v17
	v_div_fixup_f32 v1, v1, v30, v0
	v_bfe_u32 v16, v1, 16, 1
	v_add3_u32 v20, v1, v16, s60
	v_div_scale_f64 v[16:17], s[0:1], v[14:15], v[14:15], s[8:9]
	v_rcp_f64_e32 v[18:19], v[16:17]
	v_and_b32_e32 v20, 0xffff0000, v20
	v_cmp_o_f32_e32 vcc, v1, v1
	v_cndmask_b32_e32 v83, v73, v20, vcc
	v_fma_f64 v[20:21], -v[16:17], v[18:19], 1.0
	v_fmac_f64_e32 v[18:19], v[18:19], v[20:21]
	v_fma_f64 v[20:21], -v[16:17], v[18:19], 1.0
	v_fmac_f64_e32 v[18:19], v[18:19], v[20:21]
	v_div_scale_f64 v[20:21], vcc, s[8:9], v[14:15], s[8:9]
	v_mul_f64 v[22:23], v[20:21], v[18:19]
	v_fma_f64 v[16:17], -v[16:17], v[22:23], v[20:21]
	v_add_f32_e32 v1, 1.0, v2
	s_nop 0
	v_div_fmas_f64 v[16:17], v[16:17], v[18:19], v[22:23]
	v_div_fixup_f64 v[14:15], v[16:17], v[14:15], s[8:9]
	v_bfe_u32 v16, v1, 16, 1
	v_add3_u32 v16, v1, v16, s60
	v_and_b32_e32 v16, 0xffff0000, v16
	v_cmp_o_f32_e32 vcc, v1, v1
	v_cndmask_b32_e32 v84, v73, v16, vcc
	v_mul_f32_e32 v0, v84, v0
	v_bfe_u32 v1, v0, 16, 1
	v_add3_u32 v1, v0, v1, s60
	v_and_b32_e32 v1, 0xffff0000, v1
	v_cmp_o_f32_e32 vcc, v0, v0
	v_cndmask_b32_e32 v0, v73, v1, vcc
	v_floor_f32_e32 v30, v0
	v_sub_f32_e32 v32, v2, v30
	v_add_f32_e32 v85, 1.0, v32
	v_add_f32_e32 v31, 1.0, v30
	v_mul_f32_e32 v16, v85, v83
	v_div_scale_f32 v17, s[0:1], v16, v16, v31
	v_rcp_f32_e32 v18, v17
	v_add_f64 v[0:1], v[14:15], s[22:23]
	v_mul_f64 v[0:1], v[0:1], v[12:13]
	v_cvt_f32_f64_e32 v86, v[0:1]
	v_fma_f32 v0, -v17, v18, 1.0
	v_fmac_f32_e32 v18, v0, v18
	v_div_scale_f32 v0, vcc, v31, v16, v31
	v_mul_f32_e32 v1, v0, v18
	v_fma_f32 v12, -v17, v1, v0
	v_fmac_f32_e32 v1, v12, v18
	v_fma_f32 v0, -v17, v1, v0
	v_div_fmas_f32 v0, v0, v18, v1
	v_div_fixup_f32 v0, v0, v16, v31
	v_cmp_gt_f32_e64 s[0:1], s63, v0
	v_cndmask_b32_e64 v1, 1.0, v74, s[0:1]
	v_mul_f32_e32 v0, v0, v1
	v_log_f32_e32 v22, v0
	v_mul_f32_e32 v12, v31, v31
	v_cvt_f64_f32_e32 v[12:13], v12
	s_mov_b32 s24, s26
	v_div_scale_f64 v[14:15], s[2:3], v[12:13], v[12:13], s[24:25]
	v_rcp_f64_e32 v[16:17], v[14:15]
	v_mul_f32_e32 v18, 0x3f317217, v22
	v_fma_f32 v19, v22, s64, -v18
	v_fmac_f32_e32 v19, 0x3377d1cf, v22
	v_add_f32_e32 v23, v18, v19
	v_fma_f64 v[18:19], -v[14:15], v[16:17], 1.0
	v_fmac_f64_e32 v[16:17], v[16:17], v[18:19]
	v_fma_f64 v[18:19], -v[14:15], v[16:17], 1.0
	v_fmac_f64_e32 v[16:17], v[16:17], v[18:19]
	v_div_scale_f64 v[18:19], vcc, s[24:25], v[12:13], s[24:25]
	v_mul_f64 v[20:21], v[18:19], v[16:17]
	v_fma_f64 v[14:15], -v[14:15], v[20:21], v[18:19]
	v_cvt_f64_f32_e32 v[0:1], v30
	s_nop 0
	v_div_fmas_f64 v[14:15], v[14:15], v[16:17], v[20:21]
	v_div_fixup_f64 v[14:15], v[14:15], v[12:13], s[24:25]
	v_add_f64 v[14:15], -v[14:15], s[28:29]
	v_div_scale_f64 v[16:17], s[2:3], v[12:13], v[12:13], v[14:15]
	v_rcp_f64_e32 v[18:19], v[16:17]
	v_cmp_lt_f32_e64 vcc, |v22|, s65
	v_cndmask_b32_e32 v20, v22, v23, vcc
	v_cndmask_b32_e64 v21, 0, v75, s[0:1]
	v_sub_f32_e32 v33, v20, v21
	v_fma_f64 v[20:21], -v[16:17], v[18:19], 1.0
	v_fmac_f64_e32 v[18:19], v[18:19], v[20:21]
	v_fma_f64 v[20:21], -v[16:17], v[18:19], 1.0
	v_fmac_f64_e32 v[18:19], v[18:19], v[20:21]
	v_div_scale_f64 v[20:21], vcc, v[14:15], v[12:13], v[14:15]
	v_mul_f64 v[22:23], v[20:21], v[18:19]
	v_fma_f64 v[16:17], -v[16:17], v[22:23], v[20:21]
	v_add_f64 v[0:1], v[0:1], 0.5
	s_nop 0
	v_div_fmas_f64 v[16:17], v[16:17], v[18:19], v[22:23]
	v_div_fixup_f64 v[12:13], v[16:17], v[12:13], v[14:15]
	v_add_f64 v[12:13], -v[12:13], s[30:31]
	v_cvt_f64_f32_e32 v[14:15], v31
	v_div_scale_f64 v[16:17], s[0:1], v[14:15], v[14:15], v[12:13]
	v_rcp_f64_e32 v[18:19], v[16:17]
	v_cvt_f64_f32_e32 v[20:21], v33
	v_mul_f64 v[0:1], v[0:1], v[20:21]
	v_cmp_gt_f32_e64 s[0:1], s61, v30
	v_fma_f64 v[20:21], -v[16:17], v[18:19], 1.0
	v_fmac_f64_e32 v[18:19], v[18:19], v[20:21]
	v_fma_f64 v[20:21], -v[16:17], v[18:19], 1.0
	v_fmac_f64_e32 v[18:19], v[18:19], v[20:21]
	v_div_scale_f64 v[20:21], vcc, v[12:13], v[14:15], v[12:13]
	v_mul_f64 v[22:23], v[20:21], v[18:19]
	v_fma_f64 v[16:17], -v[16:17], v[22:23], v[20:21]
	s_getpc_b64 s[4:5]
	s_add_u32 s4, s4, _ZZN12_GLOBAL__N_120stirling_approx_tailIfEET_S1_E11kTailValues.const@rel32@lo+4
	s_addc_u32 s5, s5, _ZZN12_GLOBAL__N_120stirling_approx_tailIfEET_S1_E11kTailValues.const@rel32@hi+12
	v_div_fmas_f64 v[16:17], v[16:17], v[18:19], v[22:23]
	v_div_fixup_f64 v[12:13], v[16:17], v[14:15], v[12:13]
	v_cvt_f32_f64_e32 v89, v[12:13]
	v_mul_f32_e32 v12, 0x2f800000, v30
	v_floor_f32_e32 v19, v12
	v_mul_f32_e32 v12, v85, v85
	v_cvt_f64_f32_e32 v[12:13], v12
	v_div_scale_f64 v[14:15], s[2:3], v[12:13], v[12:13], s[24:25]
	v_rcp_f64_e32 v[16:17], v[14:15]
	v_fmac_f32_e32 v30, 0xcf800000, v19
	v_cvt_u32_f32_e32 v18, v30
	v_cvt_u32_f32_e32 v19, v19
	v_fma_f64 v[20:21], -v[14:15], v[16:17], 1.0
	v_fmac_f64_e32 v[16:17], v[16:17], v[20:21]
	v_fma_f64 v[20:21], -v[14:15], v[16:17], 1.0
	v_fmac_f64_e32 v[16:17], v[16:17], v[20:21]
	v_div_scale_f64 v[20:21], vcc, s[24:25], v[12:13], s[24:25]
	v_mul_f64 v[22:23], v[20:21], v[16:17]
	v_fma_f64 v[14:15], -v[14:15], v[22:23], v[20:21]
	v_lshlrev_b64 v[18:19], 2, v[18:19]
	s_nop 0
	v_div_fmas_f64 v[14:15], v[14:15], v[16:17], v[22:23]
	v_div_fixup_f64 v[14:15], v[14:15], v[12:13], s[24:25]
	v_add_f64 v[14:15], -v[14:15], s[28:29]
	v_div_scale_f64 v[16:17], s[2:3], v[12:13], v[12:13], v[14:15]
	v_rcp_f64_e32 v[20:21], v[16:17]
	v_mov_b32_e32 v33, s5
	v_add_f32_e32 v87, v80, v80
	s_mov_b64 s[50:51], 0
	v_fma_f64 v[22:23], -v[16:17], v[20:21], 1.0
	v_fmac_f64_e32 v[20:21], v[20:21], v[22:23]
	v_fma_f64 v[22:23], -v[16:17], v[20:21], 1.0
	v_fmac_f64_e32 v[20:21], v[20:21], v[22:23]
	v_div_scale_f64 v[22:23], vcc, v[14:15], v[12:13], v[14:15]
	v_mul_f64 v[30:31], v[22:23], v[20:21]
	v_fma_f64 v[16:17], -v[16:17], v[30:31], v[22:23]
	s_mov_b64 s[54:55], 0
	s_nop 0
	v_div_fmas_f64 v[16:17], v[16:17], v[20:21], v[30:31]
	v_div_fixup_f64 v[12:13], v[16:17], v[12:13], v[14:15]
	v_add_f64 v[12:13], -v[12:13], s[30:31]
	v_cvt_f64_f32_e32 v[14:15], v85
	v_div_scale_f64 v[16:17], s[2:3], v[14:15], v[14:15], v[12:13]
	v_rcp_f64_e32 v[20:21], v[16:17]
	v_add_co_u32_e32 v30, vcc, s4, v18
	v_addc_co_u32_e32 v31, vcc, v19, v33, vcc
	v_fma_f64 v[18:19], -v[16:17], v[20:21], 1.0
	v_fmac_f64_e32 v[20:21], v[20:21], v[18:19]
	v_fma_f64 v[18:19], -v[16:17], v[20:21], 1.0
	v_fmac_f64_e32 v[20:21], v[20:21], v[18:19]
	v_div_scale_f64 v[18:19], vcc, v[12:13], v[14:15], v[12:13]
	v_mul_f64 v[22:23], v[18:19], v[20:21]
	v_fma_f64 v[16:17], -v[16:17], v[22:23], v[18:19]
	v_trunc_f32_e32 v18, v32
	v_mul_f32_e32 v19, 0x2f800000, v18
	v_floor_f32_e32 v19, v19
	v_fmac_f32_e32 v18, 0xcf800000, v19
	v_cvt_u32_f32_e32 v18, v18
	v_cvt_u32_f32_e32 v19, v19
	v_div_fmas_f64 v[16:17], v[16:17], v[20:21], v[22:23]
	v_div_fixup_f64 v[12:13], v[16:17], v[14:15], v[12:13]
	v_cvt_f32_f64_e32 v90, v[12:13]
	v_lshlrev_b64 v[12:13], 2, v[18:19]
	v_cmp_gt_f32_e64 s[2:3], s61, v32
	v_add_co_u32_e32 v32, vcc, s4, v12
	v_pk_mov_b32 v[18:19], v[10:11], v[10:11] op_sel:[0,1]
	v_addc_co_u32_e32 v33, vcc, v13, v33, vcc
	v_pk_mov_b32 v[16:17], v[8:9], v[8:9] op_sel:[0,1]
                                        ; implicit-def: $sgpr48_sgpr49
                                        ; implicit-def: $sgpr52_sgpr53
	s_branch .LBB107_55
.LBB107_53:                             ;   in Loop: Header=BB107_55 Depth=2
	s_or_b64 exec, exec, s[4:5]
	v_bfe_u32 v93, v78, 16, 1
	v_add3_u32 v93, v78, v93, s60
	v_and_b32_e32 v93, 0xffff0000, v93
	v_cmp_o_f32_e32 vcc, v78, v78
	v_cndmask_b32_e32 v78, v73, v93, vcc
	v_div_scale_f32 v93, s[4:5], v78, v78, v85
	v_rcp_f32_e32 v94, v93
	s_andn2_b64 s[52:53], s[52:53], exec
	v_fma_f32 v95, -v93, v94, 1.0
	v_fmac_f32_e32 v94, v95, v94
	v_div_scale_f32 v95, vcc, v85, v78, v85
	v_mul_f32_e32 v96, v95, v94
	v_fma_f32 v97, -v93, v96, v95
	v_fmac_f32_e32 v96, v97, v94
	v_fma_f32 v93, -v93, v96, v95
	v_div_fmas_f32 v93, v93, v94, v96
	v_div_fixup_f32 v93, v93, v78, v85
	v_cmp_gt_f32_e32 vcc, s63, v93
	v_cndmask_b32_e32 v94, 1.0, v74, vcc
	v_mul_f32_e32 v93, v93, v94
	v_log_f32_e32 v93, v93
	v_mul_f32_e32 v78, v83, v78
	v_mul_f32_e32 v94, 0x3f317217, v93
	v_fma_f32 v95, v93, s64, -v94
	v_fmac_f32_e32 v95, 0x3377d1cf, v93
	v_add_f32_e32 v94, v94, v95
	v_bfe_u32 v95, v22, 16, 1
	v_cmp_lt_f32_e64 s[4:5], |v93|, s65
	v_add3_u32 v95, v22, v95, s60
	v_cndmask_b32_e64 v93, v93, v94, s[4:5]
	v_cndmask_b32_e32 v94, 0, v75, vcc
	v_and_b32_e32 v95, 0xffff0000, v95
	v_cmp_o_f32_e32 vcc, v22, v22
	v_cndmask_b32_e32 v22, v73, v95, vcc
	v_div_scale_f32 v96, s[4:5], v22, v22, v78
	v_rcp_f32_e32 v97, v96
	v_sub_f32_e32 v93, v93, v94
	v_mul_f32_e32 v93, v84, v93
	v_cvt_f64_f32_e32 v[94:95], v93
	v_fma_f32 v93, -v96, v97, 1.0
	v_fmac_f32_e32 v97, v93, v97
	v_div_scale_f32 v93, vcc, v78, v22, v78
	v_mul_f32_e32 v98, v93, v97
	v_fma_f32 v99, -v96, v98, v93
	v_fmac_f32_e32 v98, v99, v97
	v_fma_f32 v93, -v96, v98, v93
	v_div_fmas_f32 v93, v93, v97, v98
	v_div_fixup_f32 v22, v93, v22, v78
	v_cmp_gt_f32_e32 vcc, s63, v22
	v_cndmask_b32_e32 v78, 1.0, v74, vcc
	v_mul_f32_e32 v22, v22, v78
	v_log_f32_e32 v22, v22
	v_cvt_f64_f32_e32 v[96:97], v91
	v_add_f64 v[94:95], v[0:1], v[94:95]
	v_add_f64 v[96:97], v[96:97], 0.5
	v_mul_f32_e32 v78, 0x3f317217, v22
	v_fma_f32 v93, v22, s64, -v78
	v_fmac_f32_e32 v93, 0x3377d1cf, v22
	v_add_f32_e32 v78, v78, v93
	v_cmp_lt_f32_e64 s[4:5], |v22|, s65
	v_cndmask_b32_e64 v22, v22, v78, s[4:5]
	v_cndmask_b32_e32 v78, 0, v75, vcc
	v_sub_f32_e32 v22, v22, v78
	v_mul_f32_e32 v78, v92, v92
	v_div_scale_f32 v98, s[4:5], v78, v78, v80
	v_rcp_f32_e32 v99, v98
	v_cvt_f64_f32_e32 v[92:93], v22
	v_mul_f32_e32 v22, v16, v86
	v_fmac_f64_e32 v[94:95], v[96:97], v[92:93]
	v_fma_f32 v16, -v98, v99, 1.0
	v_fmac_f32_e32 v99, v16, v99
	v_div_scale_f32 v16, vcc, v80, v78, v80
	v_mul_f32_e32 v92, v16, v99
	v_fma_f32 v93, -v98, v92, v16
	v_fmac_f32_e32 v92, v93, v99
	v_fma_f32 v16, -v98, v92, v16
	v_div_fmas_f32 v16, v16, v99, v92
	v_div_fixup_f32 v16, v16, v78, v80
	v_add_f32_e32 v78, v16, v79
	v_div_scale_f32 v96, s[4:5], v78, v78, v22
	v_rcp_f32_e32 v97, v96
	s_waitcnt vmcnt(0)
	v_cvt_f64_f32_e32 v[92:93], v18
	v_cvt_f64_f32_e32 v[16:17], v17
	v_add_f64 v[16:17], v[94:95], v[16:17]
	v_fma_f32 v18, -v96, v97, 1.0
	v_fmac_f32_e32 v97, v18, v97
	v_div_scale_f32 v18, vcc, v22, v78, v22
	v_mul_f32_e32 v94, v18, v97
	v_fma_f32 v95, -v96, v94, v18
	v_fmac_f32_e32 v94, v95, v97
	v_fma_f32 v18, -v96, v94, v18
	v_div_fmas_f32 v18, v18, v97, v94
	v_div_fixup_f32 v18, v18, v78, v22
	v_cmp_gt_f32_e32 vcc, s63, v18
	v_cndmask_b32_e32 v22, 1.0, v74, vcc
	v_mul_f32_e32 v18, v18, v22
	v_log_f32_e32 v22, v18
	v_add_f64 v[16:17], v[16:17], v[92:93]
	v_cvt_f64_f32_e32 v[18:19], v19
	v_add_f64 v[16:17], v[16:17], -v[18:19]
	v_mul_f32_e32 v18, 0x3f317217, v22
	v_fma_f32 v19, v22, s64, -v18
	v_fmac_f32_e32 v19, 0x3377d1cf, v22
	v_add_f32_e32 v18, v18, v19
	v_cmp_lt_f32_e64 s[4:5], |v22|, s65
	v_cndmask_b32_e64 v18, v22, v18, s[4:5]
	v_cndmask_b32_e32 v19, 0, v75, vcc
	v_sub_f32_e32 v22, v18, v19
	v_cvt_f64_f32_e32 v[18:19], v23
	v_add_f64 v[16:17], v[16:17], -v[18:19]
	v_cvt_f32_f64_e32 v16, v[16:17]
	v_cmp_le_f32_e32 vcc, v22, v16
	s_orn2_b64 s[4:5], vcc, exec
.LBB107_54:                             ;   in Loop: Header=BB107_55 Depth=2
	s_or_b64 exec, exec, s[54:55]
	s_and_b64 s[4:5], exec, s[4:5]
	s_or_b64 s[50:51], s[4:5], s[50:51]
	s_andn2_b64 s[4:5], s[48:49], exec
	s_and_b64 s[48:49], s[52:53], exec
	v_pk_mov_b32 v[18:19], v[14:15], v[14:15] op_sel:[0,1]
	s_or_b64 s[48:49], s[4:5], s[48:49]
	s_mov_b64 s[54:55], 0
	v_mov_b32_e32 v78, v88
	v_pk_mov_b32 v[16:17], v[12:13], v[12:13] op_sel:[0,1]
	s_andn2_b64 exec, exec, s[50:51]
	s_cbranch_execz .LBB107_73
.LBB107_55:                             ;   Parent Loop BB107_13 Depth=1
                                        ; =>  This Inner Loop Header: Depth=2
	v_add_u32_e32 v93, 1, v78
	v_pk_mov_b32 v[22:23], v[18:19], v[18:19] op_sel:[0,1]
	v_cmp_eq_u32_e32 vcc, 4, v93
	v_pk_mov_b32 v[20:21], v[16:17], v[16:17] op_sel:[0,1]
	s_and_saveexec_b64 s[4:5], vcc
	s_cbranch_execz .LBB107_57
; %bb.56:                               ;   in Loop: Header=BB107_55 Depth=2
	v_add_co_u32_e32 v4, vcc, 1, v4
	v_cndmask_b32_e64 v8, 0, 1, vcc
	v_addc_co_u32_e32 v5, vcc, 0, v5, vcc
	v_cmp_eq_u32_e32 vcc, 0, v5
	v_cndmask_b32_e32 v8, 0, v8, vcc
	v_add_u32_e32 v6, v8, v6
	v_cmp_eq_u32_e32 vcc, 0, v6
	v_cndmask_b32_e32 v8, 0, v8, vcc
	v_add_u32_e32 v7, v8, v7
	v_mad_u64_u32 v[8:9], s[70:71], v4, s58, 0
	v_mad_u64_u32 v[10:11], s[70:71], v6, s59, 0
	v_xor_b32_e32 v11, v11, v24
	v_xor_b32_e32 v9, v9, v25
	v_xor_b32_e32 v11, v5, v11
	v_xor_b32_e32 v9, v7, v9
	v_mad_u64_u32 v[12:13], s[70:71], v11, s58, 0
	v_mad_u64_u32 v[14:15], s[70:71], v9, s59, 0
	v_xor_b32_e32 v9, v15, v10
	v_xor_b32_e32 v8, v13, v8
	v_xor_b32_e32 v9, v55, v9
	v_xor_b32_e32 v10, v56, v8
	;; [unrolled: 6-line block ×9, first 2 shown]
	v_mad_u64_u32 v[12:13], s[70:71], v9, s58, 0
	v_mad_u64_u32 v[14:15], s[70:71], v11, s59, 0
	v_xor_b32_e32 v9, v13, v10
	v_xor_b32_e32 v8, v15, v8
	;; [unrolled: 1-line block ×3, first 2 shown]
	v_mov_b32_e32 v11, v12
	v_xor_b32_e32 v8, v53, v8
	v_mov_b32_e32 v9, v14
	v_pk_mov_b32 v[22:23], v[10:11], v[10:11] op_sel:[0,1]
	v_mov_b32_e32 v93, 0
	v_pk_mov_b32 v[20:21], v[8:9], v[8:9] op_sel:[0,1]
.LBB107_57:                             ;   in Loop: Header=BB107_55 Depth=2
	s_or_b64 exec, exec, s[4:5]
	v_add_u32_e32 v88, 1, v93
	v_pk_mov_b32 v[12:13], v[20:21], v[20:21] op_sel:[0,1]
	v_cmp_eq_u32_e32 vcc, 4, v88
	v_pk_mov_b32 v[14:15], v[22:23], v[22:23] op_sel:[0,1]
	s_and_saveexec_b64 s[4:5], vcc
	s_cbranch_execz .LBB107_59
; %bb.58:                               ;   in Loop: Header=BB107_55 Depth=2
	v_add_co_u32_e32 v4, vcc, 1, v4
	v_cndmask_b32_e64 v8, 0, 1, vcc
	v_addc_co_u32_e32 v5, vcc, 0, v5, vcc
	v_cmp_eq_u32_e32 vcc, 0, v5
	v_cndmask_b32_e32 v8, 0, v8, vcc
	v_add_u32_e32 v6, v8, v6
	v_cmp_eq_u32_e32 vcc, 0, v6
	v_cndmask_b32_e32 v8, 0, v8, vcc
	v_add_u32_e32 v7, v8, v7
	v_mad_u64_u32 v[8:9], s[70:71], v4, s58, 0
	v_mad_u64_u32 v[10:11], s[70:71], v6, s59, 0
	v_xor_b32_e32 v11, v11, v24
	v_xor_b32_e32 v9, v9, v25
	v_xor_b32_e32 v11, v5, v11
	v_xor_b32_e32 v9, v7, v9
	v_mad_u64_u32 v[12:13], s[70:71], v11, s58, 0
	v_mad_u64_u32 v[14:15], s[70:71], v9, s59, 0
	v_xor_b32_e32 v9, v15, v10
	v_xor_b32_e32 v8, v13, v8
	v_xor_b32_e32 v9, v55, v9
	v_xor_b32_e32 v10, v56, v8
	;; [unrolled: 6-line block ×9, first 2 shown]
	v_mad_u64_u32 v[12:13], s[70:71], v9, s58, 0
	v_mad_u64_u32 v[14:15], s[70:71], v11, s59, 0
	v_xor_b32_e32 v9, v13, v10
	v_xor_b32_e32 v8, v15, v8
	;; [unrolled: 1-line block ×3, first 2 shown]
	v_mov_b32_e32 v11, v12
	v_xor_b32_e32 v8, v53, v8
	v_mov_b32_e32 v9, v14
	v_pk_mov_b32 v[14:15], v[10:11], v[10:11] op_sel:[0,1]
	v_mov_b32_e32 v88, 0
	v_pk_mov_b32 v[12:13], v[8:9], v[8:9] op_sel:[0,1]
.LBB107_59:                             ;   in Loop: Header=BB107_55 Depth=2
	s_or_b64 exec, exec, s[4:5]
	v_cmp_eq_u32_e32 vcc, 1, v78
	v_cndmask_b32_e32 v16, v16, v17, vcc
	v_cmp_eq_u32_e32 vcc, 2, v78
	v_cndmask_b32_e32 v16, v16, v18, vcc
	;; [unrolled: 2-line block ×3, first 2 shown]
	v_and_b32_e32 v16, 0xffffff, v16
	v_cvt_f32_u32_e32 v16, v16
	v_fma_f32 v16, v16, s66, -0.5
	v_sub_f32_e64 v92, 0.5, |v16|
	v_div_scale_f32 v17, s[4:5], v92, v92, v87
	v_rcp_f32_e32 v18, v17
	v_div_scale_f32 v19, vcc, v87, v92, v87
	v_fma_f32 v78, -v17, v18, 1.0
	v_fmac_f32_e32 v18, v78, v18
	v_mul_f32_e32 v78, v19, v18
	v_fma_f32 v91, -v17, v78, v19
	v_fmac_f32_e32 v78, v91, v18
	v_fma_f32 v17, -v17, v78, v19
	v_div_fmas_f32 v17, v17, v18, v78
	v_div_fixup_f32 v17, v17, v92, v87
	v_add_f32_e32 v17, v17, v79
	v_fma_f32 v16, v16, v17, v81
	v_floor_f32_e32 v16, v16
	v_bfe_u32 v17, v16, 16, 1
	v_add3_u32 v17, v16, v17, s60
	v_and_b32_e32 v17, 0xffff0000, v17
	v_cmp_o_f32_e32 vcc, v16, v16
	v_cndmask_b32_e32 v91, v73, v17, vcc
	v_cmp_ngt_f32_e32 vcc, 0, v91
	v_cmp_ngt_f32_e64 s[4:5], v91, v2
	s_and_b64 s[4:5], vcc, s[4:5]
	s_and_b64 s[4:5], exec, s[4:5]
	v_pk_mov_b32 v[18:19], v[14:15], v[14:15] op_sel:[0,1]
	s_or_b64 s[54:55], s[4:5], s[54:55]
	v_mov_b32_e32 v78, v88
	v_pk_mov_b32 v[16:17], v[12:13], v[12:13] op_sel:[0,1]
	s_andn2_b64 exec, exec, s[54:55]
	s_cbranch_execnz .LBB107_55
; %bb.60:                               ;   in Loop: Header=BB107_55 Depth=2
	s_or_b64 exec, exec, s[54:55]
	v_cmp_eq_u32_e32 vcc, 1, v93
	v_cndmask_b32_e32 v16, v20, v21, vcc
	v_cmp_eq_u32_e32 vcc, 2, v93
	v_cndmask_b32_e32 v16, v16, v22, vcc
	;; [unrolled: 2-line block ×3, first 2 shown]
	v_and_b32_e32 v16, 0xffffff, v16
	v_cvt_f32_u32_e32 v16, v16
	v_cvt_f64_f32_e32 v[18:19], v92
	v_cmp_nle_f64_e32 vcc, s[34:35], v[18:19]
	s_or_b64 s[52:53], s[52:53], exec
	v_mul_f32_e32 v16, 0x33800000, v16
	v_cmp_nle_f32_e64 s[4:5], v16, v82
	s_or_b64 s[70:71], vcc, s[4:5]
	s_mov_b64 s[4:5], -1
                                        ; implicit-def: $vgpr21
                                        ; implicit-def: $vgpr20
	s_and_saveexec_b64 s[54:55], s[70:71]
	s_cbranch_execz .LBB107_54
; %bb.61:                               ;   in Loop: Header=BB107_55 Depth=2
	v_mov_b32_e32 v17, v89
	s_and_saveexec_b64 s[4:5], s[0:1]
	s_cbranch_execz .LBB107_63
; %bb.62:                               ;   in Loop: Header=BB107_55 Depth=2
	global_load_dword v17, v[30:31], off
.LBB107_63:                             ;   in Loop: Header=BB107_55 Depth=2
	s_or_b64 exec, exec, s[4:5]
	v_mov_b32_e32 v18, v90
	s_and_saveexec_b64 s[4:5], s[2:3]
	s_cbranch_execz .LBB107_65
; %bb.64:                               ;   in Loop: Header=BB107_55 Depth=2
	global_load_dword v18, v[32:33], off
.LBB107_65:                             ;   in Loop: Header=BB107_55 Depth=2
	s_or_b64 exec, exec, s[4:5]
	v_add_f32_e32 v22, 1.0, v91
	v_cmp_ngt_f32_e32 vcc, s61, v91
                                        ; implicit-def: $vgpr19
	s_and_saveexec_b64 s[4:5], vcc
	s_xor_b64 s[4:5], exec, s[4:5]
	s_cbranch_execz .LBB107_67
; %bb.66:                               ;   in Loop: Header=BB107_55 Depth=2
	v_mul_f32_e32 v19, v22, v22
	v_cvt_f64_f32_e32 v[20:21], v19
	v_div_scale_f64 v[94:95], s[70:71], v[20:21], v[20:21], s[26:27]
	v_rcp_f64_e32 v[96:97], v[94:95]
	v_div_scale_f64 v[98:99], vcc, s[26:27], v[20:21], s[26:27]
	v_fma_f64 v[100:101], -v[94:95], v[96:97], 1.0
	v_fmac_f64_e32 v[96:97], v[96:97], v[100:101]
	v_fma_f64 v[100:101], -v[94:95], v[96:97], 1.0
	v_fmac_f64_e32 v[96:97], v[96:97], v[100:101]
	v_mul_f64 v[100:101], v[98:99], v[96:97]
	v_fma_f64 v[94:95], -v[94:95], v[100:101], v[98:99]
	v_div_fmas_f64 v[94:95], v[94:95], v[96:97], v[100:101]
	v_div_fixup_f64 v[94:95], v[94:95], v[20:21], s[26:27]
	v_add_f64 v[94:95], v[94:95], s[28:29]
	v_div_scale_f64 v[96:97], s[70:71], v[20:21], v[20:21], v[94:95]
	v_rcp_f64_e32 v[98:99], v[96:97]
	v_fma_f64 v[100:101], -v[96:97], v[98:99], 1.0
	v_fmac_f64_e32 v[98:99], v[98:99], v[100:101]
	v_fma_f64 v[100:101], -v[96:97], v[98:99], 1.0
	v_fmac_f64_e32 v[98:99], v[98:99], v[100:101]
	v_div_scale_f64 v[100:101], vcc, v[94:95], v[20:21], v[94:95]
	v_mul_f64 v[102:103], v[100:101], v[98:99]
	v_fma_f64 v[96:97], -v[96:97], v[102:103], v[100:101]
	s_nop 1
	v_div_fmas_f64 v[96:97], v[96:97], v[98:99], v[102:103]
	v_div_fixup_f64 v[20:21], v[96:97], v[20:21], v[94:95]
	v_add_f64 v[20:21], -v[20:21], s[30:31]
	v_cvt_f64_f32_e32 v[94:95], v22
	v_div_scale_f64 v[96:97], s[70:71], v[94:95], v[94:95], v[20:21]
	v_rcp_f64_e32 v[98:99], v[96:97]
	v_fma_f64 v[100:101], -v[96:97], v[98:99], 1.0
	v_fmac_f64_e32 v[98:99], v[98:99], v[100:101]
	v_fma_f64 v[100:101], -v[96:97], v[98:99], 1.0
	v_fmac_f64_e32 v[98:99], v[98:99], v[100:101]
	v_div_scale_f64 v[100:101], vcc, v[20:21], v[94:95], v[20:21]
	v_mul_f64 v[102:103], v[100:101], v[98:99]
	v_fma_f64 v[96:97], -v[96:97], v[102:103], v[100:101]
	s_nop 1
	v_div_fmas_f64 v[96:97], v[96:97], v[98:99], v[102:103]
	v_div_fixup_f64 v[20:21], v[96:97], v[94:95], v[20:21]
	v_cvt_f32_f64_e32 v19, v[20:21]
.LBB107_67:                             ;   in Loop: Header=BB107_55 Depth=2
	s_andn2_saveexec_b64 s[4:5], s[4:5]
	s_cbranch_execz .LBB107_69
; %bb.68:                               ;   in Loop: Header=BB107_55 Depth=2
	v_trunc_f32_e32 v19, v91
	v_mul_f32_e32 v20, 0x2f800000, v19
	v_floor_f32_e32 v20, v20
	v_fmac_f32_e32 v19, 0xcf800000, v20
	v_cvt_u32_f32_e32 v21, v20
	v_cvt_u32_f32_e32 v20, v19
	s_getpc_b64 s[70:71]
	s_add_u32 s70, s70, _ZZN12_GLOBAL__N_120stirling_approx_tailIfEET_S1_E11kTailValues.const@rel32@lo+4
	s_addc_u32 s71, s71, _ZZN12_GLOBAL__N_120stirling_approx_tailIfEET_S1_E11kTailValues.const@rel32@hi+12
	v_mov_b32_e32 v19, s71
	v_lshlrev_b64 v[20:21], 2, v[20:21]
	v_add_co_u32_e32 v20, vcc, s70, v20
	v_addc_co_u32_e32 v21, vcc, v21, v19, vcc
	global_load_dword v19, v[20:21], off
.LBB107_69:                             ;   in Loop: Header=BB107_55 Depth=2
	s_or_b64 exec, exec, s[4:5]
	v_sub_f32_e32 v20, v2, v91
	v_bfe_u32 v21, v20, 16, 1
	v_add3_u32 v21, v20, v21, s60
	v_and_b32_e32 v23, 0xffff0000, v21
	v_cmp_o_f32_e32 vcc, v20, v20
	v_cndmask_b32_e32 v93, v73, v23, vcc
	v_add_f32_e32 v78, 1.0, v93
	v_cmp_ngt_f32_e32 vcc, s61, v93
                                        ; implicit-def: $vgpr23
	s_and_saveexec_b64 s[4:5], vcc
	s_xor_b64 s[4:5], exec, s[4:5]
	s_cbranch_execz .LBB107_71
; %bb.70:                               ;   in Loop: Header=BB107_55 Depth=2
	v_mul_f32_e32 v23, v78, v78
	v_cvt_f64_f32_e32 v[94:95], v23
	v_div_scale_f64 v[96:97], s[70:71], v[94:95], v[94:95], s[26:27]
	v_rcp_f64_e32 v[98:99], v[96:97]
	v_div_scale_f64 v[100:101], vcc, s[26:27], v[94:95], s[26:27]
                                        ; implicit-def: $vgpr93
	v_fma_f64 v[102:103], -v[96:97], v[98:99], 1.0
	v_fmac_f64_e32 v[98:99], v[98:99], v[102:103]
	v_fma_f64 v[102:103], -v[96:97], v[98:99], 1.0
	v_fmac_f64_e32 v[98:99], v[98:99], v[102:103]
	v_mul_f64 v[102:103], v[100:101], v[98:99]
	v_fma_f64 v[96:97], -v[96:97], v[102:103], v[100:101]
	v_div_fmas_f64 v[96:97], v[96:97], v[98:99], v[102:103]
	v_div_fixup_f64 v[96:97], v[96:97], v[94:95], s[26:27]
	v_add_f64 v[96:97], v[96:97], s[28:29]
	v_div_scale_f64 v[98:99], s[70:71], v[94:95], v[94:95], v[96:97]
	v_rcp_f64_e32 v[100:101], v[98:99]
	v_fma_f64 v[102:103], -v[98:99], v[100:101], 1.0
	v_fmac_f64_e32 v[100:101], v[100:101], v[102:103]
	v_fma_f64 v[102:103], -v[98:99], v[100:101], 1.0
	v_fmac_f64_e32 v[100:101], v[100:101], v[102:103]
	v_div_scale_f64 v[102:103], vcc, v[96:97], v[94:95], v[96:97]
	v_mul_f64 v[104:105], v[102:103], v[100:101]
	v_fma_f64 v[98:99], -v[98:99], v[104:105], v[102:103]
	s_nop 1
	v_div_fmas_f64 v[98:99], v[98:99], v[100:101], v[104:105]
	v_div_fixup_f64 v[94:95], v[98:99], v[94:95], v[96:97]
	v_add_f64 v[94:95], -v[94:95], s[30:31]
	v_cvt_f64_f32_e32 v[96:97], v78
	v_div_scale_f64 v[98:99], s[70:71], v[96:97], v[96:97], v[94:95]
	v_rcp_f64_e32 v[100:101], v[98:99]
	v_fma_f64 v[102:103], -v[98:99], v[100:101], 1.0
	v_fmac_f64_e32 v[100:101], v[100:101], v[102:103]
	v_fma_f64 v[102:103], -v[98:99], v[100:101], 1.0
	v_fmac_f64_e32 v[100:101], v[100:101], v[102:103]
	v_div_scale_f64 v[102:103], vcc, v[94:95], v[96:97], v[94:95]
	v_mul_f64 v[104:105], v[102:103], v[100:101]
	v_fma_f64 v[98:99], -v[98:99], v[104:105], v[102:103]
	s_nop 1
	v_div_fmas_f64 v[98:99], v[98:99], v[100:101], v[104:105]
	v_div_fixup_f64 v[94:95], v[98:99], v[96:97], v[94:95]
	v_cvt_f32_f64_e32 v23, v[94:95]
.LBB107_71:                             ;   in Loop: Header=BB107_55 Depth=2
	s_andn2_saveexec_b64 s[4:5], s[4:5]
	s_cbranch_execz .LBB107_53
; %bb.72:                               ;   in Loop: Header=BB107_55 Depth=2
	v_trunc_f32_e32 v23, v93
	v_mul_f32_e32 v93, 0x2f800000, v23
	v_floor_f32_e32 v93, v93
	v_fmac_f32_e32 v23, 0xcf800000, v93
	v_cvt_u32_f32_e32 v95, v93
	v_cvt_u32_f32_e32 v94, v23
	s_getpc_b64 s[70:71]
	s_add_u32 s70, s70, _ZZN12_GLOBAL__N_120stirling_approx_tailIfEET_S1_E11kTailValues.const@rel32@lo+4
	s_addc_u32 s71, s71, _ZZN12_GLOBAL__N_120stirling_approx_tailIfEET_S1_E11kTailValues.const@rel32@hi+12
	v_mov_b32_e32 v23, s71
	v_lshlrev_b64 v[94:95], 2, v[94:95]
	v_add_co_u32_e32 v94, vcc, s70, v94
	v_addc_co_u32_e32 v95, vcc, v95, v23, vcc
	global_load_dword v23, v[94:95], off
	s_branch .LBB107_53
.LBB107_73:                             ;   in Loop: Header=BB107_13 Depth=1
	s_or_b64 exec, exec, s[50:51]
	s_and_saveexec_b64 s[0:1], s[48:49]
	s_xor_b64 s[0:1], exec, s[0:1]
; %bb.74:                               ;   in Loop: Header=BB107_13 Depth=1
	v_sub_f32_e32 v20, v2, v91
	v_bfe_u32 v0, v20, 16, 1
	v_add3_u32 v21, v20, v0, s60
; %bb.75:                               ;   in Loop: Header=BB107_13 Depth=1
	s_or_b64 exec, exec, s[0:1]
	v_lshrrev_b32_e32 v0, 16, v21
	v_cmp_o_f32_e32 vcc, v20, v20
	v_cndmask_b32_e32 v87, v76, v0, vcc
                                        ; implicit-def: $vgpr2
                                        ; implicit-def: $vgpr78
                                        ; implicit-def: $vgpr0
.LBB107_76:                             ;   in Loop: Header=BB107_13 Depth=1
	s_andn2_saveexec_b64 s[2:3], s[46:47]
	s_cbranch_execz .LBB107_7
; %bb.77:                               ;   in Loop: Header=BB107_13 Depth=1
	v_xor_b32_e32 v1, 0x80000000, v0
	v_bfe_u32 v12, v1, 16, 1
	v_add3_u32 v1, v1, v12, s60
	v_and_b32_e32 v12, 0xffff0000, v1
	v_cmp_o_f32_e32 vcc, v0, v0
	v_cndmask_b32_e32 v13, v73, v12, vcc
	v_add_f32_e32 v14, 1.0, v13
	v_add_f32_e32 v0, -1.0, v14
	v_sub_f32_e32 v1, v0, v14
	v_add_f32_e32 v1, 1.0, v1
	v_sub_f32_e32 v0, v13, v0
	v_add_f32_e32 v15, v0, v1
	v_frexp_mant_f32_e32 v16, v14
	v_cvt_f64_f32_e32 v[0:1], v14
	v_frexp_exp_i32_f64_e32 v0, v[0:1]
	v_cmp_gt_f32_e64 s[0:1], s67, v16
	v_subbrev_co_u32_e64 v0, s[0:1], 0, v0, s[0:1]
	v_sub_u32_e32 v1, 0, v0
	v_ldexp_f32 v14, v14, v1
	v_ldexp_f32 v1, v15, v1
	v_add_f32_e32 v15, -1.0, v14
	v_add_f32_e32 v18, 1.0, v14
	v_add_f32_e32 v16, 1.0, v15
	v_add_f32_e32 v19, -1.0, v18
	v_sub_f32_e32 v16, v14, v16
	v_sub_f32_e32 v14, v14, v19
	v_add_f32_e32 v16, v1, v16
	v_add_f32_e32 v1, v1, v14
	;; [unrolled: 1-line block ×3, first 2 shown]
	v_rcp_f32_e32 v19, v14
	v_add_f32_e32 v17, v15, v16
	v_sub_f32_e32 v15, v17, v15
	v_sub_f32_e32 v15, v16, v15
	;; [unrolled: 1-line block ×4, first 2 shown]
	v_mul_f32_e32 v16, v17, v19
	v_mul_f32_e32 v18, v14, v16
	v_fma_f32 v20, v16, v14, -v18
	v_fmac_f32_e32 v20, v16, v1
	v_add_f32_e32 v21, v18, v20
	v_sub_f32_e32 v22, v17, v21
	v_sub_f32_e32 v17, v17, v22
	;; [unrolled: 1-line block ×4, first 2 shown]
	v_add_f32_e32 v15, v15, v17
	v_sub_f32_e32 v17, v18, v20
	v_add_f32_e32 v15, v17, v15
	v_add_f32_e32 v17, v22, v15
	v_mul_f32_e32 v18, v19, v17
	v_mul_f32_e32 v20, v14, v18
	v_fma_f32 v14, v18, v14, -v20
	v_fmac_f32_e32 v14, v18, v1
	v_sub_f32_e32 v1, v22, v17
	v_add_f32_e32 v1, v15, v1
	v_add_f32_e32 v15, v20, v14
	v_sub_f32_e32 v21, v17, v15
	v_sub_f32_e32 v17, v17, v21
	;; [unrolled: 1-line block ×4, first 2 shown]
	v_add_f32_e32 v1, v1, v15
	v_sub_f32_e32 v14, v20, v14
	v_cvt_f32_i32_e32 v0, v0
	v_add_f32_e32 v1, v14, v1
	v_add_f32_e32 v14, v16, v18
	;; [unrolled: 1-line block ×3, first 2 shown]
	v_sub_f32_e32 v15, v14, v16
	v_mul_f32_e32 v1, v19, v1
	v_sub_f32_e32 v15, v18, v15
	v_add_f32_e32 v1, v15, v1
	v_mul_f32_e32 v18, 0x3f317218, v0
	v_add_f32_e32 v15, v14, v1
	v_fma_f32 v19, v0, s68, -v18
	v_mul_f32_e32 v16, v15, v15
	v_mov_b32_e32 v17, 0x3ecc95a3
	v_fmac_f32_e32 v19, 0xb102e308, v0
	v_sub_f32_e32 v0, v15, v14
	v_fmac_f32_e32 v17, 0x3e9b6dac, v16
	v_sub_f32_e32 v0, v1, v0
	v_add_f32_e32 v1, v18, v19
	v_fma_f32 v17, v16, v17, v72
	v_sub_f32_e32 v14, v1, v18
	v_ldexp_f32 v18, v15, 1
	v_mul_f32_e32 v15, v15, v16
	v_mul_f32_e32 v15, v15, v17
	v_add_f32_e32 v16, v18, v15
	v_sub_f32_e32 v17, v16, v18
	v_ldexp_f32 v0, v0, 1
	v_sub_f32_e32 v15, v15, v17
	v_add_f32_e32 v0, v0, v15
	v_add_f32_e32 v15, v16, v0
	v_sub_f32_e32 v16, v15, v16
	v_sub_f32_e32 v0, v0, v16
	v_add_f32_e32 v16, v1, v15
	v_sub_f32_e32 v17, v16, v1
	v_sub_f32_e32 v18, v16, v17
	;; [unrolled: 1-line block ×5, first 2 shown]
	v_add_f32_e32 v1, v15, v1
	v_add_f32_e32 v15, v14, v0
	v_sub_f32_e32 v17, v15, v14
	v_sub_f32_e32 v18, v15, v17
	;; [unrolled: 1-line block ×4, first 2 shown]
	v_add_f32_e32 v1, v15, v1
	v_add_f32_e32 v0, v0, v14
	;; [unrolled: 1-line block ×3, first 2 shown]
	v_sub_f32_e32 v15, v14, v16
	v_sub_f32_e32 v1, v1, v15
	v_add_f32_e32 v0, v0, v1
	v_add_f32_e32 v0, v14, v0
	v_cmp_eq_f32_e64 s[0:1], s65, v13
	v_cndmask_b32_e64 v0, v0, v13, s[0:1]
	v_cmp_ngt_f32_e64 s[0:1], -1.0, v13
	v_cndmask_b32_e64 v0, v73, v0, s[0:1]
	v_cmp_neq_f32_e64 s[0:1], -1.0, v13
	v_and_b32_e32 v1, 0x7fffffff, v12
	v_cndmask_b32_e64 v0, v77, v0, s[0:1]
	v_cmp_gt_f32_e64 s[0:1], s66, v1
	s_and_b64 vcc, vcc, s[0:1]
	v_cndmask_b32_e32 v0, v0, v13, vcc
	v_pk_mov_b32 v[14:15], v[10:11], v[10:11] op_sel:[0,1]
	s_mov_b64 s[4:5], 0
	v_mov_b32_e32 v16, 0
	v_mov_b32_e32 v1, 0
	v_pk_mov_b32 v[12:13], v[8:9], v[8:9] op_sel:[0,1]
	s_branch .LBB107_79
.LBB107_78:                             ;   in Loop: Header=BB107_79 Depth=2
	s_or_b64 exec, exec, s[46:47]
	s_and_b64 s[0:1], exec, vcc
	v_pk_mov_b32 v[14:15], v[10:11], v[10:11] op_sel:[0,1]
	s_or_b64 s[4:5], s[0:1], s[4:5]
	v_mov_b32_e32 v78, v88
	v_pk_mov_b32 v[12:13], v[8:9], v[8:9] op_sel:[0,1]
	s_andn2_b64 exec, exec, s[4:5]
	s_cbranch_execz .LBB107_6
.LBB107_79:                             ;   Parent Loop BB107_13 Depth=1
                                        ; =>  This Inner Loop Header: Depth=2
	v_add_u32_e32 v88, 1, v78
	v_cmp_eq_u32_e32 vcc, 4, v88
	s_and_saveexec_b64 s[0:1], vcc
	s_cbranch_execz .LBB107_81
; %bb.80:                               ;   in Loop: Header=BB107_79 Depth=2
	v_add_co_u32_e32 v4, vcc, 1, v4
	v_cndmask_b32_e64 v8, 0, 1, vcc
	v_addc_co_u32_e32 v5, vcc, 0, v5, vcc
	v_cmp_eq_u32_e32 vcc, 0, v5
	v_cndmask_b32_e32 v8, 0, v8, vcc
	v_add_u32_e32 v6, v8, v6
	v_cmp_eq_u32_e32 vcc, 0, v6
	v_cndmask_b32_e32 v8, 0, v8, vcc
	v_add_u32_e32 v7, v8, v7
	v_mad_u64_u32 v[8:9], s[46:47], v4, s58, 0
	v_mad_u64_u32 v[10:11], s[46:47], v6, s59, 0
	v_xor_b32_e32 v9, v9, v25
	v_xor_b32_e32 v11, v11, v24
	v_xor_b32_e32 v9, v7, v9
	v_xor_b32_e32 v11, v5, v11
	v_mad_u64_u32 v[20:21], s[46:47], v9, s59, 0
	v_mad_u64_u32 v[18:19], s[46:47], v11, s58, 0
	v_xor_b32_e32 v9, v37, v21
	v_xor_b32_e32 v9, v9, v10
	v_xor_b32_e32 v10, v38, v19
	v_xor_b32_e32 v10, v10, v8
	;; [unrolled: 6-line block ×9, first 2 shown]
	v_mad_u64_u32 v[18:19], s[46:47], v9, s58, 0
	v_mad_u64_u32 v[20:21], s[46:47], v11, s59, 0
	v_xor_b32_e32 v8, v21, v8
	v_xor_b32_e32 v9, v19, v10
	v_mov_b32_e32 v88, 0
	v_xor_b32_e32 v8, v53, v8
	v_xor_b32_e32 v10, v54, v9
	v_mov_b32_e32 v9, v20
	v_mov_b32_e32 v11, v18
.LBB107_81:                             ;   in Loop: Header=BB107_79 Depth=2
	s_or_b64 exec, exec, s[0:1]
	v_cmp_eq_u32_e32 vcc, 1, v78
	v_cndmask_b32_e32 v12, v12, v13, vcc
	v_cmp_eq_u32_e32 vcc, 2, v78
	v_cndmask_b32_e32 v12, v12, v14, vcc
	;; [unrolled: 2-line block ×3, first 2 shown]
	v_and_b32_e32 v12, 0xffffff, v12
	v_cvt_f32_u32_e32 v12, v12
	v_mul_f32_e32 v12, 0x33800000, v12
	v_cmp_gt_f32_e32 vcc, s63, v12
	v_cndmask_b32_e32 v13, 1.0, v74, vcc
	v_mul_f32_e32 v12, v12, v13
	v_log_f32_e32 v12, v12
	v_cndmask_b32_e32 v13, 0, v75, vcc
	v_mul_f32_e32 v14, 0x3f317217, v12
	v_fma_f32 v15, v12, s64, -v14
	v_fmac_f32_e32 v15, 0x3377d1cf, v12
	v_add_f32_e32 v14, v14, v15
	v_cmp_lt_f32_e64 vcc, |v12|, s65
	v_cndmask_b32_e32 v12, v12, v14, vcc
	v_sub_f32_e32 v12, v12, v13
	v_div_scale_f32 v13, s[0:1], v0, v0, v12
	v_rcp_f32_e32 v14, v13
	v_div_scale_f32 v15, vcc, v12, v0, v12
	v_fma_f32 v17, -v13, v14, 1.0
	v_fmac_f32_e32 v14, v17, v14
	v_mul_f32_e32 v17, v15, v14
	v_fma_f32 v18, -v13, v17, v15
	v_fmac_f32_e32 v17, v18, v14
	v_fma_f32 v13, -v13, v17, v15
	v_div_fmas_f32 v13, v13, v14, v17
	v_div_fixup_f32 v12, v13, v0, v12
	v_ceil_f32_e32 v12, v12
	v_add_f32_e32 v1, v1, v12
	v_cmp_ngt_f32_e64 s[0:1], v1, v2
	v_cmp_gt_f32_e32 vcc, v1, v2
	s_and_saveexec_b64 s[46:47], s[0:1]
	s_cbranch_execz .LBB107_78
; %bb.82:                               ;   in Loop: Header=BB107_79 Depth=2
	v_lshlrev_b32_e32 v12, 16, v16
	v_add_f32_e32 v12, 1.0, v12
	v_bfe_u32 v13, v12, 16, 1
	v_add3_u32 v13, v12, v13, s60
	v_lshrrev_b32_e32 v13, 16, v13
	v_cmp_o_f32_e64 s[0:1], v12, v12
	v_cndmask_b32_e64 v16, v76, v13, s[0:1]
	s_branch .LBB107_78
.LBB107_83:
	s_endpgm
	.section	.rodata,"a",@progbits
	.p2align	6, 0x0
	.amdhsa_kernel _ZN2at6native12_GLOBAL__N_138distribution_binary_elementwise_kernelIZN12_GLOBAL__N_120binomial_cuda_kernelIN3c108BFloat16EEEvRNS_18TensorIteratorBaseENS_15PhiloxCudaStateEEUlR25hiprandStatePhilox4_32_10S6_S6_E_23TrivialOffsetCalculatorILi2EjESD_ILi1EjEEEviT_S9_PN15function_traitsISG_E11result_typeEPKNSI_3argILi1EE4typeEPKNSL_ILi2EE4typeET0_T1_
		.amdhsa_group_segment_fixed_size 16384
		.amdhsa_private_segment_fixed_size 0
		.amdhsa_kernarg_size 328
		.amdhsa_user_sgpr_count 8
		.amdhsa_user_sgpr_private_segment_buffer 1
		.amdhsa_user_sgpr_dispatch_ptr 1
		.amdhsa_user_sgpr_queue_ptr 0
		.amdhsa_user_sgpr_kernarg_segment_ptr 1
		.amdhsa_user_sgpr_dispatch_id 0
		.amdhsa_user_sgpr_flat_scratch_init 0
		.amdhsa_user_sgpr_kernarg_preload_length 0
		.amdhsa_user_sgpr_kernarg_preload_offset 0
		.amdhsa_user_sgpr_private_segment_size 0
		.amdhsa_uses_dynamic_stack 0
		.amdhsa_system_sgpr_private_segment_wavefront_offset 0
		.amdhsa_system_sgpr_workgroup_id_x 1
		.amdhsa_system_sgpr_workgroup_id_y 0
		.amdhsa_system_sgpr_workgroup_id_z 0
		.amdhsa_system_sgpr_workgroup_info 0
		.amdhsa_system_vgpr_workitem_id 2
		.amdhsa_next_free_vgpr 106
		.amdhsa_next_free_sgpr 72
		.amdhsa_accum_offset 108
		.amdhsa_reserve_vcc 1
		.amdhsa_reserve_flat_scratch 0
		.amdhsa_float_round_mode_32 0
		.amdhsa_float_round_mode_16_64 0
		.amdhsa_float_denorm_mode_32 3
		.amdhsa_float_denorm_mode_16_64 3
		.amdhsa_dx10_clamp 1
		.amdhsa_ieee_mode 1
		.amdhsa_fp16_overflow 0
		.amdhsa_tg_split 0
		.amdhsa_exception_fp_ieee_invalid_op 0
		.amdhsa_exception_fp_denorm_src 0
		.amdhsa_exception_fp_ieee_div_zero 0
		.amdhsa_exception_fp_ieee_overflow 0
		.amdhsa_exception_fp_ieee_underflow 0
		.amdhsa_exception_fp_ieee_inexact 0
		.amdhsa_exception_int_div_zero 0
	.end_amdhsa_kernel
	.section	.text._ZN2at6native12_GLOBAL__N_138distribution_binary_elementwise_kernelIZN12_GLOBAL__N_120binomial_cuda_kernelIN3c108BFloat16EEEvRNS_18TensorIteratorBaseENS_15PhiloxCudaStateEEUlR25hiprandStatePhilox4_32_10S6_S6_E_23TrivialOffsetCalculatorILi2EjESD_ILi1EjEEEviT_S9_PN15function_traitsISG_E11result_typeEPKNSI_3argILi1EE4typeEPKNSL_ILi2EE4typeET0_T1_,"axG",@progbits,_ZN2at6native12_GLOBAL__N_138distribution_binary_elementwise_kernelIZN12_GLOBAL__N_120binomial_cuda_kernelIN3c108BFloat16EEEvRNS_18TensorIteratorBaseENS_15PhiloxCudaStateEEUlR25hiprandStatePhilox4_32_10S6_S6_E_23TrivialOffsetCalculatorILi2EjESD_ILi1EjEEEviT_S9_PN15function_traitsISG_E11result_typeEPKNSI_3argILi1EE4typeEPKNSL_ILi2EE4typeET0_T1_,comdat
.Lfunc_end107:
	.size	_ZN2at6native12_GLOBAL__N_138distribution_binary_elementwise_kernelIZN12_GLOBAL__N_120binomial_cuda_kernelIN3c108BFloat16EEEvRNS_18TensorIteratorBaseENS_15PhiloxCudaStateEEUlR25hiprandStatePhilox4_32_10S6_S6_E_23TrivialOffsetCalculatorILi2EjESD_ILi1EjEEEviT_S9_PN15function_traitsISG_E11result_typeEPKNSI_3argILi1EE4typeEPKNSL_ILi2EE4typeET0_T1_, .Lfunc_end107-_ZN2at6native12_GLOBAL__N_138distribution_binary_elementwise_kernelIZN12_GLOBAL__N_120binomial_cuda_kernelIN3c108BFloat16EEEvRNS_18TensorIteratorBaseENS_15PhiloxCudaStateEEUlR25hiprandStatePhilox4_32_10S6_S6_E_23TrivialOffsetCalculatorILi2EjESD_ILi1EjEEEviT_S9_PN15function_traitsISG_E11result_typeEPKNSI_3argILi1EE4typeEPKNSL_ILi2EE4typeET0_T1_
                                        ; -- End function
	.section	.AMDGPU.csdata,"",@progbits
; Kernel info:
; codeLenInByte = 12980
; NumSgprs: 76
; NumVgprs: 106
; NumAgprs: 0
; TotalNumVgprs: 106
; ScratchSize: 0
; MemoryBound: 0
; FloatMode: 240
; IeeeMode: 1
; LDSByteSize: 16384 bytes/workgroup (compile time only)
; SGPRBlocks: 9
; VGPRBlocks: 13
; NumSGPRsForWavesPerEU: 76
; NumVGPRsForWavesPerEU: 106
; AccumOffset: 108
; Occupancy: 4
; WaveLimiterHint : 0
; COMPUTE_PGM_RSRC2:SCRATCH_EN: 0
; COMPUTE_PGM_RSRC2:USER_SGPR: 8
; COMPUTE_PGM_RSRC2:TRAP_HANDLER: 0
; COMPUTE_PGM_RSRC2:TGID_X_EN: 1
; COMPUTE_PGM_RSRC2:TGID_Y_EN: 0
; COMPUTE_PGM_RSRC2:TGID_Z_EN: 0
; COMPUTE_PGM_RSRC2:TIDIG_COMP_CNT: 2
; COMPUTE_PGM_RSRC3_GFX90A:ACCUM_OFFSET: 26
; COMPUTE_PGM_RSRC3_GFX90A:TG_SPLIT: 0
	.section	.text._ZN2at6native12_GLOBAL__N_138distribution_binary_elementwise_kernelIZN12_GLOBAL__N_120binomial_cuda_kernelIN3c108BFloat16EEEvRNS_18TensorIteratorBaseENS_15PhiloxCudaStateEEUlR25hiprandStatePhilox4_32_10S6_S6_E_16OffsetCalculatorILi2EjLb0EESD_ILi1EjLb0EEEEviT_S9_PN15function_traitsISG_E11result_typeEPKNSI_3argILi1EE4typeEPKNSL_ILi2EE4typeET0_T1_,"axG",@progbits,_ZN2at6native12_GLOBAL__N_138distribution_binary_elementwise_kernelIZN12_GLOBAL__N_120binomial_cuda_kernelIN3c108BFloat16EEEvRNS_18TensorIteratorBaseENS_15PhiloxCudaStateEEUlR25hiprandStatePhilox4_32_10S6_S6_E_16OffsetCalculatorILi2EjLb0EESD_ILi1EjLb0EEEEviT_S9_PN15function_traitsISG_E11result_typeEPKNSI_3argILi1EE4typeEPKNSL_ILi2EE4typeET0_T1_,comdat
	.globl	_ZN2at6native12_GLOBAL__N_138distribution_binary_elementwise_kernelIZN12_GLOBAL__N_120binomial_cuda_kernelIN3c108BFloat16EEEvRNS_18TensorIteratorBaseENS_15PhiloxCudaStateEEUlR25hiprandStatePhilox4_32_10S6_S6_E_16OffsetCalculatorILi2EjLb0EESD_ILi1EjLb0EEEEviT_S9_PN15function_traitsISG_E11result_typeEPKNSI_3argILi1EE4typeEPKNSL_ILi2EE4typeET0_T1_ ; -- Begin function _ZN2at6native12_GLOBAL__N_138distribution_binary_elementwise_kernelIZN12_GLOBAL__N_120binomial_cuda_kernelIN3c108BFloat16EEEvRNS_18TensorIteratorBaseENS_15PhiloxCudaStateEEUlR25hiprandStatePhilox4_32_10S6_S6_E_16OffsetCalculatorILi2EjLb0EESD_ILi1EjLb0EEEEviT_S9_PN15function_traitsISG_E11result_typeEPKNSI_3argILi1EE4typeEPKNSL_ILi2EE4typeET0_T1_
	.p2align	8
	.type	_ZN2at6native12_GLOBAL__N_138distribution_binary_elementwise_kernelIZN12_GLOBAL__N_120binomial_cuda_kernelIN3c108BFloat16EEEvRNS_18TensorIteratorBaseENS_15PhiloxCudaStateEEUlR25hiprandStatePhilox4_32_10S6_S6_E_16OffsetCalculatorILi2EjLb0EESD_ILi1EjLb0EEEEviT_S9_PN15function_traitsISG_E11result_typeEPKNSI_3argILi1EE4typeEPKNSL_ILi2EE4typeET0_T1_,@function
_ZN2at6native12_GLOBAL__N_138distribution_binary_elementwise_kernelIZN12_GLOBAL__N_120binomial_cuda_kernelIN3c108BFloat16EEEvRNS_18TensorIteratorBaseENS_15PhiloxCudaStateEEUlR25hiprandStatePhilox4_32_10S6_S6_E_16OffsetCalculatorILi2EjLb0EESD_ILi1EjLb0EEEEviT_S9_PN15function_traitsISG_E11result_typeEPKNSI_3argILi1EE4typeEPKNSL_ILi2EE4typeET0_T1_: ; @_ZN2at6native12_GLOBAL__N_138distribution_binary_elementwise_kernelIZN12_GLOBAL__N_120binomial_cuda_kernelIN3c108BFloat16EEEvRNS_18TensorIteratorBaseENS_15PhiloxCudaStateEEUlR25hiprandStatePhilox4_32_10S6_S6_E_16OffsetCalculatorILi2EjLb0EESD_ILi1EjLb0EEEEviT_S9_PN15function_traitsISG_E11result_typeEPKNSI_3argILi1EE4typeEPKNSL_ILi2EE4typeET0_T1_
; %bb.0:
	s_load_dword s9, s[6:7], 0x20
	s_load_dwordx4 s[0:3], s[6:7], 0x8
	s_waitcnt lgkmcnt(0)
	s_bitcmp0_b32 s9, 0
	v_pk_mov_b32 v[4:5], s[2:3], s[2:3] op_sel:[0,1]
	v_pk_mov_b32 v[24:25], s[0:1], s[0:1] op_sel:[0,1]
	s_cbranch_scc1 .LBB108_2
; %bb.1:
	v_pk_mov_b32 v[2:3], s[2:3], s[2:3] op_sel:[0,1]
	flat_load_dwordx2 v[2:3], v[2:3]
	v_pk_mov_b32 v[4:5], s[0:1], s[0:1] op_sel:[0,1]
	flat_load_dwordx2 v[24:25], v[4:5]
	s_load_dwordx2 s[0:1], s[6:7], 0x18
	s_waitcnt lgkmcnt(0)
	v_mov_b32_e32 v1, s1
	s_waitcnt vmcnt(0)
	v_add_co_u32_e32 v4, vcc, s0, v2
	v_addc_co_u32_e32 v5, vcc, v3, v1, vcc
.LBB108_2:
	s_load_dword s0, s[6:7], 0x0
	s_lshl_b32 s33, s8, 10
	v_and_b32_e32 v34, 0x3ff, v0
	s_waitcnt lgkmcnt(0)
	s_sub_i32 s0, s0, s33
	v_cmp_gt_i32_e32 vcc, s0, v34
	s_and_saveexec_b64 s[2:3], vcc
	s_cbranch_execz .LBB108_111
; %bb.3:
	s_min_i32 s80, s0, 0x400
	s_load_dwordx2 s[0:1], s[4:5], 0x4
	s_load_dwordx4 s[28:31], s[6:7], 0x28
	s_load_dwordx2 s[10:11], s[6:7], 0x38
	s_load_dwordx8 s[12:19], s[6:7], 0x40
	s_add_u32 s34, s6, 64
	s_addc_u32 s35, s7, 0
	s_waitcnt lgkmcnt(0)
	s_lshr_b32 s0, s0, 16
	s_mul_i32 s0, s0, s1
	s_add_i32 s4, s12, -1
	v_mul_lo_u32 v1, s0, v34
	v_bfe_u32 v2, v0, 10, 10
	s_cmp_gt_u32 s4, 1
	v_mad_u32_u24 v1, v2, s1, v1
	s_cselect_b64 s[0:1], -1, 0
	s_cmp_lg_u32 s12, 0
	s_cselect_b64 s[2:3], -1, 0
	s_add_u32 s52, s6, 0x104
	s_addc_u32 s53, s7, 0
	s_min_u32 s5, s4, 15
	s_cmp_gt_u32 s12, 1
	s_cselect_b64 s[54:55], -1, 0
	s_add_i32 s20, s5, 1
	s_mov_b32 s12, s17
	s_load_dword s9, s[6:7], 0x294
	s_load_dwordx4 s[44:47], s[6:7], 0x104
	s_and_b32 s17, s20, 3
	s_cmp_lg_u32 s4, 2
	v_bfe_u32 v0, v0, 20, 10
	s_cselect_b64 s[4:5], -1, 0
	s_and_b32 s64, s20, 28
	v_add_lshl_u32 v35, v1, v0, 3
	s_cmp_lg_u32 s17, 0
	v_cndmask_b32_e64 v0, 0, 1, s[0:1]
	v_cndmask_b32_e64 v1, 0, 1, s[2:3]
	v_cndmask_b32_e64 v2, 0, 1, s[4:5]
	v_add_u32_e32 v36, 0x2000, v35
	s_mov_b32 s19, 0
	s_mov_b64 s[56:57], 0
	s_cselect_b64 s[58:59], -1, 0
	v_cmp_ne_u32_e64 s[0:1], 1, v0
	v_cmp_ne_u32_e64 s[2:3], 1, v1
	;; [unrolled: 1-line block ×3, first 2 shown]
	v_mov_b32_e32 v1, 0
	v_mov_b32_e32 v8, v34
	s_branch .LBB108_5
.LBB108_4:                              ;   in Loop: Header=BB108_5 Depth=1
	v_lshlrev_b64 v[6:7], 1, v[0:1]
	v_mov_b32_e32 v0, s31
	v_add_co_u32_e32 v6, vcc, s30, v6
	v_mov_b32_e32 v3, v1
	v_addc_co_u32_e32 v7, vcc, v0, v7, vcc
	v_lshlrev_b64 v[2:3], 1, v[2:3]
	global_load_ushort v0, v[6:7], off
	v_mov_b32_e32 v6, s11
	v_add_co_u32_e32 v2, vcc, s10, v2
	v_addc_co_u32_e32 v3, vcc, v6, v3, vcc
	global_load_ushort v2, v[2:3], off
	s_lshl_b32 s20, s19, 1
	s_add_i32 s22, s19, 1
	v_add_u32_e32 v8, 0x100, v8
	s_cmp_gt_u32 s19, 2
	v_add_u32_e32 v3, s20, v36
	v_add_u32_e32 v6, s20, v35
	v_cmp_le_i32_e32 vcc, s80, v8
	s_cselect_b64 s[20:21], -1, 0
	s_or_b64 s[20:21], s[20:21], vcc
	s_and_b64 s[20:21], exec, s[20:21]
	s_or_b64 s[56:57], s[20:21], s[56:57]
	s_mov_b32 s19, s22
	s_waitcnt vmcnt(1)
	ds_write_b16 v3, v0
	s_waitcnt vmcnt(0)
	ds_write_b16 v6, v2
	s_andn2_b64 exec, exec, s[56:57]
	s_cbranch_execz .LBB108_19
.LBB108_5:                              ; =>This Loop Header: Depth=1
                                        ;     Child Loop BB108_9 Depth 2
                                        ;     Child Loop BB108_14 Depth 2
	s_and_b64 vcc, exec, s[0:1]
	v_add_u32_e32 v3, s33, v8
	s_cbranch_vccnz .LBB108_11
; %bb.6:                                ;   in Loop: Header=BB108_5 Depth=1
	s_mov_b32 s22, 0
	s_and_b64 vcc, exec, s[2:3]
	v_mov_b32_e32 v2, 0
	v_mov_b32_e32 v0, 0
	s_cbranch_vccnz .LBB108_16
; %bb.7:                                ;   in Loop: Header=BB108_5 Depth=1
	s_and_b64 vcc, exec, s[4:5]
	s_cbranch_vccnz .LBB108_12
; %bb.8:                                ;   in Loop: Header=BB108_5 Depth=1
	v_mov_b32_e32 v0, 0
	s_mov_b32 s65, 0
	s_mov_b64 s[60:61], s[34:35]
	s_mov_b64 s[62:63], s[52:53]
	v_mov_b32_e32 v9, v3
	v_mov_b32_e32 v2, v0
.LBB108_9:                              ;   Parent Loop BB108_5 Depth=1
                                        ; =>  This Inner Loop Header: Depth=2
	s_load_dwordx8 s[36:43], s[60:61], 0x4
	s_load_dwordx4 s[48:51], s[60:61], 0x24
	s_load_dwordx8 s[20:27], s[62:63], 0x0
	s_add_u32 s60, s60, 48
	s_addc_u32 s61, s61, 0
	s_waitcnt lgkmcnt(0)
	v_mul_hi_u32 v6, s37, v9
	v_add_u32_e32 v6, v9, v6
	v_lshrrev_b32_e32 v6, s38, v6
	v_mul_lo_u32 v7, v6, s36
	v_mul_hi_u32 v10, s40, v6
	v_sub_u32_e32 v7, v9, v7
	v_add_u32_e32 v9, v6, v10
	v_lshrrev_b32_e32 v9, s41, v9
	v_mul_lo_u32 v11, v9, s39
	v_mul_hi_u32 v12, s43, v9
	v_sub_u32_e32 v6, v6, v11
	v_add_u32_e32 v11, v9, v12
	v_mul_lo_u32 v10, v7, s21
	v_mul_lo_u32 v7, v7, s20
	;; [unrolled: 1-line block ×4, first 2 shown]
	v_lshrrev_b32_e32 v11, s48, v11
	v_add3_u32 v0, v7, v0, v6
	v_mul_hi_u32 v7, s50, v11
	v_mul_lo_u32 v6, v11, s42
	v_add_u32_e32 v7, v11, v7
	v_sub_u32_e32 v6, v9, v6
	v_lshrrev_b32_e32 v9, s51, v7
	s_add_i32 s65, s65, 4
	v_mul_lo_u32 v7, v9, s49
	s_add_u32 s62, s62, 32
	v_sub_u32_e32 v7, v11, v7
	s_addc_u32 s63, s63, 0
	v_add3_u32 v2, v10, v2, v12
	v_mul_lo_u32 v10, v6, s24
	v_mul_lo_u32 v6, v6, s25
	;; [unrolled: 1-line block ×4, first 2 shown]
	s_cmp_lg_u32 s64, s65
	v_add3_u32 v2, v6, v2, v7
	v_add3_u32 v0, v10, v0, v11
	s_cbranch_scc1 .LBB108_9
; %bb.10:                               ;   in Loop: Header=BB108_5 Depth=1
	v_mov_b32_e32 v6, v0
	v_mov_b32_e32 v7, v2
	s_mov_b32 s22, s64
	s_andn2_b64 vcc, exec, s[58:59]
	s_cbranch_vccz .LBB108_13
	s_branch .LBB108_16
.LBB108_11:                             ;   in Loop: Header=BB108_5 Depth=1
                                        ; implicit-def: $vgpr2
	s_branch .LBB108_17
.LBB108_12:                             ;   in Loop: Header=BB108_5 Depth=1
	s_mov_b32 s23, s22
	v_pk_mov_b32 v[6:7], s[22:23], s[22:23] op_sel:[0,1]
                                        ; implicit-def: $vgpr2
	v_mov_b32_e32 v9, v3
	s_andn2_b64 vcc, exec, s[58:59]
	s_cbranch_vccnz .LBB108_16
.LBB108_13:                             ;   in Loop: Header=BB108_5 Depth=1
	s_lshl_b32 s20, s22, 3
	s_add_u32 s20, s52, s20
	s_addc_u32 s21, s53, 0
	s_mul_i32 s22, s22, 12
	s_add_u32 s22, s34, s22
	s_addc_u32 s23, s35, 0
	s_mov_b32 s24, s17
.LBB108_14:                             ;   Parent Loop BB108_5 Depth=1
                                        ; =>  This Inner Loop Header: Depth=2
	s_load_dwordx2 s[26:27], s[22:23], 0x4
	s_load_dword s25, s[22:23], 0xc
	s_load_dwordx2 s[36:37], s[20:21], 0x0
	s_add_u32 s22, s22, 12
	v_mov_b32_e32 v0, v7
	s_waitcnt lgkmcnt(0)
	v_mul_hi_u32 v2, s27, v9
	v_add_u32_e32 v2, v9, v2
	v_lshrrev_b32_e32 v2, s25, v2
	s_addc_u32 s23, s23, 0
	v_mul_lo_u32 v7, v2, s26
	s_add_u32 s20, s20, 8
	v_sub_u32_e32 v7, v9, v7
	s_addc_u32 s21, s21, 0
	s_add_i32 s24, s24, -1
	v_mad_u64_u32 v[10:11], s[26:27], v7, s37, v[0:1]
	v_mad_u64_u32 v[6:7], s[26:27], v7, s36, v[6:7]
	s_cmp_lg_u32 s24, 0
	v_mov_b32_e32 v9, v2
	v_mov_b32_e32 v7, v10
	s_cbranch_scc1 .LBB108_14
; %bb.15:                               ;   in Loop: Header=BB108_5 Depth=1
	v_mov_b32_e32 v2, v7
	v_mov_b32_e32 v0, v6
.LBB108_16:                             ;   in Loop: Header=BB108_5 Depth=1
	s_cbranch_execnz .LBB108_4
.LBB108_17:                             ;   in Loop: Header=BB108_5 Depth=1
	v_mul_hi_u32 v0, s14, v3
	v_add_u32_e32 v0, v3, v0
	v_lshrrev_b32_e32 v6, s15, v0
	v_mul_lo_u32 v0, v6, s13
	v_sub_u32_e32 v0, v3, v0
	s_waitcnt lgkmcnt(0)
	v_mul_lo_u32 v2, v0, s45
	s_andn2_b64 vcc, exec, s[54:55]
	v_mul_lo_u32 v0, v0, s44
	s_cbranch_vccnz .LBB108_4
; %bb.18:                               ;   in Loop: Header=BB108_5 Depth=1
	v_mul_hi_u32 v3, s12, v6
	v_add_u32_e32 v3, v6, v3
	v_lshrrev_b32_e32 v3, s18, v3
	v_mul_lo_u32 v3, v3, s16
	v_sub_u32_e32 v3, v6, v3
	v_mad_u64_u32 v[6:7], s[20:21], v3, s46, v[0:1]
	v_mad_u64_u32 v[2:3], s[20:21], v3, s47, v[2:3]
	v_mov_b32_e32 v0, v6
	s_branch .LBB108_4
.LBB108_19:
	s_or_b64 exec, exec, s[56:57]
	s_waitcnt lgkmcnt(0)
	s_and_b32 s0, 0xffff, s9
	s_mul_i32 s8, s8, s0
	v_add_u32_e32 v2, s8, v34
	v_alignbit_b32 v0, v5, v4, 2
	s_mov_b32 s82, 0xd2511f53
	s_mov_b32 s83, 0xcd9e8d57
	v_and_b32_e32 v79, 3, v4
	v_lshrrev_b32_e32 v1, 2, v5
	v_mad_u64_u32 v[4:5], s[0:1], v0, s82, 0
	v_mad_u64_u32 v[8:9], s[0:1], v2, s83, 0
	s_mov_b32 s0, 0x9e3779b9
	v_xor_b32_e32 v7, v24, v9
	v_mov_b32_e32 v6, v25
	v_xor_b32_e32 v5, v5, v25
	v_add_co_u32_e32 v37, vcc, s0, v24
	s_mov_b32 s0, 0xbb67ae85
	v_xor_b32_e32 v7, v7, v1
	v_add_co_u32_e32 v38, vcc, s0, v6
	v_mad_u64_u32 v[10:11], s[0:1], v7, s82, 0
	v_mad_u64_u32 v[12:13], s[0:1], v5, s83, 0
	v_xor_b32_e32 v5, v13, v37
	v_xor_b32_e32 v7, v38, v11
	s_mov_b32 s0, 0x3c6ef372
	v_xor_b32_e32 v5, v5, v8
	v_xor_b32_e32 v7, v7, v4
	v_add_co_u32_e32 v39, vcc, s0, v24
	s_mov_b32 s0, 0x76cf5d0a
	v_add_co_u32_e32 v40, vcc, s0, v6
	v_mad_u64_u32 v[4:5], s[0:1], v5, s82, 0
	v_mad_u64_u32 v[8:9], s[0:1], v7, s83, 0
	v_xor_b32_e32 v7, v39, v9
	v_xor_b32_e32 v5, v5, v40
	s_mov_b32 s0, 0xdaa66d2b
	v_xor_b32_e32 v7, v7, v12
	v_xor_b32_e32 v5, v5, v10
	v_add_co_u32_e32 v41, vcc, s0, v24
	s_mov_b32 s0, 0x32370b8f
	;; [unrolled: 10-line block ×7, first 2 shown]
	s_load_dwordx8 s[8:15], s[6:7], 0x184
	v_add_co_u32_e32 v52, vcc, s0, v6
	v_mad_u64_u32 v[4:5], s[0:1], v5, s82, 0
	v_mad_u64_u32 v[6:7], s[0:1], v7, s83, 0
	v_xor_b32_e32 v7, v51, v7
	v_xor_b32_e32 v5, v5, v52
	;; [unrolled: 1-line block ×4, first 2 shown]
	v_mad_u64_u32 v[12:13], s[0:1], v7, s82, 0
	v_mad_u64_u32 v[14:15], s[0:1], v5, s83, 0
	s_add_u32 s24, s6, 0x184
	s_addc_u32 s25, s7, 0
	s_waitcnt lgkmcnt(0)
	s_add_i32 s0, s8, -1
	s_cmp_gt_u32 s0, 1
	s_cselect_b64 s[26:27], -1, 0
	s_cmp_lg_u32 s8, 0
	s_cselect_b64 s[30:31], -1, 0
	s_add_u32 s34, s6, 0x248
	s_addc_u32 s35, s7, 0
	s_min_u32 s1, s0, 15
	s_cmp_gt_u32 s8, 1
	s_cselect_b64 s[38:39], -1, 0
	s_add_i32 s1, s1, 1
	s_load_dwordx2 s[36:37], s[6:7], 0x248
	s_mov_b32 s8, s13
	s_and_b32 s13, s1, 3
	s_cmp_lg_u32 s0, 2
	v_mov_b32_e32 v3, 0
	v_add_u32_e32 v53, 0x8ff34781, v24
	v_add_u32_e32 v54, 0x96a522ad, v25
	v_xor_b32_e32 v5, v6, v15
	v_xor_b32_e32 v4, v13, v4
	s_cselect_b64 s[40:41], -1, 0
	s_and_b32 s15, s1, 28
	v_xor_b32_e32 v8, v53, v5
	v_xor_b32_e32 v10, v54, v4
	s_cmp_lg_u32 s13, 0
	s_mov_b32 s46, 0x66666666
	s_mov_b32 s48, 0xa3d70a3d
	;; [unrolled: 1-line block ×11, first 2 shown]
	v_pk_mov_b32 v[6:7], v[2:3], v[2:3] op_sel:[0,1]
	s_mov_b32 s81, 0
	v_mov_b32_e32 v9, v14
	v_mov_b32_e32 v11, v12
	v_add_u32_e32 v55, 0x9e3779b9, v24
	v_add_u32_e32 v56, 0xbb67ae85, v25
	v_add_u32_e32 v57, 0x3c6ef372, v24
	v_add_u32_e32 v58, 0x76cf5d0a, v25
	v_add_u32_e32 v59, 0xdaa66d2b, v24
	v_add_u32_e32 v60, 0x32370b8f, v25
	v_add_u32_e32 v61, 0x78dde6e4, v24
	v_add_u32_e32 v62, 0xed9eba14, v25
	v_add_u32_e32 v63, 0x1715609d, v24
	v_add_u32_e32 v64, 0xa9066899, v25
	v_add_u32_e32 v65, 0xb54cda56, v24
	v_add_u32_e32 v66, 0x646e171e, v25
	v_add_u32_e32 v67, 0x5384540f, v24
	v_add_u32_e32 v68, 0x1fd5c5a3, v25
	v_add_u32_e32 v69, 0xf1bbcdc8, v24
	v_add_u32_e32 v70, 0xdb3d7428, v25
	s_mov_b64 s[42:43], 0
	s_cselect_b64 s[44:45], -1, 0
	s_movk_i32 s84, 0x7fff
	s_mov_b32 s85, 0x41200000
	s_mov_b32 s86, 0xf800000
	v_mov_b32_e32 v71, 0x260
	s_mov_b32 s47, 0x40146666
	s_mov_b32 s49, 0x40043d70
	;; [unrolled: 1-line block ×17, first 2 shown]
	v_mov_b32_e32 v72, 0x3f2aaada
	s_mov_b32 s92, 0x3f317218
	v_mov_b32_e32 v73, 0x7fc00000
	v_mov_b32_e32 v26, 0x66666666
	;; [unrolled: 1-line block ×9, first 2 shown]
	v_pk_mov_b32 v[4:5], v[0:1], v[0:1] op_sel:[0,1]
	s_branch .LBB108_27
.LBB108_20:                             ;   in Loop: Header=BB108_27 Depth=1
	s_or_b64 exec, exec, s[4:5]
	v_lshlrev_b32_e32 v0, 16, v16
	v_sub_f32_e32 v0, v78, v0
	v_bfe_u32 v1, v0, 16, 1
	v_add3_u32 v1, v0, v1, s84
	v_lshrrev_b32_e32 v1, 16, v1
	v_cmp_o_f32_e32 vcc, v0, v0
	v_cndmask_b32_e32 v88, v76, v1, vcc
.LBB108_21:                             ;   in Loop: Header=BB108_27 Depth=1
	s_or_b64 exec, exec, s[2:3]
	v_mov_b32_e32 v79, v89
.LBB108_22:                             ;   in Loop: Header=BB108_27 Depth=1
	s_or_b64 exec, exec, s[22:23]
	v_mov_b32_e32 v90, v79
.LBB108_23:                             ;   in Loop: Header=BB108_27 Depth=1
	s_or_b64 exec, exec, s[20:21]
	v_mov_b32_e32 v79, v90
.LBB108_24:                             ;   in Loop: Header=BB108_27 Depth=1
	s_or_b64 exec, exec, s[18:19]
	v_mov_b32_e32 v1, v88
.LBB108_25:                             ;   in Loop: Header=BB108_27 Depth=1
	s_or_b64 exec, exec, s[16:17]
.LBB108_26:                             ;   in Loop: Header=BB108_27 Depth=1
	s_or_b64 exec, exec, s[6:7]
	v_lshlrev_b64 v[12:13], 1, v[2:3]
	v_mov_b32_e32 v0, s29
	v_add_co_u32_e32 v12, vcc, s28, v12
	s_add_i32 s2, s81, 1
	v_addc_co_u32_e32 v13, vcc, v0, v13, vcc
	v_add_u32_e32 v34, 0x100, v34
	s_cmp_gt_u32 s81, 2
	s_cselect_b64 s[0:1], -1, 0
	v_cmp_le_i32_e32 vcc, s80, v34
	s_or_b64 s[0:1], s[0:1], vcc
	s_and_b64 s[0:1], exec, s[0:1]
	s_or_b64 s[42:43], s[0:1], s[42:43]
	s_mov_b32 s81, s2
	global_store_short v[12:13], v1, off
	s_andn2_b64 exec, exec, s[42:43]
	s_cbranch_execz .LBB108_111
.LBB108_27:                             ; =>This Loop Header: Depth=1
                                        ;     Child Loop BB108_31 Depth 2
                                        ;     Child Loop BB108_35 Depth 2
                                        ;     Child Loop BB108_49 Depth 2
                                        ;     Child Loop BB108_71 Depth 2
                                        ;     Child Loop BB108_83 Depth 2
                                        ;     Child Loop BB108_107 Depth 2
	s_andn2_b64 vcc, exec, s[26:27]
	v_add_u32_e32 v12, s33, v34
	s_cbranch_vccnz .LBB108_37
; %bb.28:                               ;   in Loop: Header=BB108_27 Depth=1
	s_andn2_b64 vcc, exec, s[30:31]
	s_cbranch_vccnz .LBB108_38
; %bb.29:                               ;   in Loop: Header=BB108_27 Depth=1
	s_mov_b32 s2, 0
	s_andn2_b64 vcc, exec, s[40:41]
	v_mov_b32_e32 v0, 0
	v_mov_b32_e32 v2, v12
	s_cbranch_vccnz .LBB108_33
; %bb.30:                               ;   in Loop: Header=BB108_27 Depth=1
	s_mov_b32 s60, 0
	v_mov_b32_e32 v0, 0
	s_mov_b64 s[70:71], s[24:25]
	s_mov_b64 s[72:73], s[34:35]
	v_mov_b32_e32 v2, v12
.LBB108_31:                             ;   Parent Loop BB108_27 Depth=1
                                        ; =>  This Inner Loop Header: Depth=2
	s_load_dwordx8 s[0:7], s[70:71], 0x4
	s_load_dwordx4 s[16:19], s[70:71], 0x24
	s_load_dwordx4 s[20:23], s[72:73], 0x0
	s_add_u32 s70, s70, 48
	s_addc_u32 s71, s71, 0
	s_waitcnt lgkmcnt(0)
	v_mul_hi_u32 v1, s1, v2
	v_add_u32_e32 v1, v2, v1
	v_lshrrev_b32_e32 v1, s2, v1
	v_mul_lo_u32 v13, v1, s0
	v_mul_hi_u32 v14, s4, v1
	v_sub_u32_e32 v2, v2, v13
	v_add_u32_e32 v13, v1, v14
	v_lshrrev_b32_e32 v13, s5, v13
	v_mul_lo_u32 v14, v13, s3
	v_mul_hi_u32 v15, s7, v13
	v_sub_u32_e32 v1, v1, v14
	v_add_u32_e32 v14, v13, v15
	v_mul_lo_u32 v2, v2, s20
	v_mul_lo_u32 v1, v1, s21
	v_lshrrev_b32_e32 v14, s16, v14
	v_add3_u32 v0, v2, v0, v1
	v_mul_hi_u32 v2, s18, v14
	v_add_u32_e32 v2, v14, v2
	v_mul_lo_u32 v1, v14, s6
	v_lshrrev_b32_e32 v2, s19, v2
	s_add_i32 s60, s60, 4
	v_sub_u32_e32 v1, v13, v1
	v_mul_lo_u32 v13, v2, s17
	s_add_u32 s72, s72, 16
	v_sub_u32_e32 v13, v14, v13
	s_addc_u32 s73, s73, 0
	v_mul_lo_u32 v1, v1, s22
	v_mul_lo_u32 v13, v13, s23
	s_cmp_lg_u32 s15, s60
	v_add3_u32 v0, v1, v0, v13
	s_cbranch_scc1 .LBB108_31
; %bb.32:                               ;   in Loop: Header=BB108_27 Depth=1
	s_mov_b32 s2, s15
.LBB108_33:                             ;   in Loop: Header=BB108_27 Depth=1
	s_andn2_b64 vcc, exec, s[44:45]
	s_cbranch_vccnz .LBB108_36
; %bb.34:                               ;   in Loop: Header=BB108_27 Depth=1
	s_lshl_b32 s0, s2, 2
	s_add_u32 s0, s34, s0
	s_addc_u32 s1, s35, 0
	s_mul_i32 s2, s2, 12
	s_add_u32 s2, s24, s2
	s_addc_u32 s3, s25, 0
	s_mov_b32 s4, s13
.LBB108_35:                             ;   Parent Loop BB108_27 Depth=1
                                        ; =>  This Inner Loop Header: Depth=2
	s_load_dwordx2 s[6:7], s[2:3], 0x4
	s_load_dword s5, s[2:3], 0xc
	s_load_dword s16, s[0:1], 0x0
	s_add_u32 s2, s2, 12
	s_addc_u32 s3, s3, 0
	s_waitcnt lgkmcnt(0)
	v_mul_hi_u32 v1, s7, v2
	v_add_u32_e32 v1, v2, v1
	v_lshrrev_b32_e32 v1, s5, v1
	s_add_u32 s0, s0, 4
	v_mul_lo_u32 v13, v1, s6
	s_addc_u32 s1, s1, 0
	s_add_i32 s4, s4, -1
	v_sub_u32_e32 v13, v2, v13
	s_cmp_lg_u32 s4, 0
	v_mov_b32_e32 v2, v1
	v_mad_u64_u32 v[0:1], s[6:7], v13, s16, v[0:1]
	s_cbranch_scc1 .LBB108_35
.LBB108_36:                             ;   in Loop: Header=BB108_27 Depth=1
	v_mov_b32_e32 v2, v0
	s_cbranch_execz .LBB108_39
	s_branch .LBB108_41
.LBB108_37:                             ;   in Loop: Header=BB108_27 Depth=1
	s_branch .LBB108_39
.LBB108_38:                             ;   in Loop: Header=BB108_27 Depth=1
	v_mov_b32_e32 v2, 0
	s_cbranch_execnz .LBB108_41
.LBB108_39:                             ;   in Loop: Header=BB108_27 Depth=1
	v_mul_hi_u32 v0, s10, v12
	v_add_u32_e32 v0, v12, v0
	v_lshrrev_b32_e32 v0, s11, v0
	v_mul_lo_u32 v1, v0, s9
	v_sub_u32_e32 v1, v12, v1
	s_andn2_b64 vcc, exec, s[38:39]
	s_waitcnt lgkmcnt(0)
	v_mul_lo_u32 v2, v1, s36
	s_cbranch_vccnz .LBB108_41
; %bb.40:                               ;   in Loop: Header=BB108_27 Depth=1
	v_mul_hi_u32 v1, s8, v0
	v_add_u32_e32 v1, v0, v1
	v_lshrrev_b32_e32 v1, s14, v1
	v_mul_lo_u32 v1, v1, s12
	v_sub_u32_e32 v0, v0, v1
	v_mad_u64_u32 v[0:1], s[0:1], v0, s37, v[2:3]
	v_mov_b32_e32 v2, v0
.LBB108_41:                             ;   in Loop: Header=BB108_27 Depth=1
	v_lshl_add_u32 v0, s81, 1, v36
	ds_read_u16 v88, v0
	v_mov_b32_e32 v1, 0
	s_waitcnt lgkmcnt(0)
	v_lshlrev_b32_e32 v78, 16, v88
	v_cmp_nge_f32_e32 vcc, 0, v78
	s_and_saveexec_b64 s[6:7], vcc
	s_cbranch_execz .LBB108_26
; %bb.42:                               ;   in Loop: Header=BB108_27 Depth=1
	v_lshl_add_u32 v0, s81, 1, v35
	ds_read_u16 v0, v0
	v_mov_b32_e32 v1, 0
	s_waitcnt lgkmcnt(0)
	v_lshlrev_b32_e32 v0, 16, v0
	v_cmp_nge_f32_e32 vcc, 0, v0
	s_and_saveexec_b64 s[16:17], vcc
	s_cbranch_execz .LBB108_25
; %bb.43:                               ;   in Loop: Header=BB108_27 Depth=1
	v_cmp_nle_f32_e32 vcc, 1.0, v0
	s_and_saveexec_b64 s[18:19], vcc
	s_cbranch_execz .LBB108_24
; %bb.44:                               ;   in Loop: Header=BB108_27 Depth=1
	v_cmp_ge_f32_e32 vcc, 0.5, v0
                                        ; implicit-def: $vgpr88
                                        ; implicit-def: $vgpr90
	s_and_saveexec_b64 s[0:1], vcc
	s_xor_b64 s[20:21], exec, s[0:1]
	s_cbranch_execz .LBB108_77
; %bb.45:                               ;   in Loop: Header=BB108_27 Depth=1
	v_mul_f32_e32 v1, v78, v0
	v_bfe_u32 v12, v1, 16, 1
	v_cmp_o_f32_e32 vcc, v1, v1
	v_add3_u32 v1, v1, v12, s84
	v_and_b32_e32 v1, 0xffff0000, v1
	v_cmp_le_f32_e64 s[0:1], s85, v1
	s_and_b64 s[0:1], vcc, s[0:1]
                                        ; implicit-def: $vgpr88
                                        ; implicit-def: $vgpr90
	s_and_saveexec_b64 s[2:3], s[0:1]
	s_xor_b64 s[22:23], exec, s[2:3]
	s_cbranch_execz .LBB108_68
; %bb.46:                               ;   in Loop: Header=BB108_27 Depth=1
	v_sub_f32_e32 v12, 1.0, v0
	v_bfe_u32 v13, v12, 16, 1
	v_add3_u32 v12, v12, v13, s84
	v_and_b32_e32 v30, 0xffff0000, v12
	v_mul_f32_e32 v12, v1, v30
	v_bfe_u32 v13, v12, 16, 1
	v_add3_u32 v13, v12, v13, s84
	v_and_b32_e32 v13, 0xffff0000, v13
	v_cmp_o_f32_e32 vcc, v12, v12
	v_cndmask_b32_e32 v12, v73, v13, vcc
	v_mul_f32_e32 v13, 0x4f800000, v12
	v_cmp_gt_f32_e32 vcc, s86, v12
	v_cndmask_b32_e32 v12, v12, v13, vcc
	v_sqrt_f32_e32 v13, v12
	v_pk_mov_b32 v[16:17], v[28:29], v[28:29] op_sel:[0,1]
	v_cvt_f64_f32_e32 v[18:19], v0
	v_add_f32_e32 v82, 0.5, v1
	v_add_u32_e32 v14, -1, v13
	v_fma_f32 v15, -v14, v13, v12
	v_cmp_ge_f32_e64 s[0:1], 0, v15
	v_add_u32_e32 v15, 1, v13
	v_cndmask_b32_e64 v14, v13, v14, s[0:1]
	v_fma_f32 v13, -v15, v13, v12
	v_cmp_lt_f32_e64 s[0:1], 0, v13
	v_cndmask_b32_e64 v13, v14, v15, s[0:1]
	v_mul_f32_e32 v14, 0x37800000, v13
	v_cndmask_b32_e32 v13, v13, v14, vcc
	v_cmp_class_f32_e32 vcc, v12, v71
	v_cndmask_b32_e32 v12, v13, v12, vcc
	v_cvt_f64_f32_e32 v[12:13], v12
	v_pk_mov_b32 v[14:15], v[26:27], v[26:27] op_sel:[0,1]
	v_fmac_f64_e32 v[14:15], s[48:49], v[12:13]
	v_cvt_f32_f64_e32 v80, v[14:15]
	v_cvt_f64_f32_e32 v[14:15], v80
	v_div_scale_f64 v[20:21], s[0:1], v[14:15], v[14:15], s[54:55]
	v_rcp_f64_e32 v[22:23], v[20:21]
	v_fmac_f64_e32 v[16:17], s[50:51], v[14:15]
	v_fmac_f64_e32 v[16:17], s[52:53], v[18:19]
	v_cvt_f32_f64_e32 v81, v[16:17]
	v_fma_f64 v[16:17], -v[20:21], v[22:23], 1.0
	v_fmac_f64_e32 v[22:23], v[22:23], v[16:17]
	v_fma_f64 v[16:17], -v[20:21], v[22:23], 1.0
	v_fmac_f64_e32 v[22:23], v[22:23], v[16:17]
	v_div_scale_f64 v[16:17], vcc, s[54:55], v[14:15], s[54:55]
	v_mul_f64 v[18:19], v[16:17], v[22:23]
	v_fma_f64 v[16:17], -v[20:21], v[18:19], v[16:17]
	v_div_scale_f32 v1, s[0:1], v30, v30, v0
	s_nop 0
	v_div_fmas_f64 v[16:17], v[16:17], v[22:23], v[18:19]
	v_rcp_f32_e32 v18, v1
	v_div_fixup_f64 v[16:17], v[16:17], v[14:15], s[54:55]
	v_add_f64 v[16:17], v[16:17], s[56:57]
	v_cvt_f32_f64_e32 v83, v[16:17]
	v_fma_f32 v16, -v1, v18, 1.0
	v_fmac_f32_e32 v18, v16, v18
	v_div_scale_f32 v16, vcc, v0, v30, v0
	v_mul_f32_e32 v17, v16, v18
	v_fma_f32 v19, -v1, v17, v16
	v_fmac_f32_e32 v17, v19, v18
	v_fma_f32 v1, -v1, v17, v16
	v_div_fmas_f32 v1, v1, v18, v17
	v_div_fixup_f32 v1, v1, v30, v0
	v_bfe_u32 v16, v1, 16, 1
	v_add3_u32 v20, v1, v16, s84
	v_div_scale_f64 v[16:17], s[0:1], v[14:15], v[14:15], s[46:47]
	v_rcp_f64_e32 v[18:19], v[16:17]
	v_and_b32_e32 v20, 0xffff0000, v20
	v_cmp_o_f32_e32 vcc, v1, v1
	v_cndmask_b32_e32 v84, v73, v20, vcc
	v_fma_f64 v[20:21], -v[16:17], v[18:19], 1.0
	v_fmac_f64_e32 v[18:19], v[18:19], v[20:21]
	v_fma_f64 v[20:21], -v[16:17], v[18:19], 1.0
	v_fmac_f64_e32 v[18:19], v[18:19], v[20:21]
	v_div_scale_f64 v[20:21], vcc, s[46:47], v[14:15], s[46:47]
	v_mul_f64 v[22:23], v[20:21], v[18:19]
	v_fma_f64 v[16:17], -v[16:17], v[22:23], v[20:21]
	v_add_f32_e32 v1, 1.0, v78
	s_nop 0
	v_div_fmas_f64 v[16:17], v[16:17], v[18:19], v[22:23]
	v_div_fixup_f64 v[14:15], v[16:17], v[14:15], s[46:47]
	v_bfe_u32 v16, v1, 16, 1
	v_add3_u32 v16, v1, v16, s84
	v_and_b32_e32 v16, 0xffff0000, v16
	v_cmp_o_f32_e32 vcc, v1, v1
	v_cndmask_b32_e32 v85, v73, v16, vcc
	v_mul_f32_e32 v0, v85, v0
	v_bfe_u32 v1, v0, 16, 1
	v_add3_u32 v1, v0, v1, s84
	v_and_b32_e32 v1, 0xffff0000, v1
	v_cmp_o_f32_e32 vcc, v0, v0
	v_cndmask_b32_e32 v0, v73, v1, vcc
	v_floor_f32_e32 v30, v0
	v_sub_f32_e32 v32, v78, v30
	v_add_f32_e32 v86, 1.0, v32
	v_add_f32_e32 v31, 1.0, v30
	v_mul_f32_e32 v16, v86, v84
	v_div_scale_f32 v17, s[0:1], v16, v16, v31
	v_rcp_f32_e32 v18, v17
	v_add_f64 v[0:1], v[14:15], s[58:59]
	v_mul_f64 v[0:1], v[0:1], v[12:13]
	v_cvt_f32_f64_e32 v87, v[0:1]
	v_fma_f32 v0, -v17, v18, 1.0
	v_fmac_f32_e32 v18, v0, v18
	v_div_scale_f32 v0, vcc, v31, v16, v31
	v_mul_f32_e32 v1, v0, v18
	v_fma_f32 v12, -v17, v1, v0
	v_fmac_f32_e32 v1, v12, v18
	v_fma_f32 v0, -v17, v1, v0
	v_div_fmas_f32 v0, v0, v18, v1
	v_div_fixup_f32 v0, v0, v16, v31
	v_cmp_gt_f32_e64 s[0:1], s87, v0
	v_cndmask_b32_e64 v1, 1.0, v74, s[0:1]
	v_mul_f32_e32 v0, v0, v1
	v_log_f32_e32 v22, v0
	v_mul_f32_e32 v12, v31, v31
	v_cvt_f64_f32_e32 v[12:13], v12
	s_mov_b32 s60, s62
	v_div_scale_f64 v[14:15], s[2:3], v[12:13], v[12:13], s[60:61]
	v_rcp_f64_e32 v[16:17], v[14:15]
	v_mul_f32_e32 v18, 0x3f317217, v22
	v_fma_f32 v19, v22, s88, -v18
	v_fmac_f32_e32 v19, 0x3377d1cf, v22
	v_add_f32_e32 v23, v18, v19
	v_fma_f64 v[18:19], -v[14:15], v[16:17], 1.0
	v_fmac_f64_e32 v[16:17], v[16:17], v[18:19]
	v_fma_f64 v[18:19], -v[14:15], v[16:17], 1.0
	v_fmac_f64_e32 v[16:17], v[16:17], v[18:19]
	v_div_scale_f64 v[18:19], vcc, s[60:61], v[12:13], s[60:61]
	v_mul_f64 v[20:21], v[18:19], v[16:17]
	v_fma_f64 v[14:15], -v[14:15], v[20:21], v[18:19]
	v_cvt_f64_f32_e32 v[0:1], v30
	s_nop 0
	v_div_fmas_f64 v[14:15], v[14:15], v[16:17], v[20:21]
	v_div_fixup_f64 v[14:15], v[14:15], v[12:13], s[60:61]
	v_add_f64 v[14:15], -v[14:15], s[64:65]
	v_div_scale_f64 v[16:17], s[2:3], v[12:13], v[12:13], v[14:15]
	v_rcp_f64_e32 v[18:19], v[16:17]
	v_cmp_lt_f32_e64 vcc, |v22|, s89
	v_cndmask_b32_e32 v20, v22, v23, vcc
	v_cndmask_b32_e64 v21, 0, v75, s[0:1]
	v_sub_f32_e32 v33, v20, v21
	v_fma_f64 v[20:21], -v[16:17], v[18:19], 1.0
	v_fmac_f64_e32 v[18:19], v[18:19], v[20:21]
	v_fma_f64 v[20:21], -v[16:17], v[18:19], 1.0
	v_fmac_f64_e32 v[18:19], v[18:19], v[20:21]
	v_div_scale_f64 v[20:21], vcc, v[14:15], v[12:13], v[14:15]
	v_mul_f64 v[22:23], v[20:21], v[18:19]
	v_fma_f64 v[16:17], -v[16:17], v[22:23], v[20:21]
	v_add_f64 v[0:1], v[0:1], 0.5
	s_nop 0
	v_div_fmas_f64 v[16:17], v[16:17], v[18:19], v[22:23]
	v_div_fixup_f64 v[12:13], v[16:17], v[12:13], v[14:15]
	v_add_f64 v[12:13], -v[12:13], s[66:67]
	v_cvt_f64_f32_e32 v[14:15], v31
	v_div_scale_f64 v[16:17], s[0:1], v[14:15], v[14:15], v[12:13]
	v_rcp_f64_e32 v[18:19], v[16:17]
	v_cvt_f64_f32_e32 v[20:21], v33
	v_mul_f64 v[0:1], v[0:1], v[20:21]
	v_cmp_gt_f32_e64 s[0:1], s85, v30
	v_fma_f64 v[20:21], -v[16:17], v[18:19], 1.0
	v_fmac_f64_e32 v[18:19], v[18:19], v[20:21]
	v_fma_f64 v[20:21], -v[16:17], v[18:19], 1.0
	v_fmac_f64_e32 v[18:19], v[18:19], v[20:21]
	v_div_scale_f64 v[20:21], vcc, v[12:13], v[14:15], v[12:13]
	v_mul_f64 v[22:23], v[20:21], v[18:19]
	v_fma_f64 v[16:17], -v[16:17], v[22:23], v[20:21]
	s_getpc_b64 s[4:5]
	s_add_u32 s4, s4, _ZZN12_GLOBAL__N_120stirling_approx_tailIfEET_S1_E11kTailValues.const@rel32@lo+4
	s_addc_u32 s5, s5, _ZZN12_GLOBAL__N_120stirling_approx_tailIfEET_S1_E11kTailValues.const@rel32@hi+12
	v_div_fmas_f64 v[16:17], v[16:17], v[18:19], v[22:23]
	v_div_fixup_f64 v[12:13], v[16:17], v[14:15], v[12:13]
	v_cvt_f32_f64_e32 v91, v[12:13]
	v_mul_f32_e32 v12, 0x2f800000, v30
	v_floor_f32_e32 v19, v12
	v_mul_f32_e32 v12, v86, v86
	v_cvt_f64_f32_e32 v[12:13], v12
	v_div_scale_f64 v[14:15], s[2:3], v[12:13], v[12:13], s[60:61]
	v_rcp_f64_e32 v[16:17], v[14:15]
	v_fmac_f32_e32 v30, 0xcf800000, v19
	v_cvt_u32_f32_e32 v18, v30
	v_cvt_u32_f32_e32 v19, v19
	v_fma_f64 v[20:21], -v[14:15], v[16:17], 1.0
	v_fmac_f64_e32 v[16:17], v[16:17], v[20:21]
	v_fma_f64 v[20:21], -v[14:15], v[16:17], 1.0
	v_fmac_f64_e32 v[16:17], v[16:17], v[20:21]
	v_div_scale_f64 v[20:21], vcc, s[60:61], v[12:13], s[60:61]
	v_mul_f64 v[22:23], v[20:21], v[16:17]
	v_fma_f64 v[14:15], -v[14:15], v[22:23], v[20:21]
	v_lshlrev_b64 v[18:19], 2, v[18:19]
	s_nop 0
	v_div_fmas_f64 v[14:15], v[14:15], v[16:17], v[22:23]
	v_div_fixup_f64 v[14:15], v[14:15], v[12:13], s[60:61]
	v_add_f64 v[14:15], -v[14:15], s[64:65]
	v_div_scale_f64 v[16:17], s[2:3], v[12:13], v[12:13], v[14:15]
	v_rcp_f64_e32 v[20:21], v[16:17]
	v_mov_b32_e32 v33, s5
	v_add_f32_e32 v89, v81, v81
	s_mov_b64 s[70:71], 0
	v_fma_f64 v[22:23], -v[16:17], v[20:21], 1.0
	v_fmac_f64_e32 v[20:21], v[20:21], v[22:23]
	v_fma_f64 v[22:23], -v[16:17], v[20:21], 1.0
	v_fmac_f64_e32 v[20:21], v[20:21], v[22:23]
	v_div_scale_f64 v[22:23], vcc, v[14:15], v[12:13], v[14:15]
	v_mul_f64 v[30:31], v[22:23], v[20:21]
	v_fma_f64 v[16:17], -v[16:17], v[30:31], v[22:23]
	s_mov_b64 s[72:73], 0
	s_nop 0
	v_div_fmas_f64 v[16:17], v[16:17], v[20:21], v[30:31]
	v_div_fixup_f64 v[12:13], v[16:17], v[12:13], v[14:15]
	v_add_f64 v[12:13], -v[12:13], s[66:67]
	v_cvt_f64_f32_e32 v[14:15], v86
	v_div_scale_f64 v[16:17], s[2:3], v[14:15], v[14:15], v[12:13]
	v_rcp_f64_e32 v[20:21], v[16:17]
	v_add_co_u32_e32 v30, vcc, s4, v18
	v_addc_co_u32_e32 v31, vcc, v19, v33, vcc
	v_fma_f64 v[18:19], -v[16:17], v[20:21], 1.0
	v_fmac_f64_e32 v[20:21], v[20:21], v[18:19]
	v_fma_f64 v[18:19], -v[16:17], v[20:21], 1.0
	v_fmac_f64_e32 v[20:21], v[20:21], v[18:19]
	v_div_scale_f64 v[18:19], vcc, v[12:13], v[14:15], v[12:13]
	v_mul_f64 v[22:23], v[18:19], v[20:21]
	v_fma_f64 v[16:17], -v[16:17], v[22:23], v[18:19]
	v_trunc_f32_e32 v18, v32
	v_mul_f32_e32 v19, 0x2f800000, v18
	v_floor_f32_e32 v19, v19
	v_fmac_f32_e32 v18, 0xcf800000, v19
	v_cvt_u32_f32_e32 v18, v18
	v_cvt_u32_f32_e32 v19, v19
	v_div_fmas_f64 v[16:17], v[16:17], v[20:21], v[22:23]
	v_div_fixup_f64 v[12:13], v[16:17], v[14:15], v[12:13]
	v_cvt_f32_f64_e32 v92, v[12:13]
	v_lshlrev_b64 v[12:13], 2, v[18:19]
	v_cmp_gt_f32_e64 s[2:3], s85, v32
	v_add_co_u32_e32 v32, vcc, s4, v12
	v_pk_mov_b32 v[18:19], v[10:11], v[10:11] op_sel:[0,1]
	v_addc_co_u32_e32 v33, vcc, v13, v33, vcc
	v_pk_mov_b32 v[16:17], v[8:9], v[8:9] op_sel:[0,1]
	s_branch .LBB108_49
.LBB108_47:                             ;   in Loop: Header=BB108_49 Depth=2
	s_or_b64 exec, exec, s[4:5]
	v_bfe_u32 v23, v22, 16, 1
	v_add3_u32 v23, v22, v23, s84
	v_and_b32_e32 v23, 0xffff0000, v23
	v_cmp_o_f32_e32 vcc, v22, v22
	v_cndmask_b32_e32 v22, v73, v23, vcc
	v_div_scale_f32 v23, s[4:5], v22, v22, v86
	v_rcp_f32_e32 v79, v23
	v_fma_f32 v95, -v23, v79, 1.0
	v_fmac_f32_e32 v79, v95, v79
	v_div_scale_f32 v95, vcc, v86, v22, v86
	v_mul_f32_e32 v96, v95, v79
	v_fma_f32 v97, -v23, v96, v95
	v_fmac_f32_e32 v96, v97, v79
	v_fma_f32 v23, -v23, v96, v95
	v_div_fmas_f32 v23, v23, v79, v96
	v_div_fixup_f32 v23, v23, v22, v86
	v_cmp_gt_f32_e32 vcc, s87, v23
	v_cndmask_b32_e32 v79, 1.0, v74, vcc
	v_mul_f32_e32 v23, v23, v79
	v_log_f32_e32 v23, v23
	v_mul_f32_e32 v79, 0x3f317217, v23
	v_fma_f32 v95, v23, s88, -v79
	v_fmac_f32_e32 v95, 0x3377d1cf, v23
	v_add_f32_e32 v79, v79, v95
	v_mul_f32_e32 v95, v84, v22
	v_bfe_u32 v22, v20, 16, 1
	v_cmp_lt_f32_e64 s[4:5], |v23|, s89
	v_add3_u32 v22, v20, v22, s84
	v_cndmask_b32_e64 v23, v23, v79, s[4:5]
	v_cndmask_b32_e32 v79, 0, v75, vcc
	v_and_b32_e32 v22, 0xffff0000, v22
	v_cmp_o_f32_e32 vcc, v20, v20
	v_cndmask_b32_e32 v20, v73, v22, vcc
	v_div_scale_f32 v96, s[4:5], v20, v20, v95
	v_rcp_f32_e32 v97, v96
	v_sub_f32_e32 v22, v23, v79
	v_mul_f32_e32 v22, v85, v22
	v_cvt_f64_f32_e32 v[22:23], v22
	v_fma_f32 v79, -v96, v97, 1.0
	v_fmac_f32_e32 v97, v79, v97
	v_div_scale_f32 v79, vcc, v95, v20, v95
	v_mul_f32_e32 v98, v79, v97
	v_fma_f32 v99, -v96, v98, v79
	v_fmac_f32_e32 v98, v99, v97
	v_fma_f32 v79, -v96, v98, v79
	v_div_fmas_f32 v79, v79, v97, v98
	v_div_fixup_f32 v20, v79, v20, v95
	v_cmp_gt_f32_e32 vcc, s87, v20
	v_cndmask_b32_e32 v79, 1.0, v74, vcc
	v_mul_f32_e32 v20, v20, v79
	v_log_f32_e32 v20, v20
	v_cvt_f64_f32_e32 v[94:95], v94
	v_add_f64 v[22:23], v[0:1], v[22:23]
	v_add_f64 v[94:95], v[94:95], 0.5
	v_mul_f32_e32 v79, 0x3f317217, v20
	v_fma_f32 v96, v20, s88, -v79
	v_fmac_f32_e32 v96, 0x3377d1cf, v20
	v_add_f32_e32 v79, v79, v96
	v_cmp_lt_f32_e64 s[4:5], |v20|, s89
	v_cndmask_b32_e64 v20, v20, v79, s[4:5]
	v_cndmask_b32_e32 v79, 0, v75, vcc
	v_sub_f32_e32 v20, v20, v79
	v_mul_f32_e32 v79, v93, v93
	v_div_scale_f32 v93, s[4:5], v79, v79, v81
	v_rcp_f32_e32 v98, v93
	v_cvt_f64_f32_e32 v[96:97], v20
	v_mul_f32_e32 v20, v16, v87
	v_fmac_f64_e32 v[22:23], v[94:95], v[96:97]
	v_fma_f32 v16, -v93, v98, 1.0
	v_fmac_f32_e32 v98, v16, v98
	v_div_scale_f32 v16, vcc, v81, v79, v81
	v_mul_f32_e32 v94, v16, v98
	v_fma_f32 v95, -v93, v94, v16
	v_fmac_f32_e32 v94, v95, v98
	v_fma_f32 v16, -v93, v94, v16
	v_div_fmas_f32 v16, v16, v98, v94
	v_div_fixup_f32 v16, v16, v79, v81
	v_add_f32_e32 v79, v16, v80
	v_div_scale_f32 v93, s[4:5], v79, v79, v20
	v_rcp_f32_e32 v94, v93
	s_waitcnt vmcnt(0)
	v_cvt_f64_f32_e32 v[16:17], v17
	v_add_f64 v[16:17], v[22:23], v[16:17]
	v_cvt_f64_f32_e32 v[22:23], v18
	v_fma_f32 v18, -v93, v94, 1.0
	v_fmac_f32_e32 v94, v18, v94
	v_div_scale_f32 v18, vcc, v20, v79, v20
	v_mul_f32_e32 v95, v18, v94
	v_fma_f32 v96, -v93, v95, v18
	v_fmac_f32_e32 v95, v96, v94
	v_fma_f32 v18, -v93, v95, v18
	v_div_fmas_f32 v18, v18, v94, v95
	v_div_fixup_f32 v18, v18, v79, v20
	v_cmp_gt_f32_e32 vcc, s87, v18
	v_cndmask_b32_e32 v20, 1.0, v74, vcc
	v_mul_f32_e32 v18, v18, v20
	v_log_f32_e32 v20, v18
	v_add_f64 v[16:17], v[16:17], v[22:23]
	v_cvt_f64_f32_e32 v[18:19], v19
	v_add_f64 v[16:17], v[16:17], -v[18:19]
	v_mul_f32_e32 v18, 0x3f317217, v20
	v_fma_f32 v19, v20, s88, -v18
	v_fmac_f32_e32 v19, 0x3377d1cf, v20
	v_add_f32_e32 v18, v18, v19
	v_cmp_lt_f32_e64 s[4:5], |v20|, s89
	v_cndmask_b32_e64 v18, v20, v18, s[4:5]
	v_cndmask_b32_e32 v19, 0, v75, vcc
	v_sub_f32_e32 v20, v18, v19
	v_cvt_f64_f32_e32 v[18:19], v21
	v_add_f64 v[16:17], v[16:17], -v[18:19]
	v_cvt_f32_f64_e32 v16, v[16:17]
	v_cmp_le_f32_e32 vcc, v20, v16
	s_orn2_b64 s[4:5], vcc, exec
.LBB108_48:                             ;   in Loop: Header=BB108_49 Depth=2
	s_or_b64 exec, exec, s[72:73]
	s_and_b64 s[4:5], exec, s[4:5]
	v_pk_mov_b32 v[18:19], v[14:15], v[14:15] op_sel:[0,1]
	s_or_b64 s[70:71], s[4:5], s[70:71]
	s_mov_b64 s[72:73], 0
	v_mov_b32_e32 v79, v90
	v_pk_mov_b32 v[16:17], v[12:13], v[12:13] op_sel:[0,1]
	s_andn2_b64 exec, exec, s[70:71]
	s_cbranch_execz .LBB108_67
.LBB108_49:                             ;   Parent Loop BB108_27 Depth=1
                                        ; =>  This Inner Loop Header: Depth=2
	v_add_u32_e32 v95, 1, v79
	v_pk_mov_b32 v[22:23], v[18:19], v[18:19] op_sel:[0,1]
	v_cmp_eq_u32_e32 vcc, 4, v95
	v_pk_mov_b32 v[20:21], v[16:17], v[16:17] op_sel:[0,1]
	s_and_saveexec_b64 s[4:5], vcc
	s_cbranch_execz .LBB108_51
; %bb.50:                               ;   in Loop: Header=BB108_49 Depth=2
	v_add_co_u32_e32 v4, vcc, 1, v4
	v_cndmask_b32_e64 v8, 0, 1, vcc
	v_addc_co_u32_e32 v5, vcc, 0, v5, vcc
	v_cmp_eq_u32_e32 vcc, 0, v5
	v_cndmask_b32_e32 v8, 0, v8, vcc
	v_add_u32_e32 v6, v8, v6
	v_cmp_eq_u32_e32 vcc, 0, v6
	v_cndmask_b32_e32 v8, 0, v8, vcc
	v_add_u32_e32 v7, v8, v7
	v_mad_u64_u32 v[8:9], s[74:75], v4, s82, 0
	v_mad_u64_u32 v[10:11], s[74:75], v6, s83, 0
	v_xor_b32_e32 v11, v11, v24
	v_xor_b32_e32 v9, v9, v25
	v_xor_b32_e32 v11, v5, v11
	v_xor_b32_e32 v9, v7, v9
	v_mad_u64_u32 v[12:13], s[74:75], v11, s82, 0
	v_mad_u64_u32 v[14:15], s[74:75], v9, s83, 0
	v_xor_b32_e32 v9, v15, v10
	v_xor_b32_e32 v8, v13, v8
	v_xor_b32_e32 v9, v55, v9
	v_xor_b32_e32 v10, v56, v8
	;; [unrolled: 6-line block ×9, first 2 shown]
	v_mad_u64_u32 v[12:13], s[74:75], v9, s82, 0
	v_mad_u64_u32 v[14:15], s[74:75], v11, s83, 0
	v_xor_b32_e32 v9, v13, v10
	v_xor_b32_e32 v8, v15, v8
	;; [unrolled: 1-line block ×3, first 2 shown]
	v_mov_b32_e32 v11, v12
	v_xor_b32_e32 v8, v53, v8
	v_mov_b32_e32 v9, v14
	v_pk_mov_b32 v[22:23], v[10:11], v[10:11] op_sel:[0,1]
	v_mov_b32_e32 v95, 0
	v_pk_mov_b32 v[20:21], v[8:9], v[8:9] op_sel:[0,1]
.LBB108_51:                             ;   in Loop: Header=BB108_49 Depth=2
	s_or_b64 exec, exec, s[4:5]
	v_add_u32_e32 v90, 1, v95
	v_pk_mov_b32 v[12:13], v[20:21], v[20:21] op_sel:[0,1]
	v_cmp_eq_u32_e32 vcc, 4, v90
	v_pk_mov_b32 v[14:15], v[22:23], v[22:23] op_sel:[0,1]
	s_and_saveexec_b64 s[4:5], vcc
	s_cbranch_execz .LBB108_53
; %bb.52:                               ;   in Loop: Header=BB108_49 Depth=2
	v_add_co_u32_e32 v4, vcc, 1, v4
	v_cndmask_b32_e64 v8, 0, 1, vcc
	v_addc_co_u32_e32 v5, vcc, 0, v5, vcc
	v_cmp_eq_u32_e32 vcc, 0, v5
	v_cndmask_b32_e32 v8, 0, v8, vcc
	v_add_u32_e32 v6, v8, v6
	v_cmp_eq_u32_e32 vcc, 0, v6
	v_cndmask_b32_e32 v8, 0, v8, vcc
	v_add_u32_e32 v7, v8, v7
	v_mad_u64_u32 v[8:9], s[74:75], v4, s82, 0
	v_mad_u64_u32 v[10:11], s[74:75], v6, s83, 0
	v_xor_b32_e32 v11, v11, v24
	v_xor_b32_e32 v9, v9, v25
	v_xor_b32_e32 v11, v5, v11
	v_xor_b32_e32 v9, v7, v9
	v_mad_u64_u32 v[12:13], s[74:75], v11, s82, 0
	v_mad_u64_u32 v[14:15], s[74:75], v9, s83, 0
	v_xor_b32_e32 v9, v15, v10
	v_xor_b32_e32 v8, v13, v8
	v_xor_b32_e32 v9, v55, v9
	v_xor_b32_e32 v10, v56, v8
	;; [unrolled: 6-line block ×9, first 2 shown]
	v_mad_u64_u32 v[12:13], s[74:75], v9, s82, 0
	v_mad_u64_u32 v[14:15], s[74:75], v11, s83, 0
	v_xor_b32_e32 v9, v13, v10
	v_xor_b32_e32 v8, v15, v8
	;; [unrolled: 1-line block ×3, first 2 shown]
	v_mov_b32_e32 v11, v12
	v_xor_b32_e32 v8, v53, v8
	v_mov_b32_e32 v9, v14
	v_pk_mov_b32 v[14:15], v[10:11], v[10:11] op_sel:[0,1]
	v_mov_b32_e32 v90, 0
	v_pk_mov_b32 v[12:13], v[8:9], v[8:9] op_sel:[0,1]
.LBB108_53:                             ;   in Loop: Header=BB108_49 Depth=2
	s_or_b64 exec, exec, s[4:5]
	v_cmp_eq_u32_e32 vcc, 1, v79
	v_cndmask_b32_e32 v16, v16, v17, vcc
	v_cmp_eq_u32_e32 vcc, 2, v79
	v_cndmask_b32_e32 v16, v16, v18, vcc
	;; [unrolled: 2-line block ×3, first 2 shown]
	v_and_b32_e32 v16, 0xffffff, v16
	v_cvt_f32_u32_e32 v16, v16
	v_fma_f32 v16, v16, s90, -0.5
	v_sub_f32_e64 v93, 0.5, |v16|
	v_div_scale_f32 v17, s[4:5], v93, v93, v89
	v_rcp_f32_e32 v18, v17
	v_div_scale_f32 v19, vcc, v89, v93, v89
	v_fma_f32 v79, -v17, v18, 1.0
	v_fmac_f32_e32 v18, v79, v18
	v_mul_f32_e32 v79, v19, v18
	v_fma_f32 v88, -v17, v79, v19
	v_fmac_f32_e32 v79, v88, v18
	v_fma_f32 v17, -v17, v79, v19
	v_div_fmas_f32 v17, v17, v18, v79
	v_div_fixup_f32 v17, v17, v93, v89
	v_add_f32_e32 v17, v17, v80
	v_fma_f32 v16, v16, v17, v82
	v_floor_f32_e32 v16, v16
	v_bfe_u32 v17, v16, 16, 1
	v_add3_u32 v17, v16, v17, s84
	v_lshrrev_b32_e32 v17, 16, v17
	v_cmp_o_f32_e32 vcc, v16, v16
	v_cndmask_b32_e32 v88, v76, v17, vcc
	v_lshlrev_b32_e32 v94, 16, v88
	v_cmp_ngt_f32_e32 vcc, 0, v94
	v_cmp_ngt_f32_e64 s[4:5], v94, v78
	s_and_b64 s[4:5], vcc, s[4:5]
	s_and_b64 s[4:5], exec, s[4:5]
	v_pk_mov_b32 v[18:19], v[14:15], v[14:15] op_sel:[0,1]
	s_or_b64 s[72:73], s[4:5], s[72:73]
	v_mov_b32_e32 v79, v90
	v_pk_mov_b32 v[16:17], v[12:13], v[12:13] op_sel:[0,1]
	s_andn2_b64 exec, exec, s[72:73]
	s_cbranch_execnz .LBB108_49
; %bb.54:                               ;   in Loop: Header=BB108_49 Depth=2
	s_or_b64 exec, exec, s[72:73]
	v_cmp_eq_u32_e32 vcc, 1, v95
	v_cndmask_b32_e32 v16, v20, v21, vcc
	v_cmp_eq_u32_e32 vcc, 2, v95
	v_cndmask_b32_e32 v16, v16, v22, vcc
	;; [unrolled: 2-line block ×3, first 2 shown]
	v_and_b32_e32 v16, 0xffffff, v16
	v_cvt_f32_u32_e32 v16, v16
	v_cvt_f64_f32_e32 v[18:19], v93
	v_cmp_nle_f64_e32 vcc, s[68:69], v[18:19]
	v_mul_f32_e32 v16, 0x33800000, v16
	v_cmp_nle_f32_e64 s[4:5], v16, v83
	s_or_b64 s[74:75], vcc, s[4:5]
	s_mov_b64 s[4:5], -1
	s_and_saveexec_b64 s[72:73], s[74:75]
	s_cbranch_execz .LBB108_48
; %bb.55:                               ;   in Loop: Header=BB108_49 Depth=2
	v_mov_b32_e32 v17, v91
	s_and_saveexec_b64 s[4:5], s[0:1]
	s_cbranch_execz .LBB108_57
; %bb.56:                               ;   in Loop: Header=BB108_49 Depth=2
	global_load_dword v17, v[30:31], off
.LBB108_57:                             ;   in Loop: Header=BB108_49 Depth=2
	s_or_b64 exec, exec, s[4:5]
	v_mov_b32_e32 v18, v92
	s_and_saveexec_b64 s[4:5], s[2:3]
	s_cbranch_execz .LBB108_59
; %bb.58:                               ;   in Loop: Header=BB108_49 Depth=2
	global_load_dword v18, v[32:33], off
.LBB108_59:                             ;   in Loop: Header=BB108_49 Depth=2
	s_or_b64 exec, exec, s[4:5]
	v_add_f32_e32 v20, 1.0, v94
	v_cmp_ngt_f32_e32 vcc, s85, v94
                                        ; implicit-def: $vgpr19
	s_and_saveexec_b64 s[4:5], vcc
	s_xor_b64 s[4:5], exec, s[4:5]
	s_cbranch_execz .LBB108_61
; %bb.60:                               ;   in Loop: Header=BB108_49 Depth=2
	v_mul_f32_e32 v19, v20, v20
	v_cvt_f64_f32_e32 v[22:23], v19
	v_div_scale_f64 v[96:97], s[74:75], v[22:23], v[22:23], s[62:63]
	v_rcp_f64_e32 v[98:99], v[96:97]
	v_div_scale_f64 v[100:101], vcc, s[62:63], v[22:23], s[62:63]
	v_fma_f64 v[102:103], -v[96:97], v[98:99], 1.0
	v_fmac_f64_e32 v[98:99], v[98:99], v[102:103]
	v_fma_f64 v[102:103], -v[96:97], v[98:99], 1.0
	v_fmac_f64_e32 v[98:99], v[98:99], v[102:103]
	v_mul_f64 v[102:103], v[100:101], v[98:99]
	v_fma_f64 v[96:97], -v[96:97], v[102:103], v[100:101]
	v_div_fmas_f64 v[96:97], v[96:97], v[98:99], v[102:103]
	v_div_fixup_f64 v[96:97], v[96:97], v[22:23], s[62:63]
	v_add_f64 v[96:97], v[96:97], s[64:65]
	v_div_scale_f64 v[98:99], s[74:75], v[22:23], v[22:23], v[96:97]
	v_rcp_f64_e32 v[100:101], v[98:99]
	v_fma_f64 v[102:103], -v[98:99], v[100:101], 1.0
	v_fmac_f64_e32 v[100:101], v[100:101], v[102:103]
	v_fma_f64 v[102:103], -v[98:99], v[100:101], 1.0
	v_fmac_f64_e32 v[100:101], v[100:101], v[102:103]
	v_div_scale_f64 v[102:103], vcc, v[96:97], v[22:23], v[96:97]
	v_mul_f64 v[104:105], v[102:103], v[100:101]
	v_fma_f64 v[98:99], -v[98:99], v[104:105], v[102:103]
	s_nop 1
	v_div_fmas_f64 v[98:99], v[98:99], v[100:101], v[104:105]
	v_div_fixup_f64 v[22:23], v[98:99], v[22:23], v[96:97]
	v_add_f64 v[22:23], -v[22:23], s[66:67]
	v_cvt_f64_f32_e32 v[96:97], v20
	v_div_scale_f64 v[98:99], s[74:75], v[96:97], v[96:97], v[22:23]
	v_rcp_f64_e32 v[100:101], v[98:99]
	v_fma_f64 v[102:103], -v[98:99], v[100:101], 1.0
	v_fmac_f64_e32 v[100:101], v[100:101], v[102:103]
	v_fma_f64 v[102:103], -v[98:99], v[100:101], 1.0
	v_fmac_f64_e32 v[100:101], v[100:101], v[102:103]
	v_div_scale_f64 v[102:103], vcc, v[22:23], v[96:97], v[22:23]
	v_mul_f64 v[104:105], v[102:103], v[100:101]
	v_fma_f64 v[98:99], -v[98:99], v[104:105], v[102:103]
	s_nop 1
	v_div_fmas_f64 v[98:99], v[98:99], v[100:101], v[104:105]
	v_div_fixup_f64 v[22:23], v[98:99], v[96:97], v[22:23]
	v_cvt_f32_f64_e32 v19, v[22:23]
.LBB108_61:                             ;   in Loop: Header=BB108_49 Depth=2
	s_andn2_saveexec_b64 s[4:5], s[4:5]
	s_cbranch_execz .LBB108_63
; %bb.62:                               ;   in Loop: Header=BB108_49 Depth=2
	v_trunc_f32_e32 v19, v94
	v_mul_f32_e32 v21, 0x2f800000, v19
	v_floor_f32_e32 v21, v21
	v_fmac_f32_e32 v19, 0xcf800000, v21
	v_cvt_u32_f32_e32 v23, v21
	v_cvt_u32_f32_e32 v22, v19
	s_getpc_b64 s[74:75]
	s_add_u32 s74, s74, _ZZN12_GLOBAL__N_120stirling_approx_tailIfEET_S1_E11kTailValues.const@rel32@lo+4
	s_addc_u32 s75, s75, _ZZN12_GLOBAL__N_120stirling_approx_tailIfEET_S1_E11kTailValues.const@rel32@hi+12
	v_mov_b32_e32 v19, s75
	v_lshlrev_b64 v[22:23], 2, v[22:23]
	v_add_co_u32_e32 v22, vcc, s74, v22
	v_addc_co_u32_e32 v23, vcc, v23, v19, vcc
	global_load_dword v19, v[22:23], off
.LBB108_63:                             ;   in Loop: Header=BB108_49 Depth=2
	s_or_b64 exec, exec, s[4:5]
	v_sub_f32_e32 v21, v78, v94
	v_bfe_u32 v22, v21, 16, 1
	v_add3_u32 v22, v21, v22, s84
	v_and_b32_e32 v22, 0xffff0000, v22
	v_cmp_o_f32_e32 vcc, v21, v21
	v_cndmask_b32_e32 v23, v73, v22, vcc
	v_add_f32_e32 v22, 1.0, v23
	v_cmp_ngt_f32_e32 vcc, s85, v23
                                        ; implicit-def: $vgpr21
	s_and_saveexec_b64 s[4:5], vcc
	s_xor_b64 s[4:5], exec, s[4:5]
	s_cbranch_execz .LBB108_65
; %bb.64:                               ;   in Loop: Header=BB108_49 Depth=2
	v_mul_f32_e32 v21, v22, v22
	v_cvt_f64_f32_e32 v[96:97], v21
	v_div_scale_f64 v[98:99], s[74:75], v[96:97], v[96:97], s[62:63]
	v_rcp_f64_e32 v[100:101], v[98:99]
	v_div_scale_f64 v[102:103], vcc, s[62:63], v[96:97], s[62:63]
                                        ; implicit-def: $vgpr23
	v_fma_f64 v[104:105], -v[98:99], v[100:101], 1.0
	v_fmac_f64_e32 v[100:101], v[100:101], v[104:105]
	v_fma_f64 v[104:105], -v[98:99], v[100:101], 1.0
	v_fmac_f64_e32 v[100:101], v[100:101], v[104:105]
	v_mul_f64 v[104:105], v[102:103], v[100:101]
	v_fma_f64 v[98:99], -v[98:99], v[104:105], v[102:103]
	v_div_fmas_f64 v[98:99], v[98:99], v[100:101], v[104:105]
	v_div_fixup_f64 v[98:99], v[98:99], v[96:97], s[62:63]
	v_add_f64 v[98:99], v[98:99], s[64:65]
	v_div_scale_f64 v[100:101], s[74:75], v[96:97], v[96:97], v[98:99]
	v_rcp_f64_e32 v[102:103], v[100:101]
	v_fma_f64 v[104:105], -v[100:101], v[102:103], 1.0
	v_fmac_f64_e32 v[102:103], v[102:103], v[104:105]
	v_fma_f64 v[104:105], -v[100:101], v[102:103], 1.0
	v_fmac_f64_e32 v[102:103], v[102:103], v[104:105]
	v_div_scale_f64 v[104:105], vcc, v[98:99], v[96:97], v[98:99]
	v_mul_f64 v[106:107], v[104:105], v[102:103]
	v_fma_f64 v[100:101], -v[100:101], v[106:107], v[104:105]
	s_nop 1
	v_div_fmas_f64 v[100:101], v[100:101], v[102:103], v[106:107]
	v_div_fixup_f64 v[96:97], v[100:101], v[96:97], v[98:99]
	v_add_f64 v[96:97], -v[96:97], s[66:67]
	v_cvt_f64_f32_e32 v[98:99], v22
	v_div_scale_f64 v[100:101], s[74:75], v[98:99], v[98:99], v[96:97]
	v_rcp_f64_e32 v[102:103], v[100:101]
	v_fma_f64 v[104:105], -v[100:101], v[102:103], 1.0
	v_fmac_f64_e32 v[102:103], v[102:103], v[104:105]
	v_fma_f64 v[104:105], -v[100:101], v[102:103], 1.0
	v_fmac_f64_e32 v[102:103], v[102:103], v[104:105]
	v_div_scale_f64 v[104:105], vcc, v[96:97], v[98:99], v[96:97]
	v_mul_f64 v[106:107], v[104:105], v[102:103]
	v_fma_f64 v[100:101], -v[100:101], v[106:107], v[104:105]
	s_nop 1
	v_div_fmas_f64 v[100:101], v[100:101], v[102:103], v[106:107]
	v_div_fixup_f64 v[96:97], v[100:101], v[98:99], v[96:97]
	v_cvt_f32_f64_e32 v21, v[96:97]
.LBB108_65:                             ;   in Loop: Header=BB108_49 Depth=2
	s_andn2_saveexec_b64 s[4:5], s[4:5]
	s_cbranch_execz .LBB108_47
; %bb.66:                               ;   in Loop: Header=BB108_49 Depth=2
	v_trunc_f32_e32 v21, v23
	v_mul_f32_e32 v23, 0x2f800000, v21
	v_floor_f32_e32 v23, v23
	v_fmac_f32_e32 v21, 0xcf800000, v23
	v_cvt_u32_f32_e32 v97, v23
	v_cvt_u32_f32_e32 v96, v21
	s_getpc_b64 s[74:75]
	s_add_u32 s74, s74, _ZZN12_GLOBAL__N_120stirling_approx_tailIfEET_S1_E11kTailValues.const@rel32@lo+4
	s_addc_u32 s75, s75, _ZZN12_GLOBAL__N_120stirling_approx_tailIfEET_S1_E11kTailValues.const@rel32@hi+12
	v_mov_b32_e32 v21, s75
	v_lshlrev_b64 v[96:97], 2, v[96:97]
	v_add_co_u32_e32 v96, vcc, s74, v96
	v_addc_co_u32_e32 v97, vcc, v97, v21, vcc
	global_load_dword v21, v[96:97], off
	s_branch .LBB108_47
.LBB108_67:                             ;   in Loop: Header=BB108_27 Depth=1
	s_or_b64 exec, exec, s[70:71]
                                        ; implicit-def: $vgpr78
                                        ; implicit-def: $vgpr79
                                        ; implicit-def: $vgpr0
.LBB108_68:                             ;   in Loop: Header=BB108_27 Depth=1
	s_andn2_saveexec_b64 s[2:3], s[22:23]
	s_cbranch_execz .LBB108_76
; %bb.69:                               ;   in Loop: Header=BB108_27 Depth=1
	v_xor_b32_e32 v0, 0x80000000, v0
	v_bfe_u32 v1, v0, 16, 1
	v_add3_u32 v0, v0, v1, s84
	v_and_b32_e32 v12, 0xffff0000, v0
	v_add_f32_e32 v13, 1.0, v12
	v_add_f32_e32 v0, -1.0, v13
	v_sub_f32_e32 v1, v0, v13
	v_add_f32_e32 v1, 1.0, v1
	v_sub_f32_e32 v0, v12, v0
	v_add_f32_e32 v14, v0, v1
	v_frexp_mant_f32_e32 v15, v13
	v_cvt_f64_f32_e32 v[0:1], v13
	v_frexp_exp_i32_f64_e32 v0, v[0:1]
	v_cmp_gt_f32_e32 vcc, s91, v15
	v_subbrev_co_u32_e32 v0, vcc, 0, v0, vcc
	v_sub_u32_e32 v1, 0, v0
	v_ldexp_f32 v13, v13, v1
	v_ldexp_f32 v1, v14, v1
	v_add_f32_e32 v14, -1.0, v13
	v_add_f32_e32 v17, 1.0, v13
	v_add_f32_e32 v15, 1.0, v14
	v_add_f32_e32 v18, -1.0, v17
	v_sub_f32_e32 v15, v13, v15
	v_sub_f32_e32 v13, v13, v18
	v_add_f32_e32 v15, v1, v15
	v_add_f32_e32 v1, v1, v13
	;; [unrolled: 1-line block ×3, first 2 shown]
	v_rcp_f32_e32 v18, v13
	v_add_f32_e32 v16, v14, v15
	v_sub_f32_e32 v14, v16, v14
	v_sub_f32_e32 v14, v15, v14
	;; [unrolled: 1-line block ×4, first 2 shown]
	v_mul_f32_e32 v15, v16, v18
	v_mul_f32_e32 v17, v13, v15
	v_fma_f32 v19, v15, v13, -v17
	v_fmac_f32_e32 v19, v15, v1
	v_add_f32_e32 v20, v17, v19
	v_sub_f32_e32 v21, v16, v20
	v_sub_f32_e32 v16, v16, v21
	;; [unrolled: 1-line block ×4, first 2 shown]
	v_add_f32_e32 v14, v14, v16
	v_sub_f32_e32 v16, v17, v19
	v_add_f32_e32 v14, v16, v14
	v_add_f32_e32 v16, v21, v14
	v_mul_f32_e32 v17, v18, v16
	v_mul_f32_e32 v19, v13, v17
	v_fma_f32 v13, v17, v13, -v19
	v_fmac_f32_e32 v13, v17, v1
	v_sub_f32_e32 v1, v21, v16
	v_add_f32_e32 v1, v14, v1
	v_add_f32_e32 v14, v19, v13
	v_sub_f32_e32 v20, v16, v14
	v_sub_f32_e32 v16, v16, v20
	;; [unrolled: 1-line block ×4, first 2 shown]
	v_add_f32_e32 v1, v1, v14
	v_sub_f32_e32 v13, v19, v13
	v_cvt_f32_i32_e32 v0, v0
	v_add_f32_e32 v1, v13, v1
	v_add_f32_e32 v13, v15, v17
	;; [unrolled: 1-line block ×3, first 2 shown]
	v_sub_f32_e32 v14, v13, v15
	v_mul_f32_e32 v1, v18, v1
	v_sub_f32_e32 v14, v17, v14
	v_add_f32_e32 v1, v14, v1
	v_mul_f32_e32 v17, 0x3f317218, v0
	v_add_f32_e32 v14, v13, v1
	v_fma_f32 v18, v0, s92, -v17
	v_mul_f32_e32 v15, v14, v14
	v_mov_b32_e32 v16, 0x3ecc95a3
	v_fmac_f32_e32 v18, 0xb102e308, v0
	v_sub_f32_e32 v0, v14, v13
	v_fmac_f32_e32 v16, 0x3e9b6dac, v15
	v_sub_f32_e32 v0, v1, v0
	v_add_f32_e32 v1, v17, v18
	v_fma_f32 v16, v15, v16, v72
	v_sub_f32_e32 v13, v1, v17
	v_ldexp_f32 v17, v14, 1
	v_mul_f32_e32 v14, v14, v15
	v_mul_f32_e32 v14, v14, v16
	v_add_f32_e32 v15, v17, v14
	v_sub_f32_e32 v16, v15, v17
	v_ldexp_f32 v0, v0, 1
	v_sub_f32_e32 v14, v14, v16
	v_add_f32_e32 v0, v0, v14
	v_add_f32_e32 v14, v15, v0
	v_sub_f32_e32 v15, v14, v15
	v_sub_f32_e32 v0, v0, v15
	v_add_f32_e32 v15, v1, v14
	v_sub_f32_e32 v16, v15, v1
	v_sub_f32_e32 v17, v15, v16
	;; [unrolled: 1-line block ×5, first 2 shown]
	v_add_f32_e32 v1, v14, v1
	v_add_f32_e32 v14, v13, v0
	v_sub_f32_e32 v16, v14, v13
	v_sub_f32_e32 v17, v14, v16
	;; [unrolled: 1-line block ×4, first 2 shown]
	v_add_f32_e32 v1, v14, v1
	v_add_f32_e32 v0, v0, v13
	;; [unrolled: 1-line block ×3, first 2 shown]
	v_sub_f32_e32 v14, v13, v15
	v_sub_f32_e32 v1, v1, v14
	v_add_f32_e32 v0, v0, v1
	v_add_f32_e32 v0, v13, v0
	v_cmp_eq_f32_e32 vcc, s89, v12
	v_cndmask_b32_e32 v0, v0, v12, vcc
	v_cmp_ngt_f32_e32 vcc, -1.0, v12
	v_cndmask_b32_e32 v0, v73, v0, vcc
	v_cmp_neq_f32_e32 vcc, -1.0, v12
	v_cndmask_b32_e32 v0, v77, v0, vcc
	v_cmp_lt_f32_e64 vcc, |v12|, s90
	v_cndmask_b32_e32 v0, v0, v12, vcc
	v_pk_mov_b32 v[14:15], v[10:11], v[10:11] op_sel:[0,1]
	s_mov_b64 s[4:5], 0
	v_mov_b32_e32 v88, 0
	v_mov_b32_e32 v1, 0
	v_pk_mov_b32 v[12:13], v[8:9], v[8:9] op_sel:[0,1]
	s_branch .LBB108_71
.LBB108_70:                             ;   in Loop: Header=BB108_71 Depth=2
	s_or_b64 exec, exec, s[22:23]
	s_and_b64 s[0:1], exec, vcc
	v_pk_mov_b32 v[14:15], v[10:11], v[10:11] op_sel:[0,1]
	s_or_b64 s[4:5], s[0:1], s[4:5]
	v_mov_b32_e32 v79, v90
	v_pk_mov_b32 v[12:13], v[8:9], v[8:9] op_sel:[0,1]
	s_andn2_b64 exec, exec, s[4:5]
	s_cbranch_execz .LBB108_75
.LBB108_71:                             ;   Parent Loop BB108_27 Depth=1
                                        ; =>  This Inner Loop Header: Depth=2
	v_add_u32_e32 v90, 1, v79
	v_cmp_eq_u32_e32 vcc, 4, v90
	s_and_saveexec_b64 s[0:1], vcc
	s_cbranch_execz .LBB108_73
; %bb.72:                               ;   in Loop: Header=BB108_71 Depth=2
	v_add_co_u32_e32 v4, vcc, 1, v4
	v_cndmask_b32_e64 v8, 0, 1, vcc
	v_addc_co_u32_e32 v5, vcc, 0, v5, vcc
	v_cmp_eq_u32_e32 vcc, 0, v5
	v_cndmask_b32_e32 v8, 0, v8, vcc
	v_add_u32_e32 v6, v8, v6
	v_cmp_eq_u32_e32 vcc, 0, v6
	v_cndmask_b32_e32 v8, 0, v8, vcc
	v_add_u32_e32 v7, v8, v7
	v_mad_u64_u32 v[8:9], s[22:23], v4, s82, 0
	v_mad_u64_u32 v[10:11], s[22:23], v6, s83, 0
	v_xor_b32_e32 v9, v9, v25
	v_xor_b32_e32 v11, v11, v24
	v_xor_b32_e32 v9, v7, v9
	v_xor_b32_e32 v11, v5, v11
	v_mad_u64_u32 v[18:19], s[22:23], v9, s83, 0
	v_mad_u64_u32 v[16:17], s[22:23], v11, s82, 0
	v_xor_b32_e32 v9, v37, v19
	v_xor_b32_e32 v9, v9, v10
	v_xor_b32_e32 v10, v38, v17
	v_xor_b32_e32 v10, v10, v8
	v_mad_u64_u32 v[8:9], s[22:23], v9, s82, 0
	v_mad_u64_u32 v[10:11], s[22:23], v10, s83, 0
	v_xor_b32_e32 v9, v40, v9
	v_xor_b32_e32 v11, v39, v11
	v_xor_b32_e32 v9, v9, v16
	v_xor_b32_e32 v11, v11, v18
	v_mad_u64_u32 v[18:19], s[22:23], v9, s83, 0
	v_mad_u64_u32 v[16:17], s[22:23], v11, s82, 0
	v_xor_b32_e32 v9, v41, v19
	v_xor_b32_e32 v9, v9, v10
	v_xor_b32_e32 v10, v42, v17
	v_xor_b32_e32 v10, v10, v8
	v_mad_u64_u32 v[8:9], s[22:23], v9, s82, 0
	v_mad_u64_u32 v[10:11], s[22:23], v10, s83, 0
	v_xor_b32_e32 v9, v44, v9
	v_xor_b32_e32 v11, v43, v11
	v_xor_b32_e32 v9, v9, v16
	v_xor_b32_e32 v11, v11, v18
	v_mad_u64_u32 v[18:19], s[22:23], v9, s83, 0
	v_mad_u64_u32 v[16:17], s[22:23], v11, s82, 0
	v_xor_b32_e32 v9, v45, v19
	v_xor_b32_e32 v9, v9, v10
	v_xor_b32_e32 v10, v46, v17
	v_xor_b32_e32 v10, v10, v8
	v_mad_u64_u32 v[8:9], s[22:23], v9, s82, 0
	v_mad_u64_u32 v[10:11], s[22:23], v10, s83, 0
	v_xor_b32_e32 v9, v48, v9
	v_xor_b32_e32 v11, v47, v11
	v_xor_b32_e32 v9, v9, v16
	v_xor_b32_e32 v11, v11, v18
	v_mad_u64_u32 v[18:19], s[22:23], v9, s83, 0
	v_mad_u64_u32 v[16:17], s[22:23], v11, s82, 0
	v_xor_b32_e32 v9, v49, v19
	v_xor_b32_e32 v9, v9, v10
	v_xor_b32_e32 v10, v50, v17
	v_xor_b32_e32 v8, v10, v8
	v_mad_u64_u32 v[10:11], s[22:23], v9, s82, 0
	v_mad_u64_u32 v[8:9], s[22:23], v8, s83, 0
	v_xor_b32_e32 v9, v51, v9
	v_xor_b32_e32 v11, v52, v11
	v_xor_b32_e32 v9, v9, v18
	v_xor_b32_e32 v11, v11, v16
	v_mad_u64_u32 v[16:17], s[22:23], v9, s82, 0
	v_mad_u64_u32 v[18:19], s[22:23], v11, s83, 0
	v_xor_b32_e32 v8, v19, v8
	v_xor_b32_e32 v9, v17, v10
	v_mov_b32_e32 v90, 0
	v_xor_b32_e32 v8, v53, v8
	v_xor_b32_e32 v10, v54, v9
	v_mov_b32_e32 v9, v18
	v_mov_b32_e32 v11, v16
.LBB108_73:                             ;   in Loop: Header=BB108_71 Depth=2
	s_or_b64 exec, exec, s[0:1]
	v_cmp_eq_u32_e32 vcc, 1, v79
	v_cndmask_b32_e32 v12, v12, v13, vcc
	v_cmp_eq_u32_e32 vcc, 2, v79
	v_cndmask_b32_e32 v12, v12, v14, vcc
	;; [unrolled: 2-line block ×3, first 2 shown]
	v_and_b32_e32 v12, 0xffffff, v12
	v_cvt_f32_u32_e32 v12, v12
	v_mul_f32_e32 v12, 0x33800000, v12
	v_cmp_gt_f32_e32 vcc, s87, v12
	v_cndmask_b32_e32 v13, 1.0, v74, vcc
	v_mul_f32_e32 v12, v12, v13
	v_log_f32_e32 v12, v12
	v_cndmask_b32_e32 v13, 0, v75, vcc
	v_mul_f32_e32 v14, 0x3f317217, v12
	v_fma_f32 v15, v12, s88, -v14
	v_fmac_f32_e32 v15, 0x3377d1cf, v12
	v_add_f32_e32 v14, v14, v15
	v_cmp_lt_f32_e64 vcc, |v12|, s89
	v_cndmask_b32_e32 v12, v12, v14, vcc
	v_sub_f32_e32 v12, v12, v13
	v_div_scale_f32 v13, s[0:1], v0, v0, v12
	v_rcp_f32_e32 v14, v13
	v_div_scale_f32 v15, vcc, v12, v0, v12
	v_fma_f32 v16, -v13, v14, 1.0
	v_fmac_f32_e32 v14, v16, v14
	v_mul_f32_e32 v16, v15, v14
	v_fma_f32 v17, -v13, v16, v15
	v_fmac_f32_e32 v16, v17, v14
	v_fma_f32 v13, -v13, v16, v15
	v_div_fmas_f32 v13, v13, v14, v16
	v_div_fixup_f32 v12, v13, v0, v12
	v_ceil_f32_e32 v12, v12
	v_add_f32_e32 v1, v1, v12
	v_cmp_ngt_f32_e64 s[0:1], v1, v78
	v_cmp_gt_f32_e32 vcc, v1, v78
	s_and_saveexec_b64 s[22:23], s[0:1]
	s_cbranch_execz .LBB108_70
; %bb.74:                               ;   in Loop: Header=BB108_71 Depth=2
	v_lshlrev_b32_e32 v12, 16, v88
	v_add_f32_e32 v12, 1.0, v12
	v_bfe_u32 v13, v12, 16, 1
	v_add3_u32 v13, v12, v13, s84
	v_lshrrev_b32_e32 v13, 16, v13
	v_cmp_o_f32_e64 s[0:1], v12, v12
	v_cndmask_b32_e64 v88, v76, v13, s[0:1]
	s_branch .LBB108_70
.LBB108_75:                             ;   in Loop: Header=BB108_27 Depth=1
	s_or_b64 exec, exec, s[4:5]
.LBB108_76:                             ;   in Loop: Header=BB108_27 Depth=1
	s_or_b64 exec, exec, s[2:3]
                                        ; implicit-def: $vgpr79
                                        ; implicit-def: $vgpr0
                                        ; implicit-def: $vgpr78
.LBB108_77:                             ;   in Loop: Header=BB108_27 Depth=1
	s_andn2_saveexec_b64 s[20:21], s[20:21]
	s_cbranch_execz .LBB108_23
; %bb.78:                               ;   in Loop: Header=BB108_27 Depth=1
	v_cmp_lt_f32_e32 vcc, 0.5, v0
	v_mov_b32_e32 v88, 0x7fc0
	s_and_saveexec_b64 s[22:23], vcc
	s_cbranch_execz .LBB108_22
; %bb.79:                               ;   in Loop: Header=BB108_27 Depth=1
	v_sub_f32_e32 v0, 1.0, v0
	v_bfe_u32 v1, v0, 16, 1
	v_add3_u32 v0, v0, v1, s84
	v_and_b32_e32 v0, 0xffff0000, v0
	v_mul_f32_e32 v1, v78, v0
	v_bfe_u32 v12, v1, 16, 1
	v_cmp_o_f32_e32 vcc, v1, v1
	v_add3_u32 v1, v1, v12, s84
	v_and_b32_e32 v1, 0xffff0000, v1
	v_cmp_le_f32_e64 s[0:1], s85, v1
	s_and_b64 s[0:1], vcc, s[0:1]
                                        ; implicit-def: $vgpr88
                                        ; implicit-def: $vgpr89
	s_and_saveexec_b64 s[2:3], s[0:1]
	s_xor_b64 s[70:71], exec, s[2:3]
	s_cbranch_execz .LBB108_104
; %bb.80:                               ;   in Loop: Header=BB108_27 Depth=1
	v_sub_f32_e32 v12, 1.0, v0
	v_bfe_u32 v13, v12, 16, 1
	v_add3_u32 v13, v12, v13, s84
	v_and_b32_e32 v13, 0xffff0000, v13
	v_cmp_o_f32_e32 vcc, v12, v12
	v_cndmask_b32_e32 v30, v73, v13, vcc
	v_mul_f32_e32 v12, v30, v1
	v_bfe_u32 v13, v12, 16, 1
	v_add3_u32 v13, v12, v13, s84
	v_and_b32_e32 v13, 0xffff0000, v13
	v_cmp_o_f32_e32 vcc, v12, v12
	v_cndmask_b32_e32 v12, v73, v13, vcc
	v_mul_f32_e32 v13, 0x4f800000, v12
	v_cmp_gt_f32_e32 vcc, s86, v12
	v_cndmask_b32_e32 v12, v12, v13, vcc
	v_sqrt_f32_e32 v13, v12
	v_pk_mov_b32 v[16:17], v[28:29], v[28:29] op_sel:[0,1]
	v_cvt_f64_f32_e32 v[18:19], v0
	v_add_f32_e32 v82, 0.5, v1
	v_add_u32_e32 v14, -1, v13
	v_fma_f32 v15, -v14, v13, v12
	v_cmp_ge_f32_e64 s[0:1], 0, v15
	v_add_u32_e32 v15, 1, v13
	v_cndmask_b32_e64 v14, v13, v14, s[0:1]
	v_fma_f32 v13, -v15, v13, v12
	v_cmp_lt_f32_e64 s[0:1], 0, v13
	v_cndmask_b32_e64 v13, v14, v15, s[0:1]
	v_mul_f32_e32 v14, 0x37800000, v13
	v_cndmask_b32_e32 v13, v13, v14, vcc
	v_cmp_class_f32_e32 vcc, v12, v71
	v_cndmask_b32_e32 v12, v13, v12, vcc
	v_cvt_f64_f32_e32 v[12:13], v12
	v_pk_mov_b32 v[14:15], v[26:27], v[26:27] op_sel:[0,1]
	v_fmac_f64_e32 v[14:15], s[48:49], v[12:13]
	v_cvt_f32_f64_e32 v80, v[14:15]
	v_cvt_f64_f32_e32 v[14:15], v80
	v_div_scale_f64 v[20:21], s[0:1], v[14:15], v[14:15], s[54:55]
	v_rcp_f64_e32 v[22:23], v[20:21]
	v_fmac_f64_e32 v[16:17], s[50:51], v[14:15]
	v_fmac_f64_e32 v[16:17], s[52:53], v[18:19]
	v_cvt_f32_f64_e32 v81, v[16:17]
	v_fma_f64 v[16:17], -v[20:21], v[22:23], 1.0
	v_fmac_f64_e32 v[22:23], v[22:23], v[16:17]
	v_fma_f64 v[16:17], -v[20:21], v[22:23], 1.0
	v_fmac_f64_e32 v[22:23], v[22:23], v[16:17]
	v_div_scale_f64 v[16:17], vcc, s[54:55], v[14:15], s[54:55]
	v_mul_f64 v[18:19], v[16:17], v[22:23]
	v_fma_f64 v[16:17], -v[20:21], v[18:19], v[16:17]
	v_div_scale_f32 v1, s[0:1], v30, v30, v0
	s_nop 0
	v_div_fmas_f64 v[16:17], v[16:17], v[22:23], v[18:19]
	v_rcp_f32_e32 v18, v1
	v_div_fixup_f64 v[16:17], v[16:17], v[14:15], s[54:55]
	v_add_f64 v[16:17], v[16:17], s[56:57]
	v_cvt_f32_f64_e32 v83, v[16:17]
	v_fma_f32 v16, -v1, v18, 1.0
	v_fmac_f32_e32 v18, v16, v18
	v_div_scale_f32 v16, vcc, v0, v30, v0
	v_mul_f32_e32 v17, v16, v18
	v_fma_f32 v19, -v1, v17, v16
	v_fmac_f32_e32 v17, v19, v18
	v_fma_f32 v1, -v1, v17, v16
	v_div_fmas_f32 v1, v1, v18, v17
	v_div_fixup_f32 v1, v1, v30, v0
	v_bfe_u32 v16, v1, 16, 1
	v_add3_u32 v20, v1, v16, s84
	v_div_scale_f64 v[16:17], s[0:1], v[14:15], v[14:15], s[46:47]
	v_rcp_f64_e32 v[18:19], v[16:17]
	v_and_b32_e32 v20, 0xffff0000, v20
	v_cmp_o_f32_e32 vcc, v1, v1
	v_cndmask_b32_e32 v84, v73, v20, vcc
	v_fma_f64 v[20:21], -v[16:17], v[18:19], 1.0
	v_fmac_f64_e32 v[18:19], v[18:19], v[20:21]
	v_fma_f64 v[20:21], -v[16:17], v[18:19], 1.0
	v_fmac_f64_e32 v[18:19], v[18:19], v[20:21]
	v_div_scale_f64 v[20:21], vcc, s[46:47], v[14:15], s[46:47]
	v_mul_f64 v[22:23], v[20:21], v[18:19]
	v_fma_f64 v[16:17], -v[16:17], v[22:23], v[20:21]
	v_add_f32_e32 v1, 1.0, v78
	s_nop 0
	v_div_fmas_f64 v[16:17], v[16:17], v[18:19], v[22:23]
	v_div_fixup_f64 v[14:15], v[16:17], v[14:15], s[46:47]
	v_bfe_u32 v16, v1, 16, 1
	v_add3_u32 v16, v1, v16, s84
	v_and_b32_e32 v16, 0xffff0000, v16
	v_cmp_o_f32_e32 vcc, v1, v1
	v_cndmask_b32_e32 v85, v73, v16, vcc
	v_mul_f32_e32 v0, v85, v0
	v_bfe_u32 v1, v0, 16, 1
	v_add3_u32 v1, v0, v1, s84
	v_and_b32_e32 v1, 0xffff0000, v1
	v_cmp_o_f32_e32 vcc, v0, v0
	v_cndmask_b32_e32 v0, v73, v1, vcc
	v_floor_f32_e32 v30, v0
	v_sub_f32_e32 v32, v78, v30
	v_add_f32_e32 v86, 1.0, v32
	v_add_f32_e32 v31, 1.0, v30
	v_mul_f32_e32 v16, v86, v84
	v_div_scale_f32 v17, s[0:1], v16, v16, v31
	v_rcp_f32_e32 v18, v17
	v_add_f64 v[0:1], v[14:15], s[58:59]
	v_mul_f64 v[0:1], v[0:1], v[12:13]
	v_cvt_f32_f64_e32 v87, v[0:1]
	v_fma_f32 v0, -v17, v18, 1.0
	v_fmac_f32_e32 v18, v0, v18
	v_div_scale_f32 v0, vcc, v31, v16, v31
	v_mul_f32_e32 v1, v0, v18
	v_fma_f32 v12, -v17, v1, v0
	v_fmac_f32_e32 v1, v12, v18
	v_fma_f32 v0, -v17, v1, v0
	v_div_fmas_f32 v0, v0, v18, v1
	v_div_fixup_f32 v0, v0, v16, v31
	v_cmp_gt_f32_e64 s[0:1], s87, v0
	v_cndmask_b32_e64 v1, 1.0, v74, s[0:1]
	v_mul_f32_e32 v0, v0, v1
	v_log_f32_e32 v22, v0
	v_mul_f32_e32 v12, v31, v31
	v_cvt_f64_f32_e32 v[12:13], v12
	s_mov_b32 s60, s62
	v_div_scale_f64 v[14:15], s[2:3], v[12:13], v[12:13], s[60:61]
	v_rcp_f64_e32 v[16:17], v[14:15]
	v_mul_f32_e32 v18, 0x3f317217, v22
	v_fma_f32 v19, v22, s88, -v18
	v_fmac_f32_e32 v19, 0x3377d1cf, v22
	v_add_f32_e32 v23, v18, v19
	v_fma_f64 v[18:19], -v[14:15], v[16:17], 1.0
	v_fmac_f64_e32 v[16:17], v[16:17], v[18:19]
	v_fma_f64 v[18:19], -v[14:15], v[16:17], 1.0
	v_fmac_f64_e32 v[16:17], v[16:17], v[18:19]
	v_div_scale_f64 v[18:19], vcc, s[60:61], v[12:13], s[60:61]
	v_mul_f64 v[20:21], v[18:19], v[16:17]
	v_fma_f64 v[14:15], -v[14:15], v[20:21], v[18:19]
	v_cvt_f64_f32_e32 v[0:1], v30
	s_nop 0
	v_div_fmas_f64 v[14:15], v[14:15], v[16:17], v[20:21]
	v_div_fixup_f64 v[14:15], v[14:15], v[12:13], s[60:61]
	v_add_f64 v[14:15], -v[14:15], s[64:65]
	v_div_scale_f64 v[16:17], s[2:3], v[12:13], v[12:13], v[14:15]
	v_rcp_f64_e32 v[18:19], v[16:17]
	v_cmp_lt_f32_e64 vcc, |v22|, s89
	v_cndmask_b32_e32 v20, v22, v23, vcc
	v_cndmask_b32_e64 v21, 0, v75, s[0:1]
	v_sub_f32_e32 v33, v20, v21
	v_fma_f64 v[20:21], -v[16:17], v[18:19], 1.0
	v_fmac_f64_e32 v[18:19], v[18:19], v[20:21]
	v_fma_f64 v[20:21], -v[16:17], v[18:19], 1.0
	v_fmac_f64_e32 v[18:19], v[18:19], v[20:21]
	v_div_scale_f64 v[20:21], vcc, v[14:15], v[12:13], v[14:15]
	v_mul_f64 v[22:23], v[20:21], v[18:19]
	v_fma_f64 v[16:17], -v[16:17], v[22:23], v[20:21]
	v_add_f64 v[0:1], v[0:1], 0.5
	s_nop 0
	v_div_fmas_f64 v[16:17], v[16:17], v[18:19], v[22:23]
	v_div_fixup_f64 v[12:13], v[16:17], v[12:13], v[14:15]
	v_add_f64 v[12:13], -v[12:13], s[66:67]
	v_cvt_f64_f32_e32 v[14:15], v31
	v_div_scale_f64 v[16:17], s[0:1], v[14:15], v[14:15], v[12:13]
	v_rcp_f64_e32 v[18:19], v[16:17]
	v_cvt_f64_f32_e32 v[20:21], v33
	v_mul_f64 v[0:1], v[0:1], v[20:21]
	v_cmp_gt_f32_e64 s[0:1], s85, v30
	v_fma_f64 v[20:21], -v[16:17], v[18:19], 1.0
	v_fmac_f64_e32 v[18:19], v[18:19], v[20:21]
	v_fma_f64 v[20:21], -v[16:17], v[18:19], 1.0
	v_fmac_f64_e32 v[18:19], v[18:19], v[20:21]
	v_div_scale_f64 v[20:21], vcc, v[12:13], v[14:15], v[12:13]
	v_mul_f64 v[22:23], v[20:21], v[18:19]
	v_fma_f64 v[16:17], -v[16:17], v[22:23], v[20:21]
	s_getpc_b64 s[4:5]
	s_add_u32 s4, s4, _ZZN12_GLOBAL__N_120stirling_approx_tailIfEET_S1_E11kTailValues.const@rel32@lo+4
	s_addc_u32 s5, s5, _ZZN12_GLOBAL__N_120stirling_approx_tailIfEET_S1_E11kTailValues.const@rel32@hi+12
	v_div_fmas_f64 v[16:17], v[16:17], v[18:19], v[22:23]
	v_div_fixup_f64 v[12:13], v[16:17], v[14:15], v[12:13]
	v_cvt_f32_f64_e32 v90, v[12:13]
	v_mul_f32_e32 v12, 0x2f800000, v30
	v_floor_f32_e32 v19, v12
	v_mul_f32_e32 v12, v86, v86
	v_cvt_f64_f32_e32 v[12:13], v12
	v_div_scale_f64 v[14:15], s[2:3], v[12:13], v[12:13], s[60:61]
	v_rcp_f64_e32 v[16:17], v[14:15]
	v_fmac_f32_e32 v30, 0xcf800000, v19
	v_cvt_u32_f32_e32 v18, v30
	v_cvt_u32_f32_e32 v19, v19
	v_fma_f64 v[20:21], -v[14:15], v[16:17], 1.0
	v_fmac_f64_e32 v[16:17], v[16:17], v[20:21]
	v_fma_f64 v[20:21], -v[14:15], v[16:17], 1.0
	v_fmac_f64_e32 v[16:17], v[16:17], v[20:21]
	v_div_scale_f64 v[20:21], vcc, s[60:61], v[12:13], s[60:61]
	v_mul_f64 v[22:23], v[20:21], v[16:17]
	v_fma_f64 v[14:15], -v[14:15], v[22:23], v[20:21]
	v_lshlrev_b64 v[18:19], 2, v[18:19]
	s_nop 0
	v_div_fmas_f64 v[14:15], v[14:15], v[16:17], v[22:23]
	v_div_fixup_f64 v[14:15], v[14:15], v[12:13], s[60:61]
	v_add_f64 v[14:15], -v[14:15], s[64:65]
	v_div_scale_f64 v[16:17], s[2:3], v[12:13], v[12:13], v[14:15]
	v_rcp_f64_e32 v[20:21], v[16:17]
	v_mov_b32_e32 v33, s5
	v_add_f32_e32 v88, v81, v81
	s_mov_b64 s[74:75], 0
	v_fma_f64 v[22:23], -v[16:17], v[20:21], 1.0
	v_fmac_f64_e32 v[20:21], v[20:21], v[22:23]
	v_fma_f64 v[22:23], -v[16:17], v[20:21], 1.0
	v_fmac_f64_e32 v[20:21], v[20:21], v[22:23]
	v_div_scale_f64 v[22:23], vcc, v[14:15], v[12:13], v[14:15]
	v_mul_f64 v[30:31], v[22:23], v[20:21]
	v_fma_f64 v[16:17], -v[16:17], v[30:31], v[22:23]
	s_mov_b64 s[78:79], 0
	s_nop 0
	v_div_fmas_f64 v[16:17], v[16:17], v[20:21], v[30:31]
	v_div_fixup_f64 v[12:13], v[16:17], v[12:13], v[14:15]
	v_add_f64 v[12:13], -v[12:13], s[66:67]
	v_cvt_f64_f32_e32 v[14:15], v86
	v_div_scale_f64 v[16:17], s[2:3], v[14:15], v[14:15], v[12:13]
	v_rcp_f64_e32 v[20:21], v[16:17]
	v_add_co_u32_e32 v30, vcc, s4, v18
	v_addc_co_u32_e32 v31, vcc, v19, v33, vcc
	v_fma_f64 v[18:19], -v[16:17], v[20:21], 1.0
	v_fmac_f64_e32 v[20:21], v[20:21], v[18:19]
	v_fma_f64 v[18:19], -v[16:17], v[20:21], 1.0
	v_fmac_f64_e32 v[20:21], v[20:21], v[18:19]
	v_div_scale_f64 v[18:19], vcc, v[12:13], v[14:15], v[12:13]
	v_mul_f64 v[22:23], v[18:19], v[20:21]
	v_fma_f64 v[16:17], -v[16:17], v[22:23], v[18:19]
	v_trunc_f32_e32 v18, v32
	v_mul_f32_e32 v19, 0x2f800000, v18
	v_floor_f32_e32 v19, v19
	v_fmac_f32_e32 v18, 0xcf800000, v19
	v_cvt_u32_f32_e32 v18, v18
	v_cvt_u32_f32_e32 v19, v19
	v_div_fmas_f64 v[16:17], v[16:17], v[20:21], v[22:23]
	v_div_fixup_f64 v[12:13], v[16:17], v[14:15], v[12:13]
	v_cvt_f32_f64_e32 v91, v[12:13]
	v_lshlrev_b64 v[12:13], 2, v[18:19]
	v_cmp_gt_f32_e64 s[2:3], s85, v32
	v_add_co_u32_e32 v32, vcc, s4, v12
	v_pk_mov_b32 v[18:19], v[10:11], v[10:11] op_sel:[0,1]
	v_addc_co_u32_e32 v33, vcc, v13, v33, vcc
	v_pk_mov_b32 v[16:17], v[8:9], v[8:9] op_sel:[0,1]
                                        ; implicit-def: $sgpr72_sgpr73
                                        ; implicit-def: $sgpr76_sgpr77
	s_branch .LBB108_83
.LBB108_81:                             ;   in Loop: Header=BB108_83 Depth=2
	s_or_b64 exec, exec, s[4:5]
	v_bfe_u32 v94, v79, 16, 1
	v_add3_u32 v94, v79, v94, s84
	v_and_b32_e32 v94, 0xffff0000, v94
	v_cmp_o_f32_e32 vcc, v79, v79
	v_cndmask_b32_e32 v79, v73, v94, vcc
	v_div_scale_f32 v94, s[4:5], v79, v79, v86
	v_rcp_f32_e32 v95, v94
	s_andn2_b64 s[76:77], s[76:77], exec
	v_fma_f32 v96, -v94, v95, 1.0
	v_fmac_f32_e32 v95, v96, v95
	v_div_scale_f32 v96, vcc, v86, v79, v86
	v_mul_f32_e32 v97, v96, v95
	v_fma_f32 v98, -v94, v97, v96
	v_fmac_f32_e32 v97, v98, v95
	v_fma_f32 v94, -v94, v97, v96
	v_div_fmas_f32 v94, v94, v95, v97
	v_div_fixup_f32 v94, v94, v79, v86
	v_cmp_gt_f32_e32 vcc, s87, v94
	v_cndmask_b32_e32 v95, 1.0, v74, vcc
	v_mul_f32_e32 v94, v94, v95
	v_log_f32_e32 v94, v94
	v_mul_f32_e32 v79, v84, v79
	v_mul_f32_e32 v95, 0x3f317217, v94
	v_fma_f32 v96, v94, s88, -v95
	v_fmac_f32_e32 v96, 0x3377d1cf, v94
	v_add_f32_e32 v95, v95, v96
	v_bfe_u32 v96, v22, 16, 1
	v_cmp_lt_f32_e64 s[4:5], |v94|, s89
	v_add3_u32 v96, v22, v96, s84
	v_cndmask_b32_e64 v94, v94, v95, s[4:5]
	v_cndmask_b32_e32 v95, 0, v75, vcc
	v_and_b32_e32 v96, 0xffff0000, v96
	v_cmp_o_f32_e32 vcc, v22, v22
	v_cndmask_b32_e32 v22, v73, v96, vcc
	v_div_scale_f32 v96, s[4:5], v22, v22, v79
	v_rcp_f32_e32 v97, v96
	v_sub_f32_e32 v94, v94, v95
	v_mul_f32_e32 v94, v85, v94
	v_cvt_f64_f32_e32 v[94:95], v94
	v_fma_f32 v98, -v96, v97, 1.0
	v_fmac_f32_e32 v97, v98, v97
	v_div_scale_f32 v98, vcc, v79, v22, v79
	v_mul_f32_e32 v99, v98, v97
	v_fma_f32 v100, -v96, v99, v98
	v_fmac_f32_e32 v99, v100, v97
	v_fma_f32 v96, -v96, v99, v98
	v_div_fmas_f32 v96, v96, v97, v99
	v_div_fixup_f32 v22, v96, v22, v79
	v_cmp_gt_f32_e32 vcc, s87, v22
	v_cndmask_b32_e32 v79, 1.0, v74, vcc
	v_mul_f32_e32 v22, v22, v79
	v_log_f32_e32 v22, v22
	v_cvt_f64_f32_e32 v[96:97], v92
	v_add_f64 v[94:95], v[0:1], v[94:95]
	v_add_f64 v[96:97], v[96:97], 0.5
	v_mul_f32_e32 v79, 0x3f317217, v22
	v_fma_f32 v98, v22, s88, -v79
	v_fmac_f32_e32 v98, 0x3377d1cf, v22
	v_add_f32_e32 v79, v79, v98
	v_cmp_lt_f32_e64 s[4:5], |v22|, s89
	v_cndmask_b32_e64 v22, v22, v79, s[4:5]
	v_cndmask_b32_e32 v79, 0, v75, vcc
	v_sub_f32_e32 v22, v22, v79
	v_mul_f32_e32 v79, v93, v93
	v_div_scale_f32 v93, s[4:5], v79, v79, v81
	v_rcp_f32_e32 v100, v93
	v_cvt_f64_f32_e32 v[98:99], v22
	v_mul_f32_e32 v22, v16, v87
	v_fmac_f64_e32 v[94:95], v[96:97], v[98:99]
	v_fma_f32 v16, -v93, v100, 1.0
	v_fmac_f32_e32 v100, v16, v100
	v_div_scale_f32 v16, vcc, v81, v79, v81
	v_mul_f32_e32 v96, v16, v100
	v_fma_f32 v97, -v93, v96, v16
	v_fmac_f32_e32 v96, v97, v100
	v_fma_f32 v16, -v93, v96, v16
	v_div_fmas_f32 v16, v16, v100, v96
	v_div_fixup_f32 v16, v16, v79, v81
	v_add_f32_e32 v79, v16, v80
	v_div_scale_f32 v93, s[4:5], v79, v79, v22
	v_rcp_f32_e32 v96, v93
	s_waitcnt vmcnt(0)
	v_cvt_f64_f32_e32 v[16:17], v17
	v_add_f64 v[16:17], v[94:95], v[16:17]
	v_cvt_f64_f32_e32 v[94:95], v18
	v_fma_f32 v18, -v93, v96, 1.0
	v_fmac_f32_e32 v96, v18, v96
	v_div_scale_f32 v18, vcc, v22, v79, v22
	v_mul_f32_e32 v97, v18, v96
	v_fma_f32 v98, -v93, v97, v18
	v_fmac_f32_e32 v97, v98, v96
	v_fma_f32 v18, -v93, v97, v18
	v_div_fmas_f32 v18, v18, v96, v97
	v_div_fixup_f32 v18, v18, v79, v22
	v_cmp_gt_f32_e32 vcc, s87, v18
	v_cndmask_b32_e32 v22, 1.0, v74, vcc
	v_mul_f32_e32 v18, v18, v22
	v_log_f32_e32 v22, v18
	v_add_f64 v[16:17], v[16:17], v[94:95]
	v_cvt_f64_f32_e32 v[18:19], v19
	v_add_f64 v[16:17], v[16:17], -v[18:19]
	v_mul_f32_e32 v18, 0x3f317217, v22
	v_fma_f32 v19, v22, s88, -v18
	v_fmac_f32_e32 v19, 0x3377d1cf, v22
	v_add_f32_e32 v18, v18, v19
	v_cmp_lt_f32_e64 s[4:5], |v22|, s89
	v_cndmask_b32_e64 v18, v22, v18, s[4:5]
	v_cndmask_b32_e32 v19, 0, v75, vcc
	v_sub_f32_e32 v22, v18, v19
	v_cvt_f64_f32_e32 v[18:19], v23
	v_add_f64 v[16:17], v[16:17], -v[18:19]
	v_cvt_f32_f64_e32 v16, v[16:17]
	v_cmp_le_f32_e32 vcc, v22, v16
	s_orn2_b64 s[4:5], vcc, exec
.LBB108_82:                             ;   in Loop: Header=BB108_83 Depth=2
	s_or_b64 exec, exec, s[78:79]
	s_and_b64 s[4:5], exec, s[4:5]
	s_or_b64 s[74:75], s[4:5], s[74:75]
	s_andn2_b64 s[4:5], s[72:73], exec
	s_and_b64 s[72:73], s[76:77], exec
	v_pk_mov_b32 v[18:19], v[14:15], v[14:15] op_sel:[0,1]
	s_or_b64 s[72:73], s[4:5], s[72:73]
	s_mov_b64 s[78:79], 0
	v_mov_b32_e32 v79, v89
	v_pk_mov_b32 v[16:17], v[12:13], v[12:13] op_sel:[0,1]
	s_andn2_b64 exec, exec, s[74:75]
	s_cbranch_execz .LBB108_101
.LBB108_83:                             ;   Parent Loop BB108_27 Depth=1
                                        ; =>  This Inner Loop Header: Depth=2
	v_add_u32_e32 v94, 1, v79
	v_pk_mov_b32 v[22:23], v[18:19], v[18:19] op_sel:[0,1]
	v_cmp_eq_u32_e32 vcc, 4, v94
	v_pk_mov_b32 v[20:21], v[16:17], v[16:17] op_sel:[0,1]
	s_and_saveexec_b64 s[4:5], vcc
	s_cbranch_execz .LBB108_85
; %bb.84:                               ;   in Loop: Header=BB108_83 Depth=2
	v_add_co_u32_e32 v4, vcc, 1, v4
	v_cndmask_b32_e64 v8, 0, 1, vcc
	v_addc_co_u32_e32 v5, vcc, 0, v5, vcc
	v_cmp_eq_u32_e32 vcc, 0, v5
	v_cndmask_b32_e32 v8, 0, v8, vcc
	v_add_u32_e32 v6, v8, v6
	v_cmp_eq_u32_e32 vcc, 0, v6
	v_cndmask_b32_e32 v8, 0, v8, vcc
	v_add_u32_e32 v7, v8, v7
	v_mad_u64_u32 v[8:9], s[94:95], v4, s82, 0
	v_mad_u64_u32 v[10:11], s[94:95], v6, s83, 0
	v_xor_b32_e32 v11, v11, v24
	v_xor_b32_e32 v9, v9, v25
	v_xor_b32_e32 v11, v5, v11
	v_xor_b32_e32 v9, v7, v9
	v_mad_u64_u32 v[12:13], s[94:95], v11, s82, 0
	v_mad_u64_u32 v[14:15], s[94:95], v9, s83, 0
	v_xor_b32_e32 v9, v15, v10
	v_xor_b32_e32 v8, v13, v8
	v_xor_b32_e32 v9, v55, v9
	v_xor_b32_e32 v10, v56, v8
	;; [unrolled: 6-line block ×9, first 2 shown]
	v_mad_u64_u32 v[12:13], s[94:95], v9, s82, 0
	v_mad_u64_u32 v[14:15], s[94:95], v11, s83, 0
	v_xor_b32_e32 v9, v13, v10
	v_xor_b32_e32 v8, v15, v8
	;; [unrolled: 1-line block ×3, first 2 shown]
	v_mov_b32_e32 v11, v12
	v_xor_b32_e32 v8, v53, v8
	v_mov_b32_e32 v9, v14
	v_pk_mov_b32 v[22:23], v[10:11], v[10:11] op_sel:[0,1]
	v_mov_b32_e32 v94, 0
	v_pk_mov_b32 v[20:21], v[8:9], v[8:9] op_sel:[0,1]
.LBB108_85:                             ;   in Loop: Header=BB108_83 Depth=2
	s_or_b64 exec, exec, s[4:5]
	v_add_u32_e32 v89, 1, v94
	v_pk_mov_b32 v[12:13], v[20:21], v[20:21] op_sel:[0,1]
	v_cmp_eq_u32_e32 vcc, 4, v89
	v_pk_mov_b32 v[14:15], v[22:23], v[22:23] op_sel:[0,1]
	s_and_saveexec_b64 s[4:5], vcc
	s_cbranch_execz .LBB108_87
; %bb.86:                               ;   in Loop: Header=BB108_83 Depth=2
	v_add_co_u32_e32 v4, vcc, 1, v4
	v_cndmask_b32_e64 v8, 0, 1, vcc
	v_addc_co_u32_e32 v5, vcc, 0, v5, vcc
	v_cmp_eq_u32_e32 vcc, 0, v5
	v_cndmask_b32_e32 v8, 0, v8, vcc
	v_add_u32_e32 v6, v8, v6
	v_cmp_eq_u32_e32 vcc, 0, v6
	v_cndmask_b32_e32 v8, 0, v8, vcc
	v_add_u32_e32 v7, v8, v7
	v_mad_u64_u32 v[8:9], s[94:95], v4, s82, 0
	v_mad_u64_u32 v[10:11], s[94:95], v6, s83, 0
	v_xor_b32_e32 v11, v11, v24
	v_xor_b32_e32 v9, v9, v25
	v_xor_b32_e32 v11, v5, v11
	v_xor_b32_e32 v9, v7, v9
	v_mad_u64_u32 v[12:13], s[94:95], v11, s82, 0
	v_mad_u64_u32 v[14:15], s[94:95], v9, s83, 0
	v_xor_b32_e32 v9, v15, v10
	v_xor_b32_e32 v8, v13, v8
	v_xor_b32_e32 v9, v55, v9
	v_xor_b32_e32 v10, v56, v8
	;; [unrolled: 6-line block ×9, first 2 shown]
	v_mad_u64_u32 v[12:13], s[94:95], v9, s82, 0
	v_mad_u64_u32 v[14:15], s[94:95], v11, s83, 0
	v_xor_b32_e32 v9, v13, v10
	v_xor_b32_e32 v8, v15, v8
	v_xor_b32_e32 v10, v54, v9
	v_mov_b32_e32 v11, v12
	v_xor_b32_e32 v8, v53, v8
	v_mov_b32_e32 v9, v14
	v_pk_mov_b32 v[14:15], v[10:11], v[10:11] op_sel:[0,1]
	v_mov_b32_e32 v89, 0
	v_pk_mov_b32 v[12:13], v[8:9], v[8:9] op_sel:[0,1]
.LBB108_87:                             ;   in Loop: Header=BB108_83 Depth=2
	s_or_b64 exec, exec, s[4:5]
	v_cmp_eq_u32_e32 vcc, 1, v79
	v_cndmask_b32_e32 v16, v16, v17, vcc
	v_cmp_eq_u32_e32 vcc, 2, v79
	v_cndmask_b32_e32 v16, v16, v18, vcc
	;; [unrolled: 2-line block ×3, first 2 shown]
	v_and_b32_e32 v16, 0xffffff, v16
	v_cvt_f32_u32_e32 v16, v16
	v_fma_f32 v16, v16, s90, -0.5
	v_sub_f32_e64 v93, 0.5, |v16|
	v_div_scale_f32 v17, s[4:5], v93, v93, v88
	v_rcp_f32_e32 v18, v17
	v_div_scale_f32 v19, vcc, v88, v93, v88
	v_fma_f32 v79, -v17, v18, 1.0
	v_fmac_f32_e32 v18, v79, v18
	v_mul_f32_e32 v79, v19, v18
	v_fma_f32 v92, -v17, v79, v19
	v_fmac_f32_e32 v79, v92, v18
	v_fma_f32 v17, -v17, v79, v19
	v_div_fmas_f32 v17, v17, v18, v79
	v_div_fixup_f32 v17, v17, v93, v88
	v_add_f32_e32 v17, v17, v80
	v_fma_f32 v16, v16, v17, v82
	v_floor_f32_e32 v16, v16
	v_bfe_u32 v17, v16, 16, 1
	v_add3_u32 v17, v16, v17, s84
	v_and_b32_e32 v17, 0xffff0000, v17
	v_cmp_o_f32_e32 vcc, v16, v16
	v_cndmask_b32_e32 v92, v73, v17, vcc
	v_cmp_ngt_f32_e32 vcc, 0, v92
	v_cmp_ngt_f32_e64 s[4:5], v92, v78
	s_and_b64 s[4:5], vcc, s[4:5]
	s_and_b64 s[4:5], exec, s[4:5]
	v_pk_mov_b32 v[18:19], v[14:15], v[14:15] op_sel:[0,1]
	s_or_b64 s[78:79], s[4:5], s[78:79]
	v_mov_b32_e32 v79, v89
	v_pk_mov_b32 v[16:17], v[12:13], v[12:13] op_sel:[0,1]
	s_andn2_b64 exec, exec, s[78:79]
	s_cbranch_execnz .LBB108_83
; %bb.88:                               ;   in Loop: Header=BB108_83 Depth=2
	s_or_b64 exec, exec, s[78:79]
	v_cmp_eq_u32_e32 vcc, 1, v94
	v_cndmask_b32_e32 v16, v20, v21, vcc
	v_cmp_eq_u32_e32 vcc, 2, v94
	v_cndmask_b32_e32 v16, v16, v22, vcc
	;; [unrolled: 2-line block ×3, first 2 shown]
	v_and_b32_e32 v16, 0xffffff, v16
	v_cvt_f32_u32_e32 v16, v16
	v_cvt_f64_f32_e32 v[18:19], v93
	v_cmp_nle_f64_e32 vcc, s[68:69], v[18:19]
	s_or_b64 s[76:77], s[76:77], exec
	v_mul_f32_e32 v16, 0x33800000, v16
	v_cmp_nle_f32_e64 s[4:5], v16, v83
	s_or_b64 s[94:95], vcc, s[4:5]
	s_mov_b64 s[4:5], -1
                                        ; implicit-def: $vgpr21
                                        ; implicit-def: $vgpr20
	s_and_saveexec_b64 s[78:79], s[94:95]
	s_cbranch_execz .LBB108_82
; %bb.89:                               ;   in Loop: Header=BB108_83 Depth=2
	v_mov_b32_e32 v17, v90
	s_and_saveexec_b64 s[4:5], s[0:1]
	s_cbranch_execz .LBB108_91
; %bb.90:                               ;   in Loop: Header=BB108_83 Depth=2
	global_load_dword v17, v[30:31], off
.LBB108_91:                             ;   in Loop: Header=BB108_83 Depth=2
	s_or_b64 exec, exec, s[4:5]
	v_mov_b32_e32 v18, v91
	s_and_saveexec_b64 s[4:5], s[2:3]
	s_cbranch_execz .LBB108_93
; %bb.92:                               ;   in Loop: Header=BB108_83 Depth=2
	global_load_dword v18, v[32:33], off
.LBB108_93:                             ;   in Loop: Header=BB108_83 Depth=2
	s_or_b64 exec, exec, s[4:5]
	v_add_f32_e32 v22, 1.0, v92
	v_cmp_ngt_f32_e32 vcc, s85, v92
                                        ; implicit-def: $vgpr19
	s_and_saveexec_b64 s[4:5], vcc
	s_xor_b64 s[4:5], exec, s[4:5]
	s_cbranch_execz .LBB108_95
; %bb.94:                               ;   in Loop: Header=BB108_83 Depth=2
	v_mul_f32_e32 v19, v22, v22
	v_cvt_f64_f32_e32 v[20:21], v19
	v_div_scale_f64 v[94:95], s[94:95], v[20:21], v[20:21], s[62:63]
	v_rcp_f64_e32 v[96:97], v[94:95]
	v_div_scale_f64 v[98:99], vcc, s[62:63], v[20:21], s[62:63]
	v_fma_f64 v[100:101], -v[94:95], v[96:97], 1.0
	v_fmac_f64_e32 v[96:97], v[96:97], v[100:101]
	v_fma_f64 v[100:101], -v[94:95], v[96:97], 1.0
	v_fmac_f64_e32 v[96:97], v[96:97], v[100:101]
	v_mul_f64 v[100:101], v[98:99], v[96:97]
	v_fma_f64 v[94:95], -v[94:95], v[100:101], v[98:99]
	v_div_fmas_f64 v[94:95], v[94:95], v[96:97], v[100:101]
	v_div_fixup_f64 v[94:95], v[94:95], v[20:21], s[62:63]
	v_add_f64 v[94:95], v[94:95], s[64:65]
	v_div_scale_f64 v[96:97], s[94:95], v[20:21], v[20:21], v[94:95]
	v_rcp_f64_e32 v[98:99], v[96:97]
	v_fma_f64 v[100:101], -v[96:97], v[98:99], 1.0
	v_fmac_f64_e32 v[98:99], v[98:99], v[100:101]
	v_fma_f64 v[100:101], -v[96:97], v[98:99], 1.0
	v_fmac_f64_e32 v[98:99], v[98:99], v[100:101]
	v_div_scale_f64 v[100:101], vcc, v[94:95], v[20:21], v[94:95]
	v_mul_f64 v[102:103], v[100:101], v[98:99]
	v_fma_f64 v[96:97], -v[96:97], v[102:103], v[100:101]
	s_nop 1
	v_div_fmas_f64 v[96:97], v[96:97], v[98:99], v[102:103]
	v_div_fixup_f64 v[20:21], v[96:97], v[20:21], v[94:95]
	v_add_f64 v[20:21], -v[20:21], s[66:67]
	v_cvt_f64_f32_e32 v[94:95], v22
	v_div_scale_f64 v[96:97], s[94:95], v[94:95], v[94:95], v[20:21]
	v_rcp_f64_e32 v[98:99], v[96:97]
	v_fma_f64 v[100:101], -v[96:97], v[98:99], 1.0
	v_fmac_f64_e32 v[98:99], v[98:99], v[100:101]
	v_fma_f64 v[100:101], -v[96:97], v[98:99], 1.0
	v_fmac_f64_e32 v[98:99], v[98:99], v[100:101]
	v_div_scale_f64 v[100:101], vcc, v[20:21], v[94:95], v[20:21]
	v_mul_f64 v[102:103], v[100:101], v[98:99]
	v_fma_f64 v[96:97], -v[96:97], v[102:103], v[100:101]
	s_nop 1
	v_div_fmas_f64 v[96:97], v[96:97], v[98:99], v[102:103]
	v_div_fixup_f64 v[20:21], v[96:97], v[94:95], v[20:21]
	v_cvt_f32_f64_e32 v19, v[20:21]
.LBB108_95:                             ;   in Loop: Header=BB108_83 Depth=2
	s_andn2_saveexec_b64 s[4:5], s[4:5]
	s_cbranch_execz .LBB108_97
; %bb.96:                               ;   in Loop: Header=BB108_83 Depth=2
	v_trunc_f32_e32 v19, v92
	v_mul_f32_e32 v20, 0x2f800000, v19
	v_floor_f32_e32 v20, v20
	v_fmac_f32_e32 v19, 0xcf800000, v20
	v_cvt_u32_f32_e32 v21, v20
	v_cvt_u32_f32_e32 v20, v19
	s_getpc_b64 s[94:95]
	s_add_u32 s94, s94, _ZZN12_GLOBAL__N_120stirling_approx_tailIfEET_S1_E11kTailValues.const@rel32@lo+4
	s_addc_u32 s95, s95, _ZZN12_GLOBAL__N_120stirling_approx_tailIfEET_S1_E11kTailValues.const@rel32@hi+12
	v_mov_b32_e32 v19, s95
	v_lshlrev_b64 v[20:21], 2, v[20:21]
	v_add_co_u32_e32 v20, vcc, s94, v20
	v_addc_co_u32_e32 v21, vcc, v21, v19, vcc
	global_load_dword v19, v[20:21], off
.LBB108_97:                             ;   in Loop: Header=BB108_83 Depth=2
	s_or_b64 exec, exec, s[4:5]
	v_sub_f32_e32 v20, v78, v92
	v_bfe_u32 v21, v20, 16, 1
	v_add3_u32 v21, v20, v21, s84
	v_and_b32_e32 v23, 0xffff0000, v21
	v_cmp_o_f32_e32 vcc, v20, v20
	v_cndmask_b32_e32 v94, v73, v23, vcc
	v_add_f32_e32 v79, 1.0, v94
	v_cmp_ngt_f32_e32 vcc, s85, v94
                                        ; implicit-def: $vgpr23
	s_and_saveexec_b64 s[4:5], vcc
	s_xor_b64 s[4:5], exec, s[4:5]
	s_cbranch_execz .LBB108_99
; %bb.98:                               ;   in Loop: Header=BB108_83 Depth=2
	v_mul_f32_e32 v23, v79, v79
	v_cvt_f64_f32_e32 v[94:95], v23
	v_div_scale_f64 v[96:97], s[94:95], v[94:95], v[94:95], s[62:63]
	v_rcp_f64_e32 v[98:99], v[96:97]
	v_div_scale_f64 v[100:101], vcc, s[62:63], v[94:95], s[62:63]
	v_fma_f64 v[102:103], -v[96:97], v[98:99], 1.0
	v_fmac_f64_e32 v[98:99], v[98:99], v[102:103]
	v_fma_f64 v[102:103], -v[96:97], v[98:99], 1.0
	v_fmac_f64_e32 v[98:99], v[98:99], v[102:103]
	v_mul_f64 v[102:103], v[100:101], v[98:99]
	v_fma_f64 v[96:97], -v[96:97], v[102:103], v[100:101]
	v_div_fmas_f64 v[96:97], v[96:97], v[98:99], v[102:103]
	v_div_fixup_f64 v[96:97], v[96:97], v[94:95], s[62:63]
	v_add_f64 v[96:97], v[96:97], s[64:65]
	v_div_scale_f64 v[98:99], s[94:95], v[94:95], v[94:95], v[96:97]
	v_rcp_f64_e32 v[100:101], v[98:99]
	v_fma_f64 v[102:103], -v[98:99], v[100:101], 1.0
	v_fmac_f64_e32 v[100:101], v[100:101], v[102:103]
	v_fma_f64 v[102:103], -v[98:99], v[100:101], 1.0
	v_fmac_f64_e32 v[100:101], v[100:101], v[102:103]
	v_div_scale_f64 v[102:103], vcc, v[96:97], v[94:95], v[96:97]
	v_mul_f64 v[104:105], v[102:103], v[100:101]
	v_fma_f64 v[98:99], -v[98:99], v[104:105], v[102:103]
	s_nop 1
	v_div_fmas_f64 v[98:99], v[98:99], v[100:101], v[104:105]
	v_div_fixup_f64 v[94:95], v[98:99], v[94:95], v[96:97]
	v_add_f64 v[94:95], -v[94:95], s[66:67]
	v_cvt_f64_f32_e32 v[96:97], v79
	v_div_scale_f64 v[98:99], s[94:95], v[96:97], v[96:97], v[94:95]
	v_rcp_f64_e32 v[100:101], v[98:99]
	v_fma_f64 v[102:103], -v[98:99], v[100:101], 1.0
	v_fmac_f64_e32 v[100:101], v[100:101], v[102:103]
	v_fma_f64 v[102:103], -v[98:99], v[100:101], 1.0
	v_fmac_f64_e32 v[100:101], v[100:101], v[102:103]
	v_div_scale_f64 v[102:103], vcc, v[94:95], v[96:97], v[94:95]
	v_mul_f64 v[104:105], v[102:103], v[100:101]
	v_fma_f64 v[98:99], -v[98:99], v[104:105], v[102:103]
	s_nop 1
	v_div_fmas_f64 v[98:99], v[98:99], v[100:101], v[104:105]
	v_div_fixup_f64 v[94:95], v[98:99], v[96:97], v[94:95]
	v_cvt_f32_f64_e32 v23, v[94:95]
                                        ; implicit-def: $vgpr94
.LBB108_99:                             ;   in Loop: Header=BB108_83 Depth=2
	s_andn2_saveexec_b64 s[4:5], s[4:5]
	s_cbranch_execz .LBB108_81
; %bb.100:                              ;   in Loop: Header=BB108_83 Depth=2
	v_trunc_f32_e32 v23, v94
	v_mul_f32_e32 v94, 0x2f800000, v23
	v_floor_f32_e32 v94, v94
	v_fmac_f32_e32 v23, 0xcf800000, v94
	v_cvt_u32_f32_e32 v95, v94
	v_cvt_u32_f32_e32 v94, v23
	s_getpc_b64 s[94:95]
	s_add_u32 s94, s94, _ZZN12_GLOBAL__N_120stirling_approx_tailIfEET_S1_E11kTailValues.const@rel32@lo+4
	s_addc_u32 s95, s95, _ZZN12_GLOBAL__N_120stirling_approx_tailIfEET_S1_E11kTailValues.const@rel32@hi+12
	v_mov_b32_e32 v23, s95
	v_lshlrev_b64 v[94:95], 2, v[94:95]
	v_add_co_u32_e32 v94, vcc, s94, v94
	v_addc_co_u32_e32 v95, vcc, v95, v23, vcc
	global_load_dword v23, v[94:95], off
	s_branch .LBB108_81
.LBB108_101:                            ;   in Loop: Header=BB108_27 Depth=1
	s_or_b64 exec, exec, s[74:75]
	s_and_saveexec_b64 s[0:1], s[72:73]
	s_xor_b64 s[0:1], exec, s[0:1]
; %bb.102:                              ;   in Loop: Header=BB108_27 Depth=1
	v_sub_f32_e32 v20, v78, v92
	v_bfe_u32 v0, v20, 16, 1
	v_add3_u32 v21, v20, v0, s84
; %bb.103:                              ;   in Loop: Header=BB108_27 Depth=1
	s_or_b64 exec, exec, s[0:1]
	v_lshrrev_b32_e32 v0, 16, v21
	v_cmp_o_f32_e32 vcc, v20, v20
	v_cndmask_b32_e32 v88, v76, v0, vcc
                                        ; implicit-def: $vgpr78
                                        ; implicit-def: $vgpr79
                                        ; implicit-def: $vgpr0
.LBB108_104:                            ;   in Loop: Header=BB108_27 Depth=1
	s_andn2_saveexec_b64 s[2:3], s[70:71]
	s_cbranch_execz .LBB108_21
; %bb.105:                              ;   in Loop: Header=BB108_27 Depth=1
	v_xor_b32_e32 v1, 0x80000000, v0
	v_bfe_u32 v12, v1, 16, 1
	v_add3_u32 v1, v1, v12, s84
	v_and_b32_e32 v12, 0xffff0000, v1
	v_cmp_o_f32_e32 vcc, v0, v0
	v_cndmask_b32_e32 v13, v73, v12, vcc
	v_add_f32_e32 v14, 1.0, v13
	v_add_f32_e32 v0, -1.0, v14
	v_sub_f32_e32 v1, v0, v14
	v_add_f32_e32 v1, 1.0, v1
	v_sub_f32_e32 v0, v13, v0
	v_add_f32_e32 v15, v0, v1
	v_frexp_mant_f32_e32 v16, v14
	v_cvt_f64_f32_e32 v[0:1], v14
	v_frexp_exp_i32_f64_e32 v0, v[0:1]
	v_cmp_gt_f32_e64 s[0:1], s91, v16
	v_subbrev_co_u32_e64 v0, s[0:1], 0, v0, s[0:1]
	v_sub_u32_e32 v1, 0, v0
	v_ldexp_f32 v14, v14, v1
	v_ldexp_f32 v1, v15, v1
	v_add_f32_e32 v15, -1.0, v14
	v_add_f32_e32 v18, 1.0, v14
	v_add_f32_e32 v16, 1.0, v15
	v_add_f32_e32 v19, -1.0, v18
	v_sub_f32_e32 v16, v14, v16
	v_sub_f32_e32 v14, v14, v19
	v_add_f32_e32 v16, v1, v16
	v_add_f32_e32 v1, v1, v14
	;; [unrolled: 1-line block ×3, first 2 shown]
	v_rcp_f32_e32 v19, v14
	v_add_f32_e32 v17, v15, v16
	v_sub_f32_e32 v15, v17, v15
	v_sub_f32_e32 v15, v16, v15
	;; [unrolled: 1-line block ×4, first 2 shown]
	v_mul_f32_e32 v16, v17, v19
	v_mul_f32_e32 v18, v14, v16
	v_fma_f32 v20, v16, v14, -v18
	v_fmac_f32_e32 v20, v16, v1
	v_add_f32_e32 v21, v18, v20
	v_sub_f32_e32 v22, v17, v21
	v_sub_f32_e32 v17, v17, v22
	;; [unrolled: 1-line block ×4, first 2 shown]
	v_add_f32_e32 v15, v15, v17
	v_sub_f32_e32 v17, v18, v20
	v_add_f32_e32 v15, v17, v15
	v_add_f32_e32 v17, v22, v15
	v_mul_f32_e32 v18, v19, v17
	v_mul_f32_e32 v20, v14, v18
	v_fma_f32 v14, v18, v14, -v20
	v_fmac_f32_e32 v14, v18, v1
	v_sub_f32_e32 v1, v22, v17
	v_add_f32_e32 v1, v15, v1
	v_add_f32_e32 v15, v20, v14
	v_sub_f32_e32 v21, v17, v15
	v_sub_f32_e32 v17, v17, v21
	v_sub_f32_e32 v20, v15, v20
	v_sub_f32_e32 v15, v17, v15
	v_add_f32_e32 v1, v1, v15
	v_sub_f32_e32 v14, v20, v14
	v_cvt_f32_i32_e32 v0, v0
	v_add_f32_e32 v1, v14, v1
	v_add_f32_e32 v14, v16, v18
	;; [unrolled: 1-line block ×3, first 2 shown]
	v_sub_f32_e32 v15, v14, v16
	v_mul_f32_e32 v1, v19, v1
	v_sub_f32_e32 v15, v18, v15
	v_add_f32_e32 v1, v15, v1
	v_mul_f32_e32 v18, 0x3f317218, v0
	v_add_f32_e32 v15, v14, v1
	v_fma_f32 v19, v0, s92, -v18
	v_mul_f32_e32 v16, v15, v15
	v_mov_b32_e32 v17, 0x3ecc95a3
	v_fmac_f32_e32 v19, 0xb102e308, v0
	v_sub_f32_e32 v0, v15, v14
	v_fmac_f32_e32 v17, 0x3e9b6dac, v16
	v_sub_f32_e32 v0, v1, v0
	v_add_f32_e32 v1, v18, v19
	v_fma_f32 v17, v16, v17, v72
	v_sub_f32_e32 v14, v1, v18
	v_ldexp_f32 v18, v15, 1
	v_mul_f32_e32 v15, v15, v16
	v_mul_f32_e32 v15, v15, v17
	v_add_f32_e32 v16, v18, v15
	v_sub_f32_e32 v17, v16, v18
	v_ldexp_f32 v0, v0, 1
	v_sub_f32_e32 v15, v15, v17
	v_add_f32_e32 v0, v0, v15
	v_add_f32_e32 v15, v16, v0
	v_sub_f32_e32 v16, v15, v16
	v_sub_f32_e32 v0, v0, v16
	v_add_f32_e32 v16, v1, v15
	v_sub_f32_e32 v17, v16, v1
	v_sub_f32_e32 v18, v16, v17
	;; [unrolled: 1-line block ×5, first 2 shown]
	v_add_f32_e32 v1, v15, v1
	v_add_f32_e32 v15, v14, v0
	v_sub_f32_e32 v17, v15, v14
	v_sub_f32_e32 v18, v15, v17
	;; [unrolled: 1-line block ×4, first 2 shown]
	v_add_f32_e32 v1, v15, v1
	v_add_f32_e32 v0, v0, v14
	;; [unrolled: 1-line block ×3, first 2 shown]
	v_sub_f32_e32 v15, v14, v16
	v_sub_f32_e32 v1, v1, v15
	v_add_f32_e32 v0, v0, v1
	v_add_f32_e32 v0, v14, v0
	v_cmp_eq_f32_e64 s[0:1], s89, v13
	v_cndmask_b32_e64 v0, v0, v13, s[0:1]
	v_cmp_ngt_f32_e64 s[0:1], -1.0, v13
	v_cndmask_b32_e64 v0, v73, v0, s[0:1]
	v_cmp_neq_f32_e64 s[0:1], -1.0, v13
	v_and_b32_e32 v1, 0x7fffffff, v12
	v_cndmask_b32_e64 v0, v77, v0, s[0:1]
	v_cmp_gt_f32_e64 s[0:1], s90, v1
	s_and_b64 vcc, vcc, s[0:1]
	v_cndmask_b32_e32 v0, v0, v13, vcc
	v_pk_mov_b32 v[14:15], v[10:11], v[10:11] op_sel:[0,1]
	s_mov_b64 s[4:5], 0
	v_mov_b32_e32 v16, 0
	v_mov_b32_e32 v1, 0
	v_pk_mov_b32 v[12:13], v[8:9], v[8:9] op_sel:[0,1]
	s_branch .LBB108_107
.LBB108_106:                            ;   in Loop: Header=BB108_107 Depth=2
	s_or_b64 exec, exec, s[70:71]
	s_and_b64 s[0:1], exec, vcc
	v_pk_mov_b32 v[14:15], v[10:11], v[10:11] op_sel:[0,1]
	s_or_b64 s[4:5], s[0:1], s[4:5]
	v_mov_b32_e32 v79, v89
	v_pk_mov_b32 v[12:13], v[8:9], v[8:9] op_sel:[0,1]
	s_andn2_b64 exec, exec, s[4:5]
	s_cbranch_execz .LBB108_20
.LBB108_107:                            ;   Parent Loop BB108_27 Depth=1
                                        ; =>  This Inner Loop Header: Depth=2
	v_add_u32_e32 v89, 1, v79
	v_cmp_eq_u32_e32 vcc, 4, v89
	s_and_saveexec_b64 s[0:1], vcc
	s_cbranch_execz .LBB108_109
; %bb.108:                              ;   in Loop: Header=BB108_107 Depth=2
	v_add_co_u32_e32 v4, vcc, 1, v4
	v_cndmask_b32_e64 v8, 0, 1, vcc
	v_addc_co_u32_e32 v5, vcc, 0, v5, vcc
	v_cmp_eq_u32_e32 vcc, 0, v5
	v_cndmask_b32_e32 v8, 0, v8, vcc
	v_add_u32_e32 v6, v8, v6
	v_cmp_eq_u32_e32 vcc, 0, v6
	v_cndmask_b32_e32 v8, 0, v8, vcc
	v_add_u32_e32 v7, v8, v7
	v_mad_u64_u32 v[8:9], s[70:71], v4, s82, 0
	v_mad_u64_u32 v[10:11], s[70:71], v6, s83, 0
	v_xor_b32_e32 v9, v9, v25
	v_xor_b32_e32 v11, v11, v24
	v_xor_b32_e32 v9, v7, v9
	v_xor_b32_e32 v11, v5, v11
	v_mad_u64_u32 v[20:21], s[70:71], v9, s83, 0
	v_mad_u64_u32 v[18:19], s[70:71], v11, s82, 0
	v_xor_b32_e32 v9, v37, v21
	v_xor_b32_e32 v9, v9, v10
	v_xor_b32_e32 v10, v38, v19
	v_xor_b32_e32 v10, v10, v8
	;; [unrolled: 6-line block ×9, first 2 shown]
	v_mad_u64_u32 v[18:19], s[70:71], v9, s82, 0
	v_mad_u64_u32 v[20:21], s[70:71], v11, s83, 0
	v_xor_b32_e32 v8, v21, v8
	v_xor_b32_e32 v9, v19, v10
	v_mov_b32_e32 v89, 0
	v_xor_b32_e32 v8, v53, v8
	v_xor_b32_e32 v10, v54, v9
	v_mov_b32_e32 v9, v20
	v_mov_b32_e32 v11, v18
.LBB108_109:                            ;   in Loop: Header=BB108_107 Depth=2
	s_or_b64 exec, exec, s[0:1]
	v_cmp_eq_u32_e32 vcc, 1, v79
	v_cndmask_b32_e32 v12, v12, v13, vcc
	v_cmp_eq_u32_e32 vcc, 2, v79
	v_cndmask_b32_e32 v12, v12, v14, vcc
	;; [unrolled: 2-line block ×3, first 2 shown]
	v_and_b32_e32 v12, 0xffffff, v12
	v_cvt_f32_u32_e32 v12, v12
	v_mul_f32_e32 v12, 0x33800000, v12
	v_cmp_gt_f32_e32 vcc, s87, v12
	v_cndmask_b32_e32 v13, 1.0, v74, vcc
	v_mul_f32_e32 v12, v12, v13
	v_log_f32_e32 v12, v12
	v_cndmask_b32_e32 v13, 0, v75, vcc
	v_mul_f32_e32 v14, 0x3f317217, v12
	v_fma_f32 v15, v12, s88, -v14
	v_fmac_f32_e32 v15, 0x3377d1cf, v12
	v_add_f32_e32 v14, v14, v15
	v_cmp_lt_f32_e64 vcc, |v12|, s89
	v_cndmask_b32_e32 v12, v12, v14, vcc
	v_sub_f32_e32 v12, v12, v13
	v_div_scale_f32 v13, s[0:1], v0, v0, v12
	v_rcp_f32_e32 v14, v13
	v_div_scale_f32 v15, vcc, v12, v0, v12
	v_fma_f32 v17, -v13, v14, 1.0
	v_fmac_f32_e32 v14, v17, v14
	v_mul_f32_e32 v17, v15, v14
	v_fma_f32 v18, -v13, v17, v15
	v_fmac_f32_e32 v17, v18, v14
	v_fma_f32 v13, -v13, v17, v15
	v_div_fmas_f32 v13, v13, v14, v17
	v_div_fixup_f32 v12, v13, v0, v12
	v_ceil_f32_e32 v12, v12
	v_add_f32_e32 v1, v1, v12
	v_cmp_ngt_f32_e64 s[0:1], v1, v78
	v_cmp_gt_f32_e32 vcc, v1, v78
	s_and_saveexec_b64 s[70:71], s[0:1]
	s_cbranch_execz .LBB108_106
; %bb.110:                              ;   in Loop: Header=BB108_107 Depth=2
	v_lshlrev_b32_e32 v12, 16, v16
	v_add_f32_e32 v12, 1.0, v12
	v_bfe_u32 v13, v12, 16, 1
	v_add3_u32 v13, v12, v13, s84
	v_lshrrev_b32_e32 v13, 16, v13
	v_cmp_o_f32_e64 s[0:1], v12, v12
	v_cndmask_b32_e64 v16, v76, v13, s[0:1]
	s_branch .LBB108_106
.LBB108_111:
	s_endpgm
	.section	.rodata,"a",@progbits
	.p2align	6, 0x0
	.amdhsa_kernel _ZN2at6native12_GLOBAL__N_138distribution_binary_elementwise_kernelIZN12_GLOBAL__N_120binomial_cuda_kernelIN3c108BFloat16EEEvRNS_18TensorIteratorBaseENS_15PhiloxCudaStateEEUlR25hiprandStatePhilox4_32_10S6_S6_E_16OffsetCalculatorILi2EjLb0EESD_ILi1EjLb0EEEEviT_S9_PN15function_traitsISG_E11result_typeEPKNSI_3argILi1EE4typeEPKNSL_ILi2EE4typeET0_T1_
		.amdhsa_group_segment_fixed_size 16384
		.amdhsa_private_segment_fixed_size 0
		.amdhsa_kernarg_size 904
		.amdhsa_user_sgpr_count 8
		.amdhsa_user_sgpr_private_segment_buffer 1
		.amdhsa_user_sgpr_dispatch_ptr 1
		.amdhsa_user_sgpr_queue_ptr 0
		.amdhsa_user_sgpr_kernarg_segment_ptr 1
		.amdhsa_user_sgpr_dispatch_id 0
		.amdhsa_user_sgpr_flat_scratch_init 0
		.amdhsa_user_sgpr_kernarg_preload_length 0
		.amdhsa_user_sgpr_kernarg_preload_offset 0
		.amdhsa_user_sgpr_private_segment_size 0
		.amdhsa_uses_dynamic_stack 0
		.amdhsa_system_sgpr_private_segment_wavefront_offset 0
		.amdhsa_system_sgpr_workgroup_id_x 1
		.amdhsa_system_sgpr_workgroup_id_y 0
		.amdhsa_system_sgpr_workgroup_id_z 0
		.amdhsa_system_sgpr_workgroup_info 0
		.amdhsa_system_vgpr_workitem_id 2
		.amdhsa_next_free_vgpr 108
		.amdhsa_next_free_sgpr 96
		.amdhsa_accum_offset 108
		.amdhsa_reserve_vcc 1
		.amdhsa_reserve_flat_scratch 0
		.amdhsa_float_round_mode_32 0
		.amdhsa_float_round_mode_16_64 0
		.amdhsa_float_denorm_mode_32 3
		.amdhsa_float_denorm_mode_16_64 3
		.amdhsa_dx10_clamp 1
		.amdhsa_ieee_mode 1
		.amdhsa_fp16_overflow 0
		.amdhsa_tg_split 0
		.amdhsa_exception_fp_ieee_invalid_op 0
		.amdhsa_exception_fp_denorm_src 0
		.amdhsa_exception_fp_ieee_div_zero 0
		.amdhsa_exception_fp_ieee_overflow 0
		.amdhsa_exception_fp_ieee_underflow 0
		.amdhsa_exception_fp_ieee_inexact 0
		.amdhsa_exception_int_div_zero 0
	.end_amdhsa_kernel
	.section	.text._ZN2at6native12_GLOBAL__N_138distribution_binary_elementwise_kernelIZN12_GLOBAL__N_120binomial_cuda_kernelIN3c108BFloat16EEEvRNS_18TensorIteratorBaseENS_15PhiloxCudaStateEEUlR25hiprandStatePhilox4_32_10S6_S6_E_16OffsetCalculatorILi2EjLb0EESD_ILi1EjLb0EEEEviT_S9_PN15function_traitsISG_E11result_typeEPKNSI_3argILi1EE4typeEPKNSL_ILi2EE4typeET0_T1_,"axG",@progbits,_ZN2at6native12_GLOBAL__N_138distribution_binary_elementwise_kernelIZN12_GLOBAL__N_120binomial_cuda_kernelIN3c108BFloat16EEEvRNS_18TensorIteratorBaseENS_15PhiloxCudaStateEEUlR25hiprandStatePhilox4_32_10S6_S6_E_16OffsetCalculatorILi2EjLb0EESD_ILi1EjLb0EEEEviT_S9_PN15function_traitsISG_E11result_typeEPKNSI_3argILi1EE4typeEPKNSL_ILi2EE4typeET0_T1_,comdat
.Lfunc_end108:
	.size	_ZN2at6native12_GLOBAL__N_138distribution_binary_elementwise_kernelIZN12_GLOBAL__N_120binomial_cuda_kernelIN3c108BFloat16EEEvRNS_18TensorIteratorBaseENS_15PhiloxCudaStateEEUlR25hiprandStatePhilox4_32_10S6_S6_E_16OffsetCalculatorILi2EjLb0EESD_ILi1EjLb0EEEEviT_S9_PN15function_traitsISG_E11result_typeEPKNSI_3argILi1EE4typeEPKNSL_ILi2EE4typeET0_T1_, .Lfunc_end108-_ZN2at6native12_GLOBAL__N_138distribution_binary_elementwise_kernelIZN12_GLOBAL__N_120binomial_cuda_kernelIN3c108BFloat16EEEvRNS_18TensorIteratorBaseENS_15PhiloxCudaStateEEUlR25hiprandStatePhilox4_32_10S6_S6_E_16OffsetCalculatorILi2EjLb0EESD_ILi1EjLb0EEEEviT_S9_PN15function_traitsISG_E11result_typeEPKNSI_3argILi1EE4typeEPKNSL_ILi2EE4typeET0_T1_
                                        ; -- End function
	.section	.AMDGPU.csdata,"",@progbits
; Kernel info:
; codeLenInByte = 14408
; NumSgprs: 100
; NumVgprs: 108
; NumAgprs: 0
; TotalNumVgprs: 108
; ScratchSize: 0
; MemoryBound: 0
; FloatMode: 240
; IeeeMode: 1
; LDSByteSize: 16384 bytes/workgroup (compile time only)
; SGPRBlocks: 12
; VGPRBlocks: 13
; NumSGPRsForWavesPerEU: 100
; NumVGPRsForWavesPerEU: 108
; AccumOffset: 108
; Occupancy: 4
; WaveLimiterHint : 1
; COMPUTE_PGM_RSRC2:SCRATCH_EN: 0
; COMPUTE_PGM_RSRC2:USER_SGPR: 8
; COMPUTE_PGM_RSRC2:TRAP_HANDLER: 0
; COMPUTE_PGM_RSRC2:TGID_X_EN: 1
; COMPUTE_PGM_RSRC2:TGID_Y_EN: 0
; COMPUTE_PGM_RSRC2:TGID_Z_EN: 0
; COMPUTE_PGM_RSRC2:TIDIG_COMP_CNT: 2
; COMPUTE_PGM_RSRC3_GFX90A:ACCUM_OFFSET: 26
; COMPUTE_PGM_RSRC3_GFX90A:TG_SPLIT: 0
	.section	.text._ZN2at4cuda12_GLOBAL__N_121kernelPointwiseApply2IZN12_GLOBAL__N_117gamma_cuda_kernelIdEEvRKNS_10TensorBaseES7_NS_15PhiloxCudaStateEEUlRdRKdE_ddjLi1ELi1ELi1ELi256ELi2EEEvNS0_6detail10TensorInfoIT0_T2_EENSE_IT1_SG_EESG_T_,"axG",@progbits,_ZN2at4cuda12_GLOBAL__N_121kernelPointwiseApply2IZN12_GLOBAL__N_117gamma_cuda_kernelIdEEvRKNS_10TensorBaseES7_NS_15PhiloxCudaStateEEUlRdRKdE_ddjLi1ELi1ELi1ELi256ELi2EEEvNS0_6detail10TensorInfoIT0_T2_EENSE_IT1_SG_EESG_T_,comdat
	.globl	_ZN2at4cuda12_GLOBAL__N_121kernelPointwiseApply2IZN12_GLOBAL__N_117gamma_cuda_kernelIdEEvRKNS_10TensorBaseES7_NS_15PhiloxCudaStateEEUlRdRKdE_ddjLi1ELi1ELi1ELi256ELi2EEEvNS0_6detail10TensorInfoIT0_T2_EENSE_IT1_SG_EESG_T_ ; -- Begin function _ZN2at4cuda12_GLOBAL__N_121kernelPointwiseApply2IZN12_GLOBAL__N_117gamma_cuda_kernelIdEEvRKNS_10TensorBaseES7_NS_15PhiloxCudaStateEEUlRdRKdE_ddjLi1ELi1ELi1ELi256ELi2EEEvNS0_6detail10TensorInfoIT0_T2_EENSE_IT1_SG_EESG_T_
	.p2align	8
	.type	_ZN2at4cuda12_GLOBAL__N_121kernelPointwiseApply2IZN12_GLOBAL__N_117gamma_cuda_kernelIdEEvRKNS_10TensorBaseES7_NS_15PhiloxCudaStateEEUlRdRKdE_ddjLi1ELi1ELi1ELi256ELi2EEEvNS0_6detail10TensorInfoIT0_T2_EENSE_IT1_SG_EESG_T_,@function
_ZN2at4cuda12_GLOBAL__N_121kernelPointwiseApply2IZN12_GLOBAL__N_117gamma_cuda_kernelIdEEvRKNS_10TensorBaseES7_NS_15PhiloxCudaStateEEUlRdRKdE_ddjLi1ELi1ELi1ELi256ELi2EEEvNS0_6detail10TensorInfoIT0_T2_EENSE_IT1_SG_EESG_T_: ; @_ZN2at4cuda12_GLOBAL__N_121kernelPointwiseApply2IZN12_GLOBAL__N_117gamma_cuda_kernelIdEEvRKNS_10TensorBaseES7_NS_15PhiloxCudaStateEEUlRdRKdE_ddjLi1ELi1ELi1ELi256ELi2EEEvNS0_6detail10TensorInfoIT0_T2_EENSE_IT1_SG_EESG_T_
; %bb.0:
	s_load_dword s2, s[4:5], 0x1e4
	s_load_dword s33, s[4:5], 0x1b0
	s_add_u32 s0, s4, 0x1d8
	s_addc_u32 s1, s5, 0
	s_waitcnt lgkmcnt(0)
	s_and_b32 s2, s2, 0xffff
	s_mul_i32 s6, s6, s2
	v_add_u32_e32 v2, s6, v0
	v_cmp_gt_u32_e32 vcc, s33, v2
	s_and_saveexec_b64 s[6:7], vcc
	s_cbranch_execz .LBB109_31
; %bb.1:
	s_load_dword s3, s[4:5], 0x1d0
	s_load_dwordx2 s[10:11], s[4:5], 0x0
	s_load_dword s82, s[4:5], 0x6c
	s_load_dwordx2 s[16:17], s[4:5], 0xd8
	;; [unrolled: 2-line block ×3, first 2 shown]
	s_load_dwordx4 s[12:15], s[4:5], 0x1b8
	s_load_dword s85, s[0:1], 0x0
	s_mov_b32 s84, 0xcd9e8d57
	s_waitcnt lgkmcnt(0)
	s_bitcmp1_b32 s3, 0
	v_mad_u64_u32 v[20:21], s[0:1], v2, s84, 0
	s_cselect_b64 s[0:1], -1, 0
	v_cndmask_b32_e64 v0, 0, 1, s[0:1]
	s_mov_b32 s22, 0x55555555
	s_mov_b32 s26, 0x9b27acf1
	;; [unrolled: 1-line block ×6, first 2 shown]
	s_brev_b32 s54, 6
	s_mov_b32 s56, 0
	s_mov_b32 s58, 0
	s_mov_b32 s60, -2.0
	s_mov_b32 s62, 0x6b47b09a
	s_mov_b32 s64, 0xbf559e2b
	;; [unrolled: 1-line block ×5, first 2 shown]
	v_mov_b32_e32 v22, 0
	v_mov_b32_e32 v24, v21
	s_mul_i32 s85, s85, s2
	s_mov_b64 s[20:21], 0
	v_mov_b32_e32 v21, s17
	v_cmp_ne_u32_e64 s[0:1], 1, v0
	s_mov_b32 s17, 0xd2511f53
	s_mov_b32 s86, 0x9e3779b9
	;; [unrolled: 1-line block ×10, first 2 shown]
	s_brev_b32 s95, -2
	s_mov_b32 s23, 0x3fe55555
	s_mov_b32 s27, 0x3fd24924
	;; [unrolled: 1-line block ×6, first 2 shown]
	s_movk_i32 s24, 0x204
	s_mov_b32 s41, 0x7ff00000
	s_mov_b32 s45, 0xbfe62e42
	;; [unrolled: 1-line block ×5, first 2 shown]
	s_brev_b32 s59, 8
	v_mov_b32_e32 v25, 0x260
	s_mov_b32 s25, 0x646e171e
	s_mov_b32 s38, 0x5384540f
	;; [unrolled: 1-line block ×10, first 2 shown]
	v_mov_b32_e32 v70, 0x3ff00000
	v_mov_b32_e32 v26, 0x968915a9
	;; [unrolled: 1-line block ×40, first 2 shown]
	s_mov_b32 s53, 0xdb3d7428
	s_mov_b32 s61, 0xbfa0f27b
	;; [unrolled: 1-line block ×8, first 2 shown]
	s_branch .LBB109_4
.LBB109_2:                              ;   in Loop: Header=BB109_4 Depth=1
	s_or_b64 exec, exec, s[8:9]
.LBB109_3:                              ;   in Loop: Header=BB109_4 Depth=1
	s_or_b64 exec, exec, s[6:7]
	v_mul_lo_u32 v0, v75, s82
	v_cndmask_b32_e64 v0, 0, v0, s[2:3]
	v_mov_b32_e32 v1, v22
	v_lshlrev_b64 v[0:1], 3, v[0:1]
	v_mov_b32_e32 v3, s11
	v_add_co_u32_e32 v0, vcc, s10, v0
	v_addc_co_u32_e32 v1, vcc, v3, v1, vcc
	v_cmp_ngt_f64_e32 vcc, s[72:73], v[62:63]
	v_add_u32_e32 v75, s85, v75
	v_cndmask_b32_e32 v5, v74, v63, vcc
	v_cndmask_b32_e32 v4, 0, v62, vcc
	v_cmp_le_u32_e32 vcc, s33, v75
	s_or_b64 s[20:21], vcc, s[20:21]
	global_store_dwordx2 v[0:1], v[4:5], off
	s_andn2_b64 exec, exec, s[20:21]
	s_cbranch_execz .LBB109_31
.LBB109_4:                              ; =>This Loop Header: Depth=1
                                        ;     Child Loop BB109_15 Depth 2
                                        ;       Child Loop BB109_18 Depth 3
	v_sub_u32_e32 v0, s33, v75
	v_mul_lo_u32 v1, v75, s83
	v_cmp_lt_i32_e64 s[2:3], 0, v0
	v_cndmask_b32_e64 v0, 0, v1, s[2:3]
	v_mov_b32_e32 v1, v22
	v_lshlrev_b64 v[0:1], 3, v[0:1]
	v_add_co_u32_e32 v0, vcc, s16, v0
	v_addc_co_u32_e32 v1, vcc, v21, v1, vcc
	global_load_dwordx2 v[16:17], v[0:1], off
	s_and_b64 vcc, exec, s[0:1]
	v_pk_mov_b32 v[0:1], s[14:15], s[14:15] op_sel:[0,1]
	v_pk_mov_b32 v[60:61], s[12:13], s[12:13] op_sel:[0,1]
	s_cbranch_vccnz .LBB109_6
; %bb.5:                                ;   in Loop: Header=BB109_4 Depth=1
	v_pk_mov_b32 v[0:1], s[14:15], s[14:15] op_sel:[0,1]
	flat_load_dwordx2 v[0:1], v[0:1]
	v_pk_mov_b32 v[4:5], s[12:13], s[12:13] op_sel:[0,1]
	flat_load_dwordx2 v[60:61], v[4:5]
	v_mov_b32_e32 v3, s19
	s_waitcnt vmcnt(0) lgkmcnt(0)
	v_add_co_u32_e32 v0, vcc, s18, v0
	v_addc_co_u32_e32 v1, vcc, v1, v3, vcc
.LBB109_6:                              ;   in Loop: Header=BB109_4 Depth=1
	v_and_b32_e32 v68, 3, v0
	v_alignbit_b32 v0, v1, v0, 2
	v_mad_u64_u32 v[6:7], s[4:5], v0, s17, 0
	v_lshrrev_b32_e32 v1, 2, v1
	v_xor_b32_e32 v5, v7, v61
	v_xor_b32_e32 v7, v24, v60
	v_mov_b32_e32 v4, v61
	v_xor_b32_e32 v7, v7, v1
	v_add_co_u32_e32 v23, vcc, s87, v4
	v_mad_u64_u32 v[8:9], s[4:5], v7, s17, 0
	v_mad_u64_u32 v[10:11], s[4:5], v5, s84, 0
	v_add_co_u32_e32 v64, vcc, s86, v60
	v_xor_b32_e32 v5, v20, v11
	v_xor_b32_e32 v7, v23, v9
	v_xor_b32_e32 v5, v5, v64
	v_xor_b32_e32 v9, v7, v6
	v_add_co_u32_e32 v69, vcc, s88, v60
	v_add_co_u32_e32 v65, vcc, s89, v4
	v_mad_u64_u32 v[6:7], s[4:5], v5, s17, 0
	v_mad_u64_u32 v[12:13], s[4:5], v9, s84, 0
	v_xor_b32_e32 v5, v69, v13
	v_xor_b32_e32 v7, v65, v7
	v_xor_b32_e32 v5, v5, v10
	v_xor_b32_e32 v7, v7, v8
	v_add_co_u32_e32 v79, vcc, s90, v60
	v_add_co_u32_e32 v78, vcc, s91, v4
	v_mad_u64_u32 v[8:9], s[4:5], v5, s17, 0
	v_mad_u64_u32 v[10:11], s[4:5], v7, s84, 0
	;; [unrolled: 8-line block ×7, first 2 shown]
	v_xor_b32_e32 v7, v89, v7
	v_xor_b32_e32 v5, v88, v5
	;; [unrolled: 1-line block ×4, first 2 shown]
	v_mad_u64_u32 v[18:19], s[4:5], v7, s17, 0
	v_mad_u64_u32 v[62:63], s[4:5], v5, s84, 0
	v_mov_b32_e32 v3, v22
	v_add_u32_e32 v76, 0x8ff34781, v60
	v_add_u32_e32 v77, 0x96a522ad, v61
	v_xor_b32_e32 v5, v63, v6
	v_xor_b32_e32 v4, v19, v4
	;; [unrolled: 1-line block ×4, first 2 shown]
	v_mov_b32_e32 v66, 0
	v_pk_mov_b32 v[6:7], v[2:3], v[2:3] op_sel:[0,1]
	v_mov_b32_e32 v9, v62
	v_mov_b32_e32 v11, v18
	s_waitcnt vmcnt(0)
	v_cmp_gt_f64_e32 vcc, 1.0, v[16:17]
	s_mov_b64 s[4:5], -1
	v_mov_b32_e32 v67, 0x3ff00000
	v_pk_mov_b32 v[4:5], v[0:1], v[0:1] op_sel:[0,1]
                                        ; implicit-def: $sgpr74_sgpr75
	s_and_saveexec_b64 s[76:77], vcc
	s_cbranch_execz .LBB109_12
; %bb.7:                                ;   in Loop: Header=BB109_4 Depth=1
	v_mov_b32_e32 v66, 0
	v_cmp_neq_f64_e32 vcc, 0, v[16:17]
	s_mov_b64 s[74:75], 0
	v_mov_b32_e32 v67, 0x3ff00000
	s_mov_b64 s[80:81], 0
                                        ; implicit-def: $vgpr4_vgpr5_vgpr6_vgpr7
	s_and_saveexec_b64 s[78:79], vcc
	s_cbranch_execz .LBB109_11
; %bb.8:                                ;   in Loop: Header=BB109_4 Depth=1
	v_add_u32_e32 v63, 1, v68
	v_pk_mov_b32 v[14:15], v[10:11], v[10:11] op_sel:[0,1]
	v_pk_mov_b32 v[6:7], v[2:3], v[2:3] op_sel:[0,1]
	v_cmp_eq_u32_e32 vcc, 4, v63
	v_pk_mov_b32 v[12:13], v[8:9], v[8:9] op_sel:[0,1]
	v_pk_mov_b32 v[4:5], v[0:1], v[0:1] op_sel:[0,1]
	s_and_saveexec_b64 s[4:5], vcc
	s_cbranch_execz .LBB109_10
; %bb.9:                                ;   in Loop: Header=BB109_4 Depth=1
	v_add_co_u32_e32 v4, vcc, 1, v0
	v_cndmask_b32_e64 v0, 0, 1, vcc
	v_addc_co_u32_e32 v5, vcc, 0, v1, vcc
	v_cmp_eq_u32_e32 vcc, 0, v5
	v_cndmask_b32_e32 v0, 0, v0, vcc
	v_add_u32_e32 v6, v0, v2
	v_cmp_eq_u32_e32 vcc, 0, v6
	v_cndmask_b32_e32 v7, 0, v0, vcc
	v_mad_u64_u32 v[0:1], s[6:7], v4, s17, 0
	v_mad_u64_u32 v[12:13], s[6:7], v6, s84, 0
	v_xor_b32_e32 v3, v13, v60
	v_xor_b32_e32 v1, v1, v61
	v_xor_b32_e32 v3, v5, v3
	v_xor_b32_e32 v1, v7, v1
	v_mad_u64_u32 v[14:15], s[6:7], v3, s17, 0
	v_mad_u64_u32 v[66:67], s[6:7], v1, s84, 0
	v_xor_b32_e32 v1, v64, v67
	v_xor_b32_e32 v3, v23, v15
	v_xor_b32_e32 v1, v1, v12
	v_xor_b32_e32 v3, v3, v0
	v_mad_u64_u32 v[0:1], s[6:7], v1, s17, 0
	v_mad_u64_u32 v[12:13], s[6:7], v3, s84, 0
	v_xor_b32_e32 v3, v69, v13
	v_xor_b32_e32 v1, v65, v1
	v_xor_b32_e32 v3, v3, v66
	v_xor_b32_e32 v1, v1, v14
	v_mad_u64_u32 v[14:15], s[6:7], v3, s17, 0
	v_mad_u64_u32 v[64:65], s[6:7], v1, s84, 0
	v_xor_b32_e32 v1, v79, v65
	v_xor_b32_e32 v3, v78, v15
	v_xor_b32_e32 v1, v1, v12
	v_xor_b32_e32 v3, v3, v0
	v_mad_u64_u32 v[0:1], s[6:7], v1, s17, 0
	v_mad_u64_u32 v[12:13], s[6:7], v3, s84, 0
	v_xor_b32_e32 v3, v81, v13
	v_xor_b32_e32 v1, v80, v1
	v_xor_b32_e32 v3, v3, v64
	v_xor_b32_e32 v1, v1, v14
	v_mad_u64_u32 v[14:15], s[6:7], v3, s17, 0
	v_mad_u64_u32 v[64:65], s[6:7], v1, s84, 0
	v_xor_b32_e32 v1, v83, v65
	v_xor_b32_e32 v3, v82, v15
	v_xor_b32_e32 v1, v1, v12
	v_xor_b32_e32 v3, v3, v0
	v_mad_u64_u32 v[0:1], s[6:7], v1, s17, 0
	v_mad_u64_u32 v[12:13], s[6:7], v3, s84, 0
	v_xor_b32_e32 v3, v85, v13
	v_xor_b32_e32 v1, v84, v1
	v_xor_b32_e32 v3, v3, v64
	v_xor_b32_e32 v1, v1, v14
	v_mad_u64_u32 v[14:15], s[6:7], v3, s17, 0
	v_mad_u64_u32 v[64:65], s[6:7], v1, s84, 0
	v_xor_b32_e32 v1, v87, v65
	v_xor_b32_e32 v3, v86, v15
	v_xor_b32_e32 v1, v1, v12
	v_xor_b32_e32 v3, v3, v0
	v_mad_u64_u32 v[0:1], s[6:7], v1, s17, 0
	v_mad_u64_u32 v[12:13], s[6:7], v3, s84, 0
	v_xor_b32_e32 v3, v89, v13
	v_xor_b32_e32 v1, v88, v1
	v_xor_b32_e32 v3, v3, v64
	v_xor_b32_e32 v1, v1, v14
	v_mad_u64_u32 v[64:65], s[6:7], v3, s17, 0
	v_mad_u64_u32 v[66:67], s[6:7], v1, s84, 0
	v_xor_b32_e32 v1, v67, v12
	v_xor_b32_e32 v0, v65, v0
	v_mov_b32_e32 v63, 0
	v_xor_b32_e32 v12, v76, v1
	v_xor_b32_e32 v14, v77, v0
	v_mov_b32_e32 v13, v66
	v_mov_b32_e32 v15, v64
.LBB109_10:                             ;   in Loop: Header=BB109_4 Depth=1
	s_or_b64 exec, exec, s[4:5]
	v_cmp_eq_u32_e32 vcc, 1, v68
	v_cndmask_b32_e32 v0, v8, v62, vcc
	v_cmp_eq_u32_e32 vcc, 2, v68
	v_cndmask_b32_e32 v0, v0, v10, vcc
	;; [unrolled: 2-line block ×3, first 2 shown]
	v_cvt_f32_u32_e32 v3, v0
	v_div_scale_f64 v[0:1], s[4:5], v[16:17], v[16:17], 1.0
	v_rcp_f64_e32 v[8:9], v[0:1]
	v_mov_b32_e32 v10, 0x2f800000
	v_fmac_f32_e32 v10, 0x2f800000, v3
	v_cvt_f64_f32_e32 v[10:11], v10
	v_fma_f64 v[18:19], -v[0:1], v[8:9], 1.0
	v_fmac_f64_e32 v[8:9], v[8:9], v[18:19]
	v_fma_f64 v[18:19], -v[0:1], v[8:9], 1.0
	v_fmac_f64_e32 v[8:9], v[8:9], v[18:19]
	v_div_scale_f64 v[18:19], vcc, 1.0, v[16:17], 1.0
	v_mul_f64 v[64:65], v[18:19], v[8:9]
	v_fma_f64 v[0:1], -v[0:1], v[64:65], v[18:19]
	v_add_f64 v[10:11], -v[10:11], 1.0
	s_nop 0
	v_div_fmas_f64 v[0:1], v[0:1], v[8:9], v[64:65]
	v_div_fixup_f64 v[18:19], v[0:1], v[16:17], 1.0
	v_cmp_eq_f64_e32 vcc, 1.0, v[10:11]
	v_cndmask_b32_e32 v1, v19, v70, vcc
	v_cndmask_b32_e64 v0, v18, 0, vcc
	v_cmp_eq_f64_e64 s[4:5], 0, v[0:1]
	v_and_b32_e32 v3, 0x7fffffff, v11
	v_cndmask_b32_e64 v9, v11, v70, s[4:5]
	v_cndmask_b32_e64 v8, v10, 0, s[4:5]
	;; [unrolled: 1-line block ×4, first 2 shown]
	v_frexp_mant_f64_e32 v[64:65], v[10:11]
	v_cmp_gt_f64_e64 s[4:5], s[22:23], v[64:65]
	v_cndmask_b32_e64 v23, v70, 2.0, s[4:5]
	v_mul_f64 v[64:65], v[64:65], v[22:23]
	v_add_f64 v[66:67], v[64:65], 1.0
	v_rcp_f64_e32 v[68:69], v[66:67]
	v_add_f64 v[80:81], v[66:67], -1.0
	v_add_f64 v[78:79], v[64:65], -1.0
	v_add_f64 v[64:65], v[64:65], -v[80:81]
	v_fma_f64 v[80:81], -v[66:67], v[68:69], 1.0
	v_fmac_f64_e32 v[68:69], v[80:81], v[68:69]
	v_fma_f64 v[80:81], -v[66:67], v[68:69], 1.0
	v_fmac_f64_e32 v[68:69], v[80:81], v[68:69]
	v_mul_f64 v[80:81], v[78:79], v[68:69]
	v_mul_f64 v[82:83], v[66:67], v[80:81]
	v_fma_f64 v[66:67], v[80:81], v[66:67], -v[82:83]
	v_fmac_f64_e32 v[66:67], v[80:81], v[64:65]
	v_add_f64 v[64:65], v[82:83], v[66:67]
	v_add_f64 v[84:85], v[78:79], -v[64:65]
	v_add_f64 v[82:83], v[64:65], -v[82:83]
	v_add_f64 v[78:79], v[78:79], -v[84:85]
	v_add_f64 v[64:65], v[78:79], -v[64:65]
	v_add_f64 v[66:67], v[82:83], -v[66:67]
	v_add_f64 v[64:65], v[66:67], v[64:65]
	v_add_f64 v[64:65], v[84:85], v[64:65]
	v_mul_f64 v[64:65], v[68:69], v[64:65]
	v_add_f64 v[66:67], v[80:81], v[64:65]
	v_add_f64 v[68:69], v[66:67], -v[80:81]
	v_add_f64 v[64:65], v[64:65], -v[68:69]
	v_mul_f64 v[68:69], v[66:67], v[66:67]
	v_fma_f64 v[78:79], v[66:67], v[66:67], -v[68:69]
	v_add_f64 v[80:81], v[64:65], v[64:65]
	v_frexp_exp_i32_f64_e32 v3, v[10:11]
	v_fmac_f64_e32 v[78:79], v[66:67], v[80:81]
	v_subbrev_co_u32_e64 v3, s[4:5], 0, v3, s[4:5]
	v_add_f64 v[80:81], v[68:69], v[78:79]
	v_add_f64 v[68:69], v[80:81], -v[68:69]
	s_mov_b32 s4, 0x4222de17
	v_add_f64 v[68:69], v[78:79], -v[68:69]
	v_pk_mov_b32 v[78:79], v[26:27], v[26:27] op_sel:[0,1]
	s_mov_b32 s5, 0x3fbdee67
	v_fmac_f64_e32 v[78:79], s[4:5], v[80:81]
	v_pk_mov_b32 v[82:83], v[28:29], v[28:29] op_sel:[0,1]
	v_fmac_f64_e32 v[82:83], v[80:81], v[78:79]
	v_pk_mov_b32 v[78:79], v[30:31], v[30:31] op_sel:[0,1]
	;; [unrolled: 2-line block ×7, first 2 shown]
	v_fmac_f64_e32 v[82:83], v[80:81], v[78:79]
	v_cvt_f64_i32_e32 v[78:79], v3
	v_mul_f64 v[84:85], v[78:79], s[30:31]
	v_mul_f64 v[90:91], v[66:67], v[80:81]
	v_fma_f64 v[86:87], v[78:79], s[30:31], -v[84:85]
	v_fma_f64 v[92:93], v[80:81], v[66:67], -v[90:91]
	v_fmac_f64_e32 v[86:87], s[34:35], v[78:79]
	v_fmac_f64_e32 v[92:93], v[80:81], v[64:65]
	v_add_f64 v[78:79], v[84:85], v[86:87]
	v_fmac_f64_e32 v[92:93], v[68:69], v[66:67]
	v_add_f64 v[84:85], v[78:79], -v[84:85]
	v_ldexp_f64 v[88:89], v[64:65], 1
	v_add_f64 v[64:65], v[90:91], v[92:93]
	v_add_f64 v[84:85], v[86:87], -v[84:85]
	v_ldexp_f64 v[86:87], v[66:67], 1
	v_add_f64 v[66:67], v[64:65], -v[90:91]
	v_mul_f64 v[90:91], v[80:81], v[82:83]
	v_fma_f64 v[80:81], v[80:81], v[82:83], -v[90:91]
	v_fmac_f64_e32 v[80:81], v[68:69], v[82:83]
	v_add_f64 v[68:69], v[90:91], v[80:81]
	v_add_f64 v[82:83], v[68:69], -v[90:91]
	v_add_f64 v[80:81], v[80:81], -v[82:83]
	v_add_f64 v[82:83], v[68:69], s[22:23]
	s_mov_b32 s36, s22
	s_mov_b32 s4, 0xd5df274d
	v_add_f64 v[90:91], v[82:83], s[36:37]
	s_mov_b32 s5, 0x3c8543b0
	v_add_f64 v[68:69], v[68:69], -v[90:91]
	v_add_f64 v[80:81], v[80:81], s[4:5]
	v_add_f64 v[68:69], v[80:81], v[68:69]
	;; [unrolled: 1-line block ×3, first 2 shown]
	v_add_f64 v[82:83], v[82:83], -v[80:81]
	v_add_f64 v[68:69], v[68:69], v[82:83]
	v_mul_f64 v[82:83], v[64:65], v[80:81]
	v_fma_f64 v[90:91], v[64:65], v[80:81], -v[82:83]
	v_add_f64 v[66:67], v[92:93], -v[66:67]
	v_fmac_f64_e32 v[90:91], v[64:65], v[68:69]
	v_fmac_f64_e32 v[90:91], v[66:67], v[80:81]
	v_add_f64 v[64:65], v[82:83], v[90:91]
	v_add_f64 v[66:67], v[64:65], -v[82:83]
	v_add_f64 v[68:69], v[86:87], v[64:65]
	v_add_f64 v[66:67], v[90:91], -v[66:67]
	v_add_f64 v[80:81], v[68:69], -v[86:87]
	;; [unrolled: 1-line block ×3, first 2 shown]
	v_add_f64 v[66:67], v[88:89], v[66:67]
	v_add_f64 v[64:65], v[66:67], v[64:65]
	;; [unrolled: 1-line block ×3, first 2 shown]
	v_add_f64 v[68:69], v[66:67], -v[68:69]
	v_add_f64 v[64:65], v[64:65], -v[68:69]
	v_add_f64 v[68:69], v[78:79], v[66:67]
	v_add_f64 v[80:81], v[68:69], -v[78:79]
	v_add_f64 v[82:83], v[68:69], -v[80:81]
	;; [unrolled: 1-line block ×4, first 2 shown]
	v_add_f64 v[66:67], v[66:67], v[78:79]
	v_add_f64 v[78:79], v[84:85], v[64:65]
	v_add_f64 v[80:81], v[78:79], -v[84:85]
	v_add_f64 v[66:67], v[78:79], v[66:67]
	v_add_f64 v[82:83], v[78:79], -v[80:81]
	;; [unrolled: 2-line block ×3, first 2 shown]
	v_add_f64 v[64:65], v[64:65], -v[80:81]
	v_add_f64 v[68:69], v[78:79], -v[68:69]
	v_add_f64 v[64:65], v[64:65], v[82:83]
	v_add_f64 v[66:67], v[66:67], -v[68:69]
	v_add_f64 v[64:65], v[64:65], v[66:67]
	v_add_f64 v[66:67], v[78:79], v[64:65]
	v_add_f64 v[68:69], v[66:67], -v[78:79]
	v_add_f64 v[64:65], v[64:65], -v[68:69]
	v_mul_f64 v[68:69], v[0:1], v[66:67]
	v_fma_f64 v[66:67], v[0:1], v[66:67], -v[68:69]
	v_fmac_f64_e32 v[66:67], v[0:1], v[64:65]
	v_add_f64 v[64:65], v[68:69], v[66:67]
	v_cmp_class_f64_e64 s[4:5], v[68:69], s24
	v_add_f64 v[78:79], v[64:65], -v[68:69]
	v_cndmask_b32_e64 v65, v65, v69, s[4:5]
	v_cndmask_b32_e64 v64, v64, v68, s[4:5]
	v_add_f64 v[66:67], v[66:67], -v[78:79]
	v_cmp_neq_f64_e64 s[4:5], |v[64:65]|, s[40:41]
	v_cndmask_b32_e64 v67, 0, v67, s[4:5]
	v_cndmask_b32_e64 v66, 0, v66, s[4:5]
	s_mov_b32 s4, 0x652b82fe
	s_mov_b32 s5, 0x3ff71547
	v_mul_f64 v[68:69], v[64:65], s[4:5]
	v_rndne_f64_e32 v[68:69], v[68:69]
	s_mov_b32 s44, s30
	v_fma_f64 v[78:79], s[44:45], v[68:69], v[64:65]
	s_mov_b32 s46, s34
	s_mov_b32 s4, 0x6a5dcb37
	v_fmac_f64_e32 v[78:79], s[46:47], v[68:69]
	v_pk_mov_b32 v[80:81], v[42:43], v[42:43] op_sel:[0,1]
	s_mov_b32 s5, 0x3e5ade15
	v_fmac_f64_e32 v[80:81], s[4:5], v[78:79]
	v_pk_mov_b32 v[82:83], v[44:45], v[44:45] op_sel:[0,1]
	v_fmac_f64_e32 v[82:83], v[78:79], v[80:81]
	v_pk_mov_b32 v[80:81], v[46:47], v[46:47] op_sel:[0,1]
	;; [unrolled: 2-line block ×8, first 2 shown]
	v_fmac_f64_e32 v[80:81], v[78:79], v[82:83]
	v_fma_f64 v[80:81], v[78:79], v[80:81], 1.0
	s_mov_b32 s4, 0
	v_fma_f64 v[78:79], v[78:79], v[80:81], 1.0
	v_cvt_i32_f64_e32 v3, v[68:69]
	s_mov_b32 s5, 0x40900000
	s_mov_b32 s6, 0
	v_ldexp_f64 v[68:69], v[78:79], v3
	v_cmp_lt_f64_e64 s[4:5], s[4:5], v[64:65]
	s_mov_b32 s7, 0xc090cc00
	v_cndmask_b32_e64 v3, v68, 0, s[4:5]
	v_cndmask_b32_e64 v23, v69, v71, s[4:5]
	v_cmp_ngt_f64_e64 s[6:7], s[6:7], v[64:65]
	v_and_b32_e32 v69, 0x7fffffff, v69
	v_cndmask_b32_e64 v65, 0, v23, s[6:7]
	v_cndmask_b32_e64 v64, 0, v3, s[6:7]
	v_cmp_eq_f64_e64 s[8:9], s[40:41], v[68:69]
	v_pk_mov_b32 v[78:79], v[64:65], v[64:65] op_sel:[0,1]
	s_or_b64 s[4:5], s[4:5], s[8:9]
	v_fmac_f64_e32 v[78:79], v[78:79], v[66:67]
	s_and_b64 s[4:5], s[6:7], s[4:5]
	v_cndmask_b32_e64 v3, v78, v64, s[4:5]
	v_cndmask_b32_e64 v23, v79, v65, s[4:5]
	v_trunc_f64_e32 v[64:65], v[0:1]
	v_cmp_eq_f64_e64 s[4:5], v[64:65], v[0:1]
	v_mul_f64 v[64:65], v[0:1], 0.5
	v_trunc_f64_e32 v[66:67], v[64:65]
	v_cmp_neq_f64_e64 s[6:7], v[66:67], v[64:65]
	s_and_b64 s[6:7], s[4:5], s[6:7]
	v_cndmask_b32_e64 v62, v70, v9, s[6:7]
	v_bfi_b32 v23, s95, v23, v62
	v_and_b32_e32 v19, 0x7fffffff, v19
	v_cndmask_b32_e64 v62, v72, v23, s[4:5]
	v_cndmask_b32_e64 v64, 0, v3, s[4:5]
	v_cmp_gt_f64_e64 s[4:5], 0, v[8:9]
	v_cndmask_b32_e32 v19, v19, v70, vcc
	v_cndmask_b32_e64 v18, v18, 0, vcc
	v_cndmask_b32_e64 v3, v3, v64, s[4:5]
	v_cndmask_b32_e64 v23, v23, v62, s[4:5]
	v_cmp_neq_f64_e32 vcc, v[0:1], v[18:19]
	v_cmp_gt_f64_e64 s[4:5], 1.0, v[10:11]
	s_xor_b64 s[4:5], vcc, s[4:5]
	v_cndmask_b32_e64 v62, v19, 0, s[4:5]
	v_cndmask_b32_e64 v64, v18, 0, s[4:5]
	v_cmp_eq_f64_e32 vcc, 1.0, v[10:11]
	v_cmp_eq_f64_e64 s[4:5], 0, v[8:9]
	v_cmp_gt_f64_e64 s[8:9], 0, v[0:1]
	v_cndmask_b32_e32 v64, v64, v10, vcc
	v_cndmask_b32_e32 v62, v62, v11, vcc
	v_cmp_eq_f64_e32 vcc, s[40:41], v[18:19]
	s_xor_b64 s[8:9], s[8:9], s[4:5]
	v_cndmask_b32_e32 v18, v23, v62, vcc
	v_cndmask_b32_e32 v3, v3, v64, vcc
	v_cmp_eq_f64_e32 vcc, s[40:41], v[10:11]
	v_cndmask_b32_e64 v0, v71, 0, s[8:9]
	v_cndmask_b32_e64 v1, 0, v9, s[6:7]
	v_bfi_b32 v0, s95, v0, v1
	s_or_b64 vcc, vcc, s[4:5]
	v_pk_mov_b32 v[8:9], v[12:13], v[12:13] op_sel:[0,1]
	s_mov_b64 s[80:81], exec
	v_cndmask_b32_e64 v66, v3, 0, vcc
	v_cndmask_b32_e32 v67, v18, v0, vcc
	v_add_f64 v[16:17], v[16:17], 1.0
	v_pk_mov_b32 v[10:11], v[14:15], v[14:15] op_sel:[0,1]
	v_mov_b32_e32 v68, v63
.LBB109_11:                             ;   in Loop: Header=BB109_4 Depth=1
	s_or_b64 exec, exec, s[78:79]
	s_orn2_b64 s[4:5], s[80:81], exec
.LBB109_12:                             ;   in Loop: Header=BB109_4 Depth=1
	s_or_b64 exec, exec, s[76:77]
	v_pk_mov_b32 v[62:63], s[74:75], s[74:75] op_sel:[0,1]
	s_and_saveexec_b64 s[6:7], s[4:5]
	s_cbranch_execz .LBB109_3
; %bb.13:                               ;   in Loop: Header=BB109_4 Depth=1
	v_add_f64 v[0:1], v[16:17], s[54:55]
	v_mul_f64 v[12:13], v[0:1], s[56:57]
	v_cmp_gt_f64_e32 vcc, s[58:59], v[12:13]
	v_cndmask_b32_e64 v3, 0, 1, vcc
	v_lshlrev_b32_e32 v3, 8, v3
	v_ldexp_f64 v[12:13], v[12:13], v3
	v_rsq_f64_e32 v[14:15], v[12:13]
	v_mov_b32_e32 v3, 0xffffff80
	v_cndmask_b32_e32 v3, 0, v3, vcc
	v_cmp_class_f64_e32 vcc, v[12:13], v25
	v_mul_f64 v[16:17], v[12:13], v[14:15]
	v_mul_f64 v[14:15], v[14:15], 0.5
	v_fma_f64 v[18:19], -v[14:15], v[16:17], 0.5
	v_fmac_f64_e32 v[16:17], v[16:17], v[18:19]
	v_fmac_f64_e32 v[14:15], v[14:15], v[18:19]
	v_fma_f64 v[18:19], -v[16:17], v[16:17], v[12:13]
	v_fmac_f64_e32 v[16:17], v[18:19], v[14:15]
	v_fma_f64 v[18:19], -v[16:17], v[16:17], v[12:13]
	v_fmac_f64_e32 v[16:17], v[18:19], v[14:15]
	v_ldexp_f64 v[14:15], v[16:17], v3
	v_cndmask_b32_e32 v13, v15, v13, vcc
	v_cndmask_b32_e32 v12, v14, v12, vcc
	v_div_scale_f64 v[14:15], s[4:5], v[12:13], v[12:13], 1.0
	v_rcp_f64_e32 v[16:17], v[14:15]
	v_mov_b32_e32 v93, 0
	v_mul_f64 v[66:67], v[66:67], v[0:1]
	v_add_u32_e32 v3, 0x9e3779b9, v60
	v_fma_f64 v[18:19], -v[14:15], v[16:17], 1.0
	v_fmac_f64_e32 v[16:17], v[16:17], v[18:19]
	v_fma_f64 v[18:19], -v[14:15], v[16:17], 1.0
	v_fmac_f64_e32 v[16:17], v[16:17], v[18:19]
	v_div_scale_f64 v[18:19], vcc, 1.0, v[12:13], 1.0
	v_mul_f64 v[62:63], v[18:19], v[16:17]
	v_fma_f64 v[14:15], -v[14:15], v[62:63], v[18:19]
	v_add_u32_e32 v78, 0xbb67ae85, v61
	s_nop 0
	v_div_fmas_f64 v[14:15], v[14:15], v[16:17], v[62:63]
	v_div_fixup_f64 v[64:65], v[14:15], v[12:13], 1.0
	v_add_u32_e32 v79, 0x3c6ef372, v60
	v_add_u32_e32 v80, 0x76cf5d0a, v61
	;; [unrolled: 1-line block ×14, first 2 shown]
	s_mov_b64 s[8:9], 0
                                        ; implicit-def: $vgpr69
                                        ; implicit-def: $vgpr62_vgpr63
	s_branch .LBB109_15
.LBB109_14:                             ;   in Loop: Header=BB109_15 Depth=2
	s_or_b64 exec, exec, s[4:5]
	s_xor_b64 s[4:5], s[74:75], -1
	s_and_b64 s[4:5], exec, s[4:5]
	s_or_b64 s[8:9], s[4:5], s[8:9]
	s_andn2_b64 exec, exec, s[8:9]
	s_cbranch_execz .LBB109_2
.LBB109_15:                             ;   Parent Loop BB109_4 Depth=1
                                        ; =>  This Loop Header: Depth=2
                                        ;       Child Loop BB109_18 Depth 3
	v_pk_mov_b32 v[14:15], v[10:11], v[10:11] op_sel:[0,1]
	s_mov_b64 s[74:75], 0
	v_mov_b32_e32 v23, v68
	v_pk_mov_b32 v[12:13], v[8:9], v[8:9] op_sel:[0,1]
	s_branch .LBB109_18
.LBB109_16:                             ;   in Loop: Header=BB109_18 Depth=3
	s_or_b64 exec, exec, s[4:5]
	v_cmp_eq_u32_e32 vcc, 1, v23
	v_cndmask_b32_e32 v12, v12, v13, vcc
	v_cmp_eq_u32_e32 vcc, 2, v23
	v_cndmask_b32_e32 v12, v12, v14, vcc
	;; [unrolled: 2-line block ×4, first 2 shown]
	v_cvt_f32_u32_e32 v9, v12
	v_cmp_eq_u32_e32 vcc, 2, v68
	v_cndmask_b32_e32 v8, v8, v10, vcc
	v_mov_b32_e32 v10, 0x2f800000
	v_fmac_f32_e32 v10, 0x2f800000, v9
	v_mov_b32_e32 v9, 0x4f800000
	v_cmp_gt_f32_e32 vcc, s42, v10
	v_cndmask_b32_e32 v9, 1.0, v9, vcc
	v_mul_f32_e32 v9, v10, v9
	v_log_f32_e32 v9, v9
	v_cmp_eq_u32_e64 s[4:5], 3, v68
	v_cndmask_b32_e64 v8, v8, v11, s[4:5]
	v_cvt_f32_u32_e32 v8, v8
	v_mul_f32_e32 v10, 0x3f317217, v9
	v_fma_f32 v11, v9, s43, -v10
	v_fmac_f32_e32 v11, 0x3377d1cf, v9
	v_add_f32_e32 v10, v10, v11
	v_cmp_lt_f32_e64 s[4:5], |v9|, s48
	v_cndmask_b32_e64 v9, v9, v10, s[4:5]
	v_mov_b32_e32 v10, 0x41b17218
	v_cndmask_b32_e32 v10, 0, v10, vcc
	v_sub_f32_e32 v9, v9, v10
	v_mul_f32_e32 v9, -2.0, v9
	v_mul_f32_e32 v10, 0x4f800000, v9
	v_cmp_gt_f32_e32 vcc, s49, v9
	v_cndmask_b32_e32 v10, v9, v10, vcc
	v_sqrt_f32_e32 v9, v10
	v_mov_b32_e32 v11, 0x30c90fdb
	v_fmac_f32_e32 v11, 0x30c90fdb, v8
	v_mov_b32_e32 v93, 1
	v_add_u32_e32 v8, -1, v9
	v_fma_f32 v12, -v8, v9, v10
	v_cmp_ge_f32_e64 s[4:5], 0, v12
	v_add_u32_e32 v12, 1, v9
	v_cndmask_b32_e64 v8, v9, v8, s[4:5]
	v_fma_f32 v9, -v12, v9, v10
	v_cmp_lt_f32_e64 s[4:5], 0, v9
	v_mul_f32_e32 v9, 0.15915494, v11
	v_cndmask_b32_e64 v12, v8, v12, s[4:5]
	v_sin_f32_e32 v8, v9
	v_cos_f32_e32 v9, v9
	v_mul_f32_e32 v13, 0x37800000, v12
	v_cndmask_b32_e32 v11, v12, v13, vcc
	v_cmp_class_f32_e32 vcc, v10, v25
	v_cndmask_b32_e32 v10, v11, v10, vcc
	v_pk_mov_b32 v[12:13], v[16:17], v[16:17] op_sel:[0,1]
	v_pk_mul_f32 v[68:69], v[10:11], v[8:9] op_sel_hi:[0,1]
	v_pk_mov_b32 v[14:15], v[18:19], v[18:19] op_sel:[0,1]
	v_mov_b32_e32 v23, v94
.LBB109_17:                             ;   in Loop: Header=BB109_18 Depth=3
	s_or_b64 exec, exec, s[76:77]
	v_cvt_f64_f32_e32 v[16:17], v68
	v_fma_f64 v[18:19], v[64:65], v[16:17], 1.0
	v_cmp_nge_f64_e32 vcc, 0, v[18:19]
	s_or_b64 s[74:75], vcc, s[74:75]
	s_andn2_b64 exec, exec, s[74:75]
	s_cbranch_execz .LBB109_23
.LBB109_18:                             ;   Parent Loop BB109_4 Depth=1
                                        ;     Parent Loop BB109_15 Depth=2
                                        ; =>    This Inner Loop Header: Depth=3
	v_cmp_eq_u32_e32 vcc, 0, v93
	v_mov_b32_e32 v93, 0
	v_mov_b32_e32 v68, v69
	s_and_saveexec_b64 s[76:77], vcc
	s_cbranch_execz .LBB109_17
; %bb.19:                               ;   in Loop: Header=BB109_18 Depth=3
	v_add_u32_e32 v68, 1, v23
	v_pk_mov_b32 v[8:9], v[12:13], v[12:13] op_sel:[0,1]
	v_cmp_eq_u32_e32 vcc, 4, v68
	v_pk_mov_b32 v[10:11], v[14:15], v[14:15] op_sel:[0,1]
	s_and_saveexec_b64 s[4:5], vcc
	s_cbranch_execz .LBB109_21
; %bb.20:                               ;   in Loop: Header=BB109_18 Depth=3
	v_add_co_u32_e32 v4, vcc, 1, v4
	v_cndmask_b32_e64 v8, 0, 1, vcc
	v_addc_co_u32_e32 v5, vcc, 0, v5, vcc
	v_cmp_eq_u32_e32 vcc, 0, v5
	v_cndmask_b32_e32 v8, 0, v8, vcc
	v_add_u32_e32 v6, v8, v6
	v_cmp_eq_u32_e32 vcc, 0, v6
	v_cndmask_b32_e32 v8, 0, v8, vcc
	v_add_u32_e32 v7, v8, v7
	v_mad_u64_u32 v[8:9], s[78:79], v4, s17, 0
	v_mad_u64_u32 v[10:11], s[78:79], v6, s84, 0
	v_xor_b32_e32 v11, v11, v60
	v_xor_b32_e32 v9, v9, v61
	v_xor_b32_e32 v11, v5, v11
	v_xor_b32_e32 v9, v7, v9
	v_mad_u64_u32 v[16:17], s[78:79], v11, s17, 0
	v_mad_u64_u32 v[18:19], s[78:79], v9, s84, 0
	v_xor_b32_e32 v9, v19, v10
	v_xor_b32_e32 v8, v17, v8
	v_xor_b32_e32 v9, v3, v9
	v_xor_b32_e32 v10, v78, v8
	;; [unrolled: 6-line block ×9, first 2 shown]
	v_mad_u64_u32 v[16:17], s[78:79], v9, s17, 0
	v_mad_u64_u32 v[18:19], s[78:79], v11, s84, 0
	v_xor_b32_e32 v8, v19, v8
	v_xor_b32_e32 v9, v17, v10
	v_mov_b32_e32 v68, 0
	v_xor_b32_e32 v8, v76, v8
	v_xor_b32_e32 v10, v77, v9
	v_mov_b32_e32 v9, v18
	v_mov_b32_e32 v11, v16
.LBB109_21:                             ;   in Loop: Header=BB109_18 Depth=3
	s_or_b64 exec, exec, s[4:5]
	v_add_u32_e32 v94, 1, v68
	v_pk_mov_b32 v[18:19], v[10:11], v[10:11] op_sel:[0,1]
	v_cmp_eq_u32_e32 vcc, 4, v94
	v_pk_mov_b32 v[16:17], v[8:9], v[8:9] op_sel:[0,1]
	s_and_saveexec_b64 s[4:5], vcc
	s_cbranch_execz .LBB109_16
; %bb.22:                               ;   in Loop: Header=BB109_18 Depth=3
	v_add_co_u32_e32 v4, vcc, 1, v4
	v_cndmask_b32_e64 v16, 0, 1, vcc
	v_addc_co_u32_e32 v5, vcc, 0, v5, vcc
	v_cmp_eq_u32_e32 vcc, 0, v5
	v_cndmask_b32_e32 v16, 0, v16, vcc
	v_add_u32_e32 v6, v16, v6
	v_cmp_eq_u32_e32 vcc, 0, v6
	v_cndmask_b32_e32 v16, 0, v16, vcc
	v_add_u32_e32 v7, v16, v7
	v_mad_u64_u32 v[16:17], s[78:79], v4, s17, 0
	v_mad_u64_u32 v[18:19], s[78:79], v6, s84, 0
	v_xor_b32_e32 v19, v19, v60
	v_xor_b32_e32 v17, v17, v61
	v_xor_b32_e32 v19, v5, v19
	v_xor_b32_e32 v17, v7, v17
	v_mad_u64_u32 v[96:97], s[78:79], v19, s17, 0
	v_mad_u64_u32 v[98:99], s[78:79], v17, s84, 0
	v_xor_b32_e32 v17, v99, v18
	v_xor_b32_e32 v16, v97, v16
	v_xor_b32_e32 v17, v3, v17
	v_xor_b32_e32 v18, v78, v16
	;; [unrolled: 6-line block ×9, first 2 shown]
	v_mad_u64_u32 v[96:97], s[78:79], v17, s17, 0
	v_mad_u64_u32 v[98:99], s[78:79], v19, s84, 0
	v_xor_b32_e32 v16, v99, v16
	v_xor_b32_e32 v17, v97, v18
	v_mov_b32_e32 v94, 0
	v_xor_b32_e32 v16, v76, v16
	v_xor_b32_e32 v18, v77, v17
	v_mov_b32_e32 v17, v98
	v_mov_b32_e32 v19, v96
	s_branch .LBB109_16
.LBB109_23:                             ;   in Loop: Header=BB109_15 Depth=2
	s_or_b64 exec, exec, s[74:75]
	v_add_u32_e32 v68, 1, v23
	v_pk_mov_b32 v[8:9], v[12:13], v[12:13] op_sel:[0,1]
	v_cmp_eq_u32_e32 vcc, 4, v68
	v_pk_mov_b32 v[10:11], v[14:15], v[14:15] op_sel:[0,1]
	s_and_saveexec_b64 s[4:5], vcc
	s_cbranch_execz .LBB109_25
; %bb.24:                               ;   in Loop: Header=BB109_15 Depth=2
	v_add_co_u32_e32 v4, vcc, 1, v4
	v_cndmask_b32_e64 v8, 0, 1, vcc
	v_addc_co_u32_e32 v5, vcc, 0, v5, vcc
	v_cmp_eq_u32_e32 vcc, 0, v5
	v_cndmask_b32_e32 v8, 0, v8, vcc
	v_add_u32_e32 v6, v8, v6
	v_cmp_eq_u32_e32 vcc, 0, v6
	v_cndmask_b32_e32 v8, 0, v8, vcc
	v_add_u32_e32 v7, v8, v7
	v_mad_u64_u32 v[8:9], s[74:75], v4, s17, 0
	v_mad_u64_u32 v[10:11], s[74:75], v6, s84, 0
	v_xor_b32_e32 v11, v11, v60
	v_xor_b32_e32 v9, v9, v61
	v_xor_b32_e32 v11, v5, v11
	v_xor_b32_e32 v9, v7, v9
	v_mad_u64_u32 v[94:95], s[74:75], v11, s17, 0
	v_mad_u64_u32 v[96:97], s[74:75], v9, s84, 0
	v_xor_b32_e32 v9, v97, v10
	v_xor_b32_e32 v8, v95, v8
	v_xor_b32_e32 v9, v3, v9
	v_xor_b32_e32 v10, v78, v8
	;; [unrolled: 6-line block ×9, first 2 shown]
	v_mad_u64_u32 v[94:95], s[74:75], v9, s17, 0
	v_mad_u64_u32 v[96:97], s[74:75], v11, s84, 0
	v_xor_b32_e32 v8, v97, v8
	v_xor_b32_e32 v9, v95, v10
	v_mov_b32_e32 v68, 0
	v_xor_b32_e32 v8, v76, v8
	v_xor_b32_e32 v10, v77, v9
	v_mov_b32_e32 v9, v96
	v_mov_b32_e32 v11, v94
.LBB109_25:                             ;   in Loop: Header=BB109_15 Depth=2
	s_or_b64 exec, exec, s[4:5]
	v_cmp_eq_u32_e32 vcc, 1, v23
	v_cndmask_b32_e32 v12, v12, v13, vcc
	v_cmp_eq_u32_e32 vcc, 2, v23
	v_cndmask_b32_e32 v12, v12, v14, vcc
	;; [unrolled: 2-line block ×3, first 2 shown]
	v_cvt_f32_u32_e32 v14, v12
	v_mov_b32_e32 v15, 0x2f800000
	v_mul_f64 v[12:13], v[18:19], v[18:19]
	v_mul_f64 v[12:13], v[18:19], v[12:13]
	v_fmac_f32_e32 v15, 0x2f800000, v14
	v_cvt_f64_f32_e32 v[14:15], v15
	v_add_f64 v[18:19], -v[14:15], 1.0
	v_mul_f64 v[14:15], v[16:17], v[16:17]
	v_mul_f64 v[16:17], v[14:15], s[60:61]
	v_fma_f64 v[16:17], v[14:15], v[16:17], 1.0
	v_cmp_nlt_f64_e32 vcc, v[18:19], v[16:17]
                                        ; implicit-def: $sgpr74_sgpr75
	s_and_saveexec_b64 s[4:5], vcc
	s_xor_b64 s[4:5], exec, s[4:5]
	s_cbranch_execz .LBB109_29
; %bb.26:                               ;   in Loop: Header=BB109_15 Depth=2
	v_frexp_mant_f64_e32 v[16:17], v[18:19]
	v_cmp_gt_f64_e32 vcc, s[22:23], v[16:17]
	v_cndmask_b32_e64 v23, v70, 2.0, vcc
	v_frexp_exp_i32_f64_e32 v94, v[18:19]
	v_mul_f64 v[16:17], v[16:17], v[22:23]
	v_subbrev_co_u32_e32 v23, vcc, 0, v94, vcc
	v_add_f64 v[94:95], v[16:17], 1.0
	v_rcp_f64_e32 v[96:97], v[94:95]
	v_add_f64 v[100:101], v[94:95], -1.0
	v_add_f64 v[98:99], v[16:17], -1.0
	v_add_f64 v[16:17], v[16:17], -v[100:101]
	v_fma_f64 v[100:101], -v[94:95], v[96:97], 1.0
	v_fmac_f64_e32 v[96:97], v[100:101], v[96:97]
	v_fma_f64 v[100:101], -v[94:95], v[96:97], 1.0
	v_fmac_f64_e32 v[96:97], v[100:101], v[96:97]
	v_mul_f64 v[100:101], v[98:99], v[96:97]
	v_mul_f64 v[102:103], v[94:95], v[100:101]
	v_fma_f64 v[94:95], v[100:101], v[94:95], -v[102:103]
	v_fmac_f64_e32 v[94:95], v[100:101], v[16:17]
	v_add_f64 v[16:17], v[102:103], v[94:95]
	v_add_f64 v[104:105], v[98:99], -v[16:17]
	v_add_f64 v[102:103], v[16:17], -v[102:103]
	;; [unrolled: 1-line block ×5, first 2 shown]
	v_add_f64 v[16:17], v[94:95], v[16:17]
	v_add_f64 v[16:17], v[104:105], v[16:17]
	v_mul_f64 v[16:17], v[96:97], v[16:17]
	v_add_f64 v[94:95], v[100:101], v[16:17]
	v_add_f64 v[96:97], v[94:95], -v[100:101]
	v_add_f64 v[16:17], v[16:17], -v[96:97]
	v_mul_f64 v[96:97], v[94:95], v[94:95]
	v_pk_mov_b32 v[98:99], s[62:63], s[62:63] op_sel:[0,1]
	v_fma_f64 v[100:101], s[64:65], v[96:97], v[98:99]
	v_fma_f64 v[100:101], v[96:97], v[100:101], s[66:67]
	;; [unrolled: 1-line block ×5, first 2 shown]
	s_mov_b32 s71, s23
	v_fma_f64 v[100:101], v[96:97], v[100:101], s[70:71]
	v_ldexp_f64 v[102:103], v[94:95], 1
	v_mul_f64 v[94:95], v[94:95], v[96:97]
	v_mul_f64 v[94:95], v[94:95], v[100:101]
	v_add_f64 v[96:97], v[102:103], v[94:95]
	v_add_f64 v[100:101], v[96:97], -v[102:103]
	v_ldexp_f64 v[16:17], v[16:17], 1
	v_add_f64 v[94:95], v[94:95], -v[100:101]
	v_add_f64 v[16:17], v[16:17], v[94:95]
	v_add_f64 v[94:95], v[96:97], v[16:17]
	v_add_f64 v[96:97], v[94:95], -v[96:97]
	v_add_f64 v[16:17], v[16:17], -v[96:97]
	v_cvt_f64_i32_e32 v[96:97], v23
	v_mul_f64 v[100:101], v[96:97], s[30:31]
	v_fma_f64 v[102:103], v[96:97], s[30:31], -v[100:101]
	v_fmac_f64_e32 v[102:103], s[34:35], v[96:97]
	v_add_f64 v[96:97], v[100:101], v[102:103]
	v_add_f64 v[100:101], v[96:97], -v[100:101]
	v_add_f64 v[100:101], v[102:103], -v[100:101]
	v_add_f64 v[102:103], v[96:97], v[94:95]
	v_add_f64 v[104:105], v[102:103], -v[96:97]
	v_add_f64 v[106:107], v[102:103], -v[104:105]
	;; [unrolled: 1-line block ×4, first 2 shown]
	v_add_f64 v[94:95], v[94:95], v[96:97]
	v_add_f64 v[96:97], v[100:101], v[16:17]
	v_add_f64 v[104:105], v[96:97], -v[100:101]
	v_add_f64 v[106:107], v[96:97], -v[104:105]
	v_add_f64 v[94:95], v[96:97], v[94:95]
	v_add_f64 v[100:101], v[100:101], -v[106:107]
	v_add_f64 v[16:17], v[16:17], -v[104:105]
	v_add_f64 v[96:97], v[102:103], v[94:95]
	v_add_f64 v[16:17], v[16:17], v[100:101]
	v_add_f64 v[100:101], v[96:97], -v[102:103]
	v_add_f64 v[94:95], v[94:95], -v[100:101]
	v_add_f64 v[16:17], v[16:17], v[94:95]
	v_add_f64 v[16:17], v[96:97], v[16:17]
	v_cmp_class_f64_e64 vcc, v[18:19], s24
	v_cndmask_b32_e32 v16, v16, v18, vcc
	v_cndmask_b32_e32 v17, v17, v19, vcc
	v_cmp_ngt_f64_e32 vcc, 0, v[18:19]
	v_cndmask_b32_e32 v17, v72, v17, vcc
	v_cmp_nge_f64_e32 vcc, 0, v[18:19]
	v_cndmask_b32_e32 v16, 0, v16, vcc
	v_cmp_neq_f64_e32 vcc, 0, v[18:19]
	v_frexp_mant_f64_e32 v[94:95], v[12:13]
	v_cndmask_b32_e32 v17, v73, v17, vcc
	v_cmp_gt_f64_e32 vcc, s[22:23], v[94:95]
	v_cndmask_b32_e64 v23, v70, 2.0, vcc
	v_frexp_exp_i32_f64_e32 v96, v[12:13]
	v_mul_f64 v[94:95], v[94:95], v[22:23]
	v_subbrev_co_u32_e32 v23, vcc, 0, v96, vcc
	v_add_f64 v[96:97], v[94:95], 1.0
	v_rcp_f64_e32 v[100:101], v[96:97]
	v_add_f64 v[104:105], v[96:97], -1.0
	v_add_f64 v[102:103], v[94:95], -1.0
	v_add_f64 v[94:95], v[94:95], -v[104:105]
	v_fma_f64 v[104:105], -v[96:97], v[100:101], 1.0
	v_fmac_f64_e32 v[100:101], v[104:105], v[100:101]
	v_fma_f64 v[104:105], -v[96:97], v[100:101], 1.0
	v_fmac_f64_e32 v[100:101], v[104:105], v[100:101]
	v_mul_f64 v[104:105], v[102:103], v[100:101]
	v_mul_f64 v[106:107], v[96:97], v[104:105]
	v_fma_f64 v[96:97], v[104:105], v[96:97], -v[106:107]
	v_fmac_f64_e32 v[96:97], v[104:105], v[94:95]
	v_add_f64 v[94:95], v[106:107], v[96:97]
	v_add_f64 v[108:109], v[102:103], -v[94:95]
	v_add_f64 v[106:107], v[94:95], -v[106:107]
	;; [unrolled: 1-line block ×5, first 2 shown]
	v_add_f64 v[94:95], v[96:97], v[94:95]
	v_add_f64 v[94:95], v[108:109], v[94:95]
	v_mul_f64 v[94:95], v[100:101], v[94:95]
	v_add_f64 v[96:97], v[104:105], v[94:95]
	v_add_f64 v[100:101], v[96:97], -v[104:105]
	v_add_f64 v[94:95], v[94:95], -v[100:101]
	v_mul_f64 v[100:101], v[96:97], v[96:97]
	v_fmac_f64_e32 v[98:99], s[64:65], v[100:101]
	v_fma_f64 v[98:99], v[100:101], v[98:99], s[66:67]
	v_fma_f64 v[98:99], v[100:101], v[98:99], s[68:69]
	v_fma_f64 v[98:99], v[100:101], v[98:99], s[26:27]
	v_fma_f64 v[98:99], v[100:101], v[98:99], s[28:29]
	v_fma_f64 v[98:99], v[100:101], v[98:99], s[70:71]
	v_ldexp_f64 v[102:103], v[96:97], 1
	v_mul_f64 v[96:97], v[96:97], v[100:101]
	v_mul_f64 v[96:97], v[96:97], v[98:99]
	v_add_f64 v[98:99], v[102:103], v[96:97]
	v_add_f64 v[100:101], v[98:99], -v[102:103]
	v_ldexp_f64 v[94:95], v[94:95], 1
	v_add_f64 v[96:97], v[96:97], -v[100:101]
	v_add_f64 v[94:95], v[94:95], v[96:97]
	v_add_f64 v[96:97], v[98:99], v[94:95]
	v_add_f64 v[98:99], v[96:97], -v[98:99]
	v_add_f64 v[94:95], v[94:95], -v[98:99]
	v_cvt_f64_i32_e32 v[98:99], v23
	v_mul_f64 v[100:101], v[98:99], s[30:31]
	v_fma_f64 v[102:103], v[98:99], s[30:31], -v[100:101]
	v_fmac_f64_e32 v[102:103], s[34:35], v[98:99]
	v_add_f64 v[98:99], v[100:101], v[102:103]
	v_add_f64 v[100:101], v[98:99], -v[100:101]
	v_add_f64 v[100:101], v[102:103], -v[100:101]
	v_add_f64 v[102:103], v[98:99], v[96:97]
	v_add_f64 v[104:105], v[102:103], -v[98:99]
	v_add_f64 v[106:107], v[102:103], -v[104:105]
	;; [unrolled: 1-line block ×4, first 2 shown]
	v_add_f64 v[96:97], v[96:97], v[98:99]
	v_add_f64 v[98:99], v[100:101], v[94:95]
	v_add_f64 v[104:105], v[98:99], -v[100:101]
	v_add_f64 v[106:107], v[98:99], -v[104:105]
	v_add_f64 v[96:97], v[98:99], v[96:97]
	v_add_f64 v[100:101], v[100:101], -v[106:107]
	v_add_f64 v[94:95], v[94:95], -v[104:105]
	v_add_f64 v[98:99], v[102:103], v[96:97]
	v_add_f64 v[94:95], v[94:95], v[100:101]
	v_add_f64 v[100:101], v[98:99], -v[102:103]
	v_add_f64 v[96:97], v[96:97], -v[100:101]
	v_add_f64 v[94:95], v[94:95], v[96:97]
	v_add_f64 v[94:95], v[98:99], v[94:95]
	v_cmp_class_f64_e64 vcc, v[12:13], s24
	v_cndmask_b32_e32 v23, v94, v12, vcc
	v_cndmask_b32_e32 v94, v95, v13, vcc
	v_cmp_ngt_f64_e32 vcc, 0, v[12:13]
	v_cndmask_b32_e32 v95, v72, v94, vcc
	v_cmp_nge_f64_e32 vcc, 0, v[12:13]
	v_cndmask_b32_e32 v94, 0, v23, vcc
	v_cmp_neq_f64_e32 vcc, 0, v[12:13]
	v_add_f64 v[18:19], -v[12:13], 1.0
	v_cndmask_b32_e32 v95, v73, v95, vcc
	v_add_f64 v[18:19], v[18:19], v[94:95]
	v_mul_f64 v[18:19], v[0:1], v[18:19]
	v_fmac_f64_e32 v[18:19], 0.5, v[14:15]
	v_cmp_lt_f64_e32 vcc, v[16:17], v[18:19]
	s_mov_b64 s[74:75], -1
	s_and_saveexec_b64 s[76:77], vcc
; %bb.27:                               ;   in Loop: Header=BB109_15 Depth=2
	v_mul_f64 v[62:63], v[66:67], v[12:13]
	s_xor_b64 s[74:75], exec, -1
; %bb.28:                               ;   in Loop: Header=BB109_15 Depth=2
	s_or_b64 exec, exec, s[76:77]
	s_and_b64 s[74:75], s[74:75], exec
                                        ; implicit-def: $vgpr12_vgpr13
.LBB109_29:                             ;   in Loop: Header=BB109_15 Depth=2
	s_andn2_saveexec_b64 s[4:5], s[4:5]
	s_cbranch_execz .LBB109_14
; %bb.30:                               ;   in Loop: Header=BB109_15 Depth=2
	v_mul_f64 v[62:63], v[66:67], v[12:13]
	s_andn2_b64 s[74:75], s[74:75], exec
	s_branch .LBB109_14
.LBB109_31:
	s_endpgm
	.section	.rodata,"a",@progbits
	.p2align	6, 0x0
	.amdhsa_kernel _ZN2at4cuda12_GLOBAL__N_121kernelPointwiseApply2IZN12_GLOBAL__N_117gamma_cuda_kernelIdEEvRKNS_10TensorBaseES7_NS_15PhiloxCudaStateEEUlRdRKdE_ddjLi1ELi1ELi1ELi256ELi2EEEvNS0_6detail10TensorInfoIT0_T2_EENSE_IT1_SG_EESG_T_
		.amdhsa_group_segment_fixed_size 0
		.amdhsa_private_segment_fixed_size 0
		.amdhsa_kernarg_size 728
		.amdhsa_user_sgpr_count 6
		.amdhsa_user_sgpr_private_segment_buffer 1
		.amdhsa_user_sgpr_dispatch_ptr 0
		.amdhsa_user_sgpr_queue_ptr 0
		.amdhsa_user_sgpr_kernarg_segment_ptr 1
		.amdhsa_user_sgpr_dispatch_id 0
		.amdhsa_user_sgpr_flat_scratch_init 0
		.amdhsa_user_sgpr_kernarg_preload_length 0
		.amdhsa_user_sgpr_kernarg_preload_offset 0
		.amdhsa_user_sgpr_private_segment_size 0
		.amdhsa_uses_dynamic_stack 0
		.amdhsa_system_sgpr_private_segment_wavefront_offset 0
		.amdhsa_system_sgpr_workgroup_id_x 1
		.amdhsa_system_sgpr_workgroup_id_y 0
		.amdhsa_system_sgpr_workgroup_id_z 0
		.amdhsa_system_sgpr_workgroup_info 0
		.amdhsa_system_vgpr_workitem_id 0
		.amdhsa_next_free_vgpr 110
		.amdhsa_next_free_sgpr 96
		.amdhsa_accum_offset 112
		.amdhsa_reserve_vcc 1
		.amdhsa_reserve_flat_scratch 0
		.amdhsa_float_round_mode_32 0
		.amdhsa_float_round_mode_16_64 0
		.amdhsa_float_denorm_mode_32 3
		.amdhsa_float_denorm_mode_16_64 3
		.amdhsa_dx10_clamp 1
		.amdhsa_ieee_mode 1
		.amdhsa_fp16_overflow 0
		.amdhsa_tg_split 0
		.amdhsa_exception_fp_ieee_invalid_op 0
		.amdhsa_exception_fp_denorm_src 0
		.amdhsa_exception_fp_ieee_div_zero 0
		.amdhsa_exception_fp_ieee_overflow 0
		.amdhsa_exception_fp_ieee_underflow 0
		.amdhsa_exception_fp_ieee_inexact 0
		.amdhsa_exception_int_div_zero 0
	.end_amdhsa_kernel
	.section	.text._ZN2at4cuda12_GLOBAL__N_121kernelPointwiseApply2IZN12_GLOBAL__N_117gamma_cuda_kernelIdEEvRKNS_10TensorBaseES7_NS_15PhiloxCudaStateEEUlRdRKdE_ddjLi1ELi1ELi1ELi256ELi2EEEvNS0_6detail10TensorInfoIT0_T2_EENSE_IT1_SG_EESG_T_,"axG",@progbits,_ZN2at4cuda12_GLOBAL__N_121kernelPointwiseApply2IZN12_GLOBAL__N_117gamma_cuda_kernelIdEEvRKNS_10TensorBaseES7_NS_15PhiloxCudaStateEEUlRdRKdE_ddjLi1ELi1ELi1ELi256ELi2EEEvNS0_6detail10TensorInfoIT0_T2_EENSE_IT1_SG_EESG_T_,comdat
.Lfunc_end109:
	.size	_ZN2at4cuda12_GLOBAL__N_121kernelPointwiseApply2IZN12_GLOBAL__N_117gamma_cuda_kernelIdEEvRKNS_10TensorBaseES7_NS_15PhiloxCudaStateEEUlRdRKdE_ddjLi1ELi1ELi1ELi256ELi2EEEvNS0_6detail10TensorInfoIT0_T2_EENSE_IT1_SG_EESG_T_, .Lfunc_end109-_ZN2at4cuda12_GLOBAL__N_121kernelPointwiseApply2IZN12_GLOBAL__N_117gamma_cuda_kernelIdEEvRKNS_10TensorBaseES7_NS_15PhiloxCudaStateEEUlRdRKdE_ddjLi1ELi1ELi1ELi256ELi2EEEvNS0_6detail10TensorInfoIT0_T2_EENSE_IT1_SG_EESG_T_
                                        ; -- End function
	.section	.AMDGPU.csdata,"",@progbits
; Kernel info:
; codeLenInByte = 7288
; NumSgprs: 100
; NumVgprs: 110
; NumAgprs: 0
; TotalNumVgprs: 110
; ScratchSize: 0
; MemoryBound: 0
; FloatMode: 240
; IeeeMode: 1
; LDSByteSize: 0 bytes/workgroup (compile time only)
; SGPRBlocks: 12
; VGPRBlocks: 13
; NumSGPRsForWavesPerEU: 100
; NumVGPRsForWavesPerEU: 110
; AccumOffset: 112
; Occupancy: 4
; WaveLimiterHint : 1
; COMPUTE_PGM_RSRC2:SCRATCH_EN: 0
; COMPUTE_PGM_RSRC2:USER_SGPR: 6
; COMPUTE_PGM_RSRC2:TRAP_HANDLER: 0
; COMPUTE_PGM_RSRC2:TGID_X_EN: 1
; COMPUTE_PGM_RSRC2:TGID_Y_EN: 0
; COMPUTE_PGM_RSRC2:TGID_Z_EN: 0
; COMPUTE_PGM_RSRC2:TIDIG_COMP_CNT: 0
; COMPUTE_PGM_RSRC3_GFX90A:ACCUM_OFFSET: 27
; COMPUTE_PGM_RSRC3_GFX90A:TG_SPLIT: 0
	.section	.text._ZN2at4cuda12_GLOBAL__N_121kernelPointwiseApply2IZN12_GLOBAL__N_117gamma_cuda_kernelIdEEvRKNS_10TensorBaseES7_NS_15PhiloxCudaStateEEUlRdRKdE_ddjLi1ELi2ELi1ELi256ELi2EEEvNS0_6detail10TensorInfoIT0_T2_EENSE_IT1_SG_EESG_T_,"axG",@progbits,_ZN2at4cuda12_GLOBAL__N_121kernelPointwiseApply2IZN12_GLOBAL__N_117gamma_cuda_kernelIdEEvRKNS_10TensorBaseES7_NS_15PhiloxCudaStateEEUlRdRKdE_ddjLi1ELi2ELi1ELi256ELi2EEEvNS0_6detail10TensorInfoIT0_T2_EENSE_IT1_SG_EESG_T_,comdat
	.globl	_ZN2at4cuda12_GLOBAL__N_121kernelPointwiseApply2IZN12_GLOBAL__N_117gamma_cuda_kernelIdEEvRKNS_10TensorBaseES7_NS_15PhiloxCudaStateEEUlRdRKdE_ddjLi1ELi2ELi1ELi256ELi2EEEvNS0_6detail10TensorInfoIT0_T2_EENSE_IT1_SG_EESG_T_ ; -- Begin function _ZN2at4cuda12_GLOBAL__N_121kernelPointwiseApply2IZN12_GLOBAL__N_117gamma_cuda_kernelIdEEvRKNS_10TensorBaseES7_NS_15PhiloxCudaStateEEUlRdRKdE_ddjLi1ELi2ELi1ELi256ELi2EEEvNS0_6detail10TensorInfoIT0_T2_EENSE_IT1_SG_EESG_T_
	.p2align	8
	.type	_ZN2at4cuda12_GLOBAL__N_121kernelPointwiseApply2IZN12_GLOBAL__N_117gamma_cuda_kernelIdEEvRKNS_10TensorBaseES7_NS_15PhiloxCudaStateEEUlRdRKdE_ddjLi1ELi2ELi1ELi256ELi2EEEvNS0_6detail10TensorInfoIT0_T2_EENSE_IT1_SG_EESG_T_,@function
_ZN2at4cuda12_GLOBAL__N_121kernelPointwiseApply2IZN12_GLOBAL__N_117gamma_cuda_kernelIdEEvRKNS_10TensorBaseES7_NS_15PhiloxCudaStateEEUlRdRKdE_ddjLi1ELi2ELi1ELi256ELi2EEEvNS0_6detail10TensorInfoIT0_T2_EENSE_IT1_SG_EESG_T_: ; @_ZN2at4cuda12_GLOBAL__N_121kernelPointwiseApply2IZN12_GLOBAL__N_117gamma_cuda_kernelIdEEvRKNS_10TensorBaseES7_NS_15PhiloxCudaStateEEUlRdRKdE_ddjLi1ELi2ELi1ELi256ELi2EEEvNS0_6detail10TensorInfoIT0_T2_EENSE_IT1_SG_EESG_T_
; %bb.0:
	s_load_dword s2, s[4:5], 0x1e4
	s_load_dword s33, s[4:5], 0x1b0
	s_add_u32 s0, s4, 0x1d8
	s_addc_u32 s1, s5, 0
	s_waitcnt lgkmcnt(0)
	s_and_b32 s2, s2, 0xffff
	s_mul_i32 s6, s6, s2
	v_add_u32_e32 v2, s6, v0
	v_cmp_gt_u32_e32 vcc, s33, v2
	s_and_saveexec_b64 s[6:7], vcc
	s_cbranch_execz .LBB110_33
; %bb.1:
	s_load_dwordx2 s[12:13], s[4:5], 0x0
	s_load_dword s82, s[4:5], 0x6c
	s_load_dwordx2 s[14:15], s[4:5], 0xd8
	s_load_dword s83, s[4:5], 0xe4
	;; [unrolled: 2-line block ×3, first 2 shown]
	s_load_dwordx2 s[18:19], s[4:5], 0x144
	s_load_dwordx4 s[8:11], s[4:5], 0x1b8
	s_waitcnt lgkmcnt(0)
	v_cvt_f32_u32_e32 v0, s83
	s_load_dword s85, s[0:1], 0x0
	s_mov_b32 s84, 0xcd9e8d57
	s_bitcmp1_b32 s3, 0
	v_rcp_iflag_f32_e32 v0, v0
	v_mad_u64_u32 v[20:21], s[0:1], v2, s84, 0
	s_waitcnt lgkmcnt(0)
	s_mul_i32 s85, s85, s2
	v_mul_f32_e32 v0, 0x4f7ffffe, v0
	v_cvt_u32_f32_e32 v0, v0
	s_cselect_b64 s[0:1], -1, 0
	s_sub_i32 s2, 0, s83
	v_mov_b32_e32 v24, v21
	v_mul_lo_u32 v1, s2, v0
	v_mul_hi_u32 v1, v0, v1
	v_add_u32_e32 v21, v0, v1
	v_cndmask_b32_e64 v0, 0, 1, s[0:1]
	s_mov_b32 s22, 0x55555555
	s_mov_b32 s26, 0x9b27acf1
	;; [unrolled: 1-line block ×6, first 2 shown]
	s_brev_b32 s54, 6
	s_mov_b32 s56, 0
	s_mov_b32 s58, 0
	s_mov_b32 s60, -2.0
	s_mov_b32 s62, 0x6b47b09a
	s_mov_b32 s64, 0xbf559e2b
	;; [unrolled: 1-line block ×5, first 2 shown]
	v_mov_b32_e32 v22, 0
	s_mov_b64 s[20:21], 0
	v_mov_b32_e32 v25, s15
	v_cmp_ne_u32_e64 s[0:1], 1, v0
	s_mov_b32 s15, 0xd2511f53
	s_mov_b32 s86, 0x9e3779b9
	;; [unrolled: 1-line block ×8, first 2 shown]
	s_brev_b32 s93, -2
	s_mov_b32 s23, 0x3fe55555
	s_mov_b32 s27, 0x3fd24924
	;; [unrolled: 1-line block ×6, first 2 shown]
	s_movk_i32 s94, 0x204
	s_mov_b32 s41, 0x7ff00000
	s_mov_b32 s45, 0xbfe62e42
	;; [unrolled: 1-line block ×5, first 2 shown]
	v_mov_b32_e32 v72, 0x260
	s_mov_b32 s95, 0x1715609d
	s_mov_b32 s24, 0x646e171e
	;; [unrolled: 1-line block ×12, first 2 shown]
	v_mov_b32_e32 v73, 0x3ff00000
	v_mov_b32_e32 v26, 0x968915a9
	;; [unrolled: 1-line block ×43, first 2 shown]
	s_mov_b32 s53, 0xdb3d7428
	s_brev_b32 s59, 8
	s_mov_b32 s61, 0xbfa0f27b
	s_mov_b32 s63, 0x3fc38538
	;; [unrolled: 1-line block ×7, first 2 shown]
	s_branch .LBB110_4
.LBB110_2:                              ;   in Loop: Header=BB110_4 Depth=1
	s_or_b64 exec, exec, s[6:7]
.LBB110_3:                              ;   in Loop: Header=BB110_4 Depth=1
	s_or_b64 exec, exec, s[4:5]
	v_lshlrev_b64 v[0:1], 3, v[60:61]
	v_mov_b32_e32 v3, s13
	v_add_co_u32_e32 v0, vcc, s12, v0
	v_addc_co_u32_e32 v1, vcc, v3, v1, vcc
	v_cmp_ngt_f64_e32 vcc, s[72:73], v[68:69]
	v_add_u32_e32 v81, s85, v81
	v_cndmask_b32_e32 v5, v80, v69, vcc
	v_cndmask_b32_e32 v4, 0, v68, vcc
	v_cmp_le_u32_e32 vcc, s33, v81
	s_or_b64 s[20:21], vcc, s[20:21]
	global_store_dwordx2 v[0:1], v[4:5], off
	s_andn2_b64 exec, exec, s[20:21]
	s_cbranch_execz .LBB110_33
.LBB110_4:                              ; =>This Loop Header: Depth=1
                                        ;     Child Loop BB110_17 Depth 2
                                        ;       Child Loop BB110_20 Depth 3
	v_sub_u32_e32 v0, s33, v81
	v_pk_mov_b32 v[60:61], 0, 0
	v_cmp_lt_i32_e32 vcc, 0, v0
	v_pk_mov_b32 v[0:1], v[60:61], v[60:61] op_sel:[0,1]
	s_and_saveexec_b64 s[2:3], vcc
	s_cbranch_execz .LBB110_6
; %bb.5:                                ;   in Loop: Header=BB110_4 Depth=1
	v_mul_hi_u32 v0, v81, v21
	v_mul_lo_u32 v1, v0, s83
	v_sub_u32_e32 v1, v81, v1
	v_add_u32_e32 v3, 1, v0
	v_cmp_le_u32_e32 vcc, s83, v1
	v_cndmask_b32_e32 v0, v0, v3, vcc
	v_subrev_u32_e32 v3, s83, v1
	v_cndmask_b32_e32 v1, v1, v3, vcc
	v_add_u32_e32 v3, 1, v0
	v_cmp_le_u32_e32 vcc, s83, v1
	v_cndmask_b32_e32 v1, v0, v3, vcc
	v_mul_lo_u32 v0, v1, s83
	v_sub_u32_e32 v0, v81, v0
	v_mul_lo_u32 v0, v0, s19
	v_mad_u64_u32 v[0:1], s[4:5], v1, s18, v[0:1]
	v_mul_lo_u32 v60, v81, s82
	v_mov_b32_e32 v61, v22
	v_mov_b32_e32 v1, v22
.LBB110_6:                              ;   in Loop: Header=BB110_4 Depth=1
	s_or_b64 exec, exec, s[2:3]
	v_lshlrev_b64 v[0:1], 3, v[0:1]
	v_add_co_u32_e32 v0, vcc, s14, v0
	v_addc_co_u32_e32 v1, vcc, v25, v1, vcc
	global_load_dwordx2 v[16:17], v[0:1], off
	s_and_b64 vcc, exec, s[0:1]
	v_pk_mov_b32 v[0:1], s[10:11], s[10:11] op_sel:[0,1]
	v_pk_mov_b32 v[62:63], s[8:9], s[8:9] op_sel:[0,1]
	s_cbranch_vccnz .LBB110_8
; %bb.7:                                ;   in Loop: Header=BB110_4 Depth=1
	v_pk_mov_b32 v[0:1], s[10:11], s[10:11] op_sel:[0,1]
	flat_load_dwordx2 v[0:1], v[0:1]
	v_pk_mov_b32 v[4:5], s[8:9], s[8:9] op_sel:[0,1]
	flat_load_dwordx2 v[62:63], v[4:5]
	v_mov_b32_e32 v3, s17
	s_waitcnt vmcnt(0) lgkmcnt(0)
	v_add_co_u32_e32 v0, vcc, s16, v0
	v_addc_co_u32_e32 v1, vcc, v1, v3, vcc
.LBB110_8:                              ;   in Loop: Header=BB110_4 Depth=1
	v_and_b32_e32 v70, 3, v0
	v_alignbit_b32 v0, v1, v0, 2
	v_mad_u64_u32 v[6:7], s[2:3], v0, s15, 0
	v_lshrrev_b32_e32 v1, 2, v1
	v_xor_b32_e32 v5, v7, v63
	v_xor_b32_e32 v7, v24, v62
	v_mov_b32_e32 v4, v63
	v_xor_b32_e32 v7, v7, v1
	v_add_co_u32_e32 v23, vcc, s87, v4
	v_mad_u64_u32 v[8:9], s[2:3], v7, s15, 0
	v_mad_u64_u32 v[10:11], s[2:3], v5, s84, 0
	v_add_co_u32_e32 v68, vcc, s86, v62
	v_xor_b32_e32 v5, v20, v11
	v_xor_b32_e32 v7, v23, v9
	v_xor_b32_e32 v5, v5, v68
	v_xor_b32_e32 v9, v7, v6
	v_add_co_u32_e32 v71, vcc, s88, v62
	v_add_co_u32_e32 v69, vcc, s89, v4
	v_mad_u64_u32 v[6:7], s[2:3], v5, s15, 0
	v_mad_u64_u32 v[12:13], s[2:3], v9, s84, 0
	v_xor_b32_e32 v5, v71, v13
	v_xor_b32_e32 v7, v69, v7
	v_xor_b32_e32 v5, v5, v10
	v_xor_b32_e32 v7, v7, v8
	v_add_co_u32_e32 v85, vcc, s90, v62
	v_add_co_u32_e32 v84, vcc, s91, v4
	v_mad_u64_u32 v[8:9], s[2:3], v5, s15, 0
	v_mad_u64_u32 v[10:11], s[2:3], v7, s84, 0
	;; [unrolled: 8-line block ×7, first 2 shown]
	v_xor_b32_e32 v7, v95, v7
	v_xor_b32_e32 v5, v94, v5
	;; [unrolled: 1-line block ×4, first 2 shown]
	v_mad_u64_u32 v[18:19], s[2:3], v7, s15, 0
	v_mad_u64_u32 v[64:65], s[2:3], v5, s84, 0
	v_mov_b32_e32 v3, v22
	v_add_u32_e32 v82, 0x8ff34781, v62
	v_add_u32_e32 v83, 0x96a522ad, v63
	v_xor_b32_e32 v5, v65, v6
	v_xor_b32_e32 v4, v19, v4
	;; [unrolled: 1-line block ×4, first 2 shown]
	v_mov_b32_e32 v66, 0
	v_pk_mov_b32 v[6:7], v[2:3], v[2:3] op_sel:[0,1]
	v_mov_b32_e32 v9, v64
	v_mov_b32_e32 v11, v18
	s_waitcnt vmcnt(0)
	v_cmp_gt_f64_e32 vcc, 1.0, v[16:17]
	s_mov_b64 s[2:3], -1
	v_mov_b32_e32 v67, 0x3ff00000
	v_pk_mov_b32 v[4:5], v[0:1], v[0:1] op_sel:[0,1]
                                        ; implicit-def: $sgpr74_sgpr75
	s_and_saveexec_b64 s[76:77], vcc
	s_cbranch_execz .LBB110_14
; %bb.9:                                ;   in Loop: Header=BB110_4 Depth=1
	v_mov_b32_e32 v66, 0
	v_cmp_neq_f64_e32 vcc, 0, v[16:17]
	s_mov_b64 s[74:75], 0
	v_mov_b32_e32 v67, 0x3ff00000
	s_mov_b64 s[80:81], 0
                                        ; implicit-def: $vgpr4_vgpr5_vgpr6_vgpr7
	s_and_saveexec_b64 s[78:79], vcc
	s_cbranch_execz .LBB110_13
; %bb.10:                               ;   in Loop: Header=BB110_4 Depth=1
	v_add_u32_e32 v65, 1, v70
	v_pk_mov_b32 v[14:15], v[10:11], v[10:11] op_sel:[0,1]
	v_pk_mov_b32 v[6:7], v[2:3], v[2:3] op_sel:[0,1]
	v_cmp_eq_u32_e32 vcc, 4, v65
	v_pk_mov_b32 v[12:13], v[8:9], v[8:9] op_sel:[0,1]
	v_pk_mov_b32 v[4:5], v[0:1], v[0:1] op_sel:[0,1]
	s_and_saveexec_b64 s[2:3], vcc
	s_cbranch_execz .LBB110_12
; %bb.11:                               ;   in Loop: Header=BB110_4 Depth=1
	v_add_co_u32_e32 v4, vcc, 1, v0
	v_cndmask_b32_e64 v0, 0, 1, vcc
	v_addc_co_u32_e32 v5, vcc, 0, v1, vcc
	v_cmp_eq_u32_e32 vcc, 0, v5
	v_cndmask_b32_e32 v0, 0, v0, vcc
	v_add_u32_e32 v6, v0, v2
	v_cmp_eq_u32_e32 vcc, 0, v6
	v_cndmask_b32_e32 v7, 0, v0, vcc
	v_mad_u64_u32 v[0:1], s[4:5], v4, s15, 0
	v_mad_u64_u32 v[12:13], s[4:5], v6, s84, 0
	v_xor_b32_e32 v3, v13, v62
	v_xor_b32_e32 v1, v1, v63
	v_xor_b32_e32 v3, v5, v3
	v_xor_b32_e32 v1, v7, v1
	v_mad_u64_u32 v[14:15], s[4:5], v3, s15, 0
	v_mad_u64_u32 v[66:67], s[4:5], v1, s84, 0
	v_xor_b32_e32 v1, v68, v67
	v_xor_b32_e32 v3, v23, v15
	v_xor_b32_e32 v1, v1, v12
	v_xor_b32_e32 v3, v3, v0
	;; [unrolled: 6-line block ×9, first 2 shown]
	v_mad_u64_u32 v[66:67], s[4:5], v3, s15, 0
	v_mad_u64_u32 v[68:69], s[4:5], v1, s84, 0
	v_xor_b32_e32 v1, v69, v12
	v_xor_b32_e32 v0, v67, v0
	v_mov_b32_e32 v65, 0
	v_xor_b32_e32 v12, v82, v1
	v_xor_b32_e32 v14, v83, v0
	v_mov_b32_e32 v13, v68
	v_mov_b32_e32 v15, v66
.LBB110_12:                             ;   in Loop: Header=BB110_4 Depth=1
	s_or_b64 exec, exec, s[2:3]
	v_cmp_eq_u32_e32 vcc, 1, v70
	v_cndmask_b32_e32 v0, v8, v64, vcc
	v_cmp_eq_u32_e32 vcc, 2, v70
	v_cndmask_b32_e32 v0, v0, v10, vcc
	;; [unrolled: 2-line block ×3, first 2 shown]
	v_cvt_f32_u32_e32 v3, v0
	v_div_scale_f64 v[0:1], s[2:3], v[16:17], v[16:17], 1.0
	v_rcp_f64_e32 v[8:9], v[0:1]
	v_mov_b32_e32 v10, 0x2f800000
	v_fmac_f32_e32 v10, 0x2f800000, v3
	v_cvt_f64_f32_e32 v[10:11], v10
	v_fma_f64 v[18:19], -v[0:1], v[8:9], 1.0
	v_fmac_f64_e32 v[8:9], v[8:9], v[18:19]
	v_fma_f64 v[18:19], -v[0:1], v[8:9], 1.0
	v_fmac_f64_e32 v[8:9], v[8:9], v[18:19]
	v_div_scale_f64 v[18:19], vcc, 1.0, v[16:17], 1.0
	v_mul_f64 v[66:67], v[18:19], v[8:9]
	v_fma_f64 v[0:1], -v[0:1], v[66:67], v[18:19]
	v_add_f64 v[10:11], -v[10:11], 1.0
	s_nop 0
	v_div_fmas_f64 v[0:1], v[0:1], v[8:9], v[66:67]
	v_div_fixup_f64 v[18:19], v[0:1], v[16:17], 1.0
	v_cmp_eq_f64_e32 vcc, 1.0, v[10:11]
	v_cndmask_b32_e32 v1, v19, v73, vcc
	v_cndmask_b32_e64 v0, v18, 0, vcc
	v_cmp_eq_f64_e64 s[2:3], 0, v[0:1]
	v_and_b32_e32 v3, 0x7fffffff, v11
	v_cndmask_b32_e64 v9, v11, v73, s[2:3]
	v_cndmask_b32_e64 v8, v10, 0, s[2:3]
	;; [unrolled: 1-line block ×4, first 2 shown]
	v_frexp_mant_f64_e32 v[66:67], v[10:11]
	v_cmp_gt_f64_e64 s[2:3], s[22:23], v[66:67]
	v_cndmask_b32_e64 v23, v73, 2.0, s[2:3]
	v_mul_f64 v[66:67], v[66:67], v[22:23]
	v_add_f64 v[68:69], v[66:67], 1.0
	v_rcp_f64_e32 v[70:71], v[68:69]
	v_add_f64 v[86:87], v[68:69], -1.0
	v_add_f64 v[84:85], v[66:67], -1.0
	v_add_f64 v[66:67], v[66:67], -v[86:87]
	v_fma_f64 v[86:87], -v[68:69], v[70:71], 1.0
	v_fmac_f64_e32 v[70:71], v[86:87], v[70:71]
	v_fma_f64 v[86:87], -v[68:69], v[70:71], 1.0
	v_fmac_f64_e32 v[70:71], v[86:87], v[70:71]
	v_mul_f64 v[86:87], v[84:85], v[70:71]
	v_mul_f64 v[88:89], v[68:69], v[86:87]
	v_fma_f64 v[68:69], v[86:87], v[68:69], -v[88:89]
	v_fmac_f64_e32 v[68:69], v[86:87], v[66:67]
	v_add_f64 v[66:67], v[88:89], v[68:69]
	v_add_f64 v[90:91], v[84:85], -v[66:67]
	v_add_f64 v[88:89], v[66:67], -v[88:89]
	;; [unrolled: 1-line block ×5, first 2 shown]
	v_add_f64 v[66:67], v[68:69], v[66:67]
	v_add_f64 v[66:67], v[90:91], v[66:67]
	v_mul_f64 v[66:67], v[70:71], v[66:67]
	v_add_f64 v[68:69], v[86:87], v[66:67]
	v_add_f64 v[70:71], v[68:69], -v[86:87]
	v_add_f64 v[66:67], v[66:67], -v[70:71]
	v_mul_f64 v[70:71], v[68:69], v[68:69]
	v_fma_f64 v[84:85], v[68:69], v[68:69], -v[70:71]
	v_add_f64 v[86:87], v[66:67], v[66:67]
	v_frexp_exp_i32_f64_e32 v3, v[10:11]
	v_fmac_f64_e32 v[84:85], v[68:69], v[86:87]
	v_subbrev_co_u32_e64 v3, s[2:3], 0, v3, s[2:3]
	v_add_f64 v[86:87], v[70:71], v[84:85]
	v_add_f64 v[70:71], v[86:87], -v[70:71]
	s_mov_b32 s2, 0x4222de17
	v_add_f64 v[70:71], v[84:85], -v[70:71]
	v_pk_mov_b32 v[84:85], v[26:27], v[26:27] op_sel:[0,1]
	s_mov_b32 s3, 0x3fbdee67
	v_fmac_f64_e32 v[84:85], s[2:3], v[86:87]
	v_pk_mov_b32 v[88:89], v[28:29], v[28:29] op_sel:[0,1]
	v_fmac_f64_e32 v[88:89], v[86:87], v[84:85]
	v_pk_mov_b32 v[84:85], v[30:31], v[30:31] op_sel:[0,1]
	;; [unrolled: 2-line block ×7, first 2 shown]
	v_fmac_f64_e32 v[88:89], v[86:87], v[84:85]
	v_cvt_f64_i32_e32 v[84:85], v3
	v_mul_f64 v[90:91], v[84:85], s[30:31]
	v_mul_f64 v[96:97], v[68:69], v[86:87]
	v_fma_f64 v[92:93], v[84:85], s[30:31], -v[90:91]
	v_fma_f64 v[98:99], v[86:87], v[68:69], -v[96:97]
	v_fmac_f64_e32 v[92:93], s[34:35], v[84:85]
	v_fmac_f64_e32 v[98:99], v[86:87], v[66:67]
	v_add_f64 v[84:85], v[90:91], v[92:93]
	v_fmac_f64_e32 v[98:99], v[70:71], v[68:69]
	v_add_f64 v[90:91], v[84:85], -v[90:91]
	v_ldexp_f64 v[94:95], v[66:67], 1
	v_add_f64 v[66:67], v[96:97], v[98:99]
	v_add_f64 v[90:91], v[92:93], -v[90:91]
	v_ldexp_f64 v[92:93], v[68:69], 1
	v_add_f64 v[68:69], v[66:67], -v[96:97]
	v_mul_f64 v[96:97], v[86:87], v[88:89]
	v_fma_f64 v[86:87], v[86:87], v[88:89], -v[96:97]
	v_fmac_f64_e32 v[86:87], v[70:71], v[88:89]
	v_add_f64 v[70:71], v[96:97], v[86:87]
	v_add_f64 v[88:89], v[70:71], -v[96:97]
	v_add_f64 v[86:87], v[86:87], -v[88:89]
	v_add_f64 v[88:89], v[70:71], s[22:23]
	s_mov_b32 s36, s22
	s_mov_b32 s2, 0xd5df274d
	v_add_f64 v[96:97], v[88:89], s[36:37]
	s_mov_b32 s3, 0x3c8543b0
	v_add_f64 v[70:71], v[70:71], -v[96:97]
	v_add_f64 v[86:87], v[86:87], s[2:3]
	v_add_f64 v[70:71], v[86:87], v[70:71]
	;; [unrolled: 1-line block ×3, first 2 shown]
	v_add_f64 v[88:89], v[88:89], -v[86:87]
	v_add_f64 v[70:71], v[70:71], v[88:89]
	v_mul_f64 v[88:89], v[66:67], v[86:87]
	v_fma_f64 v[96:97], v[66:67], v[86:87], -v[88:89]
	v_add_f64 v[68:69], v[98:99], -v[68:69]
	v_fmac_f64_e32 v[96:97], v[66:67], v[70:71]
	v_fmac_f64_e32 v[96:97], v[68:69], v[86:87]
	v_add_f64 v[66:67], v[88:89], v[96:97]
	v_add_f64 v[68:69], v[66:67], -v[88:89]
	v_add_f64 v[70:71], v[92:93], v[66:67]
	v_add_f64 v[68:69], v[96:97], -v[68:69]
	v_add_f64 v[86:87], v[70:71], -v[92:93]
	;; [unrolled: 1-line block ×3, first 2 shown]
	v_add_f64 v[68:69], v[94:95], v[68:69]
	v_add_f64 v[66:67], v[68:69], v[66:67]
	;; [unrolled: 1-line block ×3, first 2 shown]
	v_add_f64 v[70:71], v[68:69], -v[70:71]
	v_add_f64 v[66:67], v[66:67], -v[70:71]
	v_add_f64 v[70:71], v[84:85], v[68:69]
	v_add_f64 v[86:87], v[70:71], -v[84:85]
	v_add_f64 v[88:89], v[70:71], -v[86:87]
	;; [unrolled: 1-line block ×4, first 2 shown]
	v_add_f64 v[68:69], v[68:69], v[84:85]
	v_add_f64 v[84:85], v[90:91], v[66:67]
	v_add_f64 v[86:87], v[84:85], -v[90:91]
	v_add_f64 v[68:69], v[84:85], v[68:69]
	v_add_f64 v[88:89], v[84:85], -v[86:87]
	;; [unrolled: 2-line block ×3, first 2 shown]
	v_add_f64 v[66:67], v[66:67], -v[86:87]
	v_add_f64 v[70:71], v[84:85], -v[70:71]
	v_add_f64 v[66:67], v[66:67], v[88:89]
	v_add_f64 v[68:69], v[68:69], -v[70:71]
	v_add_f64 v[66:67], v[66:67], v[68:69]
	v_add_f64 v[68:69], v[84:85], v[66:67]
	v_add_f64 v[70:71], v[68:69], -v[84:85]
	v_add_f64 v[66:67], v[66:67], -v[70:71]
	v_mul_f64 v[70:71], v[0:1], v[68:69]
	v_fma_f64 v[68:69], v[0:1], v[68:69], -v[70:71]
	v_fmac_f64_e32 v[68:69], v[0:1], v[66:67]
	v_add_f64 v[66:67], v[70:71], v[68:69]
	v_cmp_class_f64_e64 s[2:3], v[70:71], s94
	v_add_f64 v[84:85], v[66:67], -v[70:71]
	v_cndmask_b32_e64 v67, v67, v71, s[2:3]
	v_cndmask_b32_e64 v66, v66, v70, s[2:3]
	v_add_f64 v[68:69], v[68:69], -v[84:85]
	v_cmp_neq_f64_e64 s[2:3], |v[66:67]|, s[40:41]
	v_cndmask_b32_e64 v69, 0, v69, s[2:3]
	v_cndmask_b32_e64 v68, 0, v68, s[2:3]
	s_mov_b32 s2, 0x652b82fe
	s_mov_b32 s3, 0x3ff71547
	v_mul_f64 v[70:71], v[66:67], s[2:3]
	v_rndne_f64_e32 v[70:71], v[70:71]
	s_mov_b32 s44, s30
	v_fma_f64 v[84:85], s[44:45], v[70:71], v[66:67]
	s_mov_b32 s46, s34
	s_mov_b32 s2, 0x6a5dcb37
	v_fmac_f64_e32 v[84:85], s[46:47], v[70:71]
	v_pk_mov_b32 v[86:87], v[42:43], v[42:43] op_sel:[0,1]
	s_mov_b32 s3, 0x3e5ade15
	v_fmac_f64_e32 v[86:87], s[2:3], v[84:85]
	v_pk_mov_b32 v[88:89], v[44:45], v[44:45] op_sel:[0,1]
	v_fmac_f64_e32 v[88:89], v[84:85], v[86:87]
	v_pk_mov_b32 v[86:87], v[46:47], v[46:47] op_sel:[0,1]
	;; [unrolled: 2-line block ×8, first 2 shown]
	v_fmac_f64_e32 v[86:87], v[84:85], v[88:89]
	v_fma_f64 v[86:87], v[84:85], v[86:87], 1.0
	s_mov_b32 s2, 0
	v_fma_f64 v[84:85], v[84:85], v[86:87], 1.0
	v_cvt_i32_f64_e32 v3, v[70:71]
	s_mov_b32 s3, 0x40900000
	s_mov_b32 s4, 0
	v_ldexp_f64 v[70:71], v[84:85], v3
	v_cmp_lt_f64_e64 s[2:3], s[2:3], v[66:67]
	s_mov_b32 s5, 0xc090cc00
	v_cndmask_b32_e64 v3, v70, 0, s[2:3]
	v_cndmask_b32_e64 v23, v71, v74, s[2:3]
	v_cmp_ngt_f64_e64 s[4:5], s[4:5], v[66:67]
	v_and_b32_e32 v71, 0x7fffffff, v71
	v_cndmask_b32_e64 v67, 0, v23, s[4:5]
	v_cndmask_b32_e64 v66, 0, v3, s[4:5]
	v_cmp_eq_f64_e64 s[6:7], s[40:41], v[70:71]
	v_pk_mov_b32 v[84:85], v[66:67], v[66:67] op_sel:[0,1]
	s_or_b64 s[2:3], s[2:3], s[6:7]
	v_fmac_f64_e32 v[84:85], v[84:85], v[68:69]
	s_and_b64 s[2:3], s[4:5], s[2:3]
	v_cndmask_b32_e64 v3, v84, v66, s[2:3]
	v_cndmask_b32_e64 v23, v85, v67, s[2:3]
	v_trunc_f64_e32 v[66:67], v[0:1]
	v_cmp_eq_f64_e64 s[2:3], v[66:67], v[0:1]
	v_mul_f64 v[66:67], v[0:1], 0.5
	v_trunc_f64_e32 v[68:69], v[66:67]
	v_cmp_neq_f64_e64 s[4:5], v[68:69], v[66:67]
	s_and_b64 s[4:5], s[2:3], s[4:5]
	v_cndmask_b32_e64 v64, v73, v9, s[4:5]
	v_bfi_b32 v23, s93, v23, v64
	v_and_b32_e32 v19, 0x7fffffff, v19
	v_cndmask_b32_e64 v64, v75, v23, s[2:3]
	v_cndmask_b32_e64 v66, 0, v3, s[2:3]
	v_cmp_gt_f64_e64 s[2:3], 0, v[8:9]
	v_cndmask_b32_e32 v19, v19, v73, vcc
	v_cndmask_b32_e64 v18, v18, 0, vcc
	v_cndmask_b32_e64 v3, v3, v66, s[2:3]
	v_cndmask_b32_e64 v23, v23, v64, s[2:3]
	v_cmp_neq_f64_e32 vcc, v[0:1], v[18:19]
	v_cmp_gt_f64_e64 s[2:3], 1.0, v[10:11]
	s_xor_b64 s[2:3], vcc, s[2:3]
	v_cndmask_b32_e64 v64, v19, 0, s[2:3]
	v_cndmask_b32_e64 v66, v18, 0, s[2:3]
	v_cmp_eq_f64_e32 vcc, 1.0, v[10:11]
	v_cmp_eq_f64_e64 s[2:3], 0, v[8:9]
	v_cmp_gt_f64_e64 s[6:7], 0, v[0:1]
	v_cndmask_b32_e32 v66, v66, v10, vcc
	v_cndmask_b32_e32 v64, v64, v11, vcc
	v_cmp_eq_f64_e32 vcc, s[40:41], v[18:19]
	s_xor_b64 s[6:7], s[6:7], s[2:3]
	v_cndmask_b32_e32 v18, v23, v64, vcc
	v_cndmask_b32_e32 v3, v3, v66, vcc
	v_cmp_eq_f64_e32 vcc, s[40:41], v[10:11]
	v_cndmask_b32_e64 v0, v74, 0, s[6:7]
	v_cndmask_b32_e64 v1, 0, v9, s[4:5]
	v_bfi_b32 v0, s93, v0, v1
	s_or_b64 vcc, vcc, s[2:3]
	v_pk_mov_b32 v[8:9], v[12:13], v[12:13] op_sel:[0,1]
	s_mov_b64 s[80:81], exec
	v_cndmask_b32_e64 v66, v3, 0, vcc
	v_cndmask_b32_e32 v67, v18, v0, vcc
	v_add_f64 v[16:17], v[16:17], 1.0
	v_pk_mov_b32 v[10:11], v[14:15], v[14:15] op_sel:[0,1]
	v_mov_b32_e32 v70, v65
.LBB110_13:                             ;   in Loop: Header=BB110_4 Depth=1
	s_or_b64 exec, exec, s[78:79]
	s_orn2_b64 s[2:3], s[80:81], exec
.LBB110_14:                             ;   in Loop: Header=BB110_4 Depth=1
	s_or_b64 exec, exec, s[76:77]
	v_pk_mov_b32 v[68:69], s[74:75], s[74:75] op_sel:[0,1]
	s_and_saveexec_b64 s[4:5], s[2:3]
	s_cbranch_execz .LBB110_3
; %bb.15:                               ;   in Loop: Header=BB110_4 Depth=1
	v_add_f64 v[0:1], v[16:17], s[54:55]
	v_mul_f64 v[12:13], v[0:1], s[56:57]
	v_cmp_gt_f64_e32 vcc, s[58:59], v[12:13]
	v_cndmask_b32_e64 v3, 0, 1, vcc
	v_lshlrev_b32_e32 v3, 8, v3
	v_ldexp_f64 v[12:13], v[12:13], v3
	v_rsq_f64_e32 v[14:15], v[12:13]
	v_cndmask_b32_e32 v3, 0, v76, vcc
	v_cmp_class_f64_e32 vcc, v[12:13], v72
	v_mov_b32_e32 v99, 0
	v_mul_f64 v[16:17], v[12:13], v[14:15]
	v_mul_f64 v[14:15], v[14:15], 0.5
	v_fma_f64 v[18:19], -v[14:15], v[16:17], 0.5
	v_fmac_f64_e32 v[16:17], v[16:17], v[18:19]
	v_fmac_f64_e32 v[14:15], v[14:15], v[18:19]
	v_fma_f64 v[18:19], -v[16:17], v[16:17], v[12:13]
	v_fmac_f64_e32 v[16:17], v[18:19], v[14:15]
	v_fma_f64 v[18:19], -v[16:17], v[16:17], v[12:13]
	v_fmac_f64_e32 v[16:17], v[18:19], v[14:15]
	v_ldexp_f64 v[14:15], v[16:17], v3
	v_cndmask_b32_e32 v13, v15, v13, vcc
	v_cndmask_b32_e32 v12, v14, v12, vcc
	v_div_scale_f64 v[14:15], s[2:3], v[12:13], v[12:13], 1.0
	v_rcp_f64_e32 v[16:17], v[14:15]
	v_mul_f64 v[66:67], v[66:67], v[0:1]
	v_add_u32_e32 v3, 0x9e3779b9, v62
	v_add_u32_e32 v84, 0xbb67ae85, v63
	v_fma_f64 v[18:19], -v[14:15], v[16:17], 1.0
	v_fmac_f64_e32 v[16:17], v[16:17], v[18:19]
	v_fma_f64 v[18:19], -v[14:15], v[16:17], 1.0
	v_fmac_f64_e32 v[16:17], v[16:17], v[18:19]
	v_div_scale_f64 v[18:19], vcc, 1.0, v[12:13], 1.0
	v_mul_f64 v[64:65], v[18:19], v[16:17]
	v_fma_f64 v[14:15], -v[14:15], v[64:65], v[18:19]
	v_add_u32_e32 v85, 0x3c6ef372, v62
	s_nop 0
	v_div_fmas_f64 v[14:15], v[14:15], v[16:17], v[64:65]
	v_div_fixup_f64 v[64:65], v[14:15], v[12:13], 1.0
	v_add_u32_e32 v86, 0x76cf5d0a, v63
	v_add_u32_e32 v87, 0xdaa66d2b, v62
	;; [unrolled: 1-line block ×13, first 2 shown]
	s_mov_b64 s[6:7], 0
                                        ; implicit-def: $vgpr71
                                        ; implicit-def: $vgpr68_vgpr69
	s_branch .LBB110_17
.LBB110_16:                             ;   in Loop: Header=BB110_17 Depth=2
	s_or_b64 exec, exec, s[2:3]
	s_xor_b64 s[2:3], s[74:75], -1
	s_and_b64 s[2:3], exec, s[2:3]
	s_or_b64 s[6:7], s[2:3], s[6:7]
	s_andn2_b64 exec, exec, s[6:7]
	s_cbranch_execz .LBB110_2
.LBB110_17:                             ;   Parent Loop BB110_4 Depth=1
                                        ; =>  This Loop Header: Depth=2
                                        ;       Child Loop BB110_20 Depth 3
	v_pk_mov_b32 v[14:15], v[10:11], v[10:11] op_sel:[0,1]
	s_mov_b64 s[74:75], 0
	v_mov_b32_e32 v23, v70
	v_pk_mov_b32 v[12:13], v[8:9], v[8:9] op_sel:[0,1]
	s_branch .LBB110_20
.LBB110_18:                             ;   in Loop: Header=BB110_20 Depth=3
	s_or_b64 exec, exec, s[2:3]
	v_cmp_eq_u32_e32 vcc, 1, v23
	v_cndmask_b32_e32 v12, v12, v13, vcc
	v_cmp_eq_u32_e32 vcc, 2, v23
	v_cndmask_b32_e32 v12, v12, v14, vcc
	;; [unrolled: 2-line block ×4, first 2 shown]
	v_cvt_f32_u32_e32 v9, v12
	v_cmp_eq_u32_e32 vcc, 2, v70
	v_cndmask_b32_e32 v8, v8, v10, vcc
	v_mov_b32_e32 v10, 0x2f800000
	v_fmac_f32_e32 v10, 0x2f800000, v9
	v_cmp_gt_f32_e32 vcc, s39, v10
	v_cndmask_b32_e32 v9, 1.0, v77, vcc
	v_mul_f32_e32 v9, v10, v9
	v_log_f32_e32 v9, v9
	v_cmp_eq_u32_e64 s[2:3], 3, v70
	v_cndmask_b32_e64 v8, v8, v11, s[2:3]
	v_cvt_f32_u32_e32 v8, v8
	v_mul_f32_e32 v10, 0x3f317217, v9
	v_fma_f32 v11, v9, s42, -v10
	v_fmac_f32_e32 v11, 0x3377d1cf, v9
	v_add_f32_e32 v10, v10, v11
	v_cmp_lt_f32_e64 s[2:3], |v9|, s43
	v_cndmask_b32_e64 v9, v9, v10, s[2:3]
	v_cndmask_b32_e32 v10, 0, v78, vcc
	v_sub_f32_e32 v9, v9, v10
	v_mul_f32_e32 v9, -2.0, v9
	v_mul_f32_e32 v10, 0x4f800000, v9
	v_cmp_gt_f32_e32 vcc, s48, v9
	v_cndmask_b32_e32 v10, v9, v10, vcc
	v_sqrt_f32_e32 v9, v10
	v_mov_b32_e32 v11, 0x30c90fdb
	v_fmac_f32_e32 v11, 0x30c90fdb, v8
	v_mov_b32_e32 v99, 1
	v_add_u32_e32 v8, -1, v9
	v_fma_f32 v12, -v8, v9, v10
	v_cmp_ge_f32_e64 s[2:3], 0, v12
	v_add_u32_e32 v12, 1, v9
	v_cndmask_b32_e64 v8, v9, v8, s[2:3]
	v_fma_f32 v9, -v12, v9, v10
	v_cmp_lt_f32_e64 s[2:3], 0, v9
	v_mul_f32_e32 v9, 0.15915494, v11
	v_cndmask_b32_e64 v12, v8, v12, s[2:3]
	v_sin_f32_e32 v8, v9
	v_cos_f32_e32 v9, v9
	v_mul_f32_e32 v13, 0x37800000, v12
	v_cndmask_b32_e32 v11, v12, v13, vcc
	v_cmp_class_f32_e32 vcc, v10, v72
	v_cndmask_b32_e32 v10, v11, v10, vcc
	v_pk_mov_b32 v[12:13], v[16:17], v[16:17] op_sel:[0,1]
	v_pk_mul_f32 v[70:71], v[10:11], v[8:9] op_sel_hi:[0,1]
	v_pk_mov_b32 v[14:15], v[18:19], v[18:19] op_sel:[0,1]
	v_mov_b32_e32 v23, v100
.LBB110_19:                             ;   in Loop: Header=BB110_20 Depth=3
	s_or_b64 exec, exec, s[76:77]
	v_cvt_f64_f32_e32 v[16:17], v70
	v_fma_f64 v[18:19], v[64:65], v[16:17], 1.0
	v_cmp_nge_f64_e32 vcc, 0, v[18:19]
	s_or_b64 s[74:75], vcc, s[74:75]
	s_andn2_b64 exec, exec, s[74:75]
	s_cbranch_execz .LBB110_25
.LBB110_20:                             ;   Parent Loop BB110_4 Depth=1
                                        ;     Parent Loop BB110_17 Depth=2
                                        ; =>    This Inner Loop Header: Depth=3
	v_cmp_eq_u32_e32 vcc, 0, v99
	v_mov_b32_e32 v99, 0
	v_mov_b32_e32 v70, v71
	s_and_saveexec_b64 s[76:77], vcc
	s_cbranch_execz .LBB110_19
; %bb.21:                               ;   in Loop: Header=BB110_20 Depth=3
	v_add_u32_e32 v70, 1, v23
	v_pk_mov_b32 v[8:9], v[12:13], v[12:13] op_sel:[0,1]
	v_cmp_eq_u32_e32 vcc, 4, v70
	v_pk_mov_b32 v[10:11], v[14:15], v[14:15] op_sel:[0,1]
	s_and_saveexec_b64 s[2:3], vcc
	s_cbranch_execz .LBB110_23
; %bb.22:                               ;   in Loop: Header=BB110_20 Depth=3
	v_add_co_u32_e32 v4, vcc, 1, v4
	v_cndmask_b32_e64 v8, 0, 1, vcc
	v_addc_co_u32_e32 v5, vcc, 0, v5, vcc
	v_cmp_eq_u32_e32 vcc, 0, v5
	v_cndmask_b32_e32 v8, 0, v8, vcc
	v_add_u32_e32 v6, v8, v6
	v_cmp_eq_u32_e32 vcc, 0, v6
	v_cndmask_b32_e32 v8, 0, v8, vcc
	v_add_u32_e32 v7, v8, v7
	v_mad_u64_u32 v[8:9], s[78:79], v4, s15, 0
	v_mad_u64_u32 v[10:11], s[78:79], v6, s84, 0
	v_xor_b32_e32 v11, v11, v62
	v_xor_b32_e32 v9, v9, v63
	v_xor_b32_e32 v11, v5, v11
	v_xor_b32_e32 v9, v7, v9
	v_mad_u64_u32 v[16:17], s[78:79], v11, s15, 0
	v_mad_u64_u32 v[18:19], s[78:79], v9, s84, 0
	v_xor_b32_e32 v9, v19, v10
	v_xor_b32_e32 v8, v17, v8
	v_xor_b32_e32 v9, v3, v9
	v_xor_b32_e32 v10, v84, v8
	;; [unrolled: 6-line block ×9, first 2 shown]
	v_mad_u64_u32 v[16:17], s[78:79], v9, s15, 0
	v_mad_u64_u32 v[18:19], s[78:79], v11, s84, 0
	v_xor_b32_e32 v8, v19, v8
	v_xor_b32_e32 v9, v17, v10
	v_mov_b32_e32 v70, 0
	v_xor_b32_e32 v8, v82, v8
	v_xor_b32_e32 v10, v83, v9
	v_mov_b32_e32 v9, v18
	v_mov_b32_e32 v11, v16
.LBB110_23:                             ;   in Loop: Header=BB110_20 Depth=3
	s_or_b64 exec, exec, s[2:3]
	v_add_u32_e32 v100, 1, v70
	v_pk_mov_b32 v[18:19], v[10:11], v[10:11] op_sel:[0,1]
	v_cmp_eq_u32_e32 vcc, 4, v100
	v_pk_mov_b32 v[16:17], v[8:9], v[8:9] op_sel:[0,1]
	s_and_saveexec_b64 s[2:3], vcc
	s_cbranch_execz .LBB110_18
; %bb.24:                               ;   in Loop: Header=BB110_20 Depth=3
	v_add_co_u32_e32 v4, vcc, 1, v4
	v_cndmask_b32_e64 v16, 0, 1, vcc
	v_addc_co_u32_e32 v5, vcc, 0, v5, vcc
	v_cmp_eq_u32_e32 vcc, 0, v5
	v_cndmask_b32_e32 v16, 0, v16, vcc
	v_add_u32_e32 v6, v16, v6
	v_cmp_eq_u32_e32 vcc, 0, v6
	v_cndmask_b32_e32 v16, 0, v16, vcc
	v_add_u32_e32 v7, v16, v7
	v_mad_u64_u32 v[16:17], s[78:79], v4, s15, 0
	v_mad_u64_u32 v[18:19], s[78:79], v6, s84, 0
	v_xor_b32_e32 v19, v19, v62
	v_xor_b32_e32 v17, v17, v63
	v_xor_b32_e32 v19, v5, v19
	v_xor_b32_e32 v17, v7, v17
	v_mad_u64_u32 v[102:103], s[78:79], v19, s15, 0
	v_mad_u64_u32 v[104:105], s[78:79], v17, s84, 0
	v_xor_b32_e32 v17, v105, v18
	v_xor_b32_e32 v16, v103, v16
	v_xor_b32_e32 v17, v3, v17
	v_xor_b32_e32 v18, v84, v16
	;; [unrolled: 6-line block ×9, first 2 shown]
	v_mad_u64_u32 v[102:103], s[78:79], v17, s15, 0
	v_mad_u64_u32 v[104:105], s[78:79], v19, s84, 0
	v_xor_b32_e32 v16, v105, v16
	v_xor_b32_e32 v17, v103, v18
	v_mov_b32_e32 v100, 0
	v_xor_b32_e32 v16, v82, v16
	v_xor_b32_e32 v18, v83, v17
	v_mov_b32_e32 v17, v104
	v_mov_b32_e32 v19, v102
	s_branch .LBB110_18
.LBB110_25:                             ;   in Loop: Header=BB110_17 Depth=2
	s_or_b64 exec, exec, s[74:75]
	v_add_u32_e32 v70, 1, v23
	v_pk_mov_b32 v[8:9], v[12:13], v[12:13] op_sel:[0,1]
	v_cmp_eq_u32_e32 vcc, 4, v70
	v_pk_mov_b32 v[10:11], v[14:15], v[14:15] op_sel:[0,1]
	s_and_saveexec_b64 s[2:3], vcc
	s_cbranch_execz .LBB110_27
; %bb.26:                               ;   in Loop: Header=BB110_17 Depth=2
	v_add_co_u32_e32 v4, vcc, 1, v4
	v_cndmask_b32_e64 v8, 0, 1, vcc
	v_addc_co_u32_e32 v5, vcc, 0, v5, vcc
	v_cmp_eq_u32_e32 vcc, 0, v5
	v_cndmask_b32_e32 v8, 0, v8, vcc
	v_add_u32_e32 v6, v8, v6
	v_cmp_eq_u32_e32 vcc, 0, v6
	v_cndmask_b32_e32 v8, 0, v8, vcc
	v_add_u32_e32 v7, v8, v7
	v_mad_u64_u32 v[8:9], s[74:75], v4, s15, 0
	v_mad_u64_u32 v[10:11], s[74:75], v6, s84, 0
	v_xor_b32_e32 v11, v11, v62
	v_xor_b32_e32 v9, v9, v63
	v_xor_b32_e32 v11, v5, v11
	v_xor_b32_e32 v9, v7, v9
	v_mad_u64_u32 v[100:101], s[74:75], v11, s15, 0
	v_mad_u64_u32 v[102:103], s[74:75], v9, s84, 0
	v_xor_b32_e32 v9, v103, v10
	v_xor_b32_e32 v8, v101, v8
	v_xor_b32_e32 v9, v3, v9
	v_xor_b32_e32 v10, v84, v8
	;; [unrolled: 6-line block ×9, first 2 shown]
	v_mad_u64_u32 v[100:101], s[74:75], v9, s15, 0
	v_mad_u64_u32 v[102:103], s[74:75], v11, s84, 0
	v_xor_b32_e32 v8, v103, v8
	v_xor_b32_e32 v9, v101, v10
	v_mov_b32_e32 v70, 0
	v_xor_b32_e32 v8, v82, v8
	v_xor_b32_e32 v10, v83, v9
	v_mov_b32_e32 v9, v102
	v_mov_b32_e32 v11, v100
.LBB110_27:                             ;   in Loop: Header=BB110_17 Depth=2
	s_or_b64 exec, exec, s[2:3]
	v_cmp_eq_u32_e32 vcc, 1, v23
	v_cndmask_b32_e32 v12, v12, v13, vcc
	v_cmp_eq_u32_e32 vcc, 2, v23
	v_cndmask_b32_e32 v12, v12, v14, vcc
	;; [unrolled: 2-line block ×3, first 2 shown]
	v_cvt_f32_u32_e32 v14, v12
	v_mov_b32_e32 v15, 0x2f800000
	v_mul_f64 v[12:13], v[18:19], v[18:19]
	v_mul_f64 v[12:13], v[18:19], v[12:13]
	v_fmac_f32_e32 v15, 0x2f800000, v14
	v_cvt_f64_f32_e32 v[14:15], v15
	v_add_f64 v[18:19], -v[14:15], 1.0
	v_mul_f64 v[14:15], v[16:17], v[16:17]
	v_mul_f64 v[16:17], v[14:15], s[60:61]
	v_fma_f64 v[16:17], v[14:15], v[16:17], 1.0
	v_cmp_nlt_f64_e32 vcc, v[18:19], v[16:17]
                                        ; implicit-def: $sgpr74_sgpr75
	s_and_saveexec_b64 s[2:3], vcc
	s_xor_b64 s[2:3], exec, s[2:3]
	s_cbranch_execz .LBB110_31
; %bb.28:                               ;   in Loop: Header=BB110_17 Depth=2
	v_frexp_mant_f64_e32 v[16:17], v[18:19]
	v_cmp_gt_f64_e32 vcc, s[22:23], v[16:17]
	v_cndmask_b32_e64 v23, v73, 2.0, vcc
	v_frexp_exp_i32_f64_e32 v100, v[18:19]
	v_mul_f64 v[16:17], v[16:17], v[22:23]
	v_subbrev_co_u32_e32 v23, vcc, 0, v100, vcc
	v_add_f64 v[100:101], v[16:17], 1.0
	v_rcp_f64_e32 v[102:103], v[100:101]
	v_add_f64 v[106:107], v[100:101], -1.0
	v_add_f64 v[104:105], v[16:17], -1.0
	v_add_f64 v[16:17], v[16:17], -v[106:107]
	v_fma_f64 v[106:107], -v[100:101], v[102:103], 1.0
	v_fmac_f64_e32 v[102:103], v[106:107], v[102:103]
	v_fma_f64 v[106:107], -v[100:101], v[102:103], 1.0
	v_fmac_f64_e32 v[102:103], v[106:107], v[102:103]
	v_mul_f64 v[106:107], v[104:105], v[102:103]
	v_mul_f64 v[108:109], v[100:101], v[106:107]
	v_fma_f64 v[100:101], v[106:107], v[100:101], -v[108:109]
	v_fmac_f64_e32 v[100:101], v[106:107], v[16:17]
	v_add_f64 v[16:17], v[108:109], v[100:101]
	v_add_f64 v[110:111], v[104:105], -v[16:17]
	v_add_f64 v[108:109], v[16:17], -v[108:109]
	;; [unrolled: 1-line block ×5, first 2 shown]
	v_add_f64 v[16:17], v[100:101], v[16:17]
	v_add_f64 v[16:17], v[110:111], v[16:17]
	v_mul_f64 v[16:17], v[102:103], v[16:17]
	v_add_f64 v[100:101], v[106:107], v[16:17]
	v_add_f64 v[102:103], v[100:101], -v[106:107]
	v_add_f64 v[16:17], v[16:17], -v[102:103]
	v_mul_f64 v[102:103], v[100:101], v[100:101]
	v_pk_mov_b32 v[104:105], s[62:63], s[62:63] op_sel:[0,1]
	v_fma_f64 v[106:107], s[64:65], v[102:103], v[104:105]
	v_fma_f64 v[106:107], v[102:103], v[106:107], s[66:67]
	;; [unrolled: 1-line block ×5, first 2 shown]
	s_mov_b32 s71, s23
	v_fma_f64 v[106:107], v[102:103], v[106:107], s[70:71]
	v_ldexp_f64 v[108:109], v[100:101], 1
	v_mul_f64 v[100:101], v[100:101], v[102:103]
	v_mul_f64 v[100:101], v[100:101], v[106:107]
	v_add_f64 v[102:103], v[108:109], v[100:101]
	v_add_f64 v[106:107], v[102:103], -v[108:109]
	v_ldexp_f64 v[16:17], v[16:17], 1
	v_add_f64 v[100:101], v[100:101], -v[106:107]
	v_add_f64 v[16:17], v[16:17], v[100:101]
	v_add_f64 v[100:101], v[102:103], v[16:17]
	v_add_f64 v[102:103], v[100:101], -v[102:103]
	v_add_f64 v[16:17], v[16:17], -v[102:103]
	v_cvt_f64_i32_e32 v[102:103], v23
	v_mul_f64 v[106:107], v[102:103], s[30:31]
	v_fma_f64 v[108:109], v[102:103], s[30:31], -v[106:107]
	v_fmac_f64_e32 v[108:109], s[34:35], v[102:103]
	v_add_f64 v[102:103], v[106:107], v[108:109]
	v_add_f64 v[106:107], v[102:103], -v[106:107]
	v_add_f64 v[106:107], v[108:109], -v[106:107]
	v_add_f64 v[108:109], v[102:103], v[100:101]
	v_add_f64 v[110:111], v[108:109], -v[102:103]
	v_add_f64 v[112:113], v[108:109], -v[110:111]
	;; [unrolled: 1-line block ×4, first 2 shown]
	v_add_f64 v[100:101], v[100:101], v[102:103]
	v_add_f64 v[102:103], v[106:107], v[16:17]
	v_add_f64 v[110:111], v[102:103], -v[106:107]
	v_add_f64 v[112:113], v[102:103], -v[110:111]
	v_add_f64 v[100:101], v[102:103], v[100:101]
	v_add_f64 v[106:107], v[106:107], -v[112:113]
	v_add_f64 v[16:17], v[16:17], -v[110:111]
	v_add_f64 v[102:103], v[108:109], v[100:101]
	v_add_f64 v[16:17], v[16:17], v[106:107]
	v_add_f64 v[106:107], v[102:103], -v[108:109]
	v_add_f64 v[100:101], v[100:101], -v[106:107]
	v_add_f64 v[16:17], v[16:17], v[100:101]
	v_add_f64 v[16:17], v[102:103], v[16:17]
	v_cmp_class_f64_e64 vcc, v[18:19], s94
	v_cndmask_b32_e32 v16, v16, v18, vcc
	v_cndmask_b32_e32 v17, v17, v19, vcc
	v_cmp_ngt_f64_e32 vcc, 0, v[18:19]
	v_cndmask_b32_e32 v17, v75, v17, vcc
	v_cmp_nge_f64_e32 vcc, 0, v[18:19]
	v_cndmask_b32_e32 v16, 0, v16, vcc
	v_cmp_neq_f64_e32 vcc, 0, v[18:19]
	v_frexp_mant_f64_e32 v[100:101], v[12:13]
	v_cndmask_b32_e32 v17, v79, v17, vcc
	v_cmp_gt_f64_e32 vcc, s[22:23], v[100:101]
	v_cndmask_b32_e64 v23, v73, 2.0, vcc
	v_frexp_exp_i32_f64_e32 v102, v[12:13]
	v_mul_f64 v[100:101], v[100:101], v[22:23]
	v_subbrev_co_u32_e32 v23, vcc, 0, v102, vcc
	v_add_f64 v[102:103], v[100:101], 1.0
	v_rcp_f64_e32 v[106:107], v[102:103]
	v_add_f64 v[110:111], v[102:103], -1.0
	v_add_f64 v[108:109], v[100:101], -1.0
	v_add_f64 v[100:101], v[100:101], -v[110:111]
	v_fma_f64 v[110:111], -v[102:103], v[106:107], 1.0
	v_fmac_f64_e32 v[106:107], v[110:111], v[106:107]
	v_fma_f64 v[110:111], -v[102:103], v[106:107], 1.0
	v_fmac_f64_e32 v[106:107], v[110:111], v[106:107]
	v_mul_f64 v[110:111], v[108:109], v[106:107]
	v_mul_f64 v[112:113], v[102:103], v[110:111]
	v_fma_f64 v[102:103], v[110:111], v[102:103], -v[112:113]
	v_fmac_f64_e32 v[102:103], v[110:111], v[100:101]
	v_add_f64 v[100:101], v[112:113], v[102:103]
	v_add_f64 v[114:115], v[108:109], -v[100:101]
	v_add_f64 v[112:113], v[100:101], -v[112:113]
	;; [unrolled: 1-line block ×5, first 2 shown]
	v_add_f64 v[100:101], v[102:103], v[100:101]
	v_add_f64 v[100:101], v[114:115], v[100:101]
	v_mul_f64 v[100:101], v[106:107], v[100:101]
	v_add_f64 v[102:103], v[110:111], v[100:101]
	v_add_f64 v[106:107], v[102:103], -v[110:111]
	v_add_f64 v[100:101], v[100:101], -v[106:107]
	v_mul_f64 v[106:107], v[102:103], v[102:103]
	v_fmac_f64_e32 v[104:105], s[64:65], v[106:107]
	v_fma_f64 v[104:105], v[106:107], v[104:105], s[66:67]
	v_fma_f64 v[104:105], v[106:107], v[104:105], s[68:69]
	;; [unrolled: 1-line block ×5, first 2 shown]
	v_ldexp_f64 v[108:109], v[102:103], 1
	v_mul_f64 v[102:103], v[102:103], v[106:107]
	v_mul_f64 v[102:103], v[102:103], v[104:105]
	v_add_f64 v[104:105], v[108:109], v[102:103]
	v_add_f64 v[106:107], v[104:105], -v[108:109]
	v_ldexp_f64 v[100:101], v[100:101], 1
	v_add_f64 v[102:103], v[102:103], -v[106:107]
	v_add_f64 v[100:101], v[100:101], v[102:103]
	v_add_f64 v[102:103], v[104:105], v[100:101]
	v_add_f64 v[104:105], v[102:103], -v[104:105]
	v_add_f64 v[100:101], v[100:101], -v[104:105]
	v_cvt_f64_i32_e32 v[104:105], v23
	v_mul_f64 v[106:107], v[104:105], s[30:31]
	v_fma_f64 v[108:109], v[104:105], s[30:31], -v[106:107]
	v_fmac_f64_e32 v[108:109], s[34:35], v[104:105]
	v_add_f64 v[104:105], v[106:107], v[108:109]
	v_add_f64 v[106:107], v[104:105], -v[106:107]
	v_add_f64 v[106:107], v[108:109], -v[106:107]
	v_add_f64 v[108:109], v[104:105], v[102:103]
	v_add_f64 v[110:111], v[108:109], -v[104:105]
	v_add_f64 v[112:113], v[108:109], -v[110:111]
	;; [unrolled: 1-line block ×4, first 2 shown]
	v_add_f64 v[102:103], v[102:103], v[104:105]
	v_add_f64 v[104:105], v[106:107], v[100:101]
	v_add_f64 v[110:111], v[104:105], -v[106:107]
	v_add_f64 v[112:113], v[104:105], -v[110:111]
	v_add_f64 v[102:103], v[104:105], v[102:103]
	v_add_f64 v[106:107], v[106:107], -v[112:113]
	v_add_f64 v[100:101], v[100:101], -v[110:111]
	v_add_f64 v[104:105], v[108:109], v[102:103]
	v_add_f64 v[100:101], v[100:101], v[106:107]
	v_add_f64 v[106:107], v[104:105], -v[108:109]
	v_add_f64 v[102:103], v[102:103], -v[106:107]
	v_add_f64 v[100:101], v[100:101], v[102:103]
	v_add_f64 v[100:101], v[104:105], v[100:101]
	v_cmp_class_f64_e64 vcc, v[12:13], s94
	v_cndmask_b32_e32 v23, v100, v12, vcc
	v_cndmask_b32_e32 v100, v101, v13, vcc
	v_cmp_ngt_f64_e32 vcc, 0, v[12:13]
	v_cndmask_b32_e32 v101, v75, v100, vcc
	v_cmp_nge_f64_e32 vcc, 0, v[12:13]
	v_cndmask_b32_e32 v100, 0, v23, vcc
	v_cmp_neq_f64_e32 vcc, 0, v[12:13]
	v_add_f64 v[18:19], -v[12:13], 1.0
	v_cndmask_b32_e32 v101, v79, v101, vcc
	v_add_f64 v[18:19], v[18:19], v[100:101]
	v_mul_f64 v[18:19], v[0:1], v[18:19]
	v_fmac_f64_e32 v[18:19], 0.5, v[14:15]
	v_cmp_lt_f64_e32 vcc, v[16:17], v[18:19]
	s_mov_b64 s[74:75], -1
	s_and_saveexec_b64 s[76:77], vcc
; %bb.29:                               ;   in Loop: Header=BB110_17 Depth=2
	v_mul_f64 v[68:69], v[66:67], v[12:13]
	s_xor_b64 s[74:75], exec, -1
; %bb.30:                               ;   in Loop: Header=BB110_17 Depth=2
	s_or_b64 exec, exec, s[76:77]
	s_and_b64 s[74:75], s[74:75], exec
                                        ; implicit-def: $vgpr12_vgpr13
.LBB110_31:                             ;   in Loop: Header=BB110_17 Depth=2
	s_andn2_saveexec_b64 s[2:3], s[2:3]
	s_cbranch_execz .LBB110_16
; %bb.32:                               ;   in Loop: Header=BB110_17 Depth=2
	v_mul_f64 v[68:69], v[66:67], v[12:13]
	s_andn2_b64 s[74:75], s[74:75], exec
	s_branch .LBB110_16
.LBB110_33:
	s_endpgm
	.section	.rodata,"a",@progbits
	.p2align	6, 0x0
	.amdhsa_kernel _ZN2at4cuda12_GLOBAL__N_121kernelPointwiseApply2IZN12_GLOBAL__N_117gamma_cuda_kernelIdEEvRKNS_10TensorBaseES7_NS_15PhiloxCudaStateEEUlRdRKdE_ddjLi1ELi2ELi1ELi256ELi2EEEvNS0_6detail10TensorInfoIT0_T2_EENSE_IT1_SG_EESG_T_
		.amdhsa_group_segment_fixed_size 0
		.amdhsa_private_segment_fixed_size 0
		.amdhsa_kernarg_size 728
		.amdhsa_user_sgpr_count 6
		.amdhsa_user_sgpr_private_segment_buffer 1
		.amdhsa_user_sgpr_dispatch_ptr 0
		.amdhsa_user_sgpr_queue_ptr 0
		.amdhsa_user_sgpr_kernarg_segment_ptr 1
		.amdhsa_user_sgpr_dispatch_id 0
		.amdhsa_user_sgpr_flat_scratch_init 0
		.amdhsa_user_sgpr_kernarg_preload_length 0
		.amdhsa_user_sgpr_kernarg_preload_offset 0
		.amdhsa_user_sgpr_private_segment_size 0
		.amdhsa_uses_dynamic_stack 0
		.amdhsa_system_sgpr_private_segment_wavefront_offset 0
		.amdhsa_system_sgpr_workgroup_id_x 1
		.amdhsa_system_sgpr_workgroup_id_y 0
		.amdhsa_system_sgpr_workgroup_id_z 0
		.amdhsa_system_sgpr_workgroup_info 0
		.amdhsa_system_vgpr_workitem_id 0
		.amdhsa_next_free_vgpr 116
		.amdhsa_next_free_sgpr 96
		.amdhsa_accum_offset 116
		.amdhsa_reserve_vcc 1
		.amdhsa_reserve_flat_scratch 0
		.amdhsa_float_round_mode_32 0
		.amdhsa_float_round_mode_16_64 0
		.amdhsa_float_denorm_mode_32 3
		.amdhsa_float_denorm_mode_16_64 3
		.amdhsa_dx10_clamp 1
		.amdhsa_ieee_mode 1
		.amdhsa_fp16_overflow 0
		.amdhsa_tg_split 0
		.amdhsa_exception_fp_ieee_invalid_op 0
		.amdhsa_exception_fp_denorm_src 0
		.amdhsa_exception_fp_ieee_div_zero 0
		.amdhsa_exception_fp_ieee_overflow 0
		.amdhsa_exception_fp_ieee_underflow 0
		.amdhsa_exception_fp_ieee_inexact 0
		.amdhsa_exception_int_div_zero 0
	.end_amdhsa_kernel
	.section	.text._ZN2at4cuda12_GLOBAL__N_121kernelPointwiseApply2IZN12_GLOBAL__N_117gamma_cuda_kernelIdEEvRKNS_10TensorBaseES7_NS_15PhiloxCudaStateEEUlRdRKdE_ddjLi1ELi2ELi1ELi256ELi2EEEvNS0_6detail10TensorInfoIT0_T2_EENSE_IT1_SG_EESG_T_,"axG",@progbits,_ZN2at4cuda12_GLOBAL__N_121kernelPointwiseApply2IZN12_GLOBAL__N_117gamma_cuda_kernelIdEEvRKNS_10TensorBaseES7_NS_15PhiloxCudaStateEEUlRdRKdE_ddjLi1ELi2ELi1ELi256ELi2EEEvNS0_6detail10TensorInfoIT0_T2_EENSE_IT1_SG_EESG_T_,comdat
.Lfunc_end110:
	.size	_ZN2at4cuda12_GLOBAL__N_121kernelPointwiseApply2IZN12_GLOBAL__N_117gamma_cuda_kernelIdEEvRKNS_10TensorBaseES7_NS_15PhiloxCudaStateEEUlRdRKdE_ddjLi1ELi2ELi1ELi256ELi2EEEvNS0_6detail10TensorInfoIT0_T2_EENSE_IT1_SG_EESG_T_, .Lfunc_end110-_ZN2at4cuda12_GLOBAL__N_121kernelPointwiseApply2IZN12_GLOBAL__N_117gamma_cuda_kernelIdEEvRKNS_10TensorBaseES7_NS_15PhiloxCudaStateEEUlRdRKdE_ddjLi1ELi2ELi1ELi256ELi2EEEvNS0_6detail10TensorInfoIT0_T2_EENSE_IT1_SG_EESG_T_
                                        ; -- End function
	.section	.AMDGPU.csdata,"",@progbits
; Kernel info:
; codeLenInByte = 7424
; NumSgprs: 100
; NumVgprs: 116
; NumAgprs: 0
; TotalNumVgprs: 116
; ScratchSize: 0
; MemoryBound: 0
; FloatMode: 240
; IeeeMode: 1
; LDSByteSize: 0 bytes/workgroup (compile time only)
; SGPRBlocks: 12
; VGPRBlocks: 14
; NumSGPRsForWavesPerEU: 100
; NumVGPRsForWavesPerEU: 116
; AccumOffset: 116
; Occupancy: 4
; WaveLimiterHint : 1
; COMPUTE_PGM_RSRC2:SCRATCH_EN: 0
; COMPUTE_PGM_RSRC2:USER_SGPR: 6
; COMPUTE_PGM_RSRC2:TRAP_HANDLER: 0
; COMPUTE_PGM_RSRC2:TGID_X_EN: 1
; COMPUTE_PGM_RSRC2:TGID_Y_EN: 0
; COMPUTE_PGM_RSRC2:TGID_Z_EN: 0
; COMPUTE_PGM_RSRC2:TIDIG_COMP_CNT: 0
; COMPUTE_PGM_RSRC3_GFX90A:ACCUM_OFFSET: 28
; COMPUTE_PGM_RSRC3_GFX90A:TG_SPLIT: 0
	.section	.text._ZN2at4cuda12_GLOBAL__N_121kernelPointwiseApply2IZN12_GLOBAL__N_117gamma_cuda_kernelIdEEvRKNS_10TensorBaseES7_NS_15PhiloxCudaStateEEUlRdRKdE_ddjLi1ELin1ELi1ELi256ELi2EEEvNS0_6detail10TensorInfoIT0_T2_EENSE_IT1_SG_EESG_T_,"axG",@progbits,_ZN2at4cuda12_GLOBAL__N_121kernelPointwiseApply2IZN12_GLOBAL__N_117gamma_cuda_kernelIdEEvRKNS_10TensorBaseES7_NS_15PhiloxCudaStateEEUlRdRKdE_ddjLi1ELin1ELi1ELi256ELi2EEEvNS0_6detail10TensorInfoIT0_T2_EENSE_IT1_SG_EESG_T_,comdat
	.globl	_ZN2at4cuda12_GLOBAL__N_121kernelPointwiseApply2IZN12_GLOBAL__N_117gamma_cuda_kernelIdEEvRKNS_10TensorBaseES7_NS_15PhiloxCudaStateEEUlRdRKdE_ddjLi1ELin1ELi1ELi256ELi2EEEvNS0_6detail10TensorInfoIT0_T2_EENSE_IT1_SG_EESG_T_ ; -- Begin function _ZN2at4cuda12_GLOBAL__N_121kernelPointwiseApply2IZN12_GLOBAL__N_117gamma_cuda_kernelIdEEvRKNS_10TensorBaseES7_NS_15PhiloxCudaStateEEUlRdRKdE_ddjLi1ELin1ELi1ELi256ELi2EEEvNS0_6detail10TensorInfoIT0_T2_EENSE_IT1_SG_EESG_T_
	.p2align	8
	.type	_ZN2at4cuda12_GLOBAL__N_121kernelPointwiseApply2IZN12_GLOBAL__N_117gamma_cuda_kernelIdEEvRKNS_10TensorBaseES7_NS_15PhiloxCudaStateEEUlRdRKdE_ddjLi1ELin1ELi1ELi256ELi2EEEvNS0_6detail10TensorInfoIT0_T2_EENSE_IT1_SG_EESG_T_,@function
_ZN2at4cuda12_GLOBAL__N_121kernelPointwiseApply2IZN12_GLOBAL__N_117gamma_cuda_kernelIdEEvRKNS_10TensorBaseES7_NS_15PhiloxCudaStateEEUlRdRKdE_ddjLi1ELin1ELi1ELi256ELi2EEEvNS0_6detail10TensorInfoIT0_T2_EENSE_IT1_SG_EESG_T_: ; @_ZN2at4cuda12_GLOBAL__N_121kernelPointwiseApply2IZN12_GLOBAL__N_117gamma_cuda_kernelIdEEvRKNS_10TensorBaseES7_NS_15PhiloxCudaStateEEUlRdRKdE_ddjLi1ELin1ELi1ELi256ELi2EEEvNS0_6detail10TensorInfoIT0_T2_EENSE_IT1_SG_EESG_T_
; %bb.0:
	s_load_dword s2, s[4:5], 0x1e4
	s_load_dword s33, s[4:5], 0x1b0
	s_add_u32 s0, s4, 0x1d8
	s_addc_u32 s1, s5, 0
	s_waitcnt lgkmcnt(0)
	s_and_b32 s2, s2, 0xffff
	s_mul_i32 s6, s6, s2
	v_add_u32_e32 v2, s6, v0
	v_cmp_gt_u32_e32 vcc, s33, v2
	s_and_saveexec_b64 s[6:7], vcc
	s_cbranch_execz .LBB111_36
; %bb.1:
	s_load_dwordx4 s[12:15], s[4:5], 0x1b8
	s_load_dword s3, s[4:5], 0x1a8
	s_load_dwordx2 s[10:11], s[4:5], 0x0
	s_load_dword s6, s[4:5], 0x6c
                                        ; implicit-def: $vgpr116 : SGPR spill to VGPR lane
	s_add_u32 s8, s4, 0xd8
	s_addc_u32 s9, s5, 0
	s_waitcnt lgkmcnt(0)
	s_cmp_gt_i32 s3, 1
                                        ; kill: killed $sgpr4 killed $sgpr5
	s_mov_b32 s86, 0xcd9e8d57
	v_writelane_b32 v116, s6, 0
	s_load_dword s87, s[0:1], 0x0
	s_load_dwordx2 s[16:17], s[4:5], 0x1c8
	s_load_dword s6, s[4:5], 0x1d0
	s_load_dwordx2 s[18:19], s[4:5], 0xd8
	s_mov_b32 s24, 0x55555555
	s_load_dword s0, s[4:5], 0x144
	s_waitcnt lgkmcnt(0)
	s_mul_i32 s87, s87, s2
	s_mov_b32 s28, 0x9b27acf1
	s_mov_b32 s30, 0x998ef7b6
	;; [unrolled: 1-line block ×3, first 2 shown]
	v_writelane_b32 v116, s0, 1
	s_cselect_b64 s[0:1], -1, 0
	s_bitcmp1_b32 s6, 0
	s_cselect_b64 s[4:5], -1, 0
	s_add_i32 s88, s3, 1
	s_add_i32 s2, s3, -1
	s_mov_b32 s3, 0
	s_lshl_b64 s[2:3], s[2:3], 2
	s_add_u32 s2, s2, s8
	s_addc_u32 s3, s3, s9
	v_cndmask_b32_e64 v0, 0, 1, s[0:1]
	v_mad_u64_u32 v[20:21], s[6:7], v2, s86, 0
	s_add_u32 s20, s2, 8
	v_cmp_ne_u32_e64 s[0:1], 1, v0
	v_cndmask_b32_e64 v0, 0, 1, s[4:5]
	s_mov_b32 s36, 0x3b39803f
	s_mov_b32 s42, 0
	s_brev_b32 s56, 6
	s_mov_b32 s58, 0
	s_mov_b32 s60, 0
	s_mov_b32 s62, -2.0
	s_mov_b32 s64, 0x6b47b09a
	s_mov_b32 s66, 0xbf559e2b
	s_mov_b32 s68, 0xd7f4df2e
	s_mov_b32 s70, 0x16291751
	s_mov_b32 s74, 0
	v_mov_b32_e32 v22, 0
	v_mov_b32_e32 v24, v21
	s_addc_u32 s21, s3, 0
	s_mov_b64 s[22:23], 0
	v_mov_b32_e32 v21, s19
	v_cmp_ne_u32_e64 s[2:3], 1, v0
	s_mov_b32 s19, 0xd2511f53
	s_brev_b32 s89, -2
	s_mov_b32 s25, 0x3fe55555
	s_mov_b32 s29, 0x3fd24924
	;; [unrolled: 1-line block ×6, first 2 shown]
	s_movk_i32 s90, 0x204
	s_mov_b32 s43, 0x7ff00000
	s_mov_b32 s47, 0xbfe62e42
	;; [unrolled: 1-line block ×4, first 2 shown]
	v_mov_b32_e32 v25, 0x260
	s_mov_b32 s91, 0x3c6ef372
	s_mov_b32 s92, 0x76cf5d0a
	;; [unrolled: 1-line block ×18, first 2 shown]
	v_mov_b32_e32 v72, 0x3ff00000
	v_mov_b32_e32 v26, 0x968915a9
	v_mov_b32_e32 v27, 0x3fba6564
	v_mov_b32_e32 v28, 0x3abe935a
	v_mov_b32_e32 v29, 0x3fbe25e4
	v_mov_b32_e32 v30, 0x47e6c9c2
	v_mov_b32_e32 v31, 0x3fc110ef
	v_mov_b32_e32 v32, 0xcfa74449
	v_mov_b32_e32 v33, 0x3fc3b13b
	v_mov_b32_e32 v34, 0x71bf3c30
	v_mov_b32_e32 v35, 0x3fc745d1
	v_mov_b32_e32 v36, 0x1c7792ce
	v_mov_b32_e32 v37, 0x3fcc71c7
	v_mov_b32_e32 v38, 0x924920da
	v_mov_b32_e32 v39, 0x3fd24924
	v_mov_b32_e32 v40, 0x9999999c
	v_mov_b32_e32 v41, 0x3fd99999
	v_mov_b32_e32 v42, 0xfca7ab0c
	v_mov_b32_e32 v43, 0x3e928af3
	v_mov_b32_e32 v44, 0x623fde64
	v_mov_b32_e32 v45, 0x3ec71dee
	v_mov_b32_e32 v46, 0x7c89e6b0
	v_mov_b32_e32 v47, 0x3efa0199
	v_mov_b32_e32 v48, 0x14761f6e
	v_mov_b32_e32 v49, 0x3f2a01a0
	v_mov_b32_e32 v50, 0x1852b7b0
	v_mov_b32_e32 v51, 0x3f56c16c
	v_mov_b32_e32 v52, 0x11122322
	v_mov_b32_e32 v53, 0x3f811111
	v_mov_b32_e32 v54, 0x555502a1
	v_mov_b32_e32 v55, 0x3fa55555
	v_mov_b32_e32 v56, 0x55555511
	v_mov_b32_e32 v57, 0x3fc55555
	v_mov_b32_e32 v58, 11
	v_mov_b32_e32 v59, 0x3fe00000
	v_mov_b32_e32 v73, 0x7ff00000
	v_mov_b32_e32 v74, 0x7ff80000
	v_mov_b32_e32 v75, 0xffffff80
	v_mov_b32_e32 v76, 0x4f800000
	v_mov_b32_e32 v77, 0x41b17218
	v_mov_b32_e32 v78, 0xfff00000
	v_mov_b32_e32 v79, 0x100000
	v_mov_b32_e32 v80, v2
	s_mov_b32 s85, 0xdb3d7428
	s_mov_b32 s59, 0x40220000
	s_brev_b32 s61, 8
	s_mov_b32 s63, 0xbfa0f27b
	s_mov_b32 s65, 0x3fc38538
	;; [unrolled: 1-line block ×7, first 2 shown]
	s_branch .LBB111_4
.LBB111_2:                              ;   in Loop: Header=BB111_4 Depth=1
	s_or_b64 exec, exec, s[8:9]
.LBB111_3:                              ;   in Loop: Header=BB111_4 Depth=1
	s_or_b64 exec, exec, s[6:7]
	v_lshlrev_b64 v[0:1], 3, v[60:61]
	v_mov_b32_e32 v3, s11
	v_add_co_u32_e32 v0, vcc, s10, v0
	v_addc_co_u32_e32 v1, vcc, v3, v1, vcc
	v_cmp_ngt_f64_e32 vcc, s[74:75], v[68:69]
	v_add_u32_e32 v80, s87, v80
	v_cndmask_b32_e32 v5, v79, v69, vcc
	v_cndmask_b32_e32 v4, 0, v68, vcc
	v_cmp_le_u32_e32 vcc, s33, v80
	s_or_b64 s[22:23], vcc, s[22:23]
	global_store_dwordx2 v[0:1], v[4:5], off
	s_andn2_b64 exec, exec, s[22:23]
	s_cbranch_execz .LBB111_36
.LBB111_4:                              ; =>This Loop Header: Depth=1
                                        ;     Child Loop BB111_7 Depth 2
                                        ;     Child Loop BB111_20 Depth 2
                                        ;       Child Loop BB111_23 Depth 3
	v_sub_u32_e32 v0, s33, v80
	v_cmp_lt_i32_e32 vcc, 0, v0
	v_pk_mov_b32 v[0:1], 0, 0
	v_pk_mov_b32 v[60:61], v[0:1], v[0:1] op_sel:[0,1]
	s_and_saveexec_b64 s[4:5], vcc
	s_cbranch_execz .LBB111_9
; %bb.5:                                ;   in Loop: Header=BB111_4 Depth=1
	s_and_b64 vcc, exec, s[0:1]
	v_mov_b32_e32 v0, 0
	v_mov_b32_e32 v3, v80
	s_cbranch_vccnz .LBB111_8
; %bb.6:                                ;   in Loop: Header=BB111_4 Depth=1
	v_mov_b32_e32 v0, 0
	s_mov_b64 s[6:7], s[20:21]
	s_mov_b32 s8, s88
	v_mov_b32_e32 v3, v80
.LBB111_7:                              ;   Parent Loop BB111_4 Depth=1
                                        ; =>  This Inner Loop Header: Depth=2
	s_load_dword s9, s[6:7], 0x0
	s_load_dword s38, s[6:7], 0x64
	v_mov_b32_e32 v1, v3
	s_add_i32 s8, s8, -1
	s_waitcnt lgkmcnt(0)
	v_cvt_f32_u32_e32 v3, s9
	s_sub_i32 s46, 0, s9
	s_add_u32 s6, s6, -4
	s_addc_u32 s7, s7, -1
	v_rcp_iflag_f32_e32 v3, v3
	s_cmp_gt_u32 s8, 2
	v_mul_f32_e32 v3, 0x4f7ffffe, v3
	v_cvt_u32_f32_e32 v3, v3
	v_mul_lo_u32 v4, s46, v3
	v_mul_hi_u32 v4, v3, v4
	v_add_u32_e32 v3, v3, v4
	v_mul_hi_u32 v3, v1, v3
	v_mul_lo_u32 v4, v3, s9
	v_sub_u32_e32 v4, v1, v4
	v_add_u32_e32 v5, 1, v3
	v_cmp_le_u32_e32 vcc, s9, v4
	v_cndmask_b32_e32 v3, v3, v5, vcc
	v_subrev_u32_e32 v5, s9, v4
	v_cndmask_b32_e32 v4, v4, v5, vcc
	v_add_u32_e32 v5, 1, v3
	v_cmp_le_u32_e32 vcc, s9, v4
	v_cndmask_b32_e32 v3, v3, v5, vcc
	v_mul_lo_u32 v4, v3, s9
	v_sub_u32_e32 v1, v1, v4
	v_mad_u64_u32 v[0:1], s[76:77], s38, v1, v[0:1]
	s_cbranch_scc1 .LBB111_7
.LBB111_8:                              ;   in Loop: Header=BB111_4 Depth=1
	v_readlane_b32 s6, v116, 0
	v_mul_lo_u32 v60, v80, s6
	v_readlane_b32 s6, v116, 1
	v_mad_u64_u32 v[0:1], s[6:7], s6, v3, v[0:1]
	v_mov_b32_e32 v61, v22
	v_mov_b32_e32 v1, v22
.LBB111_9:                              ;   in Loop: Header=BB111_4 Depth=1
	s_or_b64 exec, exec, s[4:5]
	v_lshlrev_b64 v[0:1], 3, v[0:1]
	v_add_co_u32_e32 v0, vcc, s18, v0
	v_addc_co_u32_e32 v1, vcc, v21, v1, vcc
	global_load_dwordx2 v[16:17], v[0:1], off
	s_and_b64 vcc, exec, s[2:3]
	v_pk_mov_b32 v[0:1], s[14:15], s[14:15] op_sel:[0,1]
	v_pk_mov_b32 v[62:63], s[12:13], s[12:13] op_sel:[0,1]
	s_cbranch_vccnz .LBB111_11
; %bb.10:                               ;   in Loop: Header=BB111_4 Depth=1
	v_pk_mov_b32 v[0:1], s[14:15], s[14:15] op_sel:[0,1]
	flat_load_dwordx2 v[0:1], v[0:1]
	v_pk_mov_b32 v[4:5], s[12:13], s[12:13] op_sel:[0,1]
	flat_load_dwordx2 v[62:63], v[4:5]
	v_mov_b32_e32 v3, s17
	s_waitcnt vmcnt(0) lgkmcnt(0)
	v_add_co_u32_e32 v0, vcc, s16, v0
	v_addc_co_u32_e32 v1, vcc, v1, v3, vcc
.LBB111_11:                             ;   in Loop: Header=BB111_4 Depth=1
	v_and_b32_e32 v70, 3, v0
	v_alignbit_b32 v0, v1, v0, 2
	v_mad_u64_u32 v[6:7], s[4:5], v0, s19, 0
	v_lshrrev_b32_e32 v1, 2, v1
	v_xor_b32_e32 v5, v7, v63
	v_xor_b32_e32 v7, v24, v62
	v_mov_b32_e32 v4, v63
	v_xor_b32_e32 v7, v7, v1
	v_add_co_u32_e32 v23, vcc, s51, v4
	v_mad_u64_u32 v[8:9], s[4:5], v7, s19, 0
	v_mad_u64_u32 v[10:11], s[4:5], v5, s86, 0
	v_add_co_u32_e32 v68, vcc, 0x9e3779b9, v62
	v_xor_b32_e32 v5, v20, v11
	v_xor_b32_e32 v7, v23, v9
	v_xor_b32_e32 v5, v5, v68
	v_xor_b32_e32 v9, v7, v6
	v_add_co_u32_e32 v71, vcc, s91, v62
	v_add_co_u32_e32 v69, vcc, s92, v4
	v_mad_u64_u32 v[6:7], s[4:5], v5, s19, 0
	v_mad_u64_u32 v[12:13], s[4:5], v9, s86, 0
	v_xor_b32_e32 v5, v71, v13
	v_xor_b32_e32 v7, v69, v7
	v_xor_b32_e32 v5, v5, v10
	v_xor_b32_e32 v7, v7, v8
	v_add_co_u32_e32 v84, vcc, s52, v62
	v_add_co_u32_e32 v83, vcc, s93, v4
	v_mad_u64_u32 v[8:9], s[4:5], v5, s19, 0
	v_mad_u64_u32 v[10:11], s[4:5], v7, s86, 0
	;; [unrolled: 8-line block ×7, first 2 shown]
	v_xor_b32_e32 v7, v94, v7
	v_xor_b32_e32 v5, v93, v5
	;; [unrolled: 1-line block ×4, first 2 shown]
	v_mad_u64_u32 v[18:19], s[4:5], v7, s19, 0
	v_mad_u64_u32 v[64:65], s[4:5], v5, s86, 0
	v_mov_b32_e32 v3, v22
	v_add_u32_e32 v81, 0x8ff34781, v62
	v_add_u32_e32 v82, 0x96a522ad, v63
	v_xor_b32_e32 v5, v65, v6
	v_xor_b32_e32 v4, v19, v4
	;; [unrolled: 1-line block ×4, first 2 shown]
	v_mov_b32_e32 v66, 0
	v_pk_mov_b32 v[6:7], v[2:3], v[2:3] op_sel:[0,1]
	v_mov_b32_e32 v9, v64
	v_mov_b32_e32 v11, v18
	s_waitcnt vmcnt(0)
	v_cmp_gt_f64_e32 vcc, 1.0, v[16:17]
	s_mov_b64 s[4:5], -1
	v_mov_b32_e32 v67, 0x3ff00000
	v_pk_mov_b32 v[4:5], v[0:1], v[0:1] op_sel:[0,1]
                                        ; implicit-def: $sgpr76_sgpr77
	s_and_saveexec_b64 s[78:79], vcc
	s_cbranch_execz .LBB111_17
; %bb.12:                               ;   in Loop: Header=BB111_4 Depth=1
	v_mov_b32_e32 v66, 0
	v_cmp_neq_f64_e32 vcc, 0, v[16:17]
	s_mov_b64 s[76:77], 0
	v_mov_b32_e32 v67, 0x3ff00000
	s_mov_b64 s[82:83], 0
                                        ; implicit-def: $vgpr4_vgpr5_vgpr6_vgpr7
	s_and_saveexec_b64 s[80:81], vcc
	s_cbranch_execz .LBB111_16
; %bb.13:                               ;   in Loop: Header=BB111_4 Depth=1
	v_add_u32_e32 v65, 1, v70
	v_pk_mov_b32 v[14:15], v[10:11], v[10:11] op_sel:[0,1]
	v_pk_mov_b32 v[6:7], v[2:3], v[2:3] op_sel:[0,1]
	v_cmp_eq_u32_e32 vcc, 4, v65
	v_pk_mov_b32 v[12:13], v[8:9], v[8:9] op_sel:[0,1]
	v_pk_mov_b32 v[4:5], v[0:1], v[0:1] op_sel:[0,1]
	s_and_saveexec_b64 s[4:5], vcc
	s_cbranch_execz .LBB111_15
; %bb.14:                               ;   in Loop: Header=BB111_4 Depth=1
	v_add_co_u32_e32 v4, vcc, 1, v0
	v_cndmask_b32_e64 v0, 0, 1, vcc
	v_addc_co_u32_e32 v5, vcc, 0, v1, vcc
	v_cmp_eq_u32_e32 vcc, 0, v5
	v_cndmask_b32_e32 v0, 0, v0, vcc
	v_add_u32_e32 v6, v0, v2
	v_cmp_eq_u32_e32 vcc, 0, v6
	v_cndmask_b32_e32 v7, 0, v0, vcc
	v_mad_u64_u32 v[0:1], s[6:7], v4, s19, 0
	v_mad_u64_u32 v[12:13], s[6:7], v6, s86, 0
	v_xor_b32_e32 v3, v13, v62
	v_xor_b32_e32 v1, v1, v63
	v_xor_b32_e32 v3, v5, v3
	v_xor_b32_e32 v1, v7, v1
	v_mad_u64_u32 v[14:15], s[6:7], v3, s19, 0
	v_mad_u64_u32 v[66:67], s[6:7], v1, s86, 0
	v_xor_b32_e32 v1, v68, v67
	v_xor_b32_e32 v3, v23, v15
	v_xor_b32_e32 v1, v1, v12
	v_xor_b32_e32 v3, v3, v0
	;; [unrolled: 6-line block ×9, first 2 shown]
	v_mad_u64_u32 v[66:67], s[6:7], v3, s19, 0
	v_mad_u64_u32 v[68:69], s[6:7], v1, s86, 0
	v_xor_b32_e32 v1, v69, v12
	v_xor_b32_e32 v0, v67, v0
	v_mov_b32_e32 v65, 0
	v_xor_b32_e32 v12, v81, v1
	v_xor_b32_e32 v14, v82, v0
	v_mov_b32_e32 v13, v68
	v_mov_b32_e32 v15, v66
.LBB111_15:                             ;   in Loop: Header=BB111_4 Depth=1
	s_or_b64 exec, exec, s[4:5]
	v_cmp_eq_u32_e32 vcc, 1, v70
	v_cndmask_b32_e32 v0, v8, v64, vcc
	v_cmp_eq_u32_e32 vcc, 2, v70
	v_cndmask_b32_e32 v0, v0, v10, vcc
	;; [unrolled: 2-line block ×3, first 2 shown]
	v_cvt_f32_u32_e32 v3, v0
	v_div_scale_f64 v[0:1], s[4:5], v[16:17], v[16:17], 1.0
	v_rcp_f64_e32 v[8:9], v[0:1]
	v_mov_b32_e32 v10, 0x2f800000
	v_fmac_f32_e32 v10, 0x2f800000, v3
	v_cvt_f64_f32_e32 v[10:11], v10
	v_fma_f64 v[18:19], -v[0:1], v[8:9], 1.0
	v_fmac_f64_e32 v[8:9], v[8:9], v[18:19]
	v_fma_f64 v[18:19], -v[0:1], v[8:9], 1.0
	v_fmac_f64_e32 v[8:9], v[8:9], v[18:19]
	v_div_scale_f64 v[18:19], vcc, 1.0, v[16:17], 1.0
	v_mul_f64 v[66:67], v[18:19], v[8:9]
	v_fma_f64 v[0:1], -v[0:1], v[66:67], v[18:19]
	v_add_f64 v[10:11], -v[10:11], 1.0
	s_nop 0
	v_div_fmas_f64 v[0:1], v[0:1], v[8:9], v[66:67]
	v_div_fixup_f64 v[18:19], v[0:1], v[16:17], 1.0
	v_cmp_eq_f64_e32 vcc, 1.0, v[10:11]
	v_cndmask_b32_e32 v1, v19, v72, vcc
	v_cndmask_b32_e64 v0, v18, 0, vcc
	v_cmp_eq_f64_e64 s[4:5], 0, v[0:1]
	v_and_b32_e32 v3, 0x7fffffff, v11
	v_cndmask_b32_e64 v9, v11, v72, s[4:5]
	v_cndmask_b32_e64 v8, v10, 0, s[4:5]
	;; [unrolled: 1-line block ×4, first 2 shown]
	v_frexp_mant_f64_e32 v[66:67], v[10:11]
	v_cmp_gt_f64_e64 s[4:5], s[24:25], v[66:67]
	v_cndmask_b32_e64 v23, v72, 2.0, s[4:5]
	v_mul_f64 v[66:67], v[66:67], v[22:23]
	v_add_f64 v[68:69], v[66:67], 1.0
	v_rcp_f64_e32 v[70:71], v[68:69]
	v_add_f64 v[86:87], v[68:69], -1.0
	v_add_f64 v[84:85], v[66:67], -1.0
	v_add_f64 v[66:67], v[66:67], -v[86:87]
	v_fma_f64 v[86:87], -v[68:69], v[70:71], 1.0
	v_fmac_f64_e32 v[70:71], v[86:87], v[70:71]
	v_fma_f64 v[86:87], -v[68:69], v[70:71], 1.0
	v_fmac_f64_e32 v[70:71], v[86:87], v[70:71]
	v_mul_f64 v[86:87], v[84:85], v[70:71]
	v_mul_f64 v[88:89], v[68:69], v[86:87]
	v_fma_f64 v[68:69], v[86:87], v[68:69], -v[88:89]
	v_fmac_f64_e32 v[68:69], v[86:87], v[66:67]
	v_add_f64 v[66:67], v[88:89], v[68:69]
	v_add_f64 v[90:91], v[84:85], -v[66:67]
	v_add_f64 v[88:89], v[66:67], -v[88:89]
	;; [unrolled: 1-line block ×5, first 2 shown]
	v_add_f64 v[66:67], v[68:69], v[66:67]
	v_add_f64 v[66:67], v[90:91], v[66:67]
	v_mul_f64 v[66:67], v[70:71], v[66:67]
	v_add_f64 v[68:69], v[86:87], v[66:67]
	v_add_f64 v[70:71], v[68:69], -v[86:87]
	v_add_f64 v[66:67], v[66:67], -v[70:71]
	v_mul_f64 v[70:71], v[68:69], v[68:69]
	v_fma_f64 v[84:85], v[68:69], v[68:69], -v[70:71]
	v_add_f64 v[86:87], v[66:67], v[66:67]
	v_frexp_exp_i32_f64_e32 v3, v[10:11]
	v_fmac_f64_e32 v[84:85], v[68:69], v[86:87]
	v_subbrev_co_u32_e64 v3, s[4:5], 0, v3, s[4:5]
	v_add_f64 v[86:87], v[70:71], v[84:85]
	v_add_f64 v[70:71], v[86:87], -v[70:71]
	s_mov_b32 s4, 0x4222de17
	v_add_f64 v[70:71], v[84:85], -v[70:71]
	v_pk_mov_b32 v[84:85], v[26:27], v[26:27] op_sel:[0,1]
	s_mov_b32 s5, 0x3fbdee67
	v_fmac_f64_e32 v[84:85], s[4:5], v[86:87]
	v_pk_mov_b32 v[88:89], v[28:29], v[28:29] op_sel:[0,1]
	v_fmac_f64_e32 v[88:89], v[86:87], v[84:85]
	v_pk_mov_b32 v[84:85], v[30:31], v[30:31] op_sel:[0,1]
	;; [unrolled: 2-line block ×7, first 2 shown]
	v_fmac_f64_e32 v[88:89], v[86:87], v[84:85]
	v_cvt_f64_i32_e32 v[84:85], v3
	v_mul_f64 v[90:91], v[84:85], s[34:35]
	v_mul_f64 v[96:97], v[68:69], v[86:87]
	v_fma_f64 v[92:93], v[84:85], s[34:35], -v[90:91]
	v_fma_f64 v[98:99], v[86:87], v[68:69], -v[96:97]
	v_fmac_f64_e32 v[92:93], s[36:37], v[84:85]
	v_fmac_f64_e32 v[98:99], v[86:87], v[66:67]
	v_add_f64 v[84:85], v[90:91], v[92:93]
	v_fmac_f64_e32 v[98:99], v[70:71], v[68:69]
	v_add_f64 v[90:91], v[84:85], -v[90:91]
	v_ldexp_f64 v[94:95], v[66:67], 1
	v_add_f64 v[66:67], v[96:97], v[98:99]
	v_add_f64 v[90:91], v[92:93], -v[90:91]
	v_ldexp_f64 v[92:93], v[68:69], 1
	v_add_f64 v[68:69], v[66:67], -v[96:97]
	v_mul_f64 v[96:97], v[86:87], v[88:89]
	v_fma_f64 v[86:87], v[86:87], v[88:89], -v[96:97]
	v_fmac_f64_e32 v[86:87], v[70:71], v[88:89]
	v_add_f64 v[70:71], v[96:97], v[86:87]
	v_add_f64 v[88:89], v[70:71], -v[96:97]
	v_add_f64 v[86:87], v[86:87], -v[88:89]
	v_add_f64 v[88:89], v[70:71], s[24:25]
	s_mov_b32 s38, s24
	s_mov_b32 s4, 0xd5df274d
	v_add_f64 v[96:97], v[88:89], s[38:39]
	s_mov_b32 s5, 0x3c8543b0
	v_add_f64 v[70:71], v[70:71], -v[96:97]
	v_add_f64 v[86:87], v[86:87], s[4:5]
	v_add_f64 v[70:71], v[86:87], v[70:71]
	;; [unrolled: 1-line block ×3, first 2 shown]
	v_add_f64 v[88:89], v[88:89], -v[86:87]
	v_add_f64 v[70:71], v[70:71], v[88:89]
	v_mul_f64 v[88:89], v[66:67], v[86:87]
	v_fma_f64 v[96:97], v[66:67], v[86:87], -v[88:89]
	v_add_f64 v[68:69], v[98:99], -v[68:69]
	v_fmac_f64_e32 v[96:97], v[66:67], v[70:71]
	v_fmac_f64_e32 v[96:97], v[68:69], v[86:87]
	v_add_f64 v[66:67], v[88:89], v[96:97]
	v_add_f64 v[68:69], v[66:67], -v[88:89]
	v_add_f64 v[70:71], v[92:93], v[66:67]
	v_add_f64 v[68:69], v[96:97], -v[68:69]
	v_add_f64 v[86:87], v[70:71], -v[92:93]
	;; [unrolled: 1-line block ×3, first 2 shown]
	v_add_f64 v[68:69], v[94:95], v[68:69]
	v_add_f64 v[66:67], v[68:69], v[66:67]
	v_add_f64 v[68:69], v[70:71], v[66:67]
	v_add_f64 v[70:71], v[68:69], -v[70:71]
	v_add_f64 v[66:67], v[66:67], -v[70:71]
	v_add_f64 v[70:71], v[84:85], v[68:69]
	v_add_f64 v[86:87], v[70:71], -v[84:85]
	v_add_f64 v[88:89], v[70:71], -v[86:87]
	;; [unrolled: 1-line block ×4, first 2 shown]
	v_add_f64 v[68:69], v[68:69], v[84:85]
	v_add_f64 v[84:85], v[90:91], v[66:67]
	v_add_f64 v[86:87], v[84:85], -v[90:91]
	v_add_f64 v[68:69], v[84:85], v[68:69]
	v_add_f64 v[88:89], v[84:85], -v[86:87]
	;; [unrolled: 2-line block ×3, first 2 shown]
	v_add_f64 v[66:67], v[66:67], -v[86:87]
	v_add_f64 v[70:71], v[84:85], -v[70:71]
	v_add_f64 v[66:67], v[66:67], v[88:89]
	v_add_f64 v[68:69], v[68:69], -v[70:71]
	v_add_f64 v[66:67], v[66:67], v[68:69]
	v_add_f64 v[68:69], v[84:85], v[66:67]
	v_add_f64 v[70:71], v[68:69], -v[84:85]
	v_add_f64 v[66:67], v[66:67], -v[70:71]
	v_mul_f64 v[70:71], v[0:1], v[68:69]
	v_fma_f64 v[68:69], v[0:1], v[68:69], -v[70:71]
	v_fmac_f64_e32 v[68:69], v[0:1], v[66:67]
	v_add_f64 v[66:67], v[70:71], v[68:69]
	v_cmp_class_f64_e64 s[4:5], v[70:71], s90
	v_add_f64 v[84:85], v[66:67], -v[70:71]
	v_cndmask_b32_e64 v67, v67, v71, s[4:5]
	v_cndmask_b32_e64 v66, v66, v70, s[4:5]
	v_add_f64 v[68:69], v[68:69], -v[84:85]
	v_cmp_neq_f64_e64 s[4:5], |v[66:67]|, s[42:43]
	v_cndmask_b32_e64 v69, 0, v69, s[4:5]
	v_cndmask_b32_e64 v68, 0, v68, s[4:5]
	s_mov_b32 s4, 0x652b82fe
	s_mov_b32 s5, 0x3ff71547
	v_mul_f64 v[70:71], v[66:67], s[4:5]
	v_rndne_f64_e32 v[70:71], v[70:71]
	s_mov_b32 s46, s34
	v_fma_f64 v[84:85], s[46:47], v[70:71], v[66:67]
	s_mov_b32 s48, s36
	s_mov_b32 s4, 0x6a5dcb37
	v_fmac_f64_e32 v[84:85], s[48:49], v[70:71]
	v_pk_mov_b32 v[86:87], v[42:43], v[42:43] op_sel:[0,1]
	s_mov_b32 s5, 0x3e5ade15
	v_fmac_f64_e32 v[86:87], s[4:5], v[84:85]
	v_pk_mov_b32 v[88:89], v[44:45], v[44:45] op_sel:[0,1]
	v_fmac_f64_e32 v[88:89], v[84:85], v[86:87]
	v_pk_mov_b32 v[86:87], v[46:47], v[46:47] op_sel:[0,1]
	;; [unrolled: 2-line block ×8, first 2 shown]
	v_fmac_f64_e32 v[86:87], v[84:85], v[88:89]
	v_fma_f64 v[86:87], v[84:85], v[86:87], 1.0
	s_mov_b32 s4, 0
	v_fma_f64 v[84:85], v[84:85], v[86:87], 1.0
	v_cvt_i32_f64_e32 v3, v[70:71]
	s_mov_b32 s5, 0x40900000
	s_mov_b32 s6, 0
	v_ldexp_f64 v[70:71], v[84:85], v3
	v_cmp_lt_f64_e64 s[4:5], s[4:5], v[66:67]
	s_mov_b32 s7, 0xc090cc00
	v_cndmask_b32_e64 v3, v70, 0, s[4:5]
	v_cndmask_b32_e64 v23, v71, v73, s[4:5]
	v_cmp_ngt_f64_e64 s[6:7], s[6:7], v[66:67]
	v_and_b32_e32 v71, 0x7fffffff, v71
	v_cndmask_b32_e64 v67, 0, v23, s[6:7]
	v_cndmask_b32_e64 v66, 0, v3, s[6:7]
	v_cmp_eq_f64_e64 s[8:9], s[42:43], v[70:71]
	v_pk_mov_b32 v[84:85], v[66:67], v[66:67] op_sel:[0,1]
	s_or_b64 s[4:5], s[4:5], s[8:9]
	v_fmac_f64_e32 v[84:85], v[84:85], v[68:69]
	s_and_b64 s[4:5], s[6:7], s[4:5]
	v_cndmask_b32_e64 v3, v84, v66, s[4:5]
	v_cndmask_b32_e64 v23, v85, v67, s[4:5]
	v_trunc_f64_e32 v[66:67], v[0:1]
	v_cmp_eq_f64_e64 s[4:5], v[66:67], v[0:1]
	v_mul_f64 v[66:67], v[0:1], 0.5
	v_trunc_f64_e32 v[68:69], v[66:67]
	v_cmp_neq_f64_e64 s[6:7], v[68:69], v[66:67]
	s_and_b64 s[6:7], s[4:5], s[6:7]
	v_cndmask_b32_e64 v64, v72, v9, s[6:7]
	v_bfi_b32 v23, s89, v23, v64
	v_and_b32_e32 v19, 0x7fffffff, v19
	v_cndmask_b32_e64 v64, v74, v23, s[4:5]
	v_cndmask_b32_e64 v66, 0, v3, s[4:5]
	v_cmp_gt_f64_e64 s[4:5], 0, v[8:9]
	v_cndmask_b32_e32 v19, v19, v72, vcc
	v_cndmask_b32_e64 v18, v18, 0, vcc
	v_cndmask_b32_e64 v3, v3, v66, s[4:5]
	v_cndmask_b32_e64 v23, v23, v64, s[4:5]
	v_cmp_neq_f64_e32 vcc, v[0:1], v[18:19]
	v_cmp_gt_f64_e64 s[4:5], 1.0, v[10:11]
	s_xor_b64 s[4:5], vcc, s[4:5]
	v_cndmask_b32_e64 v64, v19, 0, s[4:5]
	v_cndmask_b32_e64 v66, v18, 0, s[4:5]
	v_cmp_eq_f64_e32 vcc, 1.0, v[10:11]
	v_cmp_eq_f64_e64 s[4:5], 0, v[8:9]
	v_cmp_gt_f64_e64 s[8:9], 0, v[0:1]
	v_cndmask_b32_e32 v66, v66, v10, vcc
	v_cndmask_b32_e32 v64, v64, v11, vcc
	v_cmp_eq_f64_e32 vcc, s[42:43], v[18:19]
	s_xor_b64 s[8:9], s[8:9], s[4:5]
	v_cndmask_b32_e32 v18, v23, v64, vcc
	v_cndmask_b32_e32 v3, v3, v66, vcc
	v_cmp_eq_f64_e32 vcc, s[42:43], v[10:11]
	v_cndmask_b32_e64 v0, v73, 0, s[8:9]
	v_cndmask_b32_e64 v1, 0, v9, s[6:7]
	v_bfi_b32 v0, s89, v0, v1
	s_or_b64 vcc, vcc, s[4:5]
	v_pk_mov_b32 v[8:9], v[12:13], v[12:13] op_sel:[0,1]
	s_mov_b64 s[82:83], exec
	v_cndmask_b32_e64 v66, v3, 0, vcc
	v_cndmask_b32_e32 v67, v18, v0, vcc
	v_add_f64 v[16:17], v[16:17], 1.0
	v_pk_mov_b32 v[10:11], v[14:15], v[14:15] op_sel:[0,1]
	v_mov_b32_e32 v70, v65
.LBB111_16:                             ;   in Loop: Header=BB111_4 Depth=1
	s_or_b64 exec, exec, s[80:81]
	s_orn2_b64 s[4:5], s[82:83], exec
.LBB111_17:                             ;   in Loop: Header=BB111_4 Depth=1
	s_or_b64 exec, exec, s[78:79]
	v_pk_mov_b32 v[68:69], s[76:77], s[76:77] op_sel:[0,1]
	s_and_saveexec_b64 s[6:7], s[4:5]
	s_cbranch_execz .LBB111_3
; %bb.18:                               ;   in Loop: Header=BB111_4 Depth=1
	v_add_f64 v[0:1], v[16:17], s[56:57]
	v_mul_f64 v[12:13], v[0:1], s[58:59]
	v_cmp_gt_f64_e32 vcc, s[60:61], v[12:13]
	v_cndmask_b32_e64 v3, 0, 1, vcc
	v_lshlrev_b32_e32 v3, 8, v3
	v_ldexp_f64 v[12:13], v[12:13], v3
	v_rsq_f64_e32 v[14:15], v[12:13]
	v_cndmask_b32_e32 v3, 0, v75, vcc
	v_cmp_class_f64_e32 vcc, v[12:13], v25
	v_mov_b32_e32 v98, 0
	v_mul_f64 v[16:17], v[12:13], v[14:15]
	v_mul_f64 v[14:15], v[14:15], 0.5
	v_fma_f64 v[18:19], -v[14:15], v[16:17], 0.5
	v_fmac_f64_e32 v[16:17], v[16:17], v[18:19]
	v_fmac_f64_e32 v[14:15], v[14:15], v[18:19]
	v_fma_f64 v[18:19], -v[16:17], v[16:17], v[12:13]
	v_fmac_f64_e32 v[16:17], v[18:19], v[14:15]
	v_fma_f64 v[18:19], -v[16:17], v[16:17], v[12:13]
	v_fmac_f64_e32 v[16:17], v[18:19], v[14:15]
	v_ldexp_f64 v[14:15], v[16:17], v3
	v_cndmask_b32_e32 v13, v15, v13, vcc
	v_cndmask_b32_e32 v12, v14, v12, vcc
	v_div_scale_f64 v[14:15], s[4:5], v[12:13], v[12:13], 1.0
	v_rcp_f64_e32 v[16:17], v[14:15]
	v_mul_f64 v[66:67], v[66:67], v[0:1]
	v_add_u32_e32 v3, 0x9e3779b9, v62
	v_add_u32_e32 v83, 0xbb67ae85, v63
	v_fma_f64 v[18:19], -v[14:15], v[16:17], 1.0
	v_fmac_f64_e32 v[16:17], v[16:17], v[18:19]
	v_fma_f64 v[18:19], -v[14:15], v[16:17], 1.0
	v_fmac_f64_e32 v[16:17], v[16:17], v[18:19]
	v_div_scale_f64 v[18:19], vcc, 1.0, v[12:13], 1.0
	v_mul_f64 v[64:65], v[18:19], v[16:17]
	v_fma_f64 v[14:15], -v[14:15], v[64:65], v[18:19]
	v_add_u32_e32 v84, 0x3c6ef372, v62
	s_nop 0
	v_div_fmas_f64 v[14:15], v[14:15], v[16:17], v[64:65]
	v_div_fixup_f64 v[64:65], v[14:15], v[12:13], 1.0
	v_add_u32_e32 v85, 0x76cf5d0a, v63
	v_add_u32_e32 v86, 0xdaa66d2b, v62
	;; [unrolled: 1-line block ×13, first 2 shown]
	s_mov_b64 s[8:9], 0
                                        ; implicit-def: $vgpr71
                                        ; implicit-def: $vgpr68_vgpr69
	s_branch .LBB111_20
.LBB111_19:                             ;   in Loop: Header=BB111_20 Depth=2
	s_or_b64 exec, exec, s[4:5]
	s_xor_b64 s[4:5], s[76:77], -1
	s_and_b64 s[4:5], exec, s[4:5]
	s_or_b64 s[8:9], s[4:5], s[8:9]
	s_andn2_b64 exec, exec, s[8:9]
	s_cbranch_execz .LBB111_2
.LBB111_20:                             ;   Parent Loop BB111_4 Depth=1
                                        ; =>  This Loop Header: Depth=2
                                        ;       Child Loop BB111_23 Depth 3
	v_pk_mov_b32 v[14:15], v[10:11], v[10:11] op_sel:[0,1]
	s_mov_b64 s[76:77], 0
	v_mov_b32_e32 v23, v70
	v_pk_mov_b32 v[12:13], v[8:9], v[8:9] op_sel:[0,1]
	s_branch .LBB111_23
.LBB111_21:                             ;   in Loop: Header=BB111_23 Depth=3
	s_or_b64 exec, exec, s[4:5]
	v_cmp_eq_u32_e32 vcc, 1, v23
	v_cndmask_b32_e32 v12, v12, v13, vcc
	v_cmp_eq_u32_e32 vcc, 2, v23
	v_cndmask_b32_e32 v12, v12, v14, vcc
	;; [unrolled: 2-line block ×4, first 2 shown]
	v_cvt_f32_u32_e32 v9, v12
	v_cmp_eq_u32_e32 vcc, 2, v70
	v_cndmask_b32_e32 v8, v8, v10, vcc
	v_mov_b32_e32 v10, 0x2f800000
	v_fmac_f32_e32 v10, 0x2f800000, v9
	v_cmp_gt_f32_e32 vcc, s41, v10
	v_cndmask_b32_e32 v9, 1.0, v76, vcc
	v_mul_f32_e32 v9, v10, v9
	v_log_f32_e32 v9, v9
	v_cmp_eq_u32_e64 s[4:5], 3, v70
	v_cndmask_b32_e64 v8, v8, v11, s[4:5]
	v_cvt_f32_u32_e32 v8, v8
	v_mul_f32_e32 v10, 0x3f317217, v9
	v_fma_f32 v11, v9, s44, -v10
	v_fmac_f32_e32 v11, 0x3377d1cf, v9
	v_add_f32_e32 v10, v10, v11
	v_cmp_lt_f32_e64 s[4:5], |v9|, s45
	v_cndmask_b32_e64 v9, v9, v10, s[4:5]
	v_cndmask_b32_e32 v10, 0, v77, vcc
	v_sub_f32_e32 v9, v9, v10
	v_mul_f32_e32 v9, -2.0, v9
	v_mul_f32_e32 v10, 0x4f800000, v9
	v_cmp_gt_f32_e32 vcc, s50, v9
	v_cndmask_b32_e32 v10, v9, v10, vcc
	v_sqrt_f32_e32 v9, v10
	v_mov_b32_e32 v11, 0x30c90fdb
	v_fmac_f32_e32 v11, 0x30c90fdb, v8
	v_mov_b32_e32 v98, 1
	v_add_u32_e32 v8, -1, v9
	v_fma_f32 v12, -v8, v9, v10
	v_cmp_ge_f32_e64 s[4:5], 0, v12
	v_add_u32_e32 v12, 1, v9
	v_cndmask_b32_e64 v8, v9, v8, s[4:5]
	v_fma_f32 v9, -v12, v9, v10
	v_cmp_lt_f32_e64 s[4:5], 0, v9
	v_mul_f32_e32 v9, 0.15915494, v11
	v_cndmask_b32_e64 v12, v8, v12, s[4:5]
	v_sin_f32_e32 v8, v9
	v_cos_f32_e32 v9, v9
	v_mul_f32_e32 v13, 0x37800000, v12
	v_cndmask_b32_e32 v11, v12, v13, vcc
	v_cmp_class_f32_e32 vcc, v10, v25
	v_cndmask_b32_e32 v10, v11, v10, vcc
	v_pk_mov_b32 v[12:13], v[16:17], v[16:17] op_sel:[0,1]
	v_pk_mul_f32 v[70:71], v[10:11], v[8:9] op_sel_hi:[0,1]
	v_pk_mov_b32 v[14:15], v[18:19], v[18:19] op_sel:[0,1]
	v_mov_b32_e32 v23, v99
.LBB111_22:                             ;   in Loop: Header=BB111_23 Depth=3
	s_or_b64 exec, exec, s[78:79]
	v_cvt_f64_f32_e32 v[16:17], v70
	v_fma_f64 v[18:19], v[64:65], v[16:17], 1.0
	v_cmp_nge_f64_e32 vcc, 0, v[18:19]
	s_or_b64 s[76:77], vcc, s[76:77]
	s_andn2_b64 exec, exec, s[76:77]
	s_cbranch_execz .LBB111_28
.LBB111_23:                             ;   Parent Loop BB111_4 Depth=1
                                        ;     Parent Loop BB111_20 Depth=2
                                        ; =>    This Inner Loop Header: Depth=3
	v_cmp_eq_u32_e32 vcc, 0, v98
	v_mov_b32_e32 v98, 0
	v_mov_b32_e32 v70, v71
	s_and_saveexec_b64 s[78:79], vcc
	s_cbranch_execz .LBB111_22
; %bb.24:                               ;   in Loop: Header=BB111_23 Depth=3
	v_add_u32_e32 v70, 1, v23
	v_pk_mov_b32 v[8:9], v[12:13], v[12:13] op_sel:[0,1]
	v_cmp_eq_u32_e32 vcc, 4, v70
	v_pk_mov_b32 v[10:11], v[14:15], v[14:15] op_sel:[0,1]
	s_and_saveexec_b64 s[4:5], vcc
	s_cbranch_execz .LBB111_26
; %bb.25:                               ;   in Loop: Header=BB111_23 Depth=3
	v_add_co_u32_e32 v4, vcc, 1, v4
	v_cndmask_b32_e64 v8, 0, 1, vcc
	v_addc_co_u32_e32 v5, vcc, 0, v5, vcc
	v_cmp_eq_u32_e32 vcc, 0, v5
	v_cndmask_b32_e32 v8, 0, v8, vcc
	v_add_u32_e32 v6, v8, v6
	v_cmp_eq_u32_e32 vcc, 0, v6
	v_cndmask_b32_e32 v8, 0, v8, vcc
	v_add_u32_e32 v7, v8, v7
	v_mad_u64_u32 v[8:9], s[80:81], v4, s19, 0
	v_mad_u64_u32 v[10:11], s[80:81], v6, s86, 0
	v_xor_b32_e32 v11, v11, v62
	v_xor_b32_e32 v9, v9, v63
	v_xor_b32_e32 v11, v5, v11
	v_xor_b32_e32 v9, v7, v9
	v_mad_u64_u32 v[16:17], s[80:81], v11, s19, 0
	v_mad_u64_u32 v[18:19], s[80:81], v9, s86, 0
	v_xor_b32_e32 v9, v19, v10
	v_xor_b32_e32 v8, v17, v8
	v_xor_b32_e32 v9, v3, v9
	v_xor_b32_e32 v10, v83, v8
	;; [unrolled: 6-line block ×9, first 2 shown]
	v_mad_u64_u32 v[16:17], s[80:81], v9, s19, 0
	v_mad_u64_u32 v[18:19], s[80:81], v11, s86, 0
	v_xor_b32_e32 v8, v19, v8
	v_xor_b32_e32 v9, v17, v10
	v_mov_b32_e32 v70, 0
	v_xor_b32_e32 v8, v81, v8
	v_xor_b32_e32 v10, v82, v9
	v_mov_b32_e32 v9, v18
	v_mov_b32_e32 v11, v16
.LBB111_26:                             ;   in Loop: Header=BB111_23 Depth=3
	s_or_b64 exec, exec, s[4:5]
	v_add_u32_e32 v99, 1, v70
	v_pk_mov_b32 v[18:19], v[10:11], v[10:11] op_sel:[0,1]
	v_cmp_eq_u32_e32 vcc, 4, v99
	v_pk_mov_b32 v[16:17], v[8:9], v[8:9] op_sel:[0,1]
	s_and_saveexec_b64 s[4:5], vcc
	s_cbranch_execz .LBB111_21
; %bb.27:                               ;   in Loop: Header=BB111_23 Depth=3
	v_add_co_u32_e32 v4, vcc, 1, v4
	v_cndmask_b32_e64 v16, 0, 1, vcc
	v_addc_co_u32_e32 v5, vcc, 0, v5, vcc
	v_cmp_eq_u32_e32 vcc, 0, v5
	v_cndmask_b32_e32 v16, 0, v16, vcc
	v_add_u32_e32 v6, v16, v6
	v_cmp_eq_u32_e32 vcc, 0, v6
	v_cndmask_b32_e32 v16, 0, v16, vcc
	v_add_u32_e32 v7, v16, v7
	v_mad_u64_u32 v[16:17], s[80:81], v4, s19, 0
	v_mad_u64_u32 v[18:19], s[80:81], v6, s86, 0
	v_xor_b32_e32 v19, v19, v62
	v_xor_b32_e32 v17, v17, v63
	v_xor_b32_e32 v19, v5, v19
	v_xor_b32_e32 v17, v7, v17
	v_mad_u64_u32 v[100:101], s[80:81], v19, s19, 0
	v_mad_u64_u32 v[102:103], s[80:81], v17, s86, 0
	v_xor_b32_e32 v17, v103, v18
	v_xor_b32_e32 v16, v101, v16
	v_xor_b32_e32 v17, v3, v17
	v_xor_b32_e32 v18, v83, v16
	v_mad_u64_u32 v[16:17], s[80:81], v17, s19, 0
	v_mad_u64_u32 v[18:19], s[80:81], v18, s86, 0
	v_xor_b32_e32 v19, v19, v102
	v_xor_b32_e32 v17, v17, v100
	v_xor_b32_e32 v19, v84, v19
	v_xor_b32_e32 v17, v85, v17
	v_mad_u64_u32 v[100:101], s[80:81], v19, s19, 0
	v_mad_u64_u32 v[102:103], s[80:81], v17, s86, 0
	v_xor_b32_e32 v17, v103, v18
	v_xor_b32_e32 v16, v101, v16
	v_xor_b32_e32 v17, v86, v17
	v_xor_b32_e32 v18, v87, v16
	v_mad_u64_u32 v[16:17], s[80:81], v17, s19, 0
	v_mad_u64_u32 v[18:19], s[80:81], v18, s86, 0
	v_xor_b32_e32 v19, v19, v102
	v_xor_b32_e32 v17, v17, v100
	v_xor_b32_e32 v19, v88, v19
	v_xor_b32_e32 v17, v89, v17
	v_mad_u64_u32 v[100:101], s[80:81], v19, s19, 0
	v_mad_u64_u32 v[102:103], s[80:81], v17, s86, 0
	v_xor_b32_e32 v17, v103, v18
	v_xor_b32_e32 v16, v101, v16
	v_xor_b32_e32 v17, v90, v17
	v_xor_b32_e32 v18, v91, v16
	v_mad_u64_u32 v[16:17], s[80:81], v17, s19, 0
	v_mad_u64_u32 v[18:19], s[80:81], v18, s86, 0
	v_xor_b32_e32 v19, v19, v102
	v_xor_b32_e32 v17, v17, v100
	v_xor_b32_e32 v19, v92, v19
	v_xor_b32_e32 v17, v93, v17
	v_mad_u64_u32 v[100:101], s[80:81], v19, s19, 0
	v_mad_u64_u32 v[102:103], s[80:81], v17, s86, 0
	v_xor_b32_e32 v17, v103, v18
	v_xor_b32_e32 v16, v101, v16
	v_xor_b32_e32 v17, v94, v17
	v_xor_b32_e32 v16, v95, v16
	v_mad_u64_u32 v[18:19], s[80:81], v17, s19, 0
	v_mad_u64_u32 v[16:17], s[80:81], v16, s86, 0
	v_xor_b32_e32 v17, v17, v102
	v_xor_b32_e32 v19, v19, v100
	v_xor_b32_e32 v17, v96, v17
	v_xor_b32_e32 v19, v97, v19
	v_mad_u64_u32 v[100:101], s[80:81], v17, s19, 0
	v_mad_u64_u32 v[102:103], s[80:81], v19, s86, 0
	v_xor_b32_e32 v16, v103, v16
	v_xor_b32_e32 v17, v101, v18
	v_mov_b32_e32 v99, 0
	v_xor_b32_e32 v16, v81, v16
	v_xor_b32_e32 v18, v82, v17
	v_mov_b32_e32 v17, v102
	v_mov_b32_e32 v19, v100
	s_branch .LBB111_21
.LBB111_28:                             ;   in Loop: Header=BB111_20 Depth=2
	s_or_b64 exec, exec, s[76:77]
	v_add_u32_e32 v70, 1, v23
	v_pk_mov_b32 v[8:9], v[12:13], v[12:13] op_sel:[0,1]
	v_cmp_eq_u32_e32 vcc, 4, v70
	v_pk_mov_b32 v[10:11], v[14:15], v[14:15] op_sel:[0,1]
	s_and_saveexec_b64 s[4:5], vcc
	s_cbranch_execz .LBB111_30
; %bb.29:                               ;   in Loop: Header=BB111_20 Depth=2
	v_add_co_u32_e32 v4, vcc, 1, v4
	v_cndmask_b32_e64 v8, 0, 1, vcc
	v_addc_co_u32_e32 v5, vcc, 0, v5, vcc
	v_cmp_eq_u32_e32 vcc, 0, v5
	v_cndmask_b32_e32 v8, 0, v8, vcc
	v_add_u32_e32 v6, v8, v6
	v_cmp_eq_u32_e32 vcc, 0, v6
	v_cndmask_b32_e32 v8, 0, v8, vcc
	v_add_u32_e32 v7, v8, v7
	v_mad_u64_u32 v[8:9], s[76:77], v4, s19, 0
	v_mad_u64_u32 v[10:11], s[76:77], v6, s86, 0
	v_xor_b32_e32 v11, v11, v62
	v_xor_b32_e32 v9, v9, v63
	v_xor_b32_e32 v11, v5, v11
	v_xor_b32_e32 v9, v7, v9
	v_mad_u64_u32 v[100:101], s[76:77], v11, s19, 0
	v_mad_u64_u32 v[102:103], s[76:77], v9, s86, 0
	v_xor_b32_e32 v9, v103, v10
	v_xor_b32_e32 v8, v101, v8
	v_xor_b32_e32 v9, v3, v9
	v_xor_b32_e32 v10, v83, v8
	;; [unrolled: 6-line block ×9, first 2 shown]
	v_mad_u64_u32 v[100:101], s[76:77], v9, s19, 0
	v_mad_u64_u32 v[102:103], s[76:77], v11, s86, 0
	v_xor_b32_e32 v8, v103, v8
	v_xor_b32_e32 v9, v101, v10
	v_mov_b32_e32 v70, 0
	v_xor_b32_e32 v8, v81, v8
	v_xor_b32_e32 v10, v82, v9
	v_mov_b32_e32 v9, v102
	v_mov_b32_e32 v11, v100
.LBB111_30:                             ;   in Loop: Header=BB111_20 Depth=2
	s_or_b64 exec, exec, s[4:5]
	v_cmp_eq_u32_e32 vcc, 1, v23
	v_cndmask_b32_e32 v12, v12, v13, vcc
	v_cmp_eq_u32_e32 vcc, 2, v23
	v_cndmask_b32_e32 v12, v12, v14, vcc
	;; [unrolled: 2-line block ×3, first 2 shown]
	v_cvt_f32_u32_e32 v14, v12
	v_mov_b32_e32 v15, 0x2f800000
	v_mul_f64 v[12:13], v[18:19], v[18:19]
	v_mul_f64 v[12:13], v[18:19], v[12:13]
	v_fmac_f32_e32 v15, 0x2f800000, v14
	v_cvt_f64_f32_e32 v[14:15], v15
	v_add_f64 v[18:19], -v[14:15], 1.0
	v_mul_f64 v[14:15], v[16:17], v[16:17]
	v_mul_f64 v[16:17], v[14:15], s[62:63]
	v_fma_f64 v[16:17], v[14:15], v[16:17], 1.0
	v_cmp_nlt_f64_e32 vcc, v[18:19], v[16:17]
                                        ; implicit-def: $sgpr76_sgpr77
	s_and_saveexec_b64 s[4:5], vcc
	s_xor_b64 s[4:5], exec, s[4:5]
	s_cbranch_execz .LBB111_34
; %bb.31:                               ;   in Loop: Header=BB111_20 Depth=2
	v_frexp_mant_f64_e32 v[16:17], v[18:19]
	v_cmp_gt_f64_e32 vcc, s[24:25], v[16:17]
	v_cndmask_b32_e64 v23, v72, 2.0, vcc
	v_mul_f64 v[16:17], v[16:17], v[22:23]
	v_add_f64 v[100:101], v[16:17], 1.0
	v_rcp_f64_e32 v[102:103], v[100:101]
	v_add_f64 v[106:107], v[100:101], -1.0
	v_add_f64 v[104:105], v[16:17], -1.0
	v_add_f64 v[16:17], v[16:17], -v[106:107]
	v_fma_f64 v[106:107], -v[100:101], v[102:103], 1.0
	v_fmac_f64_e32 v[102:103], v[106:107], v[102:103]
	v_fma_f64 v[106:107], -v[100:101], v[102:103], 1.0
	v_fmac_f64_e32 v[102:103], v[106:107], v[102:103]
	v_mul_f64 v[106:107], v[104:105], v[102:103]
	v_mul_f64 v[108:109], v[100:101], v[106:107]
	v_fma_f64 v[100:101], v[106:107], v[100:101], -v[108:109]
	v_fmac_f64_e32 v[100:101], v[106:107], v[16:17]
	v_add_f64 v[16:17], v[108:109], v[100:101]
	v_add_f64 v[110:111], v[104:105], -v[16:17]
	v_add_f64 v[108:109], v[16:17], -v[108:109]
	;; [unrolled: 1-line block ×5, first 2 shown]
	v_add_f64 v[16:17], v[100:101], v[16:17]
	v_add_f64 v[16:17], v[110:111], v[16:17]
	v_mul_f64 v[16:17], v[102:103], v[16:17]
	v_add_f64 v[100:101], v[106:107], v[16:17]
	v_add_f64 v[102:103], v[100:101], -v[106:107]
	v_add_f64 v[16:17], v[16:17], -v[102:103]
	v_mul_f64 v[102:103], v[100:101], v[100:101]
	v_pk_mov_b32 v[104:105], s[64:65], s[64:65] op_sel:[0,1]
	v_fma_f64 v[106:107], s[66:67], v[102:103], v[104:105]
	v_fma_f64 v[106:107], v[102:103], v[106:107], s[68:69]
	;; [unrolled: 1-line block ×5, first 2 shown]
	s_mov_b32 s73, s25
	v_fma_f64 v[106:107], v[102:103], v[106:107], s[72:73]
	v_ldexp_f64 v[108:109], v[100:101], 1
	v_mul_f64 v[100:101], v[100:101], v[102:103]
	v_mul_f64 v[100:101], v[100:101], v[106:107]
	v_add_f64 v[102:103], v[108:109], v[100:101]
	v_add_f64 v[106:107], v[102:103], -v[108:109]
	v_ldexp_f64 v[16:17], v[16:17], 1
	v_add_f64 v[100:101], v[100:101], -v[106:107]
	v_add_f64 v[16:17], v[16:17], v[100:101]
	v_frexp_exp_i32_f64_e32 v99, v[18:19]
	v_add_f64 v[100:101], v[102:103], v[16:17]
	v_subbrev_co_u32_e32 v23, vcc, 0, v99, vcc
	v_add_f64 v[102:103], v[100:101], -v[102:103]
	v_add_f64 v[16:17], v[16:17], -v[102:103]
	v_cvt_f64_i32_e32 v[102:103], v23
	v_mul_f64 v[106:107], v[102:103], s[34:35]
	v_fma_f64 v[108:109], v[102:103], s[34:35], -v[106:107]
	v_fmac_f64_e32 v[108:109], s[36:37], v[102:103]
	v_add_f64 v[102:103], v[106:107], v[108:109]
	v_add_f64 v[106:107], v[102:103], -v[106:107]
	v_add_f64 v[106:107], v[108:109], -v[106:107]
	v_add_f64 v[108:109], v[102:103], v[100:101]
	v_add_f64 v[110:111], v[108:109], -v[102:103]
	v_add_f64 v[112:113], v[108:109], -v[110:111]
	;; [unrolled: 1-line block ×4, first 2 shown]
	v_add_f64 v[100:101], v[100:101], v[102:103]
	v_add_f64 v[102:103], v[106:107], v[16:17]
	v_add_f64 v[110:111], v[102:103], -v[106:107]
	v_add_f64 v[112:113], v[102:103], -v[110:111]
	v_add_f64 v[100:101], v[102:103], v[100:101]
	v_add_f64 v[106:107], v[106:107], -v[112:113]
	v_add_f64 v[16:17], v[16:17], -v[110:111]
	v_add_f64 v[102:103], v[108:109], v[100:101]
	v_add_f64 v[16:17], v[16:17], v[106:107]
	v_add_f64 v[106:107], v[102:103], -v[108:109]
	v_add_f64 v[100:101], v[100:101], -v[106:107]
	v_add_f64 v[16:17], v[16:17], v[100:101]
	v_add_f64 v[16:17], v[102:103], v[16:17]
	v_cmp_class_f64_e64 vcc, v[18:19], s90
	v_cndmask_b32_e32 v16, v16, v18, vcc
	v_cndmask_b32_e32 v17, v17, v19, vcc
	v_cmp_ngt_f64_e32 vcc, 0, v[18:19]
	v_cndmask_b32_e32 v17, v74, v17, vcc
	v_cmp_nge_f64_e32 vcc, 0, v[18:19]
	v_cndmask_b32_e32 v16, 0, v16, vcc
	v_cmp_neq_f64_e32 vcc, 0, v[18:19]
	v_frexp_mant_f64_e32 v[100:101], v[12:13]
	v_cndmask_b32_e32 v17, v78, v17, vcc
	v_cmp_gt_f64_e32 vcc, s[24:25], v[100:101]
	v_cndmask_b32_e64 v23, v72, 2.0, vcc
	v_mul_f64 v[100:101], v[100:101], v[22:23]
	v_add_f64 v[102:103], v[100:101], 1.0
	v_rcp_f64_e32 v[106:107], v[102:103]
	v_add_f64 v[110:111], v[102:103], -1.0
	v_add_f64 v[108:109], v[100:101], -1.0
	v_add_f64 v[100:101], v[100:101], -v[110:111]
	v_fma_f64 v[110:111], -v[102:103], v[106:107], 1.0
	v_fmac_f64_e32 v[106:107], v[110:111], v[106:107]
	v_fma_f64 v[110:111], -v[102:103], v[106:107], 1.0
	v_fmac_f64_e32 v[106:107], v[110:111], v[106:107]
	v_mul_f64 v[110:111], v[108:109], v[106:107]
	v_mul_f64 v[112:113], v[102:103], v[110:111]
	v_fma_f64 v[102:103], v[110:111], v[102:103], -v[112:113]
	v_fmac_f64_e32 v[102:103], v[110:111], v[100:101]
	v_add_f64 v[100:101], v[112:113], v[102:103]
	v_add_f64 v[114:115], v[108:109], -v[100:101]
	v_add_f64 v[112:113], v[100:101], -v[112:113]
	;; [unrolled: 1-line block ×5, first 2 shown]
	v_add_f64 v[100:101], v[102:103], v[100:101]
	v_add_f64 v[100:101], v[114:115], v[100:101]
	v_mul_f64 v[100:101], v[106:107], v[100:101]
	v_add_f64 v[102:103], v[110:111], v[100:101]
	v_add_f64 v[106:107], v[102:103], -v[110:111]
	v_add_f64 v[100:101], v[100:101], -v[106:107]
	v_mul_f64 v[106:107], v[102:103], v[102:103]
	v_fmac_f64_e32 v[104:105], s[66:67], v[106:107]
	v_fma_f64 v[104:105], v[106:107], v[104:105], s[68:69]
	v_fma_f64 v[104:105], v[106:107], v[104:105], s[70:71]
	;; [unrolled: 1-line block ×5, first 2 shown]
	v_ldexp_f64 v[108:109], v[102:103], 1
	v_mul_f64 v[102:103], v[102:103], v[106:107]
	v_mul_f64 v[102:103], v[102:103], v[104:105]
	v_add_f64 v[104:105], v[108:109], v[102:103]
	v_add_f64 v[106:107], v[104:105], -v[108:109]
	v_ldexp_f64 v[100:101], v[100:101], 1
	v_add_f64 v[102:103], v[102:103], -v[106:107]
	v_add_f64 v[100:101], v[100:101], v[102:103]
	v_frexp_exp_i32_f64_e32 v99, v[12:13]
	v_add_f64 v[102:103], v[104:105], v[100:101]
	v_subbrev_co_u32_e32 v23, vcc, 0, v99, vcc
	v_add_f64 v[104:105], v[102:103], -v[104:105]
	v_add_f64 v[100:101], v[100:101], -v[104:105]
	v_cvt_f64_i32_e32 v[104:105], v23
	v_mul_f64 v[106:107], v[104:105], s[34:35]
	v_fma_f64 v[108:109], v[104:105], s[34:35], -v[106:107]
	v_fmac_f64_e32 v[108:109], s[36:37], v[104:105]
	v_add_f64 v[104:105], v[106:107], v[108:109]
	v_add_f64 v[106:107], v[104:105], -v[106:107]
	v_add_f64 v[106:107], v[108:109], -v[106:107]
	v_add_f64 v[108:109], v[104:105], v[102:103]
	v_add_f64 v[110:111], v[108:109], -v[104:105]
	v_add_f64 v[112:113], v[108:109], -v[110:111]
	;; [unrolled: 1-line block ×4, first 2 shown]
	v_add_f64 v[102:103], v[102:103], v[104:105]
	v_add_f64 v[104:105], v[106:107], v[100:101]
	v_add_f64 v[110:111], v[104:105], -v[106:107]
	v_add_f64 v[112:113], v[104:105], -v[110:111]
	v_add_f64 v[102:103], v[104:105], v[102:103]
	v_add_f64 v[106:107], v[106:107], -v[112:113]
	v_add_f64 v[100:101], v[100:101], -v[110:111]
	v_add_f64 v[104:105], v[108:109], v[102:103]
	v_add_f64 v[100:101], v[100:101], v[106:107]
	v_add_f64 v[106:107], v[104:105], -v[108:109]
	v_add_f64 v[102:103], v[102:103], -v[106:107]
	v_add_f64 v[100:101], v[100:101], v[102:103]
	v_add_f64 v[100:101], v[104:105], v[100:101]
	v_cmp_class_f64_e64 vcc, v[12:13], s90
	v_cndmask_b32_e32 v23, v100, v12, vcc
	v_cndmask_b32_e32 v99, v101, v13, vcc
	v_cmp_ngt_f64_e32 vcc, 0, v[12:13]
	v_cndmask_b32_e32 v99, v74, v99, vcc
	v_cmp_nge_f64_e32 vcc, 0, v[12:13]
	v_cndmask_b32_e32 v100, 0, v23, vcc
	v_cmp_neq_f64_e32 vcc, 0, v[12:13]
	v_add_f64 v[18:19], -v[12:13], 1.0
	v_cndmask_b32_e32 v101, v78, v99, vcc
	v_add_f64 v[18:19], v[18:19], v[100:101]
	v_mul_f64 v[18:19], v[0:1], v[18:19]
	v_fmac_f64_e32 v[18:19], 0.5, v[14:15]
	v_cmp_lt_f64_e32 vcc, v[16:17], v[18:19]
	s_mov_b64 s[76:77], -1
	s_and_saveexec_b64 s[78:79], vcc
; %bb.32:                               ;   in Loop: Header=BB111_20 Depth=2
	v_mul_f64 v[68:69], v[66:67], v[12:13]
	s_xor_b64 s[76:77], exec, -1
; %bb.33:                               ;   in Loop: Header=BB111_20 Depth=2
	s_or_b64 exec, exec, s[78:79]
	s_and_b64 s[76:77], s[76:77], exec
                                        ; implicit-def: $vgpr12_vgpr13
.LBB111_34:                             ;   in Loop: Header=BB111_20 Depth=2
	s_andn2_saveexec_b64 s[4:5], s[4:5]
	s_cbranch_execz .LBB111_19
; %bb.35:                               ;   in Loop: Header=BB111_20 Depth=2
	v_mul_f64 v[68:69], v[66:67], v[12:13]
	s_andn2_b64 s[76:77], s[76:77], exec
	s_branch .LBB111_19
.LBB111_36:
	s_endpgm
	.section	.rodata,"a",@progbits
	.p2align	6, 0x0
	.amdhsa_kernel _ZN2at4cuda12_GLOBAL__N_121kernelPointwiseApply2IZN12_GLOBAL__N_117gamma_cuda_kernelIdEEvRKNS_10TensorBaseES7_NS_15PhiloxCudaStateEEUlRdRKdE_ddjLi1ELin1ELi1ELi256ELi2EEEvNS0_6detail10TensorInfoIT0_T2_EENSE_IT1_SG_EESG_T_
		.amdhsa_group_segment_fixed_size 0
		.amdhsa_private_segment_fixed_size 0
		.amdhsa_kernarg_size 728
		.amdhsa_user_sgpr_count 6
		.amdhsa_user_sgpr_private_segment_buffer 1
		.amdhsa_user_sgpr_dispatch_ptr 0
		.amdhsa_user_sgpr_queue_ptr 0
		.amdhsa_user_sgpr_kernarg_segment_ptr 1
		.amdhsa_user_sgpr_dispatch_id 0
		.amdhsa_user_sgpr_flat_scratch_init 0
		.amdhsa_user_sgpr_kernarg_preload_length 0
		.amdhsa_user_sgpr_kernarg_preload_offset 0
		.amdhsa_user_sgpr_private_segment_size 0
		.amdhsa_uses_dynamic_stack 0
		.amdhsa_system_sgpr_private_segment_wavefront_offset 0
		.amdhsa_system_sgpr_workgroup_id_x 1
		.amdhsa_system_sgpr_workgroup_id_y 0
		.amdhsa_system_sgpr_workgroup_id_z 0
		.amdhsa_system_sgpr_workgroup_info 0
		.amdhsa_system_vgpr_workitem_id 0
		.amdhsa_next_free_vgpr 117
		.amdhsa_next_free_sgpr 96
		.amdhsa_accum_offset 120
		.amdhsa_reserve_vcc 1
		.amdhsa_reserve_flat_scratch 0
		.amdhsa_float_round_mode_32 0
		.amdhsa_float_round_mode_16_64 0
		.amdhsa_float_denorm_mode_32 3
		.amdhsa_float_denorm_mode_16_64 3
		.amdhsa_dx10_clamp 1
		.amdhsa_ieee_mode 1
		.amdhsa_fp16_overflow 0
		.amdhsa_tg_split 0
		.amdhsa_exception_fp_ieee_invalid_op 0
		.amdhsa_exception_fp_denorm_src 0
		.amdhsa_exception_fp_ieee_div_zero 0
		.amdhsa_exception_fp_ieee_overflow 0
		.amdhsa_exception_fp_ieee_underflow 0
		.amdhsa_exception_fp_ieee_inexact 0
		.amdhsa_exception_int_div_zero 0
	.end_amdhsa_kernel
	.section	.text._ZN2at4cuda12_GLOBAL__N_121kernelPointwiseApply2IZN12_GLOBAL__N_117gamma_cuda_kernelIdEEvRKNS_10TensorBaseES7_NS_15PhiloxCudaStateEEUlRdRKdE_ddjLi1ELin1ELi1ELi256ELi2EEEvNS0_6detail10TensorInfoIT0_T2_EENSE_IT1_SG_EESG_T_,"axG",@progbits,_ZN2at4cuda12_GLOBAL__N_121kernelPointwiseApply2IZN12_GLOBAL__N_117gamma_cuda_kernelIdEEvRKNS_10TensorBaseES7_NS_15PhiloxCudaStateEEUlRdRKdE_ddjLi1ELin1ELi1ELi256ELi2EEEvNS0_6detail10TensorInfoIT0_T2_EENSE_IT1_SG_EESG_T_,comdat
.Lfunc_end111:
	.size	_ZN2at4cuda12_GLOBAL__N_121kernelPointwiseApply2IZN12_GLOBAL__N_117gamma_cuda_kernelIdEEvRKNS_10TensorBaseES7_NS_15PhiloxCudaStateEEUlRdRKdE_ddjLi1ELin1ELi1ELi256ELi2EEEvNS0_6detail10TensorInfoIT0_T2_EENSE_IT1_SG_EESG_T_, .Lfunc_end111-_ZN2at4cuda12_GLOBAL__N_121kernelPointwiseApply2IZN12_GLOBAL__N_117gamma_cuda_kernelIdEEvRKNS_10TensorBaseES7_NS_15PhiloxCudaStateEEUlRdRKdE_ddjLi1ELin1ELi1ELi256ELi2EEEvNS0_6detail10TensorInfoIT0_T2_EENSE_IT1_SG_EESG_T_
                                        ; -- End function
	.section	.AMDGPU.csdata,"",@progbits
; Kernel info:
; codeLenInByte = 7596
; NumSgprs: 100
; NumVgprs: 117
; NumAgprs: 0
; TotalNumVgprs: 117
; ScratchSize: 0
; MemoryBound: 0
; FloatMode: 240
; IeeeMode: 1
; LDSByteSize: 0 bytes/workgroup (compile time only)
; SGPRBlocks: 12
; VGPRBlocks: 14
; NumSGPRsForWavesPerEU: 100
; NumVGPRsForWavesPerEU: 117
; AccumOffset: 120
; Occupancy: 4
; WaveLimiterHint : 1
; COMPUTE_PGM_RSRC2:SCRATCH_EN: 0
; COMPUTE_PGM_RSRC2:USER_SGPR: 6
; COMPUTE_PGM_RSRC2:TRAP_HANDLER: 0
; COMPUTE_PGM_RSRC2:TGID_X_EN: 1
; COMPUTE_PGM_RSRC2:TGID_Y_EN: 0
; COMPUTE_PGM_RSRC2:TGID_Z_EN: 0
; COMPUTE_PGM_RSRC2:TIDIG_COMP_CNT: 0
; COMPUTE_PGM_RSRC3_GFX90A:ACCUM_OFFSET: 29
; COMPUTE_PGM_RSRC3_GFX90A:TG_SPLIT: 0
	.section	.text._ZN2at4cuda12_GLOBAL__N_121kernelPointwiseApply2IZN12_GLOBAL__N_117gamma_cuda_kernelIdEEvRKNS_10TensorBaseES7_NS_15PhiloxCudaStateEEUlRdRKdE_ddjLi2ELi1ELi1ELi256ELi2EEEvNS0_6detail10TensorInfoIT0_T2_EENSE_IT1_SG_EESG_T_,"axG",@progbits,_ZN2at4cuda12_GLOBAL__N_121kernelPointwiseApply2IZN12_GLOBAL__N_117gamma_cuda_kernelIdEEvRKNS_10TensorBaseES7_NS_15PhiloxCudaStateEEUlRdRKdE_ddjLi2ELi1ELi1ELi256ELi2EEEvNS0_6detail10TensorInfoIT0_T2_EENSE_IT1_SG_EESG_T_,comdat
	.globl	_ZN2at4cuda12_GLOBAL__N_121kernelPointwiseApply2IZN12_GLOBAL__N_117gamma_cuda_kernelIdEEvRKNS_10TensorBaseES7_NS_15PhiloxCudaStateEEUlRdRKdE_ddjLi2ELi1ELi1ELi256ELi2EEEvNS0_6detail10TensorInfoIT0_T2_EENSE_IT1_SG_EESG_T_ ; -- Begin function _ZN2at4cuda12_GLOBAL__N_121kernelPointwiseApply2IZN12_GLOBAL__N_117gamma_cuda_kernelIdEEvRKNS_10TensorBaseES7_NS_15PhiloxCudaStateEEUlRdRKdE_ddjLi2ELi1ELi1ELi256ELi2EEEvNS0_6detail10TensorInfoIT0_T2_EENSE_IT1_SG_EESG_T_
	.p2align	8
	.type	_ZN2at4cuda12_GLOBAL__N_121kernelPointwiseApply2IZN12_GLOBAL__N_117gamma_cuda_kernelIdEEvRKNS_10TensorBaseES7_NS_15PhiloxCudaStateEEUlRdRKdE_ddjLi2ELi1ELi1ELi256ELi2EEEvNS0_6detail10TensorInfoIT0_T2_EENSE_IT1_SG_EESG_T_,@function
_ZN2at4cuda12_GLOBAL__N_121kernelPointwiseApply2IZN12_GLOBAL__N_117gamma_cuda_kernelIdEEvRKNS_10TensorBaseES7_NS_15PhiloxCudaStateEEUlRdRKdE_ddjLi2ELi1ELi1ELi256ELi2EEEvNS0_6detail10TensorInfoIT0_T2_EENSE_IT1_SG_EESG_T_: ; @_ZN2at4cuda12_GLOBAL__N_121kernelPointwiseApply2IZN12_GLOBAL__N_117gamma_cuda_kernelIdEEvRKNS_10TensorBaseES7_NS_15PhiloxCudaStateEEUlRdRKdE_ddjLi2ELi1ELi1ELi256ELi2EEEvNS0_6detail10TensorInfoIT0_T2_EENSE_IT1_SG_EESG_T_
; %bb.0:
	s_load_dword s2, s[4:5], 0x1e4
	s_load_dword s33, s[4:5], 0x1b0
	s_add_u32 s0, s4, 0x1d8
	s_addc_u32 s1, s5, 0
	s_waitcnt lgkmcnt(0)
	s_and_b32 s2, s2, 0xffff
	s_mul_i32 s6, s6, s2
	v_add_u32_e32 v2, s6, v0
	v_cmp_gt_u32_e32 vcc, s33, v2
	s_and_saveexec_b64 s[6:7], vcc
	s_cbranch_execz .LBB112_33
; %bb.1:
	s_load_dwordx2 s[12:13], s[4:5], 0x0
	s_load_dword s82, s[4:5], 0xc
	s_load_dwordx2 s[14:15], s[4:5], 0x6c
	s_load_dwordx2 s[16:17], s[4:5], 0xd8
	;; [unrolled: 1-line block ×3, first 2 shown]
	s_load_dword s3, s[4:5], 0x1d0
	s_load_dword s83, s[4:5], 0x144
	s_load_dwordx4 s[8:11], s[4:5], 0x1b8
	s_waitcnt lgkmcnt(0)
	v_cvt_f32_u32_e32 v0, s82
	s_load_dword s85, s[0:1], 0x0
	s_mov_b32 s84, 0xcd9e8d57
	s_bitcmp1_b32 s3, 0
	v_rcp_iflag_f32_e32 v0, v0
	v_mad_u64_u32 v[20:21], s[0:1], v2, s84, 0
	s_waitcnt lgkmcnt(0)
	s_mul_i32 s85, s85, s2
	v_mul_f32_e32 v0, 0x4f7ffffe, v0
	v_cvt_u32_f32_e32 v0, v0
	s_cselect_b64 s[0:1], -1, 0
	s_sub_i32 s2, 0, s82
	v_mov_b32_e32 v24, v21
	v_mul_lo_u32 v1, s2, v0
	v_mul_hi_u32 v1, v0, v1
	v_add_u32_e32 v21, v0, v1
	v_cndmask_b32_e64 v0, 0, 1, s[0:1]
	s_mov_b32 s22, 0x55555555
	s_mov_b32 s26, 0x9b27acf1
	;; [unrolled: 1-line block ×6, first 2 shown]
	s_brev_b32 s54, 6
	s_mov_b32 s56, 0
	s_mov_b32 s58, 0
	s_mov_b32 s60, -2.0
	s_mov_b32 s62, 0x6b47b09a
	s_mov_b32 s64, 0xbf559e2b
	;; [unrolled: 1-line block ×5, first 2 shown]
	v_mov_b32_e32 v22, 0
	s_mov_b64 s[20:21], 0
	v_mov_b32_e32 v25, s17
	v_cmp_ne_u32_e64 s[0:1], 1, v0
	s_mov_b32 s17, 0xd2511f53
	s_mov_b32 s86, 0x9e3779b9
	;; [unrolled: 1-line block ×7, first 2 shown]
	s_brev_b32 s92, -2
	s_mov_b32 s23, 0x3fe55555
	s_mov_b32 s27, 0x3fd24924
	;; [unrolled: 1-line block ×6, first 2 shown]
	s_movk_i32 s93, 0x204
	s_mov_b32 s41, 0x7ff00000
	s_mov_b32 s45, 0xbfe62e42
	;; [unrolled: 1-line block ×5, first 2 shown]
	v_mov_b32_e32 v72, 0x260
	s_mov_b32 s94, 0x78dde6e4
	s_mov_b32 s95, 0x1715609d
	;; [unrolled: 1-line block ×13, first 2 shown]
	v_mov_b32_e32 v73, 0x3ff00000
	v_mov_b32_e32 v26, 0x968915a9
	;; [unrolled: 1-line block ×43, first 2 shown]
	s_mov_b32 s53, 0xdb3d7428
	s_brev_b32 s59, 8
	s_mov_b32 s61, 0xbfa0f27b
	s_mov_b32 s63, 0x3fc38538
	s_mov_b32 s65, 0x3fc3ab76
	s_mov_b32 s67, 0x3fc7474d
	s_mov_b32 s69, 0x3fcc71c0
	s_mov_b32 s70, 0x55555780
	s_mov_b32 s73, 0x100000
	s_branch .LBB112_4
.LBB112_2:                              ;   in Loop: Header=BB112_4 Depth=1
	s_or_b64 exec, exec, s[6:7]
.LBB112_3:                              ;   in Loop: Header=BB112_4 Depth=1
	s_or_b64 exec, exec, s[4:5]
	v_lshlrev_b64 v[0:1], 3, v[60:61]
	v_mov_b32_e32 v3, s13
	v_add_co_u32_e32 v0, vcc, s12, v0
	v_addc_co_u32_e32 v1, vcc, v3, v1, vcc
	v_cmp_ngt_f64_e32 vcc, s[72:73], v[68:69]
	v_add_u32_e32 v81, s85, v81
	v_cndmask_b32_e32 v5, v80, v69, vcc
	v_cndmask_b32_e32 v4, 0, v68, vcc
	v_cmp_le_u32_e32 vcc, s33, v81
	s_or_b64 s[20:21], vcc, s[20:21]
	global_store_dwordx2 v[0:1], v[4:5], off
	s_andn2_b64 exec, exec, s[20:21]
	s_cbranch_execz .LBB112_33
.LBB112_4:                              ; =>This Loop Header: Depth=1
                                        ;     Child Loop BB112_17 Depth 2
                                        ;       Child Loop BB112_20 Depth 3
	v_sub_u32_e32 v0, s33, v81
	v_cmp_lt_i32_e32 vcc, 0, v0
	v_pk_mov_b32 v[60:61], 0, 0
	s_and_saveexec_b64 s[4:5], vcc
	s_cbranch_execz .LBB112_6
; %bb.5:                                ;   in Loop: Header=BB112_4 Depth=1
	v_mul_hi_u32 v0, v81, v21
	v_mul_lo_u32 v1, v0, s82
	v_sub_u32_e32 v1, v81, v1
	v_add_u32_e32 v3, 1, v0
	v_cmp_le_u32_e64 s[2:3], s82, v1
	v_cndmask_b32_e64 v0, v0, v3, s[2:3]
	v_subrev_u32_e32 v3, s82, v1
	v_cndmask_b32_e64 v1, v1, v3, s[2:3]
	v_add_u32_e32 v3, 1, v0
	v_cmp_le_u32_e64 s[2:3], s82, v1
	v_cndmask_b32_e64 v1, v0, v3, s[2:3]
	v_mul_lo_u32 v0, v1, s82
	v_sub_u32_e32 v0, v81, v0
	v_mul_lo_u32 v0, v0, s15
	v_mad_u64_u32 v[60:61], s[2:3], v1, s14, v[0:1]
	v_mov_b32_e32 v61, v22
.LBB112_6:                              ;   in Loop: Header=BB112_4 Depth=1
	s_or_b64 exec, exec, s[4:5]
	v_mul_lo_u32 v0, v81, s83
	v_cndmask_b32_e32 v0, 0, v0, vcc
	v_mov_b32_e32 v1, v22
	v_lshlrev_b64 v[0:1], 3, v[0:1]
	v_add_co_u32_e32 v0, vcc, s16, v0
	v_addc_co_u32_e32 v1, vcc, v25, v1, vcc
	global_load_dwordx2 v[16:17], v[0:1], off
	s_and_b64 vcc, exec, s[0:1]
	v_pk_mov_b32 v[0:1], s[10:11], s[10:11] op_sel:[0,1]
	v_pk_mov_b32 v[62:63], s[8:9], s[8:9] op_sel:[0,1]
	s_cbranch_vccnz .LBB112_8
; %bb.7:                                ;   in Loop: Header=BB112_4 Depth=1
	v_pk_mov_b32 v[0:1], s[10:11], s[10:11] op_sel:[0,1]
	flat_load_dwordx2 v[0:1], v[0:1]
	v_pk_mov_b32 v[4:5], s[8:9], s[8:9] op_sel:[0,1]
	flat_load_dwordx2 v[62:63], v[4:5]
	v_mov_b32_e32 v3, s19
	s_waitcnt vmcnt(0) lgkmcnt(0)
	v_add_co_u32_e32 v0, vcc, s18, v0
	v_addc_co_u32_e32 v1, vcc, v1, v3, vcc
.LBB112_8:                              ;   in Loop: Header=BB112_4 Depth=1
	v_and_b32_e32 v70, 3, v0
	v_alignbit_b32 v0, v1, v0, 2
	v_mad_u64_u32 v[6:7], s[2:3], v0, s17, 0
	v_lshrrev_b32_e32 v1, 2, v1
	v_xor_b32_e32 v5, v7, v63
	v_xor_b32_e32 v7, v24, v62
	v_mov_b32_e32 v4, v63
	v_xor_b32_e32 v7, v7, v1
	v_add_co_u32_e32 v23, vcc, s87, v4
	v_mad_u64_u32 v[8:9], s[2:3], v7, s17, 0
	v_mad_u64_u32 v[10:11], s[2:3], v5, s84, 0
	v_add_co_u32_e32 v68, vcc, s86, v62
	v_xor_b32_e32 v5, v20, v11
	v_xor_b32_e32 v7, v23, v9
	v_xor_b32_e32 v5, v5, v68
	v_xor_b32_e32 v9, v7, v6
	v_add_co_u32_e32 v71, vcc, s88, v62
	v_add_co_u32_e32 v69, vcc, s89, v4
	v_mad_u64_u32 v[6:7], s[2:3], v5, s17, 0
	v_mad_u64_u32 v[12:13], s[2:3], v9, s84, 0
	v_xor_b32_e32 v5, v71, v13
	v_xor_b32_e32 v7, v69, v7
	v_xor_b32_e32 v5, v5, v10
	v_xor_b32_e32 v7, v7, v8
	v_add_co_u32_e32 v85, vcc, s90, v62
	v_add_co_u32_e32 v84, vcc, s91, v4
	v_mad_u64_u32 v[8:9], s[2:3], v5, s17, 0
	v_mad_u64_u32 v[10:11], s[2:3], v7, s84, 0
	;; [unrolled: 8-line block ×7, first 2 shown]
	v_xor_b32_e32 v7, v95, v7
	v_xor_b32_e32 v5, v94, v5
	v_xor_b32_e32 v7, v7, v10
	v_xor_b32_e32 v5, v5, v8
	v_mad_u64_u32 v[18:19], s[2:3], v7, s17, 0
	v_mad_u64_u32 v[64:65], s[2:3], v5, s84, 0
	v_mov_b32_e32 v3, v22
	v_add_u32_e32 v82, 0x8ff34781, v62
	v_add_u32_e32 v83, 0x96a522ad, v63
	v_xor_b32_e32 v5, v65, v6
	v_xor_b32_e32 v4, v19, v4
	;; [unrolled: 1-line block ×4, first 2 shown]
	v_mov_b32_e32 v66, 0
	v_pk_mov_b32 v[6:7], v[2:3], v[2:3] op_sel:[0,1]
	v_mov_b32_e32 v9, v64
	v_mov_b32_e32 v11, v18
	s_waitcnt vmcnt(0)
	v_cmp_gt_f64_e32 vcc, 1.0, v[16:17]
	s_mov_b64 s[2:3], -1
	v_mov_b32_e32 v67, 0x3ff00000
	v_pk_mov_b32 v[4:5], v[0:1], v[0:1] op_sel:[0,1]
                                        ; implicit-def: $sgpr74_sgpr75
	s_and_saveexec_b64 s[76:77], vcc
	s_cbranch_execz .LBB112_14
; %bb.9:                                ;   in Loop: Header=BB112_4 Depth=1
	v_mov_b32_e32 v66, 0
	v_cmp_neq_f64_e32 vcc, 0, v[16:17]
	s_mov_b64 s[74:75], 0
	v_mov_b32_e32 v67, 0x3ff00000
	s_mov_b64 s[80:81], 0
                                        ; implicit-def: $vgpr4_vgpr5_vgpr6_vgpr7
	s_and_saveexec_b64 s[78:79], vcc
	s_cbranch_execz .LBB112_13
; %bb.10:                               ;   in Loop: Header=BB112_4 Depth=1
	v_add_u32_e32 v65, 1, v70
	v_pk_mov_b32 v[14:15], v[10:11], v[10:11] op_sel:[0,1]
	v_pk_mov_b32 v[6:7], v[2:3], v[2:3] op_sel:[0,1]
	v_cmp_eq_u32_e32 vcc, 4, v65
	v_pk_mov_b32 v[12:13], v[8:9], v[8:9] op_sel:[0,1]
	v_pk_mov_b32 v[4:5], v[0:1], v[0:1] op_sel:[0,1]
	s_and_saveexec_b64 s[2:3], vcc
	s_cbranch_execz .LBB112_12
; %bb.11:                               ;   in Loop: Header=BB112_4 Depth=1
	v_add_co_u32_e32 v4, vcc, 1, v0
	v_cndmask_b32_e64 v0, 0, 1, vcc
	v_addc_co_u32_e32 v5, vcc, 0, v1, vcc
	v_cmp_eq_u32_e32 vcc, 0, v5
	v_cndmask_b32_e32 v0, 0, v0, vcc
	v_add_u32_e32 v6, v0, v2
	v_cmp_eq_u32_e32 vcc, 0, v6
	v_cndmask_b32_e32 v7, 0, v0, vcc
	v_mad_u64_u32 v[0:1], s[4:5], v4, s17, 0
	v_mad_u64_u32 v[12:13], s[4:5], v6, s84, 0
	v_xor_b32_e32 v3, v13, v62
	v_xor_b32_e32 v1, v1, v63
	v_xor_b32_e32 v3, v5, v3
	v_xor_b32_e32 v1, v7, v1
	v_mad_u64_u32 v[14:15], s[4:5], v3, s17, 0
	v_mad_u64_u32 v[66:67], s[4:5], v1, s84, 0
	v_xor_b32_e32 v1, v68, v67
	v_xor_b32_e32 v3, v23, v15
	v_xor_b32_e32 v1, v1, v12
	v_xor_b32_e32 v3, v3, v0
	;; [unrolled: 6-line block ×9, first 2 shown]
	v_mad_u64_u32 v[66:67], s[4:5], v3, s17, 0
	v_mad_u64_u32 v[68:69], s[4:5], v1, s84, 0
	v_xor_b32_e32 v1, v69, v12
	v_xor_b32_e32 v0, v67, v0
	v_mov_b32_e32 v65, 0
	v_xor_b32_e32 v12, v82, v1
	v_xor_b32_e32 v14, v83, v0
	v_mov_b32_e32 v13, v68
	v_mov_b32_e32 v15, v66
.LBB112_12:                             ;   in Loop: Header=BB112_4 Depth=1
	s_or_b64 exec, exec, s[2:3]
	v_cmp_eq_u32_e32 vcc, 1, v70
	v_cndmask_b32_e32 v0, v8, v64, vcc
	v_cmp_eq_u32_e32 vcc, 2, v70
	v_cndmask_b32_e32 v0, v0, v10, vcc
	;; [unrolled: 2-line block ×3, first 2 shown]
	v_cvt_f32_u32_e32 v3, v0
	v_div_scale_f64 v[0:1], s[2:3], v[16:17], v[16:17], 1.0
	v_rcp_f64_e32 v[8:9], v[0:1]
	v_mov_b32_e32 v10, 0x2f800000
	v_fmac_f32_e32 v10, 0x2f800000, v3
	v_cvt_f64_f32_e32 v[10:11], v10
	v_fma_f64 v[18:19], -v[0:1], v[8:9], 1.0
	v_fmac_f64_e32 v[8:9], v[8:9], v[18:19]
	v_fma_f64 v[18:19], -v[0:1], v[8:9], 1.0
	v_fmac_f64_e32 v[8:9], v[8:9], v[18:19]
	v_div_scale_f64 v[18:19], vcc, 1.0, v[16:17], 1.0
	v_mul_f64 v[66:67], v[18:19], v[8:9]
	v_fma_f64 v[0:1], -v[0:1], v[66:67], v[18:19]
	v_add_f64 v[10:11], -v[10:11], 1.0
	s_nop 0
	v_div_fmas_f64 v[0:1], v[0:1], v[8:9], v[66:67]
	v_div_fixup_f64 v[18:19], v[0:1], v[16:17], 1.0
	v_cmp_eq_f64_e32 vcc, 1.0, v[10:11]
	v_cndmask_b32_e32 v1, v19, v73, vcc
	v_cndmask_b32_e64 v0, v18, 0, vcc
	v_cmp_eq_f64_e64 s[2:3], 0, v[0:1]
	v_and_b32_e32 v3, 0x7fffffff, v11
	v_cndmask_b32_e64 v9, v11, v73, s[2:3]
	v_cndmask_b32_e64 v8, v10, 0, s[2:3]
	;; [unrolled: 1-line block ×4, first 2 shown]
	v_frexp_mant_f64_e32 v[66:67], v[10:11]
	v_cmp_gt_f64_e64 s[2:3], s[22:23], v[66:67]
	v_cndmask_b32_e64 v23, v73, 2.0, s[2:3]
	v_mul_f64 v[66:67], v[66:67], v[22:23]
	v_add_f64 v[68:69], v[66:67], 1.0
	v_rcp_f64_e32 v[70:71], v[68:69]
	v_add_f64 v[86:87], v[68:69], -1.0
	v_add_f64 v[84:85], v[66:67], -1.0
	v_add_f64 v[66:67], v[66:67], -v[86:87]
	v_fma_f64 v[86:87], -v[68:69], v[70:71], 1.0
	v_fmac_f64_e32 v[70:71], v[86:87], v[70:71]
	v_fma_f64 v[86:87], -v[68:69], v[70:71], 1.0
	v_fmac_f64_e32 v[70:71], v[86:87], v[70:71]
	v_mul_f64 v[86:87], v[84:85], v[70:71]
	v_mul_f64 v[88:89], v[68:69], v[86:87]
	v_fma_f64 v[68:69], v[86:87], v[68:69], -v[88:89]
	v_fmac_f64_e32 v[68:69], v[86:87], v[66:67]
	v_add_f64 v[66:67], v[88:89], v[68:69]
	v_add_f64 v[90:91], v[84:85], -v[66:67]
	v_add_f64 v[88:89], v[66:67], -v[88:89]
	;; [unrolled: 1-line block ×5, first 2 shown]
	v_add_f64 v[66:67], v[68:69], v[66:67]
	v_add_f64 v[66:67], v[90:91], v[66:67]
	v_mul_f64 v[66:67], v[70:71], v[66:67]
	v_add_f64 v[68:69], v[86:87], v[66:67]
	v_add_f64 v[70:71], v[68:69], -v[86:87]
	v_add_f64 v[66:67], v[66:67], -v[70:71]
	v_mul_f64 v[70:71], v[68:69], v[68:69]
	v_fma_f64 v[84:85], v[68:69], v[68:69], -v[70:71]
	v_add_f64 v[86:87], v[66:67], v[66:67]
	v_frexp_exp_i32_f64_e32 v3, v[10:11]
	v_fmac_f64_e32 v[84:85], v[68:69], v[86:87]
	v_subbrev_co_u32_e64 v3, s[2:3], 0, v3, s[2:3]
	v_add_f64 v[86:87], v[70:71], v[84:85]
	v_add_f64 v[70:71], v[86:87], -v[70:71]
	s_mov_b32 s2, 0x4222de17
	v_add_f64 v[70:71], v[84:85], -v[70:71]
	v_pk_mov_b32 v[84:85], v[26:27], v[26:27] op_sel:[0,1]
	s_mov_b32 s3, 0x3fbdee67
	v_fmac_f64_e32 v[84:85], s[2:3], v[86:87]
	v_pk_mov_b32 v[88:89], v[28:29], v[28:29] op_sel:[0,1]
	v_fmac_f64_e32 v[88:89], v[86:87], v[84:85]
	v_pk_mov_b32 v[84:85], v[30:31], v[30:31] op_sel:[0,1]
	;; [unrolled: 2-line block ×7, first 2 shown]
	v_fmac_f64_e32 v[88:89], v[86:87], v[84:85]
	v_cvt_f64_i32_e32 v[84:85], v3
	v_mul_f64 v[90:91], v[84:85], s[30:31]
	v_mul_f64 v[96:97], v[68:69], v[86:87]
	v_fma_f64 v[92:93], v[84:85], s[30:31], -v[90:91]
	v_fma_f64 v[98:99], v[86:87], v[68:69], -v[96:97]
	v_fmac_f64_e32 v[92:93], s[34:35], v[84:85]
	v_fmac_f64_e32 v[98:99], v[86:87], v[66:67]
	v_add_f64 v[84:85], v[90:91], v[92:93]
	v_fmac_f64_e32 v[98:99], v[70:71], v[68:69]
	v_add_f64 v[90:91], v[84:85], -v[90:91]
	v_ldexp_f64 v[94:95], v[66:67], 1
	v_add_f64 v[66:67], v[96:97], v[98:99]
	v_add_f64 v[90:91], v[92:93], -v[90:91]
	v_ldexp_f64 v[92:93], v[68:69], 1
	v_add_f64 v[68:69], v[66:67], -v[96:97]
	v_mul_f64 v[96:97], v[86:87], v[88:89]
	v_fma_f64 v[86:87], v[86:87], v[88:89], -v[96:97]
	v_fmac_f64_e32 v[86:87], v[70:71], v[88:89]
	v_add_f64 v[70:71], v[96:97], v[86:87]
	v_add_f64 v[88:89], v[70:71], -v[96:97]
	v_add_f64 v[86:87], v[86:87], -v[88:89]
	v_add_f64 v[88:89], v[70:71], s[22:23]
	s_mov_b32 s36, s22
	s_mov_b32 s2, 0xd5df274d
	v_add_f64 v[96:97], v[88:89], s[36:37]
	s_mov_b32 s3, 0x3c8543b0
	v_add_f64 v[70:71], v[70:71], -v[96:97]
	v_add_f64 v[86:87], v[86:87], s[2:3]
	v_add_f64 v[70:71], v[86:87], v[70:71]
	;; [unrolled: 1-line block ×3, first 2 shown]
	v_add_f64 v[88:89], v[88:89], -v[86:87]
	v_add_f64 v[70:71], v[70:71], v[88:89]
	v_mul_f64 v[88:89], v[66:67], v[86:87]
	v_fma_f64 v[96:97], v[66:67], v[86:87], -v[88:89]
	v_add_f64 v[68:69], v[98:99], -v[68:69]
	v_fmac_f64_e32 v[96:97], v[66:67], v[70:71]
	v_fmac_f64_e32 v[96:97], v[68:69], v[86:87]
	v_add_f64 v[66:67], v[88:89], v[96:97]
	v_add_f64 v[68:69], v[66:67], -v[88:89]
	v_add_f64 v[70:71], v[92:93], v[66:67]
	v_add_f64 v[68:69], v[96:97], -v[68:69]
	v_add_f64 v[86:87], v[70:71], -v[92:93]
	v_add_f64 v[66:67], v[66:67], -v[86:87]
	v_add_f64 v[68:69], v[94:95], v[68:69]
	v_add_f64 v[66:67], v[68:69], v[66:67]
	;; [unrolled: 1-line block ×3, first 2 shown]
	v_add_f64 v[70:71], v[68:69], -v[70:71]
	v_add_f64 v[66:67], v[66:67], -v[70:71]
	v_add_f64 v[70:71], v[84:85], v[68:69]
	v_add_f64 v[86:87], v[70:71], -v[84:85]
	v_add_f64 v[88:89], v[70:71], -v[86:87]
	;; [unrolled: 1-line block ×4, first 2 shown]
	v_add_f64 v[68:69], v[68:69], v[84:85]
	v_add_f64 v[84:85], v[90:91], v[66:67]
	v_add_f64 v[86:87], v[84:85], -v[90:91]
	v_add_f64 v[68:69], v[84:85], v[68:69]
	v_add_f64 v[88:89], v[84:85], -v[86:87]
	;; [unrolled: 2-line block ×3, first 2 shown]
	v_add_f64 v[66:67], v[66:67], -v[86:87]
	v_add_f64 v[70:71], v[84:85], -v[70:71]
	v_add_f64 v[66:67], v[66:67], v[88:89]
	v_add_f64 v[68:69], v[68:69], -v[70:71]
	v_add_f64 v[66:67], v[66:67], v[68:69]
	v_add_f64 v[68:69], v[84:85], v[66:67]
	v_add_f64 v[70:71], v[68:69], -v[84:85]
	v_add_f64 v[66:67], v[66:67], -v[70:71]
	v_mul_f64 v[70:71], v[0:1], v[68:69]
	v_fma_f64 v[68:69], v[0:1], v[68:69], -v[70:71]
	v_fmac_f64_e32 v[68:69], v[0:1], v[66:67]
	v_add_f64 v[66:67], v[70:71], v[68:69]
	v_cmp_class_f64_e64 s[2:3], v[70:71], s93
	v_add_f64 v[84:85], v[66:67], -v[70:71]
	v_cndmask_b32_e64 v67, v67, v71, s[2:3]
	v_cndmask_b32_e64 v66, v66, v70, s[2:3]
	v_add_f64 v[68:69], v[68:69], -v[84:85]
	v_cmp_neq_f64_e64 s[2:3], |v[66:67]|, s[40:41]
	v_cndmask_b32_e64 v69, 0, v69, s[2:3]
	v_cndmask_b32_e64 v68, 0, v68, s[2:3]
	s_mov_b32 s2, 0x652b82fe
	s_mov_b32 s3, 0x3ff71547
	v_mul_f64 v[70:71], v[66:67], s[2:3]
	v_rndne_f64_e32 v[70:71], v[70:71]
	s_mov_b32 s44, s30
	v_fma_f64 v[84:85], s[44:45], v[70:71], v[66:67]
	s_mov_b32 s46, s34
	s_mov_b32 s2, 0x6a5dcb37
	v_fmac_f64_e32 v[84:85], s[46:47], v[70:71]
	v_pk_mov_b32 v[86:87], v[42:43], v[42:43] op_sel:[0,1]
	s_mov_b32 s3, 0x3e5ade15
	v_fmac_f64_e32 v[86:87], s[2:3], v[84:85]
	v_pk_mov_b32 v[88:89], v[44:45], v[44:45] op_sel:[0,1]
	v_fmac_f64_e32 v[88:89], v[84:85], v[86:87]
	v_pk_mov_b32 v[86:87], v[46:47], v[46:47] op_sel:[0,1]
	;; [unrolled: 2-line block ×8, first 2 shown]
	v_fmac_f64_e32 v[86:87], v[84:85], v[88:89]
	v_fma_f64 v[86:87], v[84:85], v[86:87], 1.0
	s_mov_b32 s2, 0
	v_fma_f64 v[84:85], v[84:85], v[86:87], 1.0
	v_cvt_i32_f64_e32 v3, v[70:71]
	s_mov_b32 s3, 0x40900000
	s_mov_b32 s4, 0
	v_ldexp_f64 v[70:71], v[84:85], v3
	v_cmp_lt_f64_e64 s[2:3], s[2:3], v[66:67]
	s_mov_b32 s5, 0xc090cc00
	v_cndmask_b32_e64 v3, v70, 0, s[2:3]
	v_cndmask_b32_e64 v23, v71, v74, s[2:3]
	v_cmp_ngt_f64_e64 s[4:5], s[4:5], v[66:67]
	v_and_b32_e32 v71, 0x7fffffff, v71
	v_cndmask_b32_e64 v67, 0, v23, s[4:5]
	v_cndmask_b32_e64 v66, 0, v3, s[4:5]
	v_cmp_eq_f64_e64 s[6:7], s[40:41], v[70:71]
	v_pk_mov_b32 v[84:85], v[66:67], v[66:67] op_sel:[0,1]
	s_or_b64 s[2:3], s[2:3], s[6:7]
	v_fmac_f64_e32 v[84:85], v[84:85], v[68:69]
	s_and_b64 s[2:3], s[4:5], s[2:3]
	v_cndmask_b32_e64 v3, v84, v66, s[2:3]
	v_cndmask_b32_e64 v23, v85, v67, s[2:3]
	v_trunc_f64_e32 v[66:67], v[0:1]
	v_cmp_eq_f64_e64 s[2:3], v[66:67], v[0:1]
	v_mul_f64 v[66:67], v[0:1], 0.5
	v_trunc_f64_e32 v[68:69], v[66:67]
	v_cmp_neq_f64_e64 s[4:5], v[68:69], v[66:67]
	s_and_b64 s[4:5], s[2:3], s[4:5]
	v_cndmask_b32_e64 v64, v73, v9, s[4:5]
	v_bfi_b32 v23, s92, v23, v64
	v_and_b32_e32 v19, 0x7fffffff, v19
	v_cndmask_b32_e64 v64, v75, v23, s[2:3]
	v_cndmask_b32_e64 v66, 0, v3, s[2:3]
	v_cmp_gt_f64_e64 s[2:3], 0, v[8:9]
	v_cndmask_b32_e32 v19, v19, v73, vcc
	v_cndmask_b32_e64 v18, v18, 0, vcc
	v_cndmask_b32_e64 v3, v3, v66, s[2:3]
	v_cndmask_b32_e64 v23, v23, v64, s[2:3]
	v_cmp_neq_f64_e32 vcc, v[0:1], v[18:19]
	v_cmp_gt_f64_e64 s[2:3], 1.0, v[10:11]
	s_xor_b64 s[2:3], vcc, s[2:3]
	v_cndmask_b32_e64 v64, v19, 0, s[2:3]
	v_cndmask_b32_e64 v66, v18, 0, s[2:3]
	v_cmp_eq_f64_e32 vcc, 1.0, v[10:11]
	v_cmp_eq_f64_e64 s[2:3], 0, v[8:9]
	v_cmp_gt_f64_e64 s[6:7], 0, v[0:1]
	v_cndmask_b32_e32 v66, v66, v10, vcc
	v_cndmask_b32_e32 v64, v64, v11, vcc
	v_cmp_eq_f64_e32 vcc, s[40:41], v[18:19]
	s_xor_b64 s[6:7], s[6:7], s[2:3]
	v_cndmask_b32_e32 v18, v23, v64, vcc
	v_cndmask_b32_e32 v3, v3, v66, vcc
	v_cmp_eq_f64_e32 vcc, s[40:41], v[10:11]
	v_cndmask_b32_e64 v0, v74, 0, s[6:7]
	v_cndmask_b32_e64 v1, 0, v9, s[4:5]
	v_bfi_b32 v0, s92, v0, v1
	s_or_b64 vcc, vcc, s[2:3]
	v_pk_mov_b32 v[8:9], v[12:13], v[12:13] op_sel:[0,1]
	s_mov_b64 s[80:81], exec
	v_cndmask_b32_e64 v66, v3, 0, vcc
	v_cndmask_b32_e32 v67, v18, v0, vcc
	v_add_f64 v[16:17], v[16:17], 1.0
	v_pk_mov_b32 v[10:11], v[14:15], v[14:15] op_sel:[0,1]
	v_mov_b32_e32 v70, v65
.LBB112_13:                             ;   in Loop: Header=BB112_4 Depth=1
	s_or_b64 exec, exec, s[78:79]
	s_orn2_b64 s[2:3], s[80:81], exec
.LBB112_14:                             ;   in Loop: Header=BB112_4 Depth=1
	s_or_b64 exec, exec, s[76:77]
	v_pk_mov_b32 v[68:69], s[74:75], s[74:75] op_sel:[0,1]
	s_and_saveexec_b64 s[4:5], s[2:3]
	s_cbranch_execz .LBB112_3
; %bb.15:                               ;   in Loop: Header=BB112_4 Depth=1
	v_add_f64 v[0:1], v[16:17], s[54:55]
	v_mul_f64 v[12:13], v[0:1], s[56:57]
	v_cmp_gt_f64_e32 vcc, s[58:59], v[12:13]
	v_cndmask_b32_e64 v3, 0, 1, vcc
	v_lshlrev_b32_e32 v3, 8, v3
	v_ldexp_f64 v[12:13], v[12:13], v3
	v_rsq_f64_e32 v[14:15], v[12:13]
	v_cndmask_b32_e32 v3, 0, v76, vcc
	v_cmp_class_f64_e32 vcc, v[12:13], v72
	v_mov_b32_e32 v99, 0
	v_mul_f64 v[16:17], v[12:13], v[14:15]
	v_mul_f64 v[14:15], v[14:15], 0.5
	v_fma_f64 v[18:19], -v[14:15], v[16:17], 0.5
	v_fmac_f64_e32 v[16:17], v[16:17], v[18:19]
	v_fmac_f64_e32 v[14:15], v[14:15], v[18:19]
	v_fma_f64 v[18:19], -v[16:17], v[16:17], v[12:13]
	v_fmac_f64_e32 v[16:17], v[18:19], v[14:15]
	v_fma_f64 v[18:19], -v[16:17], v[16:17], v[12:13]
	v_fmac_f64_e32 v[16:17], v[18:19], v[14:15]
	v_ldexp_f64 v[14:15], v[16:17], v3
	v_cndmask_b32_e32 v13, v15, v13, vcc
	v_cndmask_b32_e32 v12, v14, v12, vcc
	v_div_scale_f64 v[14:15], s[2:3], v[12:13], v[12:13], 1.0
	v_rcp_f64_e32 v[16:17], v[14:15]
	v_mul_f64 v[66:67], v[66:67], v[0:1]
	v_add_u32_e32 v3, 0x9e3779b9, v62
	v_add_u32_e32 v84, 0xbb67ae85, v63
	v_fma_f64 v[18:19], -v[14:15], v[16:17], 1.0
	v_fmac_f64_e32 v[16:17], v[16:17], v[18:19]
	v_fma_f64 v[18:19], -v[14:15], v[16:17], 1.0
	v_fmac_f64_e32 v[16:17], v[16:17], v[18:19]
	v_div_scale_f64 v[18:19], vcc, 1.0, v[12:13], 1.0
	v_mul_f64 v[64:65], v[18:19], v[16:17]
	v_fma_f64 v[14:15], -v[14:15], v[64:65], v[18:19]
	v_add_u32_e32 v85, 0x3c6ef372, v62
	s_nop 0
	v_div_fmas_f64 v[14:15], v[14:15], v[16:17], v[64:65]
	v_div_fixup_f64 v[64:65], v[14:15], v[12:13], 1.0
	v_add_u32_e32 v86, 0x76cf5d0a, v63
	v_add_u32_e32 v87, 0xdaa66d2b, v62
	;; [unrolled: 1-line block ×13, first 2 shown]
	s_mov_b64 s[6:7], 0
                                        ; implicit-def: $vgpr71
                                        ; implicit-def: $vgpr68_vgpr69
	s_branch .LBB112_17
.LBB112_16:                             ;   in Loop: Header=BB112_17 Depth=2
	s_or_b64 exec, exec, s[2:3]
	s_xor_b64 s[2:3], s[74:75], -1
	s_and_b64 s[2:3], exec, s[2:3]
	s_or_b64 s[6:7], s[2:3], s[6:7]
	s_andn2_b64 exec, exec, s[6:7]
	s_cbranch_execz .LBB112_2
.LBB112_17:                             ;   Parent Loop BB112_4 Depth=1
                                        ; =>  This Loop Header: Depth=2
                                        ;       Child Loop BB112_20 Depth 3
	v_pk_mov_b32 v[14:15], v[10:11], v[10:11] op_sel:[0,1]
	s_mov_b64 s[74:75], 0
	v_mov_b32_e32 v23, v70
	v_pk_mov_b32 v[12:13], v[8:9], v[8:9] op_sel:[0,1]
	s_branch .LBB112_20
.LBB112_18:                             ;   in Loop: Header=BB112_20 Depth=3
	s_or_b64 exec, exec, s[2:3]
	v_cmp_eq_u32_e32 vcc, 1, v23
	v_cndmask_b32_e32 v12, v12, v13, vcc
	v_cmp_eq_u32_e32 vcc, 2, v23
	v_cndmask_b32_e32 v12, v12, v14, vcc
	;; [unrolled: 2-line block ×4, first 2 shown]
	v_cvt_f32_u32_e32 v9, v12
	v_cmp_eq_u32_e32 vcc, 2, v70
	v_cndmask_b32_e32 v8, v8, v10, vcc
	v_mov_b32_e32 v10, 0x2f800000
	v_fmac_f32_e32 v10, 0x2f800000, v9
	v_cmp_gt_f32_e32 vcc, s39, v10
	v_cndmask_b32_e32 v9, 1.0, v77, vcc
	v_mul_f32_e32 v9, v10, v9
	v_log_f32_e32 v9, v9
	v_cmp_eq_u32_e64 s[2:3], 3, v70
	v_cndmask_b32_e64 v8, v8, v11, s[2:3]
	v_cvt_f32_u32_e32 v8, v8
	v_mul_f32_e32 v10, 0x3f317217, v9
	v_fma_f32 v11, v9, s42, -v10
	v_fmac_f32_e32 v11, 0x3377d1cf, v9
	v_add_f32_e32 v10, v10, v11
	v_cmp_lt_f32_e64 s[2:3], |v9|, s43
	v_cndmask_b32_e64 v9, v9, v10, s[2:3]
	v_cndmask_b32_e32 v10, 0, v78, vcc
	v_sub_f32_e32 v9, v9, v10
	v_mul_f32_e32 v9, -2.0, v9
	v_mul_f32_e32 v10, 0x4f800000, v9
	v_cmp_gt_f32_e32 vcc, s48, v9
	v_cndmask_b32_e32 v10, v9, v10, vcc
	v_sqrt_f32_e32 v9, v10
	v_mov_b32_e32 v11, 0x30c90fdb
	v_fmac_f32_e32 v11, 0x30c90fdb, v8
	v_mov_b32_e32 v99, 1
	v_add_u32_e32 v8, -1, v9
	v_fma_f32 v12, -v8, v9, v10
	v_cmp_ge_f32_e64 s[2:3], 0, v12
	v_add_u32_e32 v12, 1, v9
	v_cndmask_b32_e64 v8, v9, v8, s[2:3]
	v_fma_f32 v9, -v12, v9, v10
	v_cmp_lt_f32_e64 s[2:3], 0, v9
	v_mul_f32_e32 v9, 0.15915494, v11
	v_cndmask_b32_e64 v12, v8, v12, s[2:3]
	v_sin_f32_e32 v8, v9
	v_cos_f32_e32 v9, v9
	v_mul_f32_e32 v13, 0x37800000, v12
	v_cndmask_b32_e32 v11, v12, v13, vcc
	v_cmp_class_f32_e32 vcc, v10, v72
	v_cndmask_b32_e32 v10, v11, v10, vcc
	v_pk_mov_b32 v[12:13], v[16:17], v[16:17] op_sel:[0,1]
	v_pk_mul_f32 v[70:71], v[10:11], v[8:9] op_sel_hi:[0,1]
	v_pk_mov_b32 v[14:15], v[18:19], v[18:19] op_sel:[0,1]
	v_mov_b32_e32 v23, v100
.LBB112_19:                             ;   in Loop: Header=BB112_20 Depth=3
	s_or_b64 exec, exec, s[76:77]
	v_cvt_f64_f32_e32 v[16:17], v70
	v_fma_f64 v[18:19], v[64:65], v[16:17], 1.0
	v_cmp_nge_f64_e32 vcc, 0, v[18:19]
	s_or_b64 s[74:75], vcc, s[74:75]
	s_andn2_b64 exec, exec, s[74:75]
	s_cbranch_execz .LBB112_25
.LBB112_20:                             ;   Parent Loop BB112_4 Depth=1
                                        ;     Parent Loop BB112_17 Depth=2
                                        ; =>    This Inner Loop Header: Depth=3
	v_cmp_eq_u32_e32 vcc, 0, v99
	v_mov_b32_e32 v99, 0
	v_mov_b32_e32 v70, v71
	s_and_saveexec_b64 s[76:77], vcc
	s_cbranch_execz .LBB112_19
; %bb.21:                               ;   in Loop: Header=BB112_20 Depth=3
	v_add_u32_e32 v70, 1, v23
	v_pk_mov_b32 v[8:9], v[12:13], v[12:13] op_sel:[0,1]
	v_cmp_eq_u32_e32 vcc, 4, v70
	v_pk_mov_b32 v[10:11], v[14:15], v[14:15] op_sel:[0,1]
	s_and_saveexec_b64 s[2:3], vcc
	s_cbranch_execz .LBB112_23
; %bb.22:                               ;   in Loop: Header=BB112_20 Depth=3
	v_add_co_u32_e32 v4, vcc, 1, v4
	v_cndmask_b32_e64 v8, 0, 1, vcc
	v_addc_co_u32_e32 v5, vcc, 0, v5, vcc
	v_cmp_eq_u32_e32 vcc, 0, v5
	v_cndmask_b32_e32 v8, 0, v8, vcc
	v_add_u32_e32 v6, v8, v6
	v_cmp_eq_u32_e32 vcc, 0, v6
	v_cndmask_b32_e32 v8, 0, v8, vcc
	v_add_u32_e32 v7, v8, v7
	v_mad_u64_u32 v[8:9], s[78:79], v4, s17, 0
	v_mad_u64_u32 v[10:11], s[78:79], v6, s84, 0
	v_xor_b32_e32 v11, v11, v62
	v_xor_b32_e32 v9, v9, v63
	v_xor_b32_e32 v11, v5, v11
	v_xor_b32_e32 v9, v7, v9
	v_mad_u64_u32 v[16:17], s[78:79], v11, s17, 0
	v_mad_u64_u32 v[18:19], s[78:79], v9, s84, 0
	v_xor_b32_e32 v9, v19, v10
	v_xor_b32_e32 v8, v17, v8
	v_xor_b32_e32 v9, v3, v9
	v_xor_b32_e32 v10, v84, v8
	;; [unrolled: 6-line block ×9, first 2 shown]
	v_mad_u64_u32 v[16:17], s[78:79], v9, s17, 0
	v_mad_u64_u32 v[18:19], s[78:79], v11, s84, 0
	v_xor_b32_e32 v8, v19, v8
	v_xor_b32_e32 v9, v17, v10
	v_mov_b32_e32 v70, 0
	v_xor_b32_e32 v8, v82, v8
	v_xor_b32_e32 v10, v83, v9
	v_mov_b32_e32 v9, v18
	v_mov_b32_e32 v11, v16
.LBB112_23:                             ;   in Loop: Header=BB112_20 Depth=3
	s_or_b64 exec, exec, s[2:3]
	v_add_u32_e32 v100, 1, v70
	v_pk_mov_b32 v[18:19], v[10:11], v[10:11] op_sel:[0,1]
	v_cmp_eq_u32_e32 vcc, 4, v100
	v_pk_mov_b32 v[16:17], v[8:9], v[8:9] op_sel:[0,1]
	s_and_saveexec_b64 s[2:3], vcc
	s_cbranch_execz .LBB112_18
; %bb.24:                               ;   in Loop: Header=BB112_20 Depth=3
	v_add_co_u32_e32 v4, vcc, 1, v4
	v_cndmask_b32_e64 v16, 0, 1, vcc
	v_addc_co_u32_e32 v5, vcc, 0, v5, vcc
	v_cmp_eq_u32_e32 vcc, 0, v5
	v_cndmask_b32_e32 v16, 0, v16, vcc
	v_add_u32_e32 v6, v16, v6
	v_cmp_eq_u32_e32 vcc, 0, v6
	v_cndmask_b32_e32 v16, 0, v16, vcc
	v_add_u32_e32 v7, v16, v7
	v_mad_u64_u32 v[16:17], s[78:79], v4, s17, 0
	v_mad_u64_u32 v[18:19], s[78:79], v6, s84, 0
	v_xor_b32_e32 v19, v19, v62
	v_xor_b32_e32 v17, v17, v63
	v_xor_b32_e32 v19, v5, v19
	v_xor_b32_e32 v17, v7, v17
	v_mad_u64_u32 v[102:103], s[78:79], v19, s17, 0
	v_mad_u64_u32 v[104:105], s[78:79], v17, s84, 0
	v_xor_b32_e32 v17, v105, v18
	v_xor_b32_e32 v16, v103, v16
	v_xor_b32_e32 v17, v3, v17
	v_xor_b32_e32 v18, v84, v16
	;; [unrolled: 6-line block ×9, first 2 shown]
	v_mad_u64_u32 v[102:103], s[78:79], v17, s17, 0
	v_mad_u64_u32 v[104:105], s[78:79], v19, s84, 0
	v_xor_b32_e32 v16, v105, v16
	v_xor_b32_e32 v17, v103, v18
	v_mov_b32_e32 v100, 0
	v_xor_b32_e32 v16, v82, v16
	v_xor_b32_e32 v18, v83, v17
	v_mov_b32_e32 v17, v104
	v_mov_b32_e32 v19, v102
	s_branch .LBB112_18
.LBB112_25:                             ;   in Loop: Header=BB112_17 Depth=2
	s_or_b64 exec, exec, s[74:75]
	v_add_u32_e32 v70, 1, v23
	v_pk_mov_b32 v[8:9], v[12:13], v[12:13] op_sel:[0,1]
	v_cmp_eq_u32_e32 vcc, 4, v70
	v_pk_mov_b32 v[10:11], v[14:15], v[14:15] op_sel:[0,1]
	s_and_saveexec_b64 s[2:3], vcc
	s_cbranch_execz .LBB112_27
; %bb.26:                               ;   in Loop: Header=BB112_17 Depth=2
	v_add_co_u32_e32 v4, vcc, 1, v4
	v_cndmask_b32_e64 v8, 0, 1, vcc
	v_addc_co_u32_e32 v5, vcc, 0, v5, vcc
	v_cmp_eq_u32_e32 vcc, 0, v5
	v_cndmask_b32_e32 v8, 0, v8, vcc
	v_add_u32_e32 v6, v8, v6
	v_cmp_eq_u32_e32 vcc, 0, v6
	v_cndmask_b32_e32 v8, 0, v8, vcc
	v_add_u32_e32 v7, v8, v7
	v_mad_u64_u32 v[8:9], s[74:75], v4, s17, 0
	v_mad_u64_u32 v[10:11], s[74:75], v6, s84, 0
	v_xor_b32_e32 v11, v11, v62
	v_xor_b32_e32 v9, v9, v63
	v_xor_b32_e32 v11, v5, v11
	v_xor_b32_e32 v9, v7, v9
	v_mad_u64_u32 v[100:101], s[74:75], v11, s17, 0
	v_mad_u64_u32 v[102:103], s[74:75], v9, s84, 0
	v_xor_b32_e32 v9, v103, v10
	v_xor_b32_e32 v8, v101, v8
	v_xor_b32_e32 v9, v3, v9
	v_xor_b32_e32 v10, v84, v8
	;; [unrolled: 6-line block ×9, first 2 shown]
	v_mad_u64_u32 v[100:101], s[74:75], v9, s17, 0
	v_mad_u64_u32 v[102:103], s[74:75], v11, s84, 0
	v_xor_b32_e32 v8, v103, v8
	v_xor_b32_e32 v9, v101, v10
	v_mov_b32_e32 v70, 0
	v_xor_b32_e32 v8, v82, v8
	v_xor_b32_e32 v10, v83, v9
	v_mov_b32_e32 v9, v102
	v_mov_b32_e32 v11, v100
.LBB112_27:                             ;   in Loop: Header=BB112_17 Depth=2
	s_or_b64 exec, exec, s[2:3]
	v_cmp_eq_u32_e32 vcc, 1, v23
	v_cndmask_b32_e32 v12, v12, v13, vcc
	v_cmp_eq_u32_e32 vcc, 2, v23
	v_cndmask_b32_e32 v12, v12, v14, vcc
	;; [unrolled: 2-line block ×3, first 2 shown]
	v_cvt_f32_u32_e32 v14, v12
	v_mov_b32_e32 v15, 0x2f800000
	v_mul_f64 v[12:13], v[18:19], v[18:19]
	v_mul_f64 v[12:13], v[18:19], v[12:13]
	v_fmac_f32_e32 v15, 0x2f800000, v14
	v_cvt_f64_f32_e32 v[14:15], v15
	v_add_f64 v[18:19], -v[14:15], 1.0
	v_mul_f64 v[14:15], v[16:17], v[16:17]
	v_mul_f64 v[16:17], v[14:15], s[60:61]
	v_fma_f64 v[16:17], v[14:15], v[16:17], 1.0
	v_cmp_nlt_f64_e32 vcc, v[18:19], v[16:17]
                                        ; implicit-def: $sgpr74_sgpr75
	s_and_saveexec_b64 s[2:3], vcc
	s_xor_b64 s[2:3], exec, s[2:3]
	s_cbranch_execz .LBB112_31
; %bb.28:                               ;   in Loop: Header=BB112_17 Depth=2
	v_frexp_mant_f64_e32 v[16:17], v[18:19]
	v_cmp_gt_f64_e32 vcc, s[22:23], v[16:17]
	v_cndmask_b32_e64 v23, v73, 2.0, vcc
	v_frexp_exp_i32_f64_e32 v100, v[18:19]
	v_mul_f64 v[16:17], v[16:17], v[22:23]
	v_subbrev_co_u32_e32 v23, vcc, 0, v100, vcc
	v_add_f64 v[100:101], v[16:17], 1.0
	v_rcp_f64_e32 v[102:103], v[100:101]
	v_add_f64 v[106:107], v[100:101], -1.0
	v_add_f64 v[104:105], v[16:17], -1.0
	v_add_f64 v[16:17], v[16:17], -v[106:107]
	v_fma_f64 v[106:107], -v[100:101], v[102:103], 1.0
	v_fmac_f64_e32 v[102:103], v[106:107], v[102:103]
	v_fma_f64 v[106:107], -v[100:101], v[102:103], 1.0
	v_fmac_f64_e32 v[102:103], v[106:107], v[102:103]
	v_mul_f64 v[106:107], v[104:105], v[102:103]
	v_mul_f64 v[108:109], v[100:101], v[106:107]
	v_fma_f64 v[100:101], v[106:107], v[100:101], -v[108:109]
	v_fmac_f64_e32 v[100:101], v[106:107], v[16:17]
	v_add_f64 v[16:17], v[108:109], v[100:101]
	v_add_f64 v[110:111], v[104:105], -v[16:17]
	v_add_f64 v[108:109], v[16:17], -v[108:109]
	v_add_f64 v[104:105], v[104:105], -v[110:111]
	v_add_f64 v[16:17], v[104:105], -v[16:17]
	v_add_f64 v[100:101], v[108:109], -v[100:101]
	v_add_f64 v[16:17], v[100:101], v[16:17]
	v_add_f64 v[16:17], v[110:111], v[16:17]
	v_mul_f64 v[16:17], v[102:103], v[16:17]
	v_add_f64 v[100:101], v[106:107], v[16:17]
	v_add_f64 v[102:103], v[100:101], -v[106:107]
	v_add_f64 v[16:17], v[16:17], -v[102:103]
	v_mul_f64 v[102:103], v[100:101], v[100:101]
	v_pk_mov_b32 v[104:105], s[62:63], s[62:63] op_sel:[0,1]
	v_fma_f64 v[106:107], s[64:65], v[102:103], v[104:105]
	v_fma_f64 v[106:107], v[102:103], v[106:107], s[66:67]
	;; [unrolled: 1-line block ×5, first 2 shown]
	s_mov_b32 s71, s23
	v_fma_f64 v[106:107], v[102:103], v[106:107], s[70:71]
	v_ldexp_f64 v[108:109], v[100:101], 1
	v_mul_f64 v[100:101], v[100:101], v[102:103]
	v_mul_f64 v[100:101], v[100:101], v[106:107]
	v_add_f64 v[102:103], v[108:109], v[100:101]
	v_add_f64 v[106:107], v[102:103], -v[108:109]
	v_ldexp_f64 v[16:17], v[16:17], 1
	v_add_f64 v[100:101], v[100:101], -v[106:107]
	v_add_f64 v[16:17], v[16:17], v[100:101]
	v_add_f64 v[100:101], v[102:103], v[16:17]
	v_add_f64 v[102:103], v[100:101], -v[102:103]
	v_add_f64 v[16:17], v[16:17], -v[102:103]
	v_cvt_f64_i32_e32 v[102:103], v23
	v_mul_f64 v[106:107], v[102:103], s[30:31]
	v_fma_f64 v[108:109], v[102:103], s[30:31], -v[106:107]
	v_fmac_f64_e32 v[108:109], s[34:35], v[102:103]
	v_add_f64 v[102:103], v[106:107], v[108:109]
	v_add_f64 v[106:107], v[102:103], -v[106:107]
	v_add_f64 v[106:107], v[108:109], -v[106:107]
	v_add_f64 v[108:109], v[102:103], v[100:101]
	v_add_f64 v[110:111], v[108:109], -v[102:103]
	v_add_f64 v[112:113], v[108:109], -v[110:111]
	;; [unrolled: 1-line block ×4, first 2 shown]
	v_add_f64 v[100:101], v[100:101], v[102:103]
	v_add_f64 v[102:103], v[106:107], v[16:17]
	v_add_f64 v[110:111], v[102:103], -v[106:107]
	v_add_f64 v[112:113], v[102:103], -v[110:111]
	v_add_f64 v[100:101], v[102:103], v[100:101]
	v_add_f64 v[106:107], v[106:107], -v[112:113]
	v_add_f64 v[16:17], v[16:17], -v[110:111]
	v_add_f64 v[102:103], v[108:109], v[100:101]
	v_add_f64 v[16:17], v[16:17], v[106:107]
	v_add_f64 v[106:107], v[102:103], -v[108:109]
	v_add_f64 v[100:101], v[100:101], -v[106:107]
	v_add_f64 v[16:17], v[16:17], v[100:101]
	v_add_f64 v[16:17], v[102:103], v[16:17]
	v_cmp_class_f64_e64 vcc, v[18:19], s93
	v_cndmask_b32_e32 v16, v16, v18, vcc
	v_cndmask_b32_e32 v17, v17, v19, vcc
	v_cmp_ngt_f64_e32 vcc, 0, v[18:19]
	v_cndmask_b32_e32 v17, v75, v17, vcc
	v_cmp_nge_f64_e32 vcc, 0, v[18:19]
	v_cndmask_b32_e32 v16, 0, v16, vcc
	v_cmp_neq_f64_e32 vcc, 0, v[18:19]
	v_frexp_mant_f64_e32 v[100:101], v[12:13]
	v_cndmask_b32_e32 v17, v79, v17, vcc
	v_cmp_gt_f64_e32 vcc, s[22:23], v[100:101]
	v_cndmask_b32_e64 v23, v73, 2.0, vcc
	v_frexp_exp_i32_f64_e32 v102, v[12:13]
	v_mul_f64 v[100:101], v[100:101], v[22:23]
	v_subbrev_co_u32_e32 v23, vcc, 0, v102, vcc
	v_add_f64 v[102:103], v[100:101], 1.0
	v_rcp_f64_e32 v[106:107], v[102:103]
	v_add_f64 v[110:111], v[102:103], -1.0
	v_add_f64 v[108:109], v[100:101], -1.0
	v_add_f64 v[100:101], v[100:101], -v[110:111]
	v_fma_f64 v[110:111], -v[102:103], v[106:107], 1.0
	v_fmac_f64_e32 v[106:107], v[110:111], v[106:107]
	v_fma_f64 v[110:111], -v[102:103], v[106:107], 1.0
	v_fmac_f64_e32 v[106:107], v[110:111], v[106:107]
	v_mul_f64 v[110:111], v[108:109], v[106:107]
	v_mul_f64 v[112:113], v[102:103], v[110:111]
	v_fma_f64 v[102:103], v[110:111], v[102:103], -v[112:113]
	v_fmac_f64_e32 v[102:103], v[110:111], v[100:101]
	v_add_f64 v[100:101], v[112:113], v[102:103]
	v_add_f64 v[114:115], v[108:109], -v[100:101]
	v_add_f64 v[112:113], v[100:101], -v[112:113]
	;; [unrolled: 1-line block ×5, first 2 shown]
	v_add_f64 v[100:101], v[102:103], v[100:101]
	v_add_f64 v[100:101], v[114:115], v[100:101]
	v_mul_f64 v[100:101], v[106:107], v[100:101]
	v_add_f64 v[102:103], v[110:111], v[100:101]
	v_add_f64 v[106:107], v[102:103], -v[110:111]
	v_add_f64 v[100:101], v[100:101], -v[106:107]
	v_mul_f64 v[106:107], v[102:103], v[102:103]
	v_fmac_f64_e32 v[104:105], s[64:65], v[106:107]
	v_fma_f64 v[104:105], v[106:107], v[104:105], s[66:67]
	v_fma_f64 v[104:105], v[106:107], v[104:105], s[68:69]
	;; [unrolled: 1-line block ×5, first 2 shown]
	v_ldexp_f64 v[108:109], v[102:103], 1
	v_mul_f64 v[102:103], v[102:103], v[106:107]
	v_mul_f64 v[102:103], v[102:103], v[104:105]
	v_add_f64 v[104:105], v[108:109], v[102:103]
	v_add_f64 v[106:107], v[104:105], -v[108:109]
	v_ldexp_f64 v[100:101], v[100:101], 1
	v_add_f64 v[102:103], v[102:103], -v[106:107]
	v_add_f64 v[100:101], v[100:101], v[102:103]
	v_add_f64 v[102:103], v[104:105], v[100:101]
	v_add_f64 v[104:105], v[102:103], -v[104:105]
	v_add_f64 v[100:101], v[100:101], -v[104:105]
	v_cvt_f64_i32_e32 v[104:105], v23
	v_mul_f64 v[106:107], v[104:105], s[30:31]
	v_fma_f64 v[108:109], v[104:105], s[30:31], -v[106:107]
	v_fmac_f64_e32 v[108:109], s[34:35], v[104:105]
	v_add_f64 v[104:105], v[106:107], v[108:109]
	v_add_f64 v[106:107], v[104:105], -v[106:107]
	v_add_f64 v[106:107], v[108:109], -v[106:107]
	v_add_f64 v[108:109], v[104:105], v[102:103]
	v_add_f64 v[110:111], v[108:109], -v[104:105]
	v_add_f64 v[112:113], v[108:109], -v[110:111]
	;; [unrolled: 1-line block ×4, first 2 shown]
	v_add_f64 v[102:103], v[102:103], v[104:105]
	v_add_f64 v[104:105], v[106:107], v[100:101]
	v_add_f64 v[110:111], v[104:105], -v[106:107]
	v_add_f64 v[112:113], v[104:105], -v[110:111]
	v_add_f64 v[102:103], v[104:105], v[102:103]
	v_add_f64 v[106:107], v[106:107], -v[112:113]
	v_add_f64 v[100:101], v[100:101], -v[110:111]
	v_add_f64 v[104:105], v[108:109], v[102:103]
	v_add_f64 v[100:101], v[100:101], v[106:107]
	v_add_f64 v[106:107], v[104:105], -v[108:109]
	v_add_f64 v[102:103], v[102:103], -v[106:107]
	v_add_f64 v[100:101], v[100:101], v[102:103]
	v_add_f64 v[100:101], v[104:105], v[100:101]
	v_cmp_class_f64_e64 vcc, v[12:13], s93
	v_cndmask_b32_e32 v23, v100, v12, vcc
	v_cndmask_b32_e32 v100, v101, v13, vcc
	v_cmp_ngt_f64_e32 vcc, 0, v[12:13]
	v_cndmask_b32_e32 v101, v75, v100, vcc
	v_cmp_nge_f64_e32 vcc, 0, v[12:13]
	v_cndmask_b32_e32 v100, 0, v23, vcc
	v_cmp_neq_f64_e32 vcc, 0, v[12:13]
	v_add_f64 v[18:19], -v[12:13], 1.0
	v_cndmask_b32_e32 v101, v79, v101, vcc
	v_add_f64 v[18:19], v[18:19], v[100:101]
	v_mul_f64 v[18:19], v[0:1], v[18:19]
	v_fmac_f64_e32 v[18:19], 0.5, v[14:15]
	v_cmp_lt_f64_e32 vcc, v[16:17], v[18:19]
	s_mov_b64 s[74:75], -1
	s_and_saveexec_b64 s[76:77], vcc
; %bb.29:                               ;   in Loop: Header=BB112_17 Depth=2
	v_mul_f64 v[68:69], v[66:67], v[12:13]
	s_xor_b64 s[74:75], exec, -1
; %bb.30:                               ;   in Loop: Header=BB112_17 Depth=2
	s_or_b64 exec, exec, s[76:77]
	s_and_b64 s[74:75], s[74:75], exec
                                        ; implicit-def: $vgpr12_vgpr13
.LBB112_31:                             ;   in Loop: Header=BB112_17 Depth=2
	s_andn2_saveexec_b64 s[2:3], s[2:3]
	s_cbranch_execz .LBB112_16
; %bb.32:                               ;   in Loop: Header=BB112_17 Depth=2
	v_mul_f64 v[68:69], v[66:67], v[12:13]
	s_andn2_b64 s[74:75], s[74:75], exec
	s_branch .LBB112_16
.LBB112_33:
	s_endpgm
	.section	.rodata,"a",@progbits
	.p2align	6, 0x0
	.amdhsa_kernel _ZN2at4cuda12_GLOBAL__N_121kernelPointwiseApply2IZN12_GLOBAL__N_117gamma_cuda_kernelIdEEvRKNS_10TensorBaseES7_NS_15PhiloxCudaStateEEUlRdRKdE_ddjLi2ELi1ELi1ELi256ELi2EEEvNS0_6detail10TensorInfoIT0_T2_EENSE_IT1_SG_EESG_T_
		.amdhsa_group_segment_fixed_size 0
		.amdhsa_private_segment_fixed_size 0
		.amdhsa_kernarg_size 728
		.amdhsa_user_sgpr_count 6
		.amdhsa_user_sgpr_private_segment_buffer 1
		.amdhsa_user_sgpr_dispatch_ptr 0
		.amdhsa_user_sgpr_queue_ptr 0
		.amdhsa_user_sgpr_kernarg_segment_ptr 1
		.amdhsa_user_sgpr_dispatch_id 0
		.amdhsa_user_sgpr_flat_scratch_init 0
		.amdhsa_user_sgpr_kernarg_preload_length 0
		.amdhsa_user_sgpr_kernarg_preload_offset 0
		.amdhsa_user_sgpr_private_segment_size 0
		.amdhsa_uses_dynamic_stack 0
		.amdhsa_system_sgpr_private_segment_wavefront_offset 0
		.amdhsa_system_sgpr_workgroup_id_x 1
		.amdhsa_system_sgpr_workgroup_id_y 0
		.amdhsa_system_sgpr_workgroup_id_z 0
		.amdhsa_system_sgpr_workgroup_info 0
		.amdhsa_system_vgpr_workitem_id 0
		.amdhsa_next_free_vgpr 116
		.amdhsa_next_free_sgpr 96
		.amdhsa_accum_offset 116
		.amdhsa_reserve_vcc 1
		.amdhsa_reserve_flat_scratch 0
		.amdhsa_float_round_mode_32 0
		.amdhsa_float_round_mode_16_64 0
		.amdhsa_float_denorm_mode_32 3
		.amdhsa_float_denorm_mode_16_64 3
		.amdhsa_dx10_clamp 1
		.amdhsa_ieee_mode 1
		.amdhsa_fp16_overflow 0
		.amdhsa_tg_split 0
		.amdhsa_exception_fp_ieee_invalid_op 0
		.amdhsa_exception_fp_denorm_src 0
		.amdhsa_exception_fp_ieee_div_zero 0
		.amdhsa_exception_fp_ieee_overflow 0
		.amdhsa_exception_fp_ieee_underflow 0
		.amdhsa_exception_fp_ieee_inexact 0
		.amdhsa_exception_int_div_zero 0
	.end_amdhsa_kernel
	.section	.text._ZN2at4cuda12_GLOBAL__N_121kernelPointwiseApply2IZN12_GLOBAL__N_117gamma_cuda_kernelIdEEvRKNS_10TensorBaseES7_NS_15PhiloxCudaStateEEUlRdRKdE_ddjLi2ELi1ELi1ELi256ELi2EEEvNS0_6detail10TensorInfoIT0_T2_EENSE_IT1_SG_EESG_T_,"axG",@progbits,_ZN2at4cuda12_GLOBAL__N_121kernelPointwiseApply2IZN12_GLOBAL__N_117gamma_cuda_kernelIdEEvRKNS_10TensorBaseES7_NS_15PhiloxCudaStateEEUlRdRKdE_ddjLi2ELi1ELi1ELi256ELi2EEEvNS0_6detail10TensorInfoIT0_T2_EENSE_IT1_SG_EESG_T_,comdat
.Lfunc_end112:
	.size	_ZN2at4cuda12_GLOBAL__N_121kernelPointwiseApply2IZN12_GLOBAL__N_117gamma_cuda_kernelIdEEvRKNS_10TensorBaseES7_NS_15PhiloxCudaStateEEUlRdRKdE_ddjLi2ELi1ELi1ELi256ELi2EEEvNS0_6detail10TensorInfoIT0_T2_EENSE_IT1_SG_EESG_T_, .Lfunc_end112-_ZN2at4cuda12_GLOBAL__N_121kernelPointwiseApply2IZN12_GLOBAL__N_117gamma_cuda_kernelIdEEvRKNS_10TensorBaseES7_NS_15PhiloxCudaStateEEUlRdRKdE_ddjLi2ELi1ELi1ELi256ELi2EEEvNS0_6detail10TensorInfoIT0_T2_EENSE_IT1_SG_EESG_T_
                                        ; -- End function
	.section	.AMDGPU.csdata,"",@progbits
; Kernel info:
; codeLenInByte = 7440
; NumSgprs: 100
; NumVgprs: 116
; NumAgprs: 0
; TotalNumVgprs: 116
; ScratchSize: 0
; MemoryBound: 0
; FloatMode: 240
; IeeeMode: 1
; LDSByteSize: 0 bytes/workgroup (compile time only)
; SGPRBlocks: 12
; VGPRBlocks: 14
; NumSGPRsForWavesPerEU: 100
; NumVGPRsForWavesPerEU: 116
; AccumOffset: 116
; Occupancy: 4
; WaveLimiterHint : 1
; COMPUTE_PGM_RSRC2:SCRATCH_EN: 0
; COMPUTE_PGM_RSRC2:USER_SGPR: 6
; COMPUTE_PGM_RSRC2:TRAP_HANDLER: 0
; COMPUTE_PGM_RSRC2:TGID_X_EN: 1
; COMPUTE_PGM_RSRC2:TGID_Y_EN: 0
; COMPUTE_PGM_RSRC2:TGID_Z_EN: 0
; COMPUTE_PGM_RSRC2:TIDIG_COMP_CNT: 0
; COMPUTE_PGM_RSRC3_GFX90A:ACCUM_OFFSET: 28
; COMPUTE_PGM_RSRC3_GFX90A:TG_SPLIT: 0
	.section	.text._ZN2at4cuda12_GLOBAL__N_121kernelPointwiseApply2IZN12_GLOBAL__N_117gamma_cuda_kernelIdEEvRKNS_10TensorBaseES7_NS_15PhiloxCudaStateEEUlRdRKdE_ddjLi2ELi2ELi1ELi256ELi2EEEvNS0_6detail10TensorInfoIT0_T2_EENSE_IT1_SG_EESG_T_,"axG",@progbits,_ZN2at4cuda12_GLOBAL__N_121kernelPointwiseApply2IZN12_GLOBAL__N_117gamma_cuda_kernelIdEEvRKNS_10TensorBaseES7_NS_15PhiloxCudaStateEEUlRdRKdE_ddjLi2ELi2ELi1ELi256ELi2EEEvNS0_6detail10TensorInfoIT0_T2_EENSE_IT1_SG_EESG_T_,comdat
	.globl	_ZN2at4cuda12_GLOBAL__N_121kernelPointwiseApply2IZN12_GLOBAL__N_117gamma_cuda_kernelIdEEvRKNS_10TensorBaseES7_NS_15PhiloxCudaStateEEUlRdRKdE_ddjLi2ELi2ELi1ELi256ELi2EEEvNS0_6detail10TensorInfoIT0_T2_EENSE_IT1_SG_EESG_T_ ; -- Begin function _ZN2at4cuda12_GLOBAL__N_121kernelPointwiseApply2IZN12_GLOBAL__N_117gamma_cuda_kernelIdEEvRKNS_10TensorBaseES7_NS_15PhiloxCudaStateEEUlRdRKdE_ddjLi2ELi2ELi1ELi256ELi2EEEvNS0_6detail10TensorInfoIT0_T2_EENSE_IT1_SG_EESG_T_
	.p2align	8
	.type	_ZN2at4cuda12_GLOBAL__N_121kernelPointwiseApply2IZN12_GLOBAL__N_117gamma_cuda_kernelIdEEvRKNS_10TensorBaseES7_NS_15PhiloxCudaStateEEUlRdRKdE_ddjLi2ELi2ELi1ELi256ELi2EEEvNS0_6detail10TensorInfoIT0_T2_EENSE_IT1_SG_EESG_T_,@function
_ZN2at4cuda12_GLOBAL__N_121kernelPointwiseApply2IZN12_GLOBAL__N_117gamma_cuda_kernelIdEEvRKNS_10TensorBaseES7_NS_15PhiloxCudaStateEEUlRdRKdE_ddjLi2ELi2ELi1ELi256ELi2EEEvNS0_6detail10TensorInfoIT0_T2_EENSE_IT1_SG_EESG_T_: ; @_ZN2at4cuda12_GLOBAL__N_121kernelPointwiseApply2IZN12_GLOBAL__N_117gamma_cuda_kernelIdEEvRKNS_10TensorBaseES7_NS_15PhiloxCudaStateEEUlRdRKdE_ddjLi2ELi2ELi1ELi256ELi2EEEvNS0_6detail10TensorInfoIT0_T2_EENSE_IT1_SG_EESG_T_
; %bb.0:
	s_load_dword s2, s[4:5], 0x1e4
	s_load_dword s33, s[4:5], 0x1b0
	s_add_u32 s0, s4, 0x1d8
	s_addc_u32 s1, s5, 0
	s_waitcnt lgkmcnt(0)
	s_and_b32 s2, s2, 0xffff
	s_mul_i32 s6, s6, s2
	v_add_u32_e32 v2, s6, v0
	v_cmp_gt_u32_e32 vcc, s33, v2
	s_and_saveexec_b64 s[6:7], vcc
	s_cbranch_execz .LBB113_35
; %bb.1:
	s_load_dwordx2 s[12:13], s[4:5], 0x0
	s_load_dword s84, s[4:5], 0xc
	s_load_dwordx2 s[14:15], s[4:5], 0x6c
	s_load_dwordx2 s[16:17], s[4:5], 0xd8
	s_load_dword s3, s[4:5], 0x1d0
	s_load_dword s85, s[4:5], 0xe4
	s_load_dwordx2 s[18:19], s[4:5], 0x144
	s_load_dwordx2 s[20:21], s[4:5], 0x1c8
	s_load_dwordx4 s[8:11], s[4:5], 0x1b8
	s_load_dword s87, s[0:1], 0x0
	s_waitcnt lgkmcnt(0)
	v_cvt_f32_u32_e32 v0, s84
	v_cvt_f32_u32_e32 v1, s85
	s_mov_b32 s86, 0xcd9e8d57
	s_bitcmp1_b32 s3, 0
	v_rcp_iflag_f32_e32 v0, v0
	v_rcp_iflag_f32_e32 v1, v1
	v_mad_u64_u32 v[20:21], s[0:1], v2, s86, 0
	v_mul_f32_e32 v0, 0x4f7ffffe, v0
	v_cvt_u32_f32_e32 v0, v0
	v_mul_f32_e32 v1, 0x4f7ffffe, v1
	v_cvt_u32_f32_e32 v1, v1
	s_mul_i32 s87, s87, s2
	s_cselect_b64 s[0:1], -1, 0
	s_sub_i32 s2, 0, s84
	v_mul_lo_u32 v3, s2, v0
	v_mul_hi_u32 v3, v0, v3
	s_sub_i32 s2, 0, s85
	v_mov_b32_e32 v24, v21
	v_add_u32_e32 v21, v0, v3
	v_mul_lo_u32 v0, s2, v1
	v_mul_hi_u32 v0, v1, v0
	v_add_u32_e32 v25, v1, v0
	v_cndmask_b32_e64 v0, 0, 1, s[0:1]
	s_mov_b32 s24, 0x55555555
	s_mov_b32 s28, 0x9b27acf1
	;; [unrolled: 1-line block ×8, first 2 shown]
	s_mov_b32 s62, -2.0
	s_mov_b32 s64, 0x6b47b09a
	s_mov_b32 s66, 0xbf559e2b
	;; [unrolled: 1-line block ×5, first 2 shown]
	v_mov_b32_e32 v22, 0
	s_mov_b64 s[22:23], 0
	v_mov_b32_e32 v72, s17
	v_cmp_ne_u32_e64 s[0:1], 1, v0
	s_mov_b32 s17, 0xd2511f53
	s_mov_b32 s88, 0x9e3779b9
	s_mov_b32 s89, 0xbb67ae85
	s_mov_b32 s90, 0x3c6ef372
	s_mov_b32 s91, 0x76cf5d0a
	s_brev_b32 s57, -2
	s_mov_b32 s25, 0x3fe55555
	s_mov_b32 s29, 0x3fd24924
	;; [unrolled: 1-line block ×6, first 2 shown]
	s_movk_i32 s93, 0x204
	s_mov_b32 s43, 0x7ff00000
	s_mov_b32 s47, 0xbfe62e42
	;; [unrolled: 1-line block ×3, first 2 shown]
	v_mov_b32_e32 v73, 0x260
	s_mov_b32 s94, 0x32370b8f
	s_mov_b32 s95, 0x78dde6e4
	s_mov_b32 s26, 0x1715609d
	s_mov_b32 s27, 0x646e171e
	s_mov_b32 s40, 0x5384540f
	s_mov_b32 s41, 0x1fd5c5a3
	s_mov_b32 s44, 0x800000
	s_mov_b32 s45, 0x3f317217
	s_mov_b32 s50, 0x7f800000
	s_mov_b32 s51, 0xf800000
	s_mov_b32 s52, 0xdaa66d2b
	s_mov_b32 s53, 0xed9eba14
	s_mov_b32 s54, 0xa9066899
	s_mov_b32 s55, 0xb54cda56
	s_mov_b32 s92, 0xf1bbcdc8
	v_mov_b32_e32 v74, 0x3ff00000
	v_mov_b32_e32 v26, 0x968915a9
	v_mov_b32_e32 v27, 0x3fba6564
	v_mov_b32_e32 v28, 0x3abe935a
	v_mov_b32_e32 v29, 0x3fbe25e4
	v_mov_b32_e32 v30, 0x47e6c9c2
	v_mov_b32_e32 v31, 0x3fc110ef
	v_mov_b32_e32 v32, 0xcfa74449
	v_mov_b32_e32 v33, 0x3fc3b13b
	v_mov_b32_e32 v34, 0x71bf3c30
	v_mov_b32_e32 v35, 0x3fc745d1
	v_mov_b32_e32 v36, 0x1c7792ce
	v_mov_b32_e32 v37, 0x3fcc71c7
	v_mov_b32_e32 v38, 0x924920da
	v_mov_b32_e32 v39, 0x3fd24924
	v_mov_b32_e32 v40, 0x9999999c
	v_mov_b32_e32 v41, 0x3fd99999
	v_mov_b32_e32 v42, 0xfca7ab0c
	v_mov_b32_e32 v43, 0x3e928af3
	v_mov_b32_e32 v44, 0x623fde64
	v_mov_b32_e32 v45, 0x3ec71dee
	v_mov_b32_e32 v46, 0x7c89e6b0
	v_mov_b32_e32 v47, 0x3efa0199
	v_mov_b32_e32 v48, 0x14761f6e
	v_mov_b32_e32 v49, 0x3f2a01a0
	v_mov_b32_e32 v50, 0x1852b7b0
	v_mov_b32_e32 v51, 0x3f56c16c
	v_mov_b32_e32 v52, 0x11122322
	v_mov_b32_e32 v53, 0x3f811111
	v_mov_b32_e32 v54, 0x555502a1
	v_mov_b32_e32 v55, 0x3fa55555
	v_mov_b32_e32 v56, 0x55555511
	v_mov_b32_e32 v57, 0x3fc55555
	v_mov_b32_e32 v58, 11
	v_mov_b32_e32 v59, 0x3fe00000
	v_mov_b32_e32 v75, 0x7ff00000
	v_mov_b32_e32 v76, 0x7ff80000
	v_mov_b32_e32 v77, 0xffffff80
	v_mov_b32_e32 v78, 0x4f800000
	v_mov_b32_e32 v79, 0x41b17218
	v_mov_b32_e32 v80, 0xfff00000
	v_mov_b32_e32 v81, 0x100000
	v_mov_b32_e32 v82, v2
	s_mov_b32 s56, 0xdb3d7428
	s_mov_b32 s59, 0x40220000
	s_brev_b32 s61, 8
	s_mov_b32 s63, 0xbfa0f27b
	s_mov_b32 s65, 0x3fc38538
	;; [unrolled: 1-line block ×7, first 2 shown]
	s_branch .LBB113_4
.LBB113_2:                              ;   in Loop: Header=BB113_4 Depth=1
	s_or_b64 exec, exec, s[6:7]
.LBB113_3:                              ;   in Loop: Header=BB113_4 Depth=1
	s_or_b64 exec, exec, s[4:5]
	v_lshlrev_b64 v[0:1], 3, v[60:61]
	v_mov_b32_e32 v3, s13
	v_add_co_u32_e32 v0, vcc, s12, v0
	v_addc_co_u32_e32 v1, vcc, v3, v1, vcc
	v_cmp_ngt_f64_e32 vcc, s[74:75], v[68:69]
	v_add_u32_e32 v82, s87, v82
	v_cndmask_b32_e32 v5, v81, v69, vcc
	v_cndmask_b32_e32 v4, 0, v68, vcc
	v_cmp_le_u32_e32 vcc, s33, v82
	s_or_b64 s[22:23], vcc, s[22:23]
	global_store_dwordx2 v[0:1], v[4:5], off
	s_andn2_b64 exec, exec, s[22:23]
	s_cbranch_execz .LBB113_35
.LBB113_4:                              ; =>This Loop Header: Depth=1
                                        ;     Child Loop BB113_19 Depth 2
                                        ;       Child Loop BB113_22 Depth 3
	v_sub_u32_e32 v0, s33, v82
	v_cmp_lt_i32_e32 vcc, 0, v0
	v_pk_mov_b32 v[0:1], 0, 0
	v_pk_mov_b32 v[60:61], v[0:1], v[0:1] op_sel:[0,1]
	s_and_saveexec_b64 s[4:5], vcc
	s_cbranch_execz .LBB113_6
; %bb.5:                                ;   in Loop: Header=BB113_4 Depth=1
	v_mul_hi_u32 v3, v82, v21
	v_mul_lo_u32 v4, v3, s84
	v_sub_u32_e32 v4, v82, v4
	v_add_u32_e32 v5, 1, v3
	v_cmp_le_u32_e64 s[2:3], s84, v4
	v_cndmask_b32_e64 v3, v3, v5, s[2:3]
	v_subrev_u32_e32 v5, s84, v4
	v_cndmask_b32_e64 v4, v4, v5, s[2:3]
	v_add_u32_e32 v5, 1, v3
	v_cmp_le_u32_e64 s[2:3], s84, v4
	v_cndmask_b32_e64 v3, v3, v5, s[2:3]
	v_mul_lo_u32 v4, v3, s84
	v_sub_u32_e32 v4, v82, v4
	v_mul_lo_u32 v4, v4, s15
	v_mad_u64_u32 v[60:61], s[2:3], v3, s14, v[4:5]
	v_mov_b32_e32 v61, v22
.LBB113_6:                              ;   in Loop: Header=BB113_4 Depth=1
	s_or_b64 exec, exec, s[4:5]
	s_and_saveexec_b64 s[2:3], vcc
	s_cbranch_execz .LBB113_8
; %bb.7:                                ;   in Loop: Header=BB113_4 Depth=1
	v_mul_hi_u32 v0, v82, v25
	v_mul_lo_u32 v1, v0, s85
	v_sub_u32_e32 v1, v82, v1
	v_add_u32_e32 v3, 1, v0
	v_cmp_le_u32_e32 vcc, s85, v1
	v_cndmask_b32_e32 v0, v0, v3, vcc
	v_subrev_u32_e32 v3, s85, v1
	v_cndmask_b32_e32 v1, v1, v3, vcc
	v_add_u32_e32 v3, 1, v0
	v_cmp_le_u32_e32 vcc, s85, v1
	v_cndmask_b32_e32 v1, v0, v3, vcc
	v_mul_lo_u32 v0, v1, s85
	v_sub_u32_e32 v0, v82, v0
	v_mul_lo_u32 v0, v0, s19
	v_mad_u64_u32 v[0:1], s[4:5], v1, s18, v[0:1]
	v_mov_b32_e32 v1, v22
.LBB113_8:                              ;   in Loop: Header=BB113_4 Depth=1
	s_or_b64 exec, exec, s[2:3]
	v_lshlrev_b64 v[0:1], 3, v[0:1]
	v_add_co_u32_e32 v0, vcc, s16, v0
	v_addc_co_u32_e32 v1, vcc, v72, v1, vcc
	global_load_dwordx2 v[16:17], v[0:1], off
	s_and_b64 vcc, exec, s[0:1]
	v_pk_mov_b32 v[0:1], s[10:11], s[10:11] op_sel:[0,1]
	v_pk_mov_b32 v[62:63], s[8:9], s[8:9] op_sel:[0,1]
	s_cbranch_vccnz .LBB113_10
; %bb.9:                                ;   in Loop: Header=BB113_4 Depth=1
	v_pk_mov_b32 v[0:1], s[10:11], s[10:11] op_sel:[0,1]
	flat_load_dwordx2 v[0:1], v[0:1]
	v_pk_mov_b32 v[4:5], s[8:9], s[8:9] op_sel:[0,1]
	flat_load_dwordx2 v[62:63], v[4:5]
	v_mov_b32_e32 v3, s21
	s_waitcnt vmcnt(0) lgkmcnt(0)
	v_add_co_u32_e32 v0, vcc, s20, v0
	v_addc_co_u32_e32 v1, vcc, v1, v3, vcc
.LBB113_10:                             ;   in Loop: Header=BB113_4 Depth=1
	v_and_b32_e32 v70, 3, v0
	v_alignbit_b32 v0, v1, v0, 2
	v_mad_u64_u32 v[6:7], s[2:3], v0, s17, 0
	v_lshrrev_b32_e32 v1, 2, v1
	v_xor_b32_e32 v5, v7, v63
	v_xor_b32_e32 v7, v24, v62
	v_mov_b32_e32 v4, v63
	v_xor_b32_e32 v7, v7, v1
	v_add_co_u32_e32 v23, vcc, s89, v4
	v_mad_u64_u32 v[8:9], s[2:3], v7, s17, 0
	v_mad_u64_u32 v[10:11], s[2:3], v5, s86, 0
	v_add_co_u32_e32 v68, vcc, s88, v62
	v_xor_b32_e32 v5, v20, v11
	v_xor_b32_e32 v7, v23, v9
	v_xor_b32_e32 v5, v5, v68
	v_xor_b32_e32 v9, v7, v6
	v_add_co_u32_e32 v71, vcc, s90, v62
	v_add_co_u32_e32 v69, vcc, s91, v4
	v_mad_u64_u32 v[6:7], s[2:3], v5, s17, 0
	v_mad_u64_u32 v[12:13], s[2:3], v9, s86, 0
	v_xor_b32_e32 v5, v71, v13
	v_xor_b32_e32 v7, v69, v7
	v_xor_b32_e32 v5, v5, v10
	v_xor_b32_e32 v7, v7, v8
	v_add_co_u32_e32 v86, vcc, s52, v62
	v_add_co_u32_e32 v85, vcc, s94, v4
	v_mad_u64_u32 v[8:9], s[2:3], v5, s17, 0
	v_mad_u64_u32 v[10:11], s[2:3], v7, s86, 0
	;; [unrolled: 8-line block ×7, first 2 shown]
	v_xor_b32_e32 v7, v96, v7
	v_xor_b32_e32 v5, v95, v5
	;; [unrolled: 1-line block ×4, first 2 shown]
	v_mad_u64_u32 v[18:19], s[2:3], v7, s17, 0
	v_mad_u64_u32 v[64:65], s[2:3], v5, s86, 0
	v_mov_b32_e32 v3, v22
	v_add_u32_e32 v83, 0x8ff34781, v62
	v_add_u32_e32 v84, 0x96a522ad, v63
	v_xor_b32_e32 v5, v65, v6
	v_xor_b32_e32 v4, v19, v4
	;; [unrolled: 1-line block ×4, first 2 shown]
	v_mov_b32_e32 v66, 0
	v_pk_mov_b32 v[6:7], v[2:3], v[2:3] op_sel:[0,1]
	v_mov_b32_e32 v9, v64
	v_mov_b32_e32 v11, v18
	s_waitcnt vmcnt(0)
	v_cmp_gt_f64_e32 vcc, 1.0, v[16:17]
	s_mov_b64 s[2:3], -1
	v_mov_b32_e32 v67, 0x3ff00000
	v_pk_mov_b32 v[4:5], v[0:1], v[0:1] op_sel:[0,1]
                                        ; implicit-def: $sgpr76_sgpr77
	s_and_saveexec_b64 s[78:79], vcc
	s_cbranch_execz .LBB113_16
; %bb.11:                               ;   in Loop: Header=BB113_4 Depth=1
	v_mov_b32_e32 v66, 0
	v_cmp_neq_f64_e32 vcc, 0, v[16:17]
	s_mov_b64 s[76:77], 0
	v_mov_b32_e32 v67, 0x3ff00000
	s_mov_b64 s[82:83], 0
                                        ; implicit-def: $vgpr4_vgpr5_vgpr6_vgpr7
	s_and_saveexec_b64 s[80:81], vcc
	s_cbranch_execz .LBB113_15
; %bb.12:                               ;   in Loop: Header=BB113_4 Depth=1
	v_add_u32_e32 v65, 1, v70
	v_pk_mov_b32 v[14:15], v[10:11], v[10:11] op_sel:[0,1]
	v_pk_mov_b32 v[6:7], v[2:3], v[2:3] op_sel:[0,1]
	v_cmp_eq_u32_e32 vcc, 4, v65
	v_pk_mov_b32 v[12:13], v[8:9], v[8:9] op_sel:[0,1]
	v_pk_mov_b32 v[4:5], v[0:1], v[0:1] op_sel:[0,1]
	s_and_saveexec_b64 s[2:3], vcc
	s_cbranch_execz .LBB113_14
; %bb.13:                               ;   in Loop: Header=BB113_4 Depth=1
	v_add_co_u32_e32 v4, vcc, 1, v0
	v_cndmask_b32_e64 v0, 0, 1, vcc
	v_addc_co_u32_e32 v5, vcc, 0, v1, vcc
	v_cmp_eq_u32_e32 vcc, 0, v5
	v_cndmask_b32_e32 v0, 0, v0, vcc
	v_add_u32_e32 v6, v0, v2
	v_cmp_eq_u32_e32 vcc, 0, v6
	v_cndmask_b32_e32 v7, 0, v0, vcc
	v_mad_u64_u32 v[0:1], s[4:5], v4, s17, 0
	v_mad_u64_u32 v[12:13], s[4:5], v6, s86, 0
	v_xor_b32_e32 v3, v13, v62
	v_xor_b32_e32 v1, v1, v63
	v_xor_b32_e32 v3, v5, v3
	v_xor_b32_e32 v1, v7, v1
	v_mad_u64_u32 v[14:15], s[4:5], v3, s17, 0
	v_mad_u64_u32 v[66:67], s[4:5], v1, s86, 0
	v_xor_b32_e32 v1, v68, v67
	v_xor_b32_e32 v3, v23, v15
	v_xor_b32_e32 v1, v1, v12
	v_xor_b32_e32 v3, v3, v0
	;; [unrolled: 6-line block ×9, first 2 shown]
	v_mad_u64_u32 v[66:67], s[4:5], v3, s17, 0
	v_mad_u64_u32 v[68:69], s[4:5], v1, s86, 0
	v_xor_b32_e32 v1, v69, v12
	v_xor_b32_e32 v0, v67, v0
	v_mov_b32_e32 v65, 0
	v_xor_b32_e32 v12, v83, v1
	v_xor_b32_e32 v14, v84, v0
	v_mov_b32_e32 v13, v68
	v_mov_b32_e32 v15, v66
.LBB113_14:                             ;   in Loop: Header=BB113_4 Depth=1
	s_or_b64 exec, exec, s[2:3]
	v_cmp_eq_u32_e32 vcc, 1, v70
	v_cndmask_b32_e32 v0, v8, v64, vcc
	v_cmp_eq_u32_e32 vcc, 2, v70
	v_cndmask_b32_e32 v0, v0, v10, vcc
	;; [unrolled: 2-line block ×3, first 2 shown]
	v_cvt_f32_u32_e32 v3, v0
	v_div_scale_f64 v[0:1], s[2:3], v[16:17], v[16:17], 1.0
	v_rcp_f64_e32 v[8:9], v[0:1]
	v_mov_b32_e32 v10, 0x2f800000
	v_fmac_f32_e32 v10, 0x2f800000, v3
	v_cvt_f64_f32_e32 v[10:11], v10
	v_fma_f64 v[18:19], -v[0:1], v[8:9], 1.0
	v_fmac_f64_e32 v[8:9], v[8:9], v[18:19]
	v_fma_f64 v[18:19], -v[0:1], v[8:9], 1.0
	v_fmac_f64_e32 v[8:9], v[8:9], v[18:19]
	v_div_scale_f64 v[18:19], vcc, 1.0, v[16:17], 1.0
	v_mul_f64 v[66:67], v[18:19], v[8:9]
	v_fma_f64 v[0:1], -v[0:1], v[66:67], v[18:19]
	v_add_f64 v[10:11], -v[10:11], 1.0
	s_nop 0
	v_div_fmas_f64 v[0:1], v[0:1], v[8:9], v[66:67]
	v_div_fixup_f64 v[18:19], v[0:1], v[16:17], 1.0
	v_cmp_eq_f64_e32 vcc, 1.0, v[10:11]
	v_cndmask_b32_e32 v1, v19, v74, vcc
	v_cndmask_b32_e64 v0, v18, 0, vcc
	v_cmp_eq_f64_e64 s[2:3], 0, v[0:1]
	v_and_b32_e32 v3, 0x7fffffff, v11
	v_cndmask_b32_e64 v9, v11, v74, s[2:3]
	v_cndmask_b32_e64 v8, v10, 0, s[2:3]
	;; [unrolled: 1-line block ×4, first 2 shown]
	v_frexp_mant_f64_e32 v[66:67], v[10:11]
	v_cmp_gt_f64_e64 s[2:3], s[24:25], v[66:67]
	v_cndmask_b32_e64 v23, v74, 2.0, s[2:3]
	v_mul_f64 v[66:67], v[66:67], v[22:23]
	v_add_f64 v[68:69], v[66:67], 1.0
	v_rcp_f64_e32 v[70:71], v[68:69]
	v_add_f64 v[88:89], v[68:69], -1.0
	v_add_f64 v[86:87], v[66:67], -1.0
	v_add_f64 v[66:67], v[66:67], -v[88:89]
	v_fma_f64 v[88:89], -v[68:69], v[70:71], 1.0
	v_fmac_f64_e32 v[70:71], v[88:89], v[70:71]
	v_fma_f64 v[88:89], -v[68:69], v[70:71], 1.0
	v_fmac_f64_e32 v[70:71], v[88:89], v[70:71]
	v_mul_f64 v[88:89], v[86:87], v[70:71]
	v_mul_f64 v[90:91], v[68:69], v[88:89]
	v_fma_f64 v[68:69], v[88:89], v[68:69], -v[90:91]
	v_fmac_f64_e32 v[68:69], v[88:89], v[66:67]
	v_add_f64 v[66:67], v[90:91], v[68:69]
	v_add_f64 v[92:93], v[86:87], -v[66:67]
	v_add_f64 v[90:91], v[66:67], -v[90:91]
	;; [unrolled: 1-line block ×5, first 2 shown]
	v_add_f64 v[66:67], v[68:69], v[66:67]
	v_add_f64 v[66:67], v[92:93], v[66:67]
	v_mul_f64 v[66:67], v[70:71], v[66:67]
	v_add_f64 v[68:69], v[88:89], v[66:67]
	v_add_f64 v[70:71], v[68:69], -v[88:89]
	v_add_f64 v[66:67], v[66:67], -v[70:71]
	v_mul_f64 v[70:71], v[68:69], v[68:69]
	v_fma_f64 v[86:87], v[68:69], v[68:69], -v[70:71]
	v_add_f64 v[88:89], v[66:67], v[66:67]
	v_frexp_exp_i32_f64_e32 v3, v[10:11]
	v_fmac_f64_e32 v[86:87], v[68:69], v[88:89]
	v_subbrev_co_u32_e64 v3, s[2:3], 0, v3, s[2:3]
	v_add_f64 v[88:89], v[70:71], v[86:87]
	v_add_f64 v[70:71], v[88:89], -v[70:71]
	s_mov_b32 s2, 0x4222de17
	v_add_f64 v[70:71], v[86:87], -v[70:71]
	v_pk_mov_b32 v[86:87], v[26:27], v[26:27] op_sel:[0,1]
	s_mov_b32 s3, 0x3fbdee67
	v_fmac_f64_e32 v[86:87], s[2:3], v[88:89]
	v_pk_mov_b32 v[90:91], v[28:29], v[28:29] op_sel:[0,1]
	v_fmac_f64_e32 v[90:91], v[88:89], v[86:87]
	v_pk_mov_b32 v[86:87], v[30:31], v[30:31] op_sel:[0,1]
	v_fmac_f64_e32 v[86:87], v[88:89], v[90:91]
	v_pk_mov_b32 v[90:91], v[32:33], v[32:33] op_sel:[0,1]
	v_fmac_f64_e32 v[90:91], v[88:89], v[86:87]
	v_pk_mov_b32 v[86:87], v[34:35], v[34:35] op_sel:[0,1]
	v_fmac_f64_e32 v[86:87], v[88:89], v[90:91]
	v_pk_mov_b32 v[90:91], v[36:37], v[36:37] op_sel:[0,1]
	v_fmac_f64_e32 v[90:91], v[88:89], v[86:87]
	v_pk_mov_b32 v[86:87], v[38:39], v[38:39] op_sel:[0,1]
	v_fmac_f64_e32 v[86:87], v[88:89], v[90:91]
	v_pk_mov_b32 v[90:91], v[40:41], v[40:41] op_sel:[0,1]
	v_fmac_f64_e32 v[90:91], v[88:89], v[86:87]
	v_cvt_f64_i32_e32 v[86:87], v3
	v_mul_f64 v[92:93], v[86:87], s[34:35]
	v_mul_f64 v[98:99], v[68:69], v[88:89]
	v_fma_f64 v[94:95], v[86:87], s[34:35], -v[92:93]
	v_fma_f64 v[100:101], v[88:89], v[68:69], -v[98:99]
	v_fmac_f64_e32 v[94:95], s[36:37], v[86:87]
	v_fmac_f64_e32 v[100:101], v[88:89], v[66:67]
	v_add_f64 v[86:87], v[92:93], v[94:95]
	v_fmac_f64_e32 v[100:101], v[70:71], v[68:69]
	v_add_f64 v[92:93], v[86:87], -v[92:93]
	v_ldexp_f64 v[96:97], v[66:67], 1
	v_add_f64 v[66:67], v[98:99], v[100:101]
	v_add_f64 v[92:93], v[94:95], -v[92:93]
	v_ldexp_f64 v[94:95], v[68:69], 1
	v_add_f64 v[68:69], v[66:67], -v[98:99]
	v_mul_f64 v[98:99], v[88:89], v[90:91]
	v_fma_f64 v[88:89], v[88:89], v[90:91], -v[98:99]
	v_fmac_f64_e32 v[88:89], v[70:71], v[90:91]
	v_add_f64 v[70:71], v[98:99], v[88:89]
	v_add_f64 v[90:91], v[70:71], -v[98:99]
	v_add_f64 v[88:89], v[88:89], -v[90:91]
	v_add_f64 v[90:91], v[70:71], s[24:25]
	s_mov_b32 s38, s24
	s_mov_b32 s2, 0xd5df274d
	v_add_f64 v[98:99], v[90:91], s[38:39]
	s_mov_b32 s3, 0x3c8543b0
	v_add_f64 v[70:71], v[70:71], -v[98:99]
	v_add_f64 v[88:89], v[88:89], s[2:3]
	v_add_f64 v[70:71], v[88:89], v[70:71]
	;; [unrolled: 1-line block ×3, first 2 shown]
	v_add_f64 v[90:91], v[90:91], -v[88:89]
	v_add_f64 v[70:71], v[70:71], v[90:91]
	v_mul_f64 v[90:91], v[66:67], v[88:89]
	v_fma_f64 v[98:99], v[66:67], v[88:89], -v[90:91]
	v_add_f64 v[68:69], v[100:101], -v[68:69]
	v_fmac_f64_e32 v[98:99], v[66:67], v[70:71]
	v_fmac_f64_e32 v[98:99], v[68:69], v[88:89]
	v_add_f64 v[66:67], v[90:91], v[98:99]
	v_add_f64 v[68:69], v[66:67], -v[90:91]
	v_add_f64 v[70:71], v[94:95], v[66:67]
	v_add_f64 v[68:69], v[98:99], -v[68:69]
	v_add_f64 v[88:89], v[70:71], -v[94:95]
	;; [unrolled: 1-line block ×3, first 2 shown]
	v_add_f64 v[68:69], v[96:97], v[68:69]
	v_add_f64 v[66:67], v[68:69], v[66:67]
	;; [unrolled: 1-line block ×3, first 2 shown]
	v_add_f64 v[70:71], v[68:69], -v[70:71]
	v_add_f64 v[66:67], v[66:67], -v[70:71]
	v_add_f64 v[70:71], v[86:87], v[68:69]
	v_add_f64 v[88:89], v[70:71], -v[86:87]
	v_add_f64 v[90:91], v[70:71], -v[88:89]
	;; [unrolled: 1-line block ×4, first 2 shown]
	v_add_f64 v[68:69], v[68:69], v[86:87]
	v_add_f64 v[86:87], v[92:93], v[66:67]
	v_add_f64 v[88:89], v[86:87], -v[92:93]
	v_add_f64 v[68:69], v[86:87], v[68:69]
	v_add_f64 v[90:91], v[86:87], -v[88:89]
	;; [unrolled: 2-line block ×3, first 2 shown]
	v_add_f64 v[66:67], v[66:67], -v[88:89]
	v_add_f64 v[70:71], v[86:87], -v[70:71]
	v_add_f64 v[66:67], v[66:67], v[90:91]
	v_add_f64 v[68:69], v[68:69], -v[70:71]
	v_add_f64 v[66:67], v[66:67], v[68:69]
	v_add_f64 v[68:69], v[86:87], v[66:67]
	v_add_f64 v[70:71], v[68:69], -v[86:87]
	v_add_f64 v[66:67], v[66:67], -v[70:71]
	v_mul_f64 v[70:71], v[0:1], v[68:69]
	v_fma_f64 v[68:69], v[0:1], v[68:69], -v[70:71]
	v_fmac_f64_e32 v[68:69], v[0:1], v[66:67]
	v_add_f64 v[66:67], v[70:71], v[68:69]
	v_cmp_class_f64_e64 s[2:3], v[70:71], s93
	v_add_f64 v[86:87], v[66:67], -v[70:71]
	v_cndmask_b32_e64 v67, v67, v71, s[2:3]
	v_cndmask_b32_e64 v66, v66, v70, s[2:3]
	v_add_f64 v[68:69], v[68:69], -v[86:87]
	v_cmp_neq_f64_e64 s[2:3], |v[66:67]|, s[42:43]
	v_cndmask_b32_e64 v69, 0, v69, s[2:3]
	v_cndmask_b32_e64 v68, 0, v68, s[2:3]
	s_mov_b32 s2, 0x652b82fe
	s_mov_b32 s3, 0x3ff71547
	v_mul_f64 v[70:71], v[66:67], s[2:3]
	v_rndne_f64_e32 v[70:71], v[70:71]
	s_mov_b32 s46, s34
	v_fma_f64 v[86:87], s[46:47], v[70:71], v[66:67]
	s_mov_b32 s48, s36
	s_mov_b32 s2, 0x6a5dcb37
	v_fmac_f64_e32 v[86:87], s[48:49], v[70:71]
	v_pk_mov_b32 v[88:89], v[42:43], v[42:43] op_sel:[0,1]
	s_mov_b32 s3, 0x3e5ade15
	v_fmac_f64_e32 v[88:89], s[2:3], v[86:87]
	v_pk_mov_b32 v[90:91], v[44:45], v[44:45] op_sel:[0,1]
	v_fmac_f64_e32 v[90:91], v[86:87], v[88:89]
	v_pk_mov_b32 v[88:89], v[46:47], v[46:47] op_sel:[0,1]
	v_fmac_f64_e32 v[88:89], v[86:87], v[90:91]
	v_pk_mov_b32 v[90:91], v[48:49], v[48:49] op_sel:[0,1]
	v_fmac_f64_e32 v[90:91], v[86:87], v[88:89]
	v_pk_mov_b32 v[88:89], v[50:51], v[50:51] op_sel:[0,1]
	v_fmac_f64_e32 v[88:89], v[86:87], v[90:91]
	v_pk_mov_b32 v[90:91], v[52:53], v[52:53] op_sel:[0,1]
	v_fmac_f64_e32 v[90:91], v[86:87], v[88:89]
	v_pk_mov_b32 v[88:89], v[54:55], v[54:55] op_sel:[0,1]
	v_fmac_f64_e32 v[88:89], v[86:87], v[90:91]
	v_pk_mov_b32 v[90:91], v[56:57], v[56:57] op_sel:[0,1]
	v_fmac_f64_e32 v[90:91], v[86:87], v[88:89]
	v_pk_mov_b32 v[88:89], v[58:59], v[58:59] op_sel:[0,1]
	v_fmac_f64_e32 v[88:89], v[86:87], v[90:91]
	v_fma_f64 v[88:89], v[86:87], v[88:89], 1.0
	s_mov_b32 s2, 0
	v_fma_f64 v[86:87], v[86:87], v[88:89], 1.0
	v_cvt_i32_f64_e32 v3, v[70:71]
	s_mov_b32 s3, 0x40900000
	s_mov_b32 s4, 0
	v_ldexp_f64 v[70:71], v[86:87], v3
	v_cmp_lt_f64_e64 s[2:3], s[2:3], v[66:67]
	s_mov_b32 s5, 0xc090cc00
	v_cndmask_b32_e64 v3, v70, 0, s[2:3]
	v_cndmask_b32_e64 v23, v71, v75, s[2:3]
	v_cmp_ngt_f64_e64 s[4:5], s[4:5], v[66:67]
	v_and_b32_e32 v71, 0x7fffffff, v71
	v_cndmask_b32_e64 v67, 0, v23, s[4:5]
	v_cndmask_b32_e64 v66, 0, v3, s[4:5]
	v_cmp_eq_f64_e64 s[6:7], s[42:43], v[70:71]
	v_pk_mov_b32 v[86:87], v[66:67], v[66:67] op_sel:[0,1]
	s_or_b64 s[2:3], s[2:3], s[6:7]
	v_fmac_f64_e32 v[86:87], v[86:87], v[68:69]
	s_and_b64 s[2:3], s[4:5], s[2:3]
	v_cndmask_b32_e64 v3, v86, v66, s[2:3]
	v_cndmask_b32_e64 v23, v87, v67, s[2:3]
	v_trunc_f64_e32 v[66:67], v[0:1]
	v_cmp_eq_f64_e64 s[2:3], v[66:67], v[0:1]
	v_mul_f64 v[66:67], v[0:1], 0.5
	v_trunc_f64_e32 v[68:69], v[66:67]
	v_cmp_neq_f64_e64 s[4:5], v[68:69], v[66:67]
	s_and_b64 s[4:5], s[2:3], s[4:5]
	v_cndmask_b32_e64 v64, v74, v9, s[4:5]
	v_bfi_b32 v23, s57, v23, v64
	v_and_b32_e32 v19, 0x7fffffff, v19
	v_cndmask_b32_e64 v64, v76, v23, s[2:3]
	v_cndmask_b32_e64 v66, 0, v3, s[2:3]
	v_cmp_gt_f64_e64 s[2:3], 0, v[8:9]
	v_cndmask_b32_e32 v19, v19, v74, vcc
	v_cndmask_b32_e64 v18, v18, 0, vcc
	v_cndmask_b32_e64 v3, v3, v66, s[2:3]
	v_cndmask_b32_e64 v23, v23, v64, s[2:3]
	v_cmp_neq_f64_e32 vcc, v[0:1], v[18:19]
	v_cmp_gt_f64_e64 s[2:3], 1.0, v[10:11]
	s_xor_b64 s[2:3], vcc, s[2:3]
	v_cndmask_b32_e64 v64, v19, 0, s[2:3]
	v_cndmask_b32_e64 v66, v18, 0, s[2:3]
	v_cmp_eq_f64_e32 vcc, 1.0, v[10:11]
	v_cmp_eq_f64_e64 s[2:3], 0, v[8:9]
	v_cmp_gt_f64_e64 s[6:7], 0, v[0:1]
	v_cndmask_b32_e32 v66, v66, v10, vcc
	v_cndmask_b32_e32 v64, v64, v11, vcc
	v_cmp_eq_f64_e32 vcc, s[42:43], v[18:19]
	s_xor_b64 s[6:7], s[6:7], s[2:3]
	v_cndmask_b32_e32 v18, v23, v64, vcc
	v_cndmask_b32_e32 v3, v3, v66, vcc
	v_cmp_eq_f64_e32 vcc, s[42:43], v[10:11]
	v_cndmask_b32_e64 v0, v75, 0, s[6:7]
	v_cndmask_b32_e64 v1, 0, v9, s[4:5]
	v_bfi_b32 v0, s57, v0, v1
	s_or_b64 vcc, vcc, s[2:3]
	v_pk_mov_b32 v[8:9], v[12:13], v[12:13] op_sel:[0,1]
	s_mov_b64 s[82:83], exec
	v_cndmask_b32_e64 v66, v3, 0, vcc
	v_cndmask_b32_e32 v67, v18, v0, vcc
	v_add_f64 v[16:17], v[16:17], 1.0
	v_pk_mov_b32 v[10:11], v[14:15], v[14:15] op_sel:[0,1]
	v_mov_b32_e32 v70, v65
.LBB113_15:                             ;   in Loop: Header=BB113_4 Depth=1
	s_or_b64 exec, exec, s[80:81]
	s_orn2_b64 s[2:3], s[82:83], exec
.LBB113_16:                             ;   in Loop: Header=BB113_4 Depth=1
	s_or_b64 exec, exec, s[78:79]
	v_pk_mov_b32 v[68:69], s[76:77], s[76:77] op_sel:[0,1]
	s_and_saveexec_b64 s[4:5], s[2:3]
	s_cbranch_execz .LBB113_3
; %bb.17:                               ;   in Loop: Header=BB113_4 Depth=1
	s_brev_b32 s2, 6
	s_mov_b32 s3, 0xbfd55555
	v_add_f64 v[0:1], v[16:17], s[2:3]
	v_mul_f64 v[12:13], v[0:1], s[58:59]
	v_cmp_gt_f64_e32 vcc, s[60:61], v[12:13]
	v_cndmask_b32_e64 v3, 0, 1, vcc
	v_lshlrev_b32_e32 v3, 8, v3
	v_ldexp_f64 v[12:13], v[12:13], v3
	v_rsq_f64_e32 v[14:15], v[12:13]
	v_cndmask_b32_e32 v3, 0, v77, vcc
	v_cmp_class_f64_e32 vcc, v[12:13], v73
	v_mov_b32_e32 v100, 0
	v_mul_f64 v[16:17], v[12:13], v[14:15]
	v_mul_f64 v[14:15], v[14:15], 0.5
	v_fma_f64 v[18:19], -v[14:15], v[16:17], 0.5
	v_fmac_f64_e32 v[16:17], v[16:17], v[18:19]
	v_fmac_f64_e32 v[14:15], v[14:15], v[18:19]
	v_fma_f64 v[18:19], -v[16:17], v[16:17], v[12:13]
	v_fmac_f64_e32 v[16:17], v[18:19], v[14:15]
	v_fma_f64 v[18:19], -v[16:17], v[16:17], v[12:13]
	v_fmac_f64_e32 v[16:17], v[18:19], v[14:15]
	v_ldexp_f64 v[14:15], v[16:17], v3
	v_cndmask_b32_e32 v13, v15, v13, vcc
	v_cndmask_b32_e32 v12, v14, v12, vcc
	v_div_scale_f64 v[14:15], s[2:3], v[12:13], v[12:13], 1.0
	v_rcp_f64_e32 v[16:17], v[14:15]
	v_mul_f64 v[66:67], v[66:67], v[0:1]
	v_add_u32_e32 v3, 0x9e3779b9, v62
	v_add_u32_e32 v85, 0xbb67ae85, v63
	v_fma_f64 v[18:19], -v[14:15], v[16:17], 1.0
	v_fmac_f64_e32 v[16:17], v[16:17], v[18:19]
	v_fma_f64 v[18:19], -v[14:15], v[16:17], 1.0
	v_fmac_f64_e32 v[16:17], v[16:17], v[18:19]
	v_div_scale_f64 v[18:19], vcc, 1.0, v[12:13], 1.0
	v_mul_f64 v[64:65], v[18:19], v[16:17]
	v_fma_f64 v[14:15], -v[14:15], v[64:65], v[18:19]
	v_add_u32_e32 v86, 0x3c6ef372, v62
	s_nop 0
	v_div_fmas_f64 v[14:15], v[14:15], v[16:17], v[64:65]
	v_div_fixup_f64 v[64:65], v[14:15], v[12:13], 1.0
	v_add_u32_e32 v87, 0x76cf5d0a, v63
	v_add_u32_e32 v88, 0xdaa66d2b, v62
	;; [unrolled: 1-line block ×13, first 2 shown]
	s_mov_b64 s[6:7], 0
                                        ; implicit-def: $vgpr71
                                        ; implicit-def: $vgpr68_vgpr69
	s_branch .LBB113_19
.LBB113_18:                             ;   in Loop: Header=BB113_19 Depth=2
	s_or_b64 exec, exec, s[2:3]
	s_xor_b64 s[2:3], s[76:77], -1
	s_and_b64 s[2:3], exec, s[2:3]
	s_or_b64 s[6:7], s[2:3], s[6:7]
	s_andn2_b64 exec, exec, s[6:7]
	s_cbranch_execz .LBB113_2
.LBB113_19:                             ;   Parent Loop BB113_4 Depth=1
                                        ; =>  This Loop Header: Depth=2
                                        ;       Child Loop BB113_22 Depth 3
	v_pk_mov_b32 v[14:15], v[10:11], v[10:11] op_sel:[0,1]
	s_mov_b64 s[76:77], 0
	v_mov_b32_e32 v23, v70
	v_pk_mov_b32 v[12:13], v[8:9], v[8:9] op_sel:[0,1]
	s_branch .LBB113_22
.LBB113_20:                             ;   in Loop: Header=BB113_22 Depth=3
	s_or_b64 exec, exec, s[2:3]
	v_cmp_eq_u32_e32 vcc, 1, v23
	v_cndmask_b32_e32 v12, v12, v13, vcc
	v_cmp_eq_u32_e32 vcc, 2, v23
	v_cndmask_b32_e32 v12, v12, v14, vcc
	;; [unrolled: 2-line block ×4, first 2 shown]
	v_cvt_f32_u32_e32 v9, v12
	v_cmp_eq_u32_e32 vcc, 2, v70
	v_cndmask_b32_e32 v8, v8, v10, vcc
	v_mov_b32_e32 v10, 0x2f800000
	v_fmac_f32_e32 v10, 0x2f800000, v9
	v_cmp_gt_f32_e32 vcc, s44, v10
	v_cndmask_b32_e32 v9, 1.0, v78, vcc
	v_mul_f32_e32 v9, v10, v9
	v_log_f32_e32 v9, v9
	v_cmp_eq_u32_e64 s[2:3], 3, v70
	v_cndmask_b32_e64 v8, v8, v11, s[2:3]
	v_cvt_f32_u32_e32 v8, v8
	v_mul_f32_e32 v10, 0x3f317217, v9
	v_fma_f32 v11, v9, s45, -v10
	v_fmac_f32_e32 v11, 0x3377d1cf, v9
	v_add_f32_e32 v10, v10, v11
	v_cmp_lt_f32_e64 s[2:3], |v9|, s50
	v_cndmask_b32_e64 v9, v9, v10, s[2:3]
	v_cndmask_b32_e32 v10, 0, v79, vcc
	v_sub_f32_e32 v9, v9, v10
	v_mul_f32_e32 v9, -2.0, v9
	v_mul_f32_e32 v10, 0x4f800000, v9
	v_cmp_gt_f32_e32 vcc, s51, v9
	v_cndmask_b32_e32 v10, v9, v10, vcc
	v_sqrt_f32_e32 v9, v10
	v_mov_b32_e32 v11, 0x30c90fdb
	v_fmac_f32_e32 v11, 0x30c90fdb, v8
	v_mov_b32_e32 v100, 1
	v_add_u32_e32 v8, -1, v9
	v_fma_f32 v12, -v8, v9, v10
	v_cmp_ge_f32_e64 s[2:3], 0, v12
	v_add_u32_e32 v12, 1, v9
	v_cndmask_b32_e64 v8, v9, v8, s[2:3]
	v_fma_f32 v9, -v12, v9, v10
	v_cmp_lt_f32_e64 s[2:3], 0, v9
	v_mul_f32_e32 v9, 0.15915494, v11
	v_cndmask_b32_e64 v12, v8, v12, s[2:3]
	v_sin_f32_e32 v8, v9
	v_cos_f32_e32 v9, v9
	v_mul_f32_e32 v13, 0x37800000, v12
	v_cndmask_b32_e32 v11, v12, v13, vcc
	v_cmp_class_f32_e32 vcc, v10, v73
	v_cndmask_b32_e32 v10, v11, v10, vcc
	v_pk_mov_b32 v[12:13], v[16:17], v[16:17] op_sel:[0,1]
	v_pk_mul_f32 v[70:71], v[10:11], v[8:9] op_sel_hi:[0,1]
	v_pk_mov_b32 v[14:15], v[18:19], v[18:19] op_sel:[0,1]
	v_mov_b32_e32 v23, v101
.LBB113_21:                             ;   in Loop: Header=BB113_22 Depth=3
	s_or_b64 exec, exec, s[78:79]
	v_cvt_f64_f32_e32 v[16:17], v70
	v_fma_f64 v[18:19], v[64:65], v[16:17], 1.0
	v_cmp_nge_f64_e32 vcc, 0, v[18:19]
	s_or_b64 s[76:77], vcc, s[76:77]
	s_andn2_b64 exec, exec, s[76:77]
	s_cbranch_execz .LBB113_27
.LBB113_22:                             ;   Parent Loop BB113_4 Depth=1
                                        ;     Parent Loop BB113_19 Depth=2
                                        ; =>    This Inner Loop Header: Depth=3
	v_cmp_eq_u32_e32 vcc, 0, v100
	v_mov_b32_e32 v100, 0
	v_mov_b32_e32 v70, v71
	s_and_saveexec_b64 s[78:79], vcc
	s_cbranch_execz .LBB113_21
; %bb.23:                               ;   in Loop: Header=BB113_22 Depth=3
	v_add_u32_e32 v70, 1, v23
	v_pk_mov_b32 v[8:9], v[12:13], v[12:13] op_sel:[0,1]
	v_cmp_eq_u32_e32 vcc, 4, v70
	v_pk_mov_b32 v[10:11], v[14:15], v[14:15] op_sel:[0,1]
	s_and_saveexec_b64 s[2:3], vcc
	s_cbranch_execz .LBB113_25
; %bb.24:                               ;   in Loop: Header=BB113_22 Depth=3
	v_add_co_u32_e32 v4, vcc, 1, v4
	v_cndmask_b32_e64 v8, 0, 1, vcc
	v_addc_co_u32_e32 v5, vcc, 0, v5, vcc
	v_cmp_eq_u32_e32 vcc, 0, v5
	v_cndmask_b32_e32 v8, 0, v8, vcc
	v_add_u32_e32 v6, v8, v6
	v_cmp_eq_u32_e32 vcc, 0, v6
	v_cndmask_b32_e32 v8, 0, v8, vcc
	v_add_u32_e32 v7, v8, v7
	v_mad_u64_u32 v[8:9], s[80:81], v4, s17, 0
	v_mad_u64_u32 v[10:11], s[80:81], v6, s86, 0
	v_xor_b32_e32 v11, v11, v62
	v_xor_b32_e32 v9, v9, v63
	v_xor_b32_e32 v11, v5, v11
	v_xor_b32_e32 v9, v7, v9
	v_mad_u64_u32 v[16:17], s[80:81], v11, s17, 0
	v_mad_u64_u32 v[18:19], s[80:81], v9, s86, 0
	v_xor_b32_e32 v9, v19, v10
	v_xor_b32_e32 v8, v17, v8
	v_xor_b32_e32 v9, v3, v9
	v_xor_b32_e32 v10, v85, v8
	;; [unrolled: 6-line block ×9, first 2 shown]
	v_mad_u64_u32 v[16:17], s[80:81], v9, s17, 0
	v_mad_u64_u32 v[18:19], s[80:81], v11, s86, 0
	v_xor_b32_e32 v8, v19, v8
	v_xor_b32_e32 v9, v17, v10
	v_mov_b32_e32 v70, 0
	v_xor_b32_e32 v8, v83, v8
	v_xor_b32_e32 v10, v84, v9
	v_mov_b32_e32 v9, v18
	v_mov_b32_e32 v11, v16
.LBB113_25:                             ;   in Loop: Header=BB113_22 Depth=3
	s_or_b64 exec, exec, s[2:3]
	v_add_u32_e32 v101, 1, v70
	v_pk_mov_b32 v[18:19], v[10:11], v[10:11] op_sel:[0,1]
	v_cmp_eq_u32_e32 vcc, 4, v101
	v_pk_mov_b32 v[16:17], v[8:9], v[8:9] op_sel:[0,1]
	s_and_saveexec_b64 s[2:3], vcc
	s_cbranch_execz .LBB113_20
; %bb.26:                               ;   in Loop: Header=BB113_22 Depth=3
	v_add_co_u32_e32 v4, vcc, 1, v4
	v_cndmask_b32_e64 v16, 0, 1, vcc
	v_addc_co_u32_e32 v5, vcc, 0, v5, vcc
	v_cmp_eq_u32_e32 vcc, 0, v5
	v_cndmask_b32_e32 v16, 0, v16, vcc
	v_add_u32_e32 v6, v16, v6
	v_cmp_eq_u32_e32 vcc, 0, v6
	v_cndmask_b32_e32 v16, 0, v16, vcc
	v_add_u32_e32 v7, v16, v7
	v_mad_u64_u32 v[16:17], s[80:81], v4, s17, 0
	v_mad_u64_u32 v[18:19], s[80:81], v6, s86, 0
	v_xor_b32_e32 v19, v19, v62
	v_xor_b32_e32 v17, v17, v63
	v_xor_b32_e32 v19, v5, v19
	v_xor_b32_e32 v17, v7, v17
	v_mad_u64_u32 v[102:103], s[80:81], v19, s17, 0
	v_mad_u64_u32 v[104:105], s[80:81], v17, s86, 0
	v_xor_b32_e32 v17, v105, v18
	v_xor_b32_e32 v16, v103, v16
	v_xor_b32_e32 v17, v3, v17
	v_xor_b32_e32 v18, v85, v16
	;; [unrolled: 6-line block ×9, first 2 shown]
	v_mad_u64_u32 v[102:103], s[80:81], v17, s17, 0
	v_mad_u64_u32 v[104:105], s[80:81], v19, s86, 0
	v_xor_b32_e32 v16, v105, v16
	v_xor_b32_e32 v17, v103, v18
	v_mov_b32_e32 v101, 0
	v_xor_b32_e32 v16, v83, v16
	v_xor_b32_e32 v18, v84, v17
	v_mov_b32_e32 v17, v104
	v_mov_b32_e32 v19, v102
	s_branch .LBB113_20
.LBB113_27:                             ;   in Loop: Header=BB113_19 Depth=2
	s_or_b64 exec, exec, s[76:77]
	v_add_u32_e32 v70, 1, v23
	v_pk_mov_b32 v[8:9], v[12:13], v[12:13] op_sel:[0,1]
	v_cmp_eq_u32_e32 vcc, 4, v70
	v_pk_mov_b32 v[10:11], v[14:15], v[14:15] op_sel:[0,1]
	s_and_saveexec_b64 s[2:3], vcc
	s_cbranch_execz .LBB113_29
; %bb.28:                               ;   in Loop: Header=BB113_19 Depth=2
	v_add_co_u32_e32 v4, vcc, 1, v4
	v_cndmask_b32_e64 v8, 0, 1, vcc
	v_addc_co_u32_e32 v5, vcc, 0, v5, vcc
	v_cmp_eq_u32_e32 vcc, 0, v5
	v_cndmask_b32_e32 v8, 0, v8, vcc
	v_add_u32_e32 v6, v8, v6
	v_cmp_eq_u32_e32 vcc, 0, v6
	v_cndmask_b32_e32 v8, 0, v8, vcc
	v_add_u32_e32 v7, v8, v7
	v_mad_u64_u32 v[8:9], s[76:77], v4, s17, 0
	v_mad_u64_u32 v[10:11], s[76:77], v6, s86, 0
	v_xor_b32_e32 v11, v11, v62
	v_xor_b32_e32 v9, v9, v63
	v_xor_b32_e32 v11, v5, v11
	v_xor_b32_e32 v9, v7, v9
	v_mad_u64_u32 v[102:103], s[76:77], v11, s17, 0
	v_mad_u64_u32 v[104:105], s[76:77], v9, s86, 0
	v_xor_b32_e32 v9, v105, v10
	v_xor_b32_e32 v8, v103, v8
	v_xor_b32_e32 v9, v3, v9
	v_xor_b32_e32 v10, v85, v8
	;; [unrolled: 6-line block ×9, first 2 shown]
	v_mad_u64_u32 v[102:103], s[76:77], v9, s17, 0
	v_mad_u64_u32 v[104:105], s[76:77], v11, s86, 0
	v_xor_b32_e32 v8, v105, v8
	v_xor_b32_e32 v9, v103, v10
	v_mov_b32_e32 v70, 0
	v_xor_b32_e32 v8, v83, v8
	v_xor_b32_e32 v10, v84, v9
	v_mov_b32_e32 v9, v104
	v_mov_b32_e32 v11, v102
.LBB113_29:                             ;   in Loop: Header=BB113_19 Depth=2
	s_or_b64 exec, exec, s[2:3]
	v_cmp_eq_u32_e32 vcc, 1, v23
	v_cndmask_b32_e32 v12, v12, v13, vcc
	v_cmp_eq_u32_e32 vcc, 2, v23
	v_cndmask_b32_e32 v12, v12, v14, vcc
	;; [unrolled: 2-line block ×3, first 2 shown]
	v_cvt_f32_u32_e32 v14, v12
	v_mov_b32_e32 v15, 0x2f800000
	v_mul_f64 v[12:13], v[18:19], v[18:19]
	v_mul_f64 v[12:13], v[18:19], v[12:13]
	v_fmac_f32_e32 v15, 0x2f800000, v14
	v_cvt_f64_f32_e32 v[14:15], v15
	v_add_f64 v[18:19], -v[14:15], 1.0
	v_mul_f64 v[14:15], v[16:17], v[16:17]
	v_mul_f64 v[16:17], v[14:15], s[62:63]
	v_fma_f64 v[16:17], v[14:15], v[16:17], 1.0
	v_cmp_nlt_f64_e32 vcc, v[18:19], v[16:17]
                                        ; implicit-def: $sgpr76_sgpr77
	s_and_saveexec_b64 s[2:3], vcc
	s_xor_b64 s[2:3], exec, s[2:3]
	s_cbranch_execz .LBB113_33
; %bb.30:                               ;   in Loop: Header=BB113_19 Depth=2
	v_frexp_mant_f64_e32 v[16:17], v[18:19]
	v_cmp_gt_f64_e32 vcc, s[24:25], v[16:17]
	v_cndmask_b32_e64 v23, v74, 2.0, vcc
	v_mul_f64 v[16:17], v[16:17], v[22:23]
	v_add_f64 v[102:103], v[16:17], 1.0
	v_rcp_f64_e32 v[104:105], v[102:103]
	v_add_f64 v[108:109], v[102:103], -1.0
	v_add_f64 v[106:107], v[16:17], -1.0
	v_add_f64 v[16:17], v[16:17], -v[108:109]
	v_fma_f64 v[108:109], -v[102:103], v[104:105], 1.0
	v_fmac_f64_e32 v[104:105], v[108:109], v[104:105]
	v_fma_f64 v[108:109], -v[102:103], v[104:105], 1.0
	v_fmac_f64_e32 v[104:105], v[108:109], v[104:105]
	v_mul_f64 v[108:109], v[106:107], v[104:105]
	v_mul_f64 v[110:111], v[102:103], v[108:109]
	v_fma_f64 v[102:103], v[108:109], v[102:103], -v[110:111]
	v_fmac_f64_e32 v[102:103], v[108:109], v[16:17]
	v_add_f64 v[16:17], v[110:111], v[102:103]
	v_add_f64 v[112:113], v[106:107], -v[16:17]
	v_add_f64 v[110:111], v[16:17], -v[110:111]
	;; [unrolled: 1-line block ×5, first 2 shown]
	v_add_f64 v[16:17], v[102:103], v[16:17]
	v_add_f64 v[16:17], v[112:113], v[16:17]
	v_mul_f64 v[16:17], v[104:105], v[16:17]
	v_add_f64 v[102:103], v[108:109], v[16:17]
	v_add_f64 v[104:105], v[102:103], -v[108:109]
	v_add_f64 v[16:17], v[16:17], -v[104:105]
	v_mul_f64 v[104:105], v[102:103], v[102:103]
	v_pk_mov_b32 v[106:107], s[64:65], s[64:65] op_sel:[0,1]
	v_fma_f64 v[108:109], s[66:67], v[104:105], v[106:107]
	v_fma_f64 v[108:109], v[104:105], v[108:109], s[68:69]
	v_fma_f64 v[108:109], v[104:105], v[108:109], s[70:71]
	v_fma_f64 v[108:109], v[104:105], v[108:109], s[28:29]
	v_fma_f64 v[108:109], v[104:105], v[108:109], s[30:31]
	s_mov_b32 s73, s25
	v_fma_f64 v[108:109], v[104:105], v[108:109], s[72:73]
	v_ldexp_f64 v[110:111], v[102:103], 1
	v_mul_f64 v[102:103], v[102:103], v[104:105]
	v_mul_f64 v[102:103], v[102:103], v[108:109]
	v_add_f64 v[104:105], v[110:111], v[102:103]
	v_add_f64 v[108:109], v[104:105], -v[110:111]
	v_ldexp_f64 v[16:17], v[16:17], 1
	v_add_f64 v[102:103], v[102:103], -v[108:109]
	v_add_f64 v[16:17], v[16:17], v[102:103]
	v_frexp_exp_i32_f64_e32 v101, v[18:19]
	v_add_f64 v[102:103], v[104:105], v[16:17]
	v_subbrev_co_u32_e32 v23, vcc, 0, v101, vcc
	v_add_f64 v[104:105], v[102:103], -v[104:105]
	v_add_f64 v[16:17], v[16:17], -v[104:105]
	v_cvt_f64_i32_e32 v[104:105], v23
	v_mul_f64 v[108:109], v[104:105], s[34:35]
	v_fma_f64 v[110:111], v[104:105], s[34:35], -v[108:109]
	v_fmac_f64_e32 v[110:111], s[36:37], v[104:105]
	v_add_f64 v[104:105], v[108:109], v[110:111]
	v_add_f64 v[108:109], v[104:105], -v[108:109]
	v_add_f64 v[108:109], v[110:111], -v[108:109]
	v_add_f64 v[110:111], v[104:105], v[102:103]
	v_add_f64 v[112:113], v[110:111], -v[104:105]
	v_add_f64 v[114:115], v[110:111], -v[112:113]
	;; [unrolled: 1-line block ×4, first 2 shown]
	v_add_f64 v[102:103], v[102:103], v[104:105]
	v_add_f64 v[104:105], v[108:109], v[16:17]
	v_add_f64 v[112:113], v[104:105], -v[108:109]
	v_add_f64 v[114:115], v[104:105], -v[112:113]
	v_add_f64 v[102:103], v[104:105], v[102:103]
	v_add_f64 v[108:109], v[108:109], -v[114:115]
	v_add_f64 v[16:17], v[16:17], -v[112:113]
	v_add_f64 v[104:105], v[110:111], v[102:103]
	v_add_f64 v[16:17], v[16:17], v[108:109]
	v_add_f64 v[108:109], v[104:105], -v[110:111]
	v_add_f64 v[102:103], v[102:103], -v[108:109]
	v_add_f64 v[16:17], v[16:17], v[102:103]
	v_add_f64 v[16:17], v[104:105], v[16:17]
	v_cmp_class_f64_e64 vcc, v[18:19], s93
	v_cndmask_b32_e32 v16, v16, v18, vcc
	v_cndmask_b32_e32 v17, v17, v19, vcc
	v_cmp_ngt_f64_e32 vcc, 0, v[18:19]
	v_cndmask_b32_e32 v17, v76, v17, vcc
	v_cmp_nge_f64_e32 vcc, 0, v[18:19]
	v_cndmask_b32_e32 v16, 0, v16, vcc
	v_cmp_neq_f64_e32 vcc, 0, v[18:19]
	v_frexp_mant_f64_e32 v[102:103], v[12:13]
	v_cndmask_b32_e32 v17, v80, v17, vcc
	v_cmp_gt_f64_e32 vcc, s[24:25], v[102:103]
	v_cndmask_b32_e64 v23, v74, 2.0, vcc
	v_mul_f64 v[102:103], v[102:103], v[22:23]
	v_add_f64 v[104:105], v[102:103], 1.0
	v_rcp_f64_e32 v[108:109], v[104:105]
	v_add_f64 v[112:113], v[104:105], -1.0
	v_add_f64 v[110:111], v[102:103], -1.0
	v_add_f64 v[102:103], v[102:103], -v[112:113]
	v_fma_f64 v[112:113], -v[104:105], v[108:109], 1.0
	v_fmac_f64_e32 v[108:109], v[112:113], v[108:109]
	v_fma_f64 v[112:113], -v[104:105], v[108:109], 1.0
	v_fmac_f64_e32 v[108:109], v[112:113], v[108:109]
	v_mul_f64 v[112:113], v[110:111], v[108:109]
	v_mul_f64 v[114:115], v[104:105], v[112:113]
	v_fma_f64 v[104:105], v[112:113], v[104:105], -v[114:115]
	v_fmac_f64_e32 v[104:105], v[112:113], v[102:103]
	v_add_f64 v[102:103], v[114:115], v[104:105]
	v_add_f64 v[116:117], v[110:111], -v[102:103]
	v_add_f64 v[114:115], v[102:103], -v[114:115]
	;; [unrolled: 1-line block ×5, first 2 shown]
	v_add_f64 v[102:103], v[104:105], v[102:103]
	v_add_f64 v[102:103], v[116:117], v[102:103]
	v_mul_f64 v[102:103], v[108:109], v[102:103]
	v_add_f64 v[104:105], v[112:113], v[102:103]
	v_add_f64 v[108:109], v[104:105], -v[112:113]
	v_add_f64 v[102:103], v[102:103], -v[108:109]
	v_mul_f64 v[108:109], v[104:105], v[104:105]
	v_fmac_f64_e32 v[106:107], s[66:67], v[108:109]
	v_fma_f64 v[106:107], v[108:109], v[106:107], s[68:69]
	v_fma_f64 v[106:107], v[108:109], v[106:107], s[70:71]
	;; [unrolled: 1-line block ×5, first 2 shown]
	v_ldexp_f64 v[110:111], v[104:105], 1
	v_mul_f64 v[104:105], v[104:105], v[108:109]
	v_mul_f64 v[104:105], v[104:105], v[106:107]
	v_add_f64 v[106:107], v[110:111], v[104:105]
	v_add_f64 v[108:109], v[106:107], -v[110:111]
	v_ldexp_f64 v[102:103], v[102:103], 1
	v_add_f64 v[104:105], v[104:105], -v[108:109]
	v_add_f64 v[102:103], v[102:103], v[104:105]
	v_frexp_exp_i32_f64_e32 v101, v[12:13]
	v_add_f64 v[104:105], v[106:107], v[102:103]
	v_subbrev_co_u32_e32 v23, vcc, 0, v101, vcc
	v_add_f64 v[106:107], v[104:105], -v[106:107]
	v_add_f64 v[102:103], v[102:103], -v[106:107]
	v_cvt_f64_i32_e32 v[106:107], v23
	v_mul_f64 v[108:109], v[106:107], s[34:35]
	v_fma_f64 v[110:111], v[106:107], s[34:35], -v[108:109]
	v_fmac_f64_e32 v[110:111], s[36:37], v[106:107]
	v_add_f64 v[106:107], v[108:109], v[110:111]
	v_add_f64 v[108:109], v[106:107], -v[108:109]
	v_add_f64 v[108:109], v[110:111], -v[108:109]
	v_add_f64 v[110:111], v[106:107], v[104:105]
	v_add_f64 v[112:113], v[110:111], -v[106:107]
	v_add_f64 v[114:115], v[110:111], -v[112:113]
	;; [unrolled: 1-line block ×4, first 2 shown]
	v_add_f64 v[104:105], v[104:105], v[106:107]
	v_add_f64 v[106:107], v[108:109], v[102:103]
	v_add_f64 v[112:113], v[106:107], -v[108:109]
	v_add_f64 v[114:115], v[106:107], -v[112:113]
	v_add_f64 v[104:105], v[106:107], v[104:105]
	v_add_f64 v[108:109], v[108:109], -v[114:115]
	v_add_f64 v[102:103], v[102:103], -v[112:113]
	v_add_f64 v[106:107], v[110:111], v[104:105]
	v_add_f64 v[102:103], v[102:103], v[108:109]
	v_add_f64 v[108:109], v[106:107], -v[110:111]
	v_add_f64 v[104:105], v[104:105], -v[108:109]
	v_add_f64 v[102:103], v[102:103], v[104:105]
	v_add_f64 v[102:103], v[106:107], v[102:103]
	v_cmp_class_f64_e64 vcc, v[12:13], s93
	v_cndmask_b32_e32 v23, v102, v12, vcc
	v_cndmask_b32_e32 v101, v103, v13, vcc
	v_cmp_ngt_f64_e32 vcc, 0, v[12:13]
	v_cndmask_b32_e32 v101, v76, v101, vcc
	v_cmp_nge_f64_e32 vcc, 0, v[12:13]
	v_cndmask_b32_e32 v102, 0, v23, vcc
	v_cmp_neq_f64_e32 vcc, 0, v[12:13]
	v_add_f64 v[18:19], -v[12:13], 1.0
	v_cndmask_b32_e32 v103, v80, v101, vcc
	v_add_f64 v[18:19], v[18:19], v[102:103]
	v_mul_f64 v[18:19], v[0:1], v[18:19]
	v_fmac_f64_e32 v[18:19], 0.5, v[14:15]
	v_cmp_lt_f64_e32 vcc, v[16:17], v[18:19]
	s_mov_b64 s[76:77], -1
	s_and_saveexec_b64 s[78:79], vcc
; %bb.31:                               ;   in Loop: Header=BB113_19 Depth=2
	v_mul_f64 v[68:69], v[66:67], v[12:13]
	s_xor_b64 s[76:77], exec, -1
; %bb.32:                               ;   in Loop: Header=BB113_19 Depth=2
	s_or_b64 exec, exec, s[78:79]
	s_and_b64 s[76:77], s[76:77], exec
                                        ; implicit-def: $vgpr12_vgpr13
.LBB113_33:                             ;   in Loop: Header=BB113_19 Depth=2
	s_andn2_saveexec_b64 s[2:3], s[2:3]
	s_cbranch_execz .LBB113_18
; %bb.34:                               ;   in Loop: Header=BB113_19 Depth=2
	v_mul_f64 v[68:69], v[66:67], v[12:13]
	s_andn2_b64 s[76:77], s[76:77], exec
	s_branch .LBB113_18
.LBB113_35:
	s_endpgm
	.section	.rodata,"a",@progbits
	.p2align	6, 0x0
	.amdhsa_kernel _ZN2at4cuda12_GLOBAL__N_121kernelPointwiseApply2IZN12_GLOBAL__N_117gamma_cuda_kernelIdEEvRKNS_10TensorBaseES7_NS_15PhiloxCudaStateEEUlRdRKdE_ddjLi2ELi2ELi1ELi256ELi2EEEvNS0_6detail10TensorInfoIT0_T2_EENSE_IT1_SG_EESG_T_
		.amdhsa_group_segment_fixed_size 0
		.amdhsa_private_segment_fixed_size 0
		.amdhsa_kernarg_size 728
		.amdhsa_user_sgpr_count 6
		.amdhsa_user_sgpr_private_segment_buffer 1
		.amdhsa_user_sgpr_dispatch_ptr 0
		.amdhsa_user_sgpr_queue_ptr 0
		.amdhsa_user_sgpr_kernarg_segment_ptr 1
		.amdhsa_user_sgpr_dispatch_id 0
		.amdhsa_user_sgpr_flat_scratch_init 0
		.amdhsa_user_sgpr_kernarg_preload_length 0
		.amdhsa_user_sgpr_kernarg_preload_offset 0
		.amdhsa_user_sgpr_private_segment_size 0
		.amdhsa_uses_dynamic_stack 0
		.amdhsa_system_sgpr_private_segment_wavefront_offset 0
		.amdhsa_system_sgpr_workgroup_id_x 1
		.amdhsa_system_sgpr_workgroup_id_y 0
		.amdhsa_system_sgpr_workgroup_id_z 0
		.amdhsa_system_sgpr_workgroup_info 0
		.amdhsa_system_vgpr_workitem_id 0
		.amdhsa_next_free_vgpr 118
		.amdhsa_next_free_sgpr 96
		.amdhsa_accum_offset 120
		.amdhsa_reserve_vcc 1
		.amdhsa_reserve_flat_scratch 0
		.amdhsa_float_round_mode_32 0
		.amdhsa_float_round_mode_16_64 0
		.amdhsa_float_denorm_mode_32 3
		.amdhsa_float_denorm_mode_16_64 3
		.amdhsa_dx10_clamp 1
		.amdhsa_ieee_mode 1
		.amdhsa_fp16_overflow 0
		.amdhsa_tg_split 0
		.amdhsa_exception_fp_ieee_invalid_op 0
		.amdhsa_exception_fp_denorm_src 0
		.amdhsa_exception_fp_ieee_div_zero 0
		.amdhsa_exception_fp_ieee_overflow 0
		.amdhsa_exception_fp_ieee_underflow 0
		.amdhsa_exception_fp_ieee_inexact 0
		.amdhsa_exception_int_div_zero 0
	.end_amdhsa_kernel
	.section	.text._ZN2at4cuda12_GLOBAL__N_121kernelPointwiseApply2IZN12_GLOBAL__N_117gamma_cuda_kernelIdEEvRKNS_10TensorBaseES7_NS_15PhiloxCudaStateEEUlRdRKdE_ddjLi2ELi2ELi1ELi256ELi2EEEvNS0_6detail10TensorInfoIT0_T2_EENSE_IT1_SG_EESG_T_,"axG",@progbits,_ZN2at4cuda12_GLOBAL__N_121kernelPointwiseApply2IZN12_GLOBAL__N_117gamma_cuda_kernelIdEEvRKNS_10TensorBaseES7_NS_15PhiloxCudaStateEEUlRdRKdE_ddjLi2ELi2ELi1ELi256ELi2EEEvNS0_6detail10TensorInfoIT0_T2_EENSE_IT1_SG_EESG_T_,comdat
.Lfunc_end113:
	.size	_ZN2at4cuda12_GLOBAL__N_121kernelPointwiseApply2IZN12_GLOBAL__N_117gamma_cuda_kernelIdEEvRKNS_10TensorBaseES7_NS_15PhiloxCudaStateEEUlRdRKdE_ddjLi2ELi2ELi1ELi256ELi2EEEvNS0_6detail10TensorInfoIT0_T2_EENSE_IT1_SG_EESG_T_, .Lfunc_end113-_ZN2at4cuda12_GLOBAL__N_121kernelPointwiseApply2IZN12_GLOBAL__N_117gamma_cuda_kernelIdEEvRKNS_10TensorBaseES7_NS_15PhiloxCudaStateEEUlRdRKdE_ddjLi2ELi2ELi1ELi256ELi2EEEvNS0_6detail10TensorInfoIT0_T2_EENSE_IT1_SG_EESG_T_
                                        ; -- End function
	.section	.AMDGPU.csdata,"",@progbits
; Kernel info:
; codeLenInByte = 7576
; NumSgprs: 100
; NumVgprs: 118
; NumAgprs: 0
; TotalNumVgprs: 118
; ScratchSize: 0
; MemoryBound: 0
; FloatMode: 240
; IeeeMode: 1
; LDSByteSize: 0 bytes/workgroup (compile time only)
; SGPRBlocks: 12
; VGPRBlocks: 14
; NumSGPRsForWavesPerEU: 100
; NumVGPRsForWavesPerEU: 118
; AccumOffset: 120
; Occupancy: 4
; WaveLimiterHint : 1
; COMPUTE_PGM_RSRC2:SCRATCH_EN: 0
; COMPUTE_PGM_RSRC2:USER_SGPR: 6
; COMPUTE_PGM_RSRC2:TRAP_HANDLER: 0
; COMPUTE_PGM_RSRC2:TGID_X_EN: 1
; COMPUTE_PGM_RSRC2:TGID_Y_EN: 0
; COMPUTE_PGM_RSRC2:TGID_Z_EN: 0
; COMPUTE_PGM_RSRC2:TIDIG_COMP_CNT: 0
; COMPUTE_PGM_RSRC3_GFX90A:ACCUM_OFFSET: 29
; COMPUTE_PGM_RSRC3_GFX90A:TG_SPLIT: 0
	.section	.text._ZN2at4cuda12_GLOBAL__N_121kernelPointwiseApply2IZN12_GLOBAL__N_117gamma_cuda_kernelIdEEvRKNS_10TensorBaseES7_NS_15PhiloxCudaStateEEUlRdRKdE_ddjLi2ELin1ELi1ELi256ELi2EEEvNS0_6detail10TensorInfoIT0_T2_EENSE_IT1_SG_EESG_T_,"axG",@progbits,_ZN2at4cuda12_GLOBAL__N_121kernelPointwiseApply2IZN12_GLOBAL__N_117gamma_cuda_kernelIdEEvRKNS_10TensorBaseES7_NS_15PhiloxCudaStateEEUlRdRKdE_ddjLi2ELin1ELi1ELi256ELi2EEEvNS0_6detail10TensorInfoIT0_T2_EENSE_IT1_SG_EESG_T_,comdat
	.globl	_ZN2at4cuda12_GLOBAL__N_121kernelPointwiseApply2IZN12_GLOBAL__N_117gamma_cuda_kernelIdEEvRKNS_10TensorBaseES7_NS_15PhiloxCudaStateEEUlRdRKdE_ddjLi2ELin1ELi1ELi256ELi2EEEvNS0_6detail10TensorInfoIT0_T2_EENSE_IT1_SG_EESG_T_ ; -- Begin function _ZN2at4cuda12_GLOBAL__N_121kernelPointwiseApply2IZN12_GLOBAL__N_117gamma_cuda_kernelIdEEvRKNS_10TensorBaseES7_NS_15PhiloxCudaStateEEUlRdRKdE_ddjLi2ELin1ELi1ELi256ELi2EEEvNS0_6detail10TensorInfoIT0_T2_EENSE_IT1_SG_EESG_T_
	.p2align	8
	.type	_ZN2at4cuda12_GLOBAL__N_121kernelPointwiseApply2IZN12_GLOBAL__N_117gamma_cuda_kernelIdEEvRKNS_10TensorBaseES7_NS_15PhiloxCudaStateEEUlRdRKdE_ddjLi2ELin1ELi1ELi256ELi2EEEvNS0_6detail10TensorInfoIT0_T2_EENSE_IT1_SG_EESG_T_,@function
_ZN2at4cuda12_GLOBAL__N_121kernelPointwiseApply2IZN12_GLOBAL__N_117gamma_cuda_kernelIdEEvRKNS_10TensorBaseES7_NS_15PhiloxCudaStateEEUlRdRKdE_ddjLi2ELin1ELi1ELi256ELi2EEEvNS0_6detail10TensorInfoIT0_T2_EENSE_IT1_SG_EESG_T_: ; @_ZN2at4cuda12_GLOBAL__N_121kernelPointwiseApply2IZN12_GLOBAL__N_117gamma_cuda_kernelIdEEvRKNS_10TensorBaseES7_NS_15PhiloxCudaStateEEUlRdRKdE_ddjLi2ELin1ELi1ELi256ELi2EEEvNS0_6detail10TensorInfoIT0_T2_EENSE_IT1_SG_EESG_T_
; %bb.0:
	s_load_dword s2, s[4:5], 0x1e4
	s_load_dword s33, s[4:5], 0x1b0
	s_add_u32 s0, s4, 0x1d8
	s_addc_u32 s1, s5, 0
	s_waitcnt lgkmcnt(0)
	s_and_b32 s2, s2, 0xffff
	s_mul_i32 s6, s6, s2
	v_add_u32_e32 v2, s6, v0
	v_cmp_gt_u32_e32 vcc, s33, v2
	s_and_saveexec_b64 s[6:7], vcc
	s_cbranch_execz .LBB114_38
; %bb.1:
	s_load_dwordx2 s[12:13], s[4:5], 0x1c8
	s_load_dwordx4 s[8:11], s[4:5], 0x1b8
	s_load_dword s22, s[4:5], 0x1a8
	s_load_dwordx2 s[14:15], s[4:5], 0x0
	s_load_dword s86, s[4:5], 0xc
	s_load_dword s89, s[0:1], 0x0
	;; [unrolled: 1-line block ×4, first 2 shown]
	s_add_u32 s6, s4, 0xd8
	s_waitcnt lgkmcnt(0)
	v_cvt_f32_u32_e32 v0, s86
	s_addc_u32 s7, s5, 0
	s_cmp_gt_i32 s22, 1
                                        ; kill: killed $sgpr0 killed $sgpr1
	s_cselect_b64 s[0:1], -1, 0
	v_rcp_iflag_f32_e32 v0, v0
	s_bitcmp1_b32 s3, 0
                                        ; implicit-def: $vgpr116 : SGPR spill to VGPR lane
	s_cselect_b64 s[20:21], -1, 0
	s_mul_i32 s89, s89, s2
	v_mul_f32_e32 v0, 0x4f7ffffe, v0
	v_cvt_u32_f32_e32 v0, v0
	s_sub_i32 s2, 0, s86
	v_writelane_b32 v116, s16, 0
	s_load_dwordx2 s[16:17], s[4:5], 0x6c
	s_load_dwordx2 s[18:19], s[4:5], 0xd8
	s_mov_b32 s3, 0
	v_mul_lo_u32 v1, s2, v0
	s_add_i32 s2, s22, -1
	s_add_i32 s90, s22, 1
	s_lshl_b64 s[2:3], s[2:3], 2
	s_mov_b32 s88, 0xcd9e8d57
	s_add_u32 s2, s2, s6
	v_mad_u64_u32 v[20:21], s[4:5], v2, s88, 0
	v_mul_hi_u32 v1, v0, v1
	s_addc_u32 s3, s3, s7
	v_mov_b32_e32 v24, v21
	v_add_u32_e32 v21, v0, v1
	s_add_u32 s22, s2, 8
	v_cndmask_b32_e64 v0, 0, 1, s[0:1]
	s_mov_b32 s26, 0x55555555
	s_mov_b32 s30, 0x9b27acf1
	;; [unrolled: 1-line block ×8, first 2 shown]
	s_mov_b32 s64, -2.0
	s_mov_b32 s66, 0x6b47b09a
	s_mov_b32 s68, 0xbf559e2b
	;; [unrolled: 1-line block ×5, first 2 shown]
	v_mov_b32_e32 v22, 0
	s_addc_u32 s23, s3, 0
	s_mov_b64 s[24:25], 0
	v_cmp_ne_u32_e64 s[0:1], 1, v0
	s_waitcnt lgkmcnt(0)
	v_mov_b32_e32 v25, s19
	s_mov_b32 s19, 0xd2511f53
	s_mov_b32 s27, 0x3fe55555
	;; [unrolled: 1-line block ×7, first 2 shown]
	s_movk_i32 s92, 0x204
	s_mov_b32 s45, 0x7ff00000
	s_mov_b32 s49, 0xbfe62e42
	;; [unrolled: 1-line block ×3, first 2 shown]
	v_mov_b32_e32 v72, 0x260
	s_mov_b32 s93, 0x3c6ef372
	s_mov_b32 s94, 0x76cf5d0a
	;; [unrolled: 1-line block ×18, first 2 shown]
	v_mov_b32_e32 v73, 0x3ff00000
	v_mov_b32_e32 v26, 0x968915a9
	;; [unrolled: 1-line block ×43, first 2 shown]
	s_mov_b32 s59, 0xdb3d7428
	s_mov_b32 s61, 0x40220000
	s_brev_b32 s63, 8
	s_mov_b32 s65, 0xbfa0f27b
	s_mov_b32 s67, 0x3fc38538
	;; [unrolled: 1-line block ×7, first 2 shown]
	s_branch .LBB114_4
.LBB114_2:                              ;   in Loop: Header=BB114_4 Depth=1
	s_or_b64 exec, exec, s[6:7]
.LBB114_3:                              ;   in Loop: Header=BB114_4 Depth=1
	s_or_b64 exec, exec, s[4:5]
	v_lshlrev_b64 v[0:1], 3, v[60:61]
	v_mov_b32_e32 v3, s15
	v_add_co_u32_e32 v0, vcc, s14, v0
	v_addc_co_u32_e32 v1, vcc, v3, v1, vcc
	v_cmp_ngt_f64_e32 vcc, s[76:77], v[68:69]
	v_add_u32_e32 v81, s89, v81
	v_cndmask_b32_e32 v5, v80, v69, vcc
	v_cndmask_b32_e32 v4, 0, v68, vcc
	v_cmp_le_u32_e32 vcc, s33, v81
	s_or_b64 s[24:25], vcc, s[24:25]
	global_store_dwordx2 v[0:1], v[4:5], off
	s_andn2_b64 exec, exec, s[24:25]
	s_cbranch_execz .LBB114_38
.LBB114_4:                              ; =>This Loop Header: Depth=1
                                        ;     Child Loop BB114_9 Depth 2
                                        ;     Child Loop BB114_22 Depth 2
                                        ;       Child Loop BB114_25 Depth 3
	v_sub_u32_e32 v0, s33, v81
	v_cmp_lt_i32_e32 vcc, 0, v0
	v_pk_mov_b32 v[0:1], 0, 0
	v_pk_mov_b32 v[60:61], v[0:1], v[0:1] op_sel:[0,1]
	s_and_saveexec_b64 s[4:5], vcc
	s_cbranch_execz .LBB114_6
; %bb.5:                                ;   in Loop: Header=BB114_4 Depth=1
	v_mul_hi_u32 v3, v81, v21
	v_mul_lo_u32 v4, v3, s86
	v_sub_u32_e32 v4, v81, v4
	v_add_u32_e32 v5, 1, v3
	v_cmp_le_u32_e64 s[2:3], s86, v4
	v_cndmask_b32_e64 v3, v3, v5, s[2:3]
	v_subrev_u32_e32 v5, s86, v4
	v_cndmask_b32_e64 v4, v4, v5, s[2:3]
	v_add_u32_e32 v5, 1, v3
	v_cmp_le_u32_e64 s[2:3], s86, v4
	v_cndmask_b32_e64 v3, v3, v5, s[2:3]
	v_mul_lo_u32 v4, v3, s86
	v_sub_u32_e32 v4, v81, v4
	v_mul_lo_u32 v4, v4, s17
	v_mad_u64_u32 v[60:61], s[2:3], v3, s16, v[4:5]
	v_mov_b32_e32 v61, v22
.LBB114_6:                              ;   in Loop: Header=BB114_4 Depth=1
	s_or_b64 exec, exec, s[4:5]
	s_and_saveexec_b64 s[2:3], vcc
	s_cbranch_execz .LBB114_11
; %bb.7:                                ;   in Loop: Header=BB114_4 Depth=1
	s_and_b64 vcc, exec, s[0:1]
	v_mov_b32_e32 v0, 0
	v_mov_b32_e32 v3, v81
	s_cbranch_vccnz .LBB114_10
; %bb.8:                                ;   in Loop: Header=BB114_4 Depth=1
	v_mov_b32_e32 v0, 0
	s_mov_b64 s[4:5], s[22:23]
	s_mov_b32 s6, s90
	v_mov_b32_e32 v3, v81
.LBB114_9:                              ;   Parent Loop BB114_4 Depth=1
                                        ; =>  This Inner Loop Header: Depth=2
	s_load_dword s7, s[4:5], 0x0
	s_load_dword s40, s[4:5], 0x64
	v_mov_b32_e32 v1, v3
	s_add_i32 s6, s6, -1
	s_waitcnt lgkmcnt(0)
	v_cvt_f32_u32_e32 v3, s7
	s_sub_i32 s48, 0, s7
	s_add_u32 s4, s4, -4
	s_addc_u32 s5, s5, -1
	v_rcp_iflag_f32_e32 v3, v3
	s_cmp_gt_u32 s6, 2
	v_mul_f32_e32 v3, 0x4f7ffffe, v3
	v_cvt_u32_f32_e32 v3, v3
	v_mul_lo_u32 v4, s48, v3
	v_mul_hi_u32 v4, v3, v4
	v_add_u32_e32 v3, v3, v4
	v_mul_hi_u32 v3, v1, v3
	v_mul_lo_u32 v4, v3, s7
	v_sub_u32_e32 v4, v1, v4
	v_add_u32_e32 v5, 1, v3
	v_cmp_le_u32_e32 vcc, s7, v4
	v_cndmask_b32_e32 v3, v3, v5, vcc
	v_subrev_u32_e32 v5, s7, v4
	v_cndmask_b32_e32 v4, v4, v5, vcc
	v_add_u32_e32 v5, 1, v3
	v_cmp_le_u32_e32 vcc, s7, v4
	v_cndmask_b32_e32 v3, v3, v5, vcc
	v_mul_lo_u32 v4, v3, s7
	v_sub_u32_e32 v1, v1, v4
	v_mad_u64_u32 v[0:1], s[78:79], s40, v1, v[0:1]
	s_cbranch_scc1 .LBB114_9
.LBB114_10:                             ;   in Loop: Header=BB114_4 Depth=1
	v_readlane_b32 s4, v116, 0
	v_mad_u64_u32 v[0:1], s[4:5], s4, v3, v[0:1]
	v_mov_b32_e32 v1, v22
.LBB114_11:                             ;   in Loop: Header=BB114_4 Depth=1
	s_or_b64 exec, exec, s[2:3]
	v_lshlrev_b64 v[0:1], 3, v[0:1]
	v_add_co_u32_e32 v0, vcc, s18, v0
	v_addc_co_u32_e32 v1, vcc, v25, v1, vcc
	global_load_dwordx2 v[16:17], v[0:1], off
	s_andn2_b64 vcc, exec, s[20:21]
	v_pk_mov_b32 v[0:1], s[10:11], s[10:11] op_sel:[0,1]
	v_pk_mov_b32 v[62:63], s[8:9], s[8:9] op_sel:[0,1]
	s_cbranch_vccnz .LBB114_13
; %bb.12:                               ;   in Loop: Header=BB114_4 Depth=1
	v_pk_mov_b32 v[0:1], s[10:11], s[10:11] op_sel:[0,1]
	flat_load_dwordx2 v[0:1], v[0:1]
	v_pk_mov_b32 v[4:5], s[8:9], s[8:9] op_sel:[0,1]
	flat_load_dwordx2 v[62:63], v[4:5]
	v_mov_b32_e32 v3, s13
	s_waitcnt vmcnt(0) lgkmcnt(0)
	v_add_co_u32_e32 v0, vcc, s12, v0
	v_addc_co_u32_e32 v1, vcc, v1, v3, vcc
.LBB114_13:                             ;   in Loop: Header=BB114_4 Depth=1
	v_and_b32_e32 v70, 3, v0
	v_alignbit_b32 v0, v1, v0, 2
	v_mad_u64_u32 v[6:7], s[2:3], v0, s19, 0
	v_lshrrev_b32_e32 v1, 2, v1
	v_xor_b32_e32 v5, v7, v63
	v_xor_b32_e32 v7, v24, v62
	v_mov_b32_e32 v4, v63
	v_xor_b32_e32 v7, v7, v1
	v_add_co_u32_e32 v23, vcc, s55, v4
	v_mad_u64_u32 v[8:9], s[2:3], v7, s19, 0
	v_mad_u64_u32 v[10:11], s[2:3], v5, s88, 0
	v_add_co_u32_e32 v68, vcc, 0x9e3779b9, v62
	v_xor_b32_e32 v5, v20, v11
	v_xor_b32_e32 v7, v23, v9
	v_xor_b32_e32 v5, v5, v68
	v_xor_b32_e32 v9, v7, v6
	v_add_co_u32_e32 v71, vcc, s93, v62
	v_add_co_u32_e32 v69, vcc, s94, v4
	v_mad_u64_u32 v[6:7], s[2:3], v5, s19, 0
	v_mad_u64_u32 v[12:13], s[2:3], v9, s88, 0
	v_xor_b32_e32 v5, v71, v13
	v_xor_b32_e32 v7, v69, v7
	v_xor_b32_e32 v5, v5, v10
	v_xor_b32_e32 v7, v7, v8
	v_add_co_u32_e32 v85, vcc, s56, v62
	v_add_co_u32_e32 v84, vcc, s95, v4
	v_mad_u64_u32 v[8:9], s[2:3], v5, s19, 0
	v_mad_u64_u32 v[10:11], s[2:3], v7, s88, 0
	;; [unrolled: 8-line block ×7, first 2 shown]
	v_xor_b32_e32 v7, v95, v7
	v_xor_b32_e32 v5, v94, v5
	;; [unrolled: 1-line block ×4, first 2 shown]
	v_mad_u64_u32 v[18:19], s[2:3], v7, s19, 0
	v_mad_u64_u32 v[64:65], s[2:3], v5, s88, 0
	v_mov_b32_e32 v3, v22
	v_add_u32_e32 v82, 0x8ff34781, v62
	v_add_u32_e32 v83, 0x96a522ad, v63
	v_xor_b32_e32 v5, v65, v6
	v_xor_b32_e32 v4, v19, v4
	;; [unrolled: 1-line block ×4, first 2 shown]
	v_mov_b32_e32 v66, 0
	v_pk_mov_b32 v[6:7], v[2:3], v[2:3] op_sel:[0,1]
	v_mov_b32_e32 v9, v64
	v_mov_b32_e32 v11, v18
	s_waitcnt vmcnt(0)
	v_cmp_gt_f64_e32 vcc, 1.0, v[16:17]
	s_mov_b64 s[2:3], -1
	v_mov_b32_e32 v67, 0x3ff00000
	v_pk_mov_b32 v[4:5], v[0:1], v[0:1] op_sel:[0,1]
                                        ; implicit-def: $sgpr78_sgpr79
	s_and_saveexec_b64 s[80:81], vcc
	s_cbranch_execz .LBB114_19
; %bb.14:                               ;   in Loop: Header=BB114_4 Depth=1
	v_mov_b32_e32 v66, 0
	v_cmp_neq_f64_e32 vcc, 0, v[16:17]
	s_mov_b64 s[78:79], 0
	v_mov_b32_e32 v67, 0x3ff00000
	s_mov_b64 s[84:85], 0
                                        ; implicit-def: $vgpr4_vgpr5_vgpr6_vgpr7
	s_and_saveexec_b64 s[82:83], vcc
	s_cbranch_execz .LBB114_18
; %bb.15:                               ;   in Loop: Header=BB114_4 Depth=1
	v_add_u32_e32 v65, 1, v70
	v_pk_mov_b32 v[14:15], v[10:11], v[10:11] op_sel:[0,1]
	v_pk_mov_b32 v[6:7], v[2:3], v[2:3] op_sel:[0,1]
	v_cmp_eq_u32_e32 vcc, 4, v65
	v_pk_mov_b32 v[12:13], v[8:9], v[8:9] op_sel:[0,1]
	v_pk_mov_b32 v[4:5], v[0:1], v[0:1] op_sel:[0,1]
	s_and_saveexec_b64 s[2:3], vcc
	s_cbranch_execz .LBB114_17
; %bb.16:                               ;   in Loop: Header=BB114_4 Depth=1
	v_add_co_u32_e32 v4, vcc, 1, v0
	v_cndmask_b32_e64 v0, 0, 1, vcc
	v_addc_co_u32_e32 v5, vcc, 0, v1, vcc
	v_cmp_eq_u32_e32 vcc, 0, v5
	v_cndmask_b32_e32 v0, 0, v0, vcc
	v_add_u32_e32 v6, v0, v2
	v_cmp_eq_u32_e32 vcc, 0, v6
	v_cndmask_b32_e32 v7, 0, v0, vcc
	v_mad_u64_u32 v[0:1], s[4:5], v4, s19, 0
	v_mad_u64_u32 v[12:13], s[4:5], v6, s88, 0
	v_xor_b32_e32 v3, v13, v62
	v_xor_b32_e32 v1, v1, v63
	v_xor_b32_e32 v3, v5, v3
	v_xor_b32_e32 v1, v7, v1
	v_mad_u64_u32 v[14:15], s[4:5], v3, s19, 0
	v_mad_u64_u32 v[66:67], s[4:5], v1, s88, 0
	v_xor_b32_e32 v1, v68, v67
	v_xor_b32_e32 v3, v23, v15
	v_xor_b32_e32 v1, v1, v12
	v_xor_b32_e32 v3, v3, v0
	;; [unrolled: 6-line block ×9, first 2 shown]
	v_mad_u64_u32 v[66:67], s[4:5], v3, s19, 0
	v_mad_u64_u32 v[68:69], s[4:5], v1, s88, 0
	v_xor_b32_e32 v1, v69, v12
	v_xor_b32_e32 v0, v67, v0
	v_mov_b32_e32 v65, 0
	v_xor_b32_e32 v12, v82, v1
	v_xor_b32_e32 v14, v83, v0
	v_mov_b32_e32 v13, v68
	v_mov_b32_e32 v15, v66
.LBB114_17:                             ;   in Loop: Header=BB114_4 Depth=1
	s_or_b64 exec, exec, s[2:3]
	v_cmp_eq_u32_e32 vcc, 1, v70
	v_cndmask_b32_e32 v0, v8, v64, vcc
	v_cmp_eq_u32_e32 vcc, 2, v70
	v_cndmask_b32_e32 v0, v0, v10, vcc
	v_cmp_eq_u32_e32 vcc, 3, v70
	v_cndmask_b32_e32 v0, v0, v18, vcc
	v_cvt_f32_u32_e32 v3, v0
	v_div_scale_f64 v[0:1], s[2:3], v[16:17], v[16:17], 1.0
	v_rcp_f64_e32 v[8:9], v[0:1]
	v_mov_b32_e32 v10, 0x2f800000
	v_fmac_f32_e32 v10, 0x2f800000, v3
	v_cvt_f64_f32_e32 v[10:11], v10
	v_fma_f64 v[18:19], -v[0:1], v[8:9], 1.0
	v_fmac_f64_e32 v[8:9], v[8:9], v[18:19]
	v_fma_f64 v[18:19], -v[0:1], v[8:9], 1.0
	v_fmac_f64_e32 v[8:9], v[8:9], v[18:19]
	v_div_scale_f64 v[18:19], vcc, 1.0, v[16:17], 1.0
	v_mul_f64 v[66:67], v[18:19], v[8:9]
	v_fma_f64 v[0:1], -v[0:1], v[66:67], v[18:19]
	v_add_f64 v[10:11], -v[10:11], 1.0
	s_nop 0
	v_div_fmas_f64 v[0:1], v[0:1], v[8:9], v[66:67]
	v_div_fixup_f64 v[18:19], v[0:1], v[16:17], 1.0
	v_cmp_eq_f64_e32 vcc, 1.0, v[10:11]
	v_cndmask_b32_e32 v1, v19, v73, vcc
	v_cndmask_b32_e64 v0, v18, 0, vcc
	v_cmp_eq_f64_e64 s[2:3], 0, v[0:1]
	v_and_b32_e32 v3, 0x7fffffff, v11
	v_cndmask_b32_e64 v9, v11, v73, s[2:3]
	v_cndmask_b32_e64 v8, v10, 0, s[2:3]
	;; [unrolled: 1-line block ×4, first 2 shown]
	v_frexp_mant_f64_e32 v[66:67], v[10:11]
	v_cmp_gt_f64_e64 s[2:3], s[26:27], v[66:67]
	v_cndmask_b32_e64 v23, v73, 2.0, s[2:3]
	v_mul_f64 v[66:67], v[66:67], v[22:23]
	v_add_f64 v[68:69], v[66:67], 1.0
	v_rcp_f64_e32 v[70:71], v[68:69]
	v_add_f64 v[86:87], v[68:69], -1.0
	v_add_f64 v[84:85], v[66:67], -1.0
	v_add_f64 v[66:67], v[66:67], -v[86:87]
	v_fma_f64 v[86:87], -v[68:69], v[70:71], 1.0
	v_fmac_f64_e32 v[70:71], v[86:87], v[70:71]
	v_fma_f64 v[86:87], -v[68:69], v[70:71], 1.0
	v_fmac_f64_e32 v[70:71], v[86:87], v[70:71]
	v_mul_f64 v[86:87], v[84:85], v[70:71]
	v_mul_f64 v[88:89], v[68:69], v[86:87]
	v_fma_f64 v[68:69], v[86:87], v[68:69], -v[88:89]
	v_fmac_f64_e32 v[68:69], v[86:87], v[66:67]
	v_add_f64 v[66:67], v[88:89], v[68:69]
	v_add_f64 v[90:91], v[84:85], -v[66:67]
	v_add_f64 v[88:89], v[66:67], -v[88:89]
	;; [unrolled: 1-line block ×5, first 2 shown]
	v_add_f64 v[66:67], v[68:69], v[66:67]
	v_add_f64 v[66:67], v[90:91], v[66:67]
	v_mul_f64 v[66:67], v[70:71], v[66:67]
	v_add_f64 v[68:69], v[86:87], v[66:67]
	v_add_f64 v[70:71], v[68:69], -v[86:87]
	v_add_f64 v[66:67], v[66:67], -v[70:71]
	v_mul_f64 v[70:71], v[68:69], v[68:69]
	v_fma_f64 v[84:85], v[68:69], v[68:69], -v[70:71]
	v_add_f64 v[86:87], v[66:67], v[66:67]
	v_frexp_exp_i32_f64_e32 v3, v[10:11]
	v_fmac_f64_e32 v[84:85], v[68:69], v[86:87]
	v_subbrev_co_u32_e64 v3, s[2:3], 0, v3, s[2:3]
	v_add_f64 v[86:87], v[70:71], v[84:85]
	v_add_f64 v[70:71], v[86:87], -v[70:71]
	s_mov_b32 s2, 0x4222de17
	v_add_f64 v[70:71], v[84:85], -v[70:71]
	v_pk_mov_b32 v[84:85], v[26:27], v[26:27] op_sel:[0,1]
	s_mov_b32 s3, 0x3fbdee67
	v_fmac_f64_e32 v[84:85], s[2:3], v[86:87]
	v_pk_mov_b32 v[88:89], v[28:29], v[28:29] op_sel:[0,1]
	v_fmac_f64_e32 v[88:89], v[86:87], v[84:85]
	v_pk_mov_b32 v[84:85], v[30:31], v[30:31] op_sel:[0,1]
	;; [unrolled: 2-line block ×7, first 2 shown]
	v_fmac_f64_e32 v[88:89], v[86:87], v[84:85]
	v_cvt_f64_i32_e32 v[84:85], v3
	v_mul_f64 v[90:91], v[84:85], s[36:37]
	v_mul_f64 v[96:97], v[68:69], v[86:87]
	v_fma_f64 v[92:93], v[84:85], s[36:37], -v[90:91]
	v_fma_f64 v[98:99], v[86:87], v[68:69], -v[96:97]
	v_fmac_f64_e32 v[92:93], s[38:39], v[84:85]
	v_fmac_f64_e32 v[98:99], v[86:87], v[66:67]
	v_add_f64 v[84:85], v[90:91], v[92:93]
	v_fmac_f64_e32 v[98:99], v[70:71], v[68:69]
	v_add_f64 v[90:91], v[84:85], -v[90:91]
	v_ldexp_f64 v[94:95], v[66:67], 1
	v_add_f64 v[66:67], v[96:97], v[98:99]
	v_add_f64 v[90:91], v[92:93], -v[90:91]
	v_ldexp_f64 v[92:93], v[68:69], 1
	v_add_f64 v[68:69], v[66:67], -v[96:97]
	v_mul_f64 v[96:97], v[86:87], v[88:89]
	v_fma_f64 v[86:87], v[86:87], v[88:89], -v[96:97]
	v_fmac_f64_e32 v[86:87], v[70:71], v[88:89]
	v_add_f64 v[70:71], v[96:97], v[86:87]
	v_add_f64 v[88:89], v[70:71], -v[96:97]
	v_add_f64 v[86:87], v[86:87], -v[88:89]
	v_add_f64 v[88:89], v[70:71], s[26:27]
	s_mov_b32 s40, s26
	s_mov_b32 s2, 0xd5df274d
	v_add_f64 v[96:97], v[88:89], s[40:41]
	s_mov_b32 s3, 0x3c8543b0
	v_add_f64 v[70:71], v[70:71], -v[96:97]
	v_add_f64 v[86:87], v[86:87], s[2:3]
	v_add_f64 v[70:71], v[86:87], v[70:71]
	;; [unrolled: 1-line block ×3, first 2 shown]
	v_add_f64 v[88:89], v[88:89], -v[86:87]
	v_add_f64 v[70:71], v[70:71], v[88:89]
	v_mul_f64 v[88:89], v[66:67], v[86:87]
	v_fma_f64 v[96:97], v[66:67], v[86:87], -v[88:89]
	v_add_f64 v[68:69], v[98:99], -v[68:69]
	v_fmac_f64_e32 v[96:97], v[66:67], v[70:71]
	v_fmac_f64_e32 v[96:97], v[68:69], v[86:87]
	v_add_f64 v[66:67], v[88:89], v[96:97]
	v_add_f64 v[68:69], v[66:67], -v[88:89]
	v_add_f64 v[70:71], v[92:93], v[66:67]
	v_add_f64 v[68:69], v[96:97], -v[68:69]
	v_add_f64 v[86:87], v[70:71], -v[92:93]
	;; [unrolled: 1-line block ×3, first 2 shown]
	v_add_f64 v[68:69], v[94:95], v[68:69]
	v_add_f64 v[66:67], v[68:69], v[66:67]
	;; [unrolled: 1-line block ×3, first 2 shown]
	v_add_f64 v[70:71], v[68:69], -v[70:71]
	v_add_f64 v[66:67], v[66:67], -v[70:71]
	v_add_f64 v[70:71], v[84:85], v[68:69]
	v_add_f64 v[86:87], v[70:71], -v[84:85]
	v_add_f64 v[88:89], v[70:71], -v[86:87]
	;; [unrolled: 1-line block ×4, first 2 shown]
	v_add_f64 v[68:69], v[68:69], v[84:85]
	v_add_f64 v[84:85], v[90:91], v[66:67]
	v_add_f64 v[86:87], v[84:85], -v[90:91]
	v_add_f64 v[68:69], v[84:85], v[68:69]
	v_add_f64 v[88:89], v[84:85], -v[86:87]
	;; [unrolled: 2-line block ×3, first 2 shown]
	v_add_f64 v[66:67], v[66:67], -v[86:87]
	v_add_f64 v[70:71], v[84:85], -v[70:71]
	v_add_f64 v[66:67], v[66:67], v[88:89]
	v_add_f64 v[68:69], v[68:69], -v[70:71]
	v_add_f64 v[66:67], v[66:67], v[68:69]
	v_add_f64 v[68:69], v[84:85], v[66:67]
	v_add_f64 v[70:71], v[68:69], -v[84:85]
	v_add_f64 v[66:67], v[66:67], -v[70:71]
	v_mul_f64 v[70:71], v[0:1], v[68:69]
	v_fma_f64 v[68:69], v[0:1], v[68:69], -v[70:71]
	v_fmac_f64_e32 v[68:69], v[0:1], v[66:67]
	v_add_f64 v[66:67], v[70:71], v[68:69]
	v_cmp_class_f64_e64 s[2:3], v[70:71], s92
	v_add_f64 v[84:85], v[66:67], -v[70:71]
	v_cndmask_b32_e64 v67, v67, v71, s[2:3]
	v_cndmask_b32_e64 v66, v66, v70, s[2:3]
	v_add_f64 v[68:69], v[68:69], -v[84:85]
	v_cmp_neq_f64_e64 s[2:3], |v[66:67]|, s[44:45]
	v_cndmask_b32_e64 v69, 0, v69, s[2:3]
	v_cndmask_b32_e64 v68, 0, v68, s[2:3]
	s_mov_b32 s2, 0x652b82fe
	s_mov_b32 s3, 0x3ff71547
	v_mul_f64 v[70:71], v[66:67], s[2:3]
	v_rndne_f64_e32 v[70:71], v[70:71]
	s_mov_b32 s48, s36
	v_fma_f64 v[84:85], s[48:49], v[70:71], v[66:67]
	s_mov_b32 s50, s38
	s_mov_b32 s2, 0x6a5dcb37
	v_fmac_f64_e32 v[84:85], s[50:51], v[70:71]
	v_pk_mov_b32 v[86:87], v[42:43], v[42:43] op_sel:[0,1]
	s_mov_b32 s3, 0x3e5ade15
	v_fmac_f64_e32 v[86:87], s[2:3], v[84:85]
	v_pk_mov_b32 v[88:89], v[44:45], v[44:45] op_sel:[0,1]
	v_fmac_f64_e32 v[88:89], v[84:85], v[86:87]
	v_pk_mov_b32 v[86:87], v[46:47], v[46:47] op_sel:[0,1]
	;; [unrolled: 2-line block ×8, first 2 shown]
	v_fmac_f64_e32 v[86:87], v[84:85], v[88:89]
	v_fma_f64 v[86:87], v[84:85], v[86:87], 1.0
	s_mov_b32 s2, 0
	v_fma_f64 v[84:85], v[84:85], v[86:87], 1.0
	v_cvt_i32_f64_e32 v3, v[70:71]
	s_mov_b32 s3, 0x40900000
	s_mov_b32 s4, 0
	v_ldexp_f64 v[70:71], v[84:85], v3
	v_cmp_lt_f64_e64 s[2:3], s[2:3], v[66:67]
	s_mov_b32 s5, 0xc090cc00
	v_cndmask_b32_e64 v3, v70, 0, s[2:3]
	v_cndmask_b32_e64 v23, v71, v74, s[2:3]
	v_cmp_ngt_f64_e64 s[4:5], s[4:5], v[66:67]
	v_and_b32_e32 v71, 0x7fffffff, v71
	v_cndmask_b32_e64 v67, 0, v23, s[4:5]
	v_cndmask_b32_e64 v66, 0, v3, s[4:5]
	v_cmp_eq_f64_e64 s[6:7], s[44:45], v[70:71]
	v_pk_mov_b32 v[84:85], v[66:67], v[66:67] op_sel:[0,1]
	s_or_b64 s[2:3], s[2:3], s[6:7]
	v_fmac_f64_e32 v[84:85], v[84:85], v[68:69]
	s_and_b64 s[2:3], s[4:5], s[2:3]
	v_cndmask_b32_e64 v3, v84, v66, s[2:3]
	v_cndmask_b32_e64 v23, v85, v67, s[2:3]
	v_trunc_f64_e32 v[66:67], v[0:1]
	v_cmp_eq_f64_e64 s[2:3], v[66:67], v[0:1]
	v_mul_f64 v[66:67], v[0:1], 0.5
	v_trunc_f64_e32 v[68:69], v[66:67]
	v_cmp_neq_f64_e64 s[4:5], v[68:69], v[66:67]
	s_and_b64 s[4:5], s[2:3], s[4:5]
	v_cndmask_b32_e64 v64, v73, v9, s[4:5]
	s_brev_b32 s40, -2
	v_bfi_b32 v23, s40, v23, v64
	v_and_b32_e32 v19, 0x7fffffff, v19
	v_cndmask_b32_e64 v64, v75, v23, s[2:3]
	v_cndmask_b32_e64 v66, 0, v3, s[2:3]
	v_cmp_gt_f64_e64 s[2:3], 0, v[8:9]
	v_cndmask_b32_e32 v19, v19, v73, vcc
	v_cndmask_b32_e64 v18, v18, 0, vcc
	v_cndmask_b32_e64 v3, v3, v66, s[2:3]
	v_cndmask_b32_e64 v23, v23, v64, s[2:3]
	v_cmp_neq_f64_e32 vcc, v[0:1], v[18:19]
	v_cmp_gt_f64_e64 s[2:3], 1.0, v[10:11]
	s_xor_b64 s[2:3], vcc, s[2:3]
	v_cndmask_b32_e64 v64, v19, 0, s[2:3]
	v_cndmask_b32_e64 v66, v18, 0, s[2:3]
	v_cmp_eq_f64_e32 vcc, 1.0, v[10:11]
	v_cmp_eq_f64_e64 s[2:3], 0, v[8:9]
	v_cmp_gt_f64_e64 s[6:7], 0, v[0:1]
	v_cndmask_b32_e32 v66, v66, v10, vcc
	v_cndmask_b32_e32 v64, v64, v11, vcc
	v_cmp_eq_f64_e32 vcc, s[44:45], v[18:19]
	s_xor_b64 s[6:7], s[6:7], s[2:3]
	v_cndmask_b32_e32 v18, v23, v64, vcc
	v_cndmask_b32_e32 v3, v3, v66, vcc
	v_cmp_eq_f64_e32 vcc, s[44:45], v[10:11]
	v_cndmask_b32_e64 v0, v74, 0, s[6:7]
	v_cndmask_b32_e64 v1, 0, v9, s[4:5]
	v_bfi_b32 v0, s40, v0, v1
	s_or_b64 vcc, vcc, s[2:3]
	v_pk_mov_b32 v[8:9], v[12:13], v[12:13] op_sel:[0,1]
	s_mov_b64 s[84:85], exec
	v_cndmask_b32_e64 v66, v3, 0, vcc
	v_cndmask_b32_e32 v67, v18, v0, vcc
	v_add_f64 v[16:17], v[16:17], 1.0
	v_pk_mov_b32 v[10:11], v[14:15], v[14:15] op_sel:[0,1]
	v_mov_b32_e32 v70, v65
.LBB114_18:                             ;   in Loop: Header=BB114_4 Depth=1
	s_or_b64 exec, exec, s[82:83]
	s_orn2_b64 s[2:3], s[84:85], exec
.LBB114_19:                             ;   in Loop: Header=BB114_4 Depth=1
	s_or_b64 exec, exec, s[80:81]
	v_pk_mov_b32 v[68:69], s[78:79], s[78:79] op_sel:[0,1]
	s_and_saveexec_b64 s[4:5], s[2:3]
	s_cbranch_execz .LBB114_3
; %bb.20:                               ;   in Loop: Header=BB114_4 Depth=1
	s_brev_b32 s2, 6
	s_mov_b32 s3, 0xbfd55555
	v_add_f64 v[0:1], v[16:17], s[2:3]
	v_mul_f64 v[12:13], v[0:1], s[60:61]
	v_cmp_gt_f64_e32 vcc, s[62:63], v[12:13]
	v_cndmask_b32_e64 v3, 0, 1, vcc
	v_lshlrev_b32_e32 v3, 8, v3
	v_ldexp_f64 v[12:13], v[12:13], v3
	v_rsq_f64_e32 v[14:15], v[12:13]
	v_cndmask_b32_e32 v3, 0, v76, vcc
	v_cmp_class_f64_e32 vcc, v[12:13], v72
	v_mov_b32_e32 v99, 0
	v_mul_f64 v[16:17], v[12:13], v[14:15]
	v_mul_f64 v[14:15], v[14:15], 0.5
	v_fma_f64 v[18:19], -v[14:15], v[16:17], 0.5
	v_fmac_f64_e32 v[16:17], v[16:17], v[18:19]
	v_fmac_f64_e32 v[14:15], v[14:15], v[18:19]
	v_fma_f64 v[18:19], -v[16:17], v[16:17], v[12:13]
	v_fmac_f64_e32 v[16:17], v[18:19], v[14:15]
	v_fma_f64 v[18:19], -v[16:17], v[16:17], v[12:13]
	v_fmac_f64_e32 v[16:17], v[18:19], v[14:15]
	v_ldexp_f64 v[14:15], v[16:17], v3
	v_cndmask_b32_e32 v13, v15, v13, vcc
	v_cndmask_b32_e32 v12, v14, v12, vcc
	v_div_scale_f64 v[14:15], s[2:3], v[12:13], v[12:13], 1.0
	v_rcp_f64_e32 v[16:17], v[14:15]
	v_mul_f64 v[66:67], v[66:67], v[0:1]
	v_add_u32_e32 v3, 0x9e3779b9, v62
	v_add_u32_e32 v84, 0xbb67ae85, v63
	v_fma_f64 v[18:19], -v[14:15], v[16:17], 1.0
	v_fmac_f64_e32 v[16:17], v[16:17], v[18:19]
	v_fma_f64 v[18:19], -v[14:15], v[16:17], 1.0
	v_fmac_f64_e32 v[16:17], v[16:17], v[18:19]
	v_div_scale_f64 v[18:19], vcc, 1.0, v[12:13], 1.0
	v_mul_f64 v[64:65], v[18:19], v[16:17]
	v_fma_f64 v[14:15], -v[14:15], v[64:65], v[18:19]
	v_add_u32_e32 v85, 0x3c6ef372, v62
	s_nop 0
	v_div_fmas_f64 v[14:15], v[14:15], v[16:17], v[64:65]
	v_div_fixup_f64 v[64:65], v[14:15], v[12:13], 1.0
	v_add_u32_e32 v86, 0x76cf5d0a, v63
	v_add_u32_e32 v87, 0xdaa66d2b, v62
	;; [unrolled: 1-line block ×13, first 2 shown]
	s_mov_b64 s[6:7], 0
                                        ; implicit-def: $vgpr71
                                        ; implicit-def: $vgpr68_vgpr69
	s_branch .LBB114_22
.LBB114_21:                             ;   in Loop: Header=BB114_22 Depth=2
	s_or_b64 exec, exec, s[2:3]
	s_xor_b64 s[2:3], s[78:79], -1
	s_and_b64 s[2:3], exec, s[2:3]
	s_or_b64 s[6:7], s[2:3], s[6:7]
	s_andn2_b64 exec, exec, s[6:7]
	s_cbranch_execz .LBB114_2
.LBB114_22:                             ;   Parent Loop BB114_4 Depth=1
                                        ; =>  This Loop Header: Depth=2
                                        ;       Child Loop BB114_25 Depth 3
	v_pk_mov_b32 v[14:15], v[10:11], v[10:11] op_sel:[0,1]
	s_mov_b64 s[78:79], 0
	v_mov_b32_e32 v23, v70
	v_pk_mov_b32 v[12:13], v[8:9], v[8:9] op_sel:[0,1]
	s_branch .LBB114_25
.LBB114_23:                             ;   in Loop: Header=BB114_25 Depth=3
	s_or_b64 exec, exec, s[2:3]
	v_cmp_eq_u32_e32 vcc, 1, v23
	v_cndmask_b32_e32 v12, v12, v13, vcc
	v_cmp_eq_u32_e32 vcc, 2, v23
	v_cndmask_b32_e32 v12, v12, v14, vcc
	;; [unrolled: 2-line block ×4, first 2 shown]
	v_cvt_f32_u32_e32 v9, v12
	v_cmp_eq_u32_e32 vcc, 2, v70
	v_cndmask_b32_e32 v8, v8, v10, vcc
	v_mov_b32_e32 v10, 0x2f800000
	v_fmac_f32_e32 v10, 0x2f800000, v9
	v_cmp_gt_f32_e32 vcc, s47, v10
	v_cndmask_b32_e32 v9, 1.0, v77, vcc
	v_mul_f32_e32 v9, v10, v9
	v_log_f32_e32 v9, v9
	v_cmp_eq_u32_e64 s[2:3], 3, v70
	v_cndmask_b32_e64 v8, v8, v11, s[2:3]
	v_cvt_f32_u32_e32 v8, v8
	v_mul_f32_e32 v10, 0x3f317217, v9
	v_fma_f32 v11, v9, s52, -v10
	v_fmac_f32_e32 v11, 0x3377d1cf, v9
	v_add_f32_e32 v10, v10, v11
	v_cmp_lt_f32_e64 s[2:3], |v9|, s53
	v_cndmask_b32_e64 v9, v9, v10, s[2:3]
	v_cndmask_b32_e32 v10, 0, v78, vcc
	v_sub_f32_e32 v9, v9, v10
	v_mul_f32_e32 v9, -2.0, v9
	v_mul_f32_e32 v10, 0x4f800000, v9
	v_cmp_gt_f32_e32 vcc, s54, v9
	v_cndmask_b32_e32 v10, v9, v10, vcc
	v_sqrt_f32_e32 v9, v10
	v_mov_b32_e32 v11, 0x30c90fdb
	v_fmac_f32_e32 v11, 0x30c90fdb, v8
	v_mov_b32_e32 v99, 1
	v_add_u32_e32 v8, -1, v9
	v_fma_f32 v12, -v8, v9, v10
	v_cmp_ge_f32_e64 s[2:3], 0, v12
	v_add_u32_e32 v12, 1, v9
	v_cndmask_b32_e64 v8, v9, v8, s[2:3]
	v_fma_f32 v9, -v12, v9, v10
	v_cmp_lt_f32_e64 s[2:3], 0, v9
	v_mul_f32_e32 v9, 0.15915494, v11
	v_cndmask_b32_e64 v12, v8, v12, s[2:3]
	v_sin_f32_e32 v8, v9
	v_cos_f32_e32 v9, v9
	v_mul_f32_e32 v13, 0x37800000, v12
	v_cndmask_b32_e32 v11, v12, v13, vcc
	v_cmp_class_f32_e32 vcc, v10, v72
	v_cndmask_b32_e32 v10, v11, v10, vcc
	v_pk_mov_b32 v[12:13], v[16:17], v[16:17] op_sel:[0,1]
	v_pk_mul_f32 v[70:71], v[10:11], v[8:9] op_sel_hi:[0,1]
	v_pk_mov_b32 v[14:15], v[18:19], v[18:19] op_sel:[0,1]
	v_mov_b32_e32 v23, v100
.LBB114_24:                             ;   in Loop: Header=BB114_25 Depth=3
	s_or_b64 exec, exec, s[80:81]
	v_cvt_f64_f32_e32 v[16:17], v70
	v_fma_f64 v[18:19], v[64:65], v[16:17], 1.0
	v_cmp_nge_f64_e32 vcc, 0, v[18:19]
	s_or_b64 s[78:79], vcc, s[78:79]
	s_andn2_b64 exec, exec, s[78:79]
	s_cbranch_execz .LBB114_30
.LBB114_25:                             ;   Parent Loop BB114_4 Depth=1
                                        ;     Parent Loop BB114_22 Depth=2
                                        ; =>    This Inner Loop Header: Depth=3
	v_cmp_eq_u32_e32 vcc, 0, v99
	v_mov_b32_e32 v99, 0
	v_mov_b32_e32 v70, v71
	s_and_saveexec_b64 s[80:81], vcc
	s_cbranch_execz .LBB114_24
; %bb.26:                               ;   in Loop: Header=BB114_25 Depth=3
	v_add_u32_e32 v70, 1, v23
	v_pk_mov_b32 v[8:9], v[12:13], v[12:13] op_sel:[0,1]
	v_cmp_eq_u32_e32 vcc, 4, v70
	v_pk_mov_b32 v[10:11], v[14:15], v[14:15] op_sel:[0,1]
	s_and_saveexec_b64 s[2:3], vcc
	s_cbranch_execz .LBB114_28
; %bb.27:                               ;   in Loop: Header=BB114_25 Depth=3
	v_add_co_u32_e32 v4, vcc, 1, v4
	v_cndmask_b32_e64 v8, 0, 1, vcc
	v_addc_co_u32_e32 v5, vcc, 0, v5, vcc
	v_cmp_eq_u32_e32 vcc, 0, v5
	v_cndmask_b32_e32 v8, 0, v8, vcc
	v_add_u32_e32 v6, v8, v6
	v_cmp_eq_u32_e32 vcc, 0, v6
	v_cndmask_b32_e32 v8, 0, v8, vcc
	v_add_u32_e32 v7, v8, v7
	v_mad_u64_u32 v[8:9], s[82:83], v4, s19, 0
	v_mad_u64_u32 v[10:11], s[82:83], v6, s88, 0
	v_xor_b32_e32 v11, v11, v62
	v_xor_b32_e32 v9, v9, v63
	v_xor_b32_e32 v11, v5, v11
	v_xor_b32_e32 v9, v7, v9
	v_mad_u64_u32 v[16:17], s[82:83], v11, s19, 0
	v_mad_u64_u32 v[18:19], s[82:83], v9, s88, 0
	v_xor_b32_e32 v9, v19, v10
	v_xor_b32_e32 v8, v17, v8
	v_xor_b32_e32 v9, v3, v9
	v_xor_b32_e32 v10, v84, v8
	;; [unrolled: 6-line block ×9, first 2 shown]
	v_mad_u64_u32 v[16:17], s[82:83], v9, s19, 0
	v_mad_u64_u32 v[18:19], s[82:83], v11, s88, 0
	v_xor_b32_e32 v8, v19, v8
	v_xor_b32_e32 v9, v17, v10
	v_mov_b32_e32 v70, 0
	v_xor_b32_e32 v8, v82, v8
	v_xor_b32_e32 v10, v83, v9
	v_mov_b32_e32 v9, v18
	v_mov_b32_e32 v11, v16
.LBB114_28:                             ;   in Loop: Header=BB114_25 Depth=3
	s_or_b64 exec, exec, s[2:3]
	v_add_u32_e32 v100, 1, v70
	v_pk_mov_b32 v[18:19], v[10:11], v[10:11] op_sel:[0,1]
	v_cmp_eq_u32_e32 vcc, 4, v100
	v_pk_mov_b32 v[16:17], v[8:9], v[8:9] op_sel:[0,1]
	s_and_saveexec_b64 s[2:3], vcc
	s_cbranch_execz .LBB114_23
; %bb.29:                               ;   in Loop: Header=BB114_25 Depth=3
	v_add_co_u32_e32 v4, vcc, 1, v4
	v_cndmask_b32_e64 v16, 0, 1, vcc
	v_addc_co_u32_e32 v5, vcc, 0, v5, vcc
	v_cmp_eq_u32_e32 vcc, 0, v5
	v_cndmask_b32_e32 v16, 0, v16, vcc
	v_add_u32_e32 v6, v16, v6
	v_cmp_eq_u32_e32 vcc, 0, v6
	v_cndmask_b32_e32 v16, 0, v16, vcc
	v_add_u32_e32 v7, v16, v7
	v_mad_u64_u32 v[16:17], s[82:83], v4, s19, 0
	v_mad_u64_u32 v[18:19], s[82:83], v6, s88, 0
	v_xor_b32_e32 v19, v19, v62
	v_xor_b32_e32 v17, v17, v63
	v_xor_b32_e32 v19, v5, v19
	v_xor_b32_e32 v17, v7, v17
	v_mad_u64_u32 v[102:103], s[82:83], v19, s19, 0
	v_mad_u64_u32 v[104:105], s[82:83], v17, s88, 0
	v_xor_b32_e32 v17, v105, v18
	v_xor_b32_e32 v16, v103, v16
	v_xor_b32_e32 v17, v3, v17
	v_xor_b32_e32 v18, v84, v16
	v_mad_u64_u32 v[16:17], s[82:83], v17, s19, 0
	v_mad_u64_u32 v[18:19], s[82:83], v18, s88, 0
	v_xor_b32_e32 v19, v19, v104
	v_xor_b32_e32 v17, v17, v102
	v_xor_b32_e32 v19, v85, v19
	v_xor_b32_e32 v17, v86, v17
	v_mad_u64_u32 v[102:103], s[82:83], v19, s19, 0
	v_mad_u64_u32 v[104:105], s[82:83], v17, s88, 0
	v_xor_b32_e32 v17, v105, v18
	v_xor_b32_e32 v16, v103, v16
	v_xor_b32_e32 v17, v87, v17
	v_xor_b32_e32 v18, v88, v16
	v_mad_u64_u32 v[16:17], s[82:83], v17, s19, 0
	v_mad_u64_u32 v[18:19], s[82:83], v18, s88, 0
	v_xor_b32_e32 v19, v19, v104
	v_xor_b32_e32 v17, v17, v102
	v_xor_b32_e32 v19, v89, v19
	v_xor_b32_e32 v17, v90, v17
	v_mad_u64_u32 v[102:103], s[82:83], v19, s19, 0
	v_mad_u64_u32 v[104:105], s[82:83], v17, s88, 0
	v_xor_b32_e32 v17, v105, v18
	v_xor_b32_e32 v16, v103, v16
	v_xor_b32_e32 v17, v91, v17
	v_xor_b32_e32 v18, v92, v16
	v_mad_u64_u32 v[16:17], s[82:83], v17, s19, 0
	v_mad_u64_u32 v[18:19], s[82:83], v18, s88, 0
	v_xor_b32_e32 v19, v19, v104
	v_xor_b32_e32 v17, v17, v102
	v_xor_b32_e32 v19, v93, v19
	v_xor_b32_e32 v17, v94, v17
	v_mad_u64_u32 v[102:103], s[82:83], v19, s19, 0
	v_mad_u64_u32 v[104:105], s[82:83], v17, s88, 0
	v_xor_b32_e32 v17, v105, v18
	v_xor_b32_e32 v16, v103, v16
	v_xor_b32_e32 v17, v95, v17
	v_xor_b32_e32 v16, v96, v16
	v_mad_u64_u32 v[18:19], s[82:83], v17, s19, 0
	v_mad_u64_u32 v[16:17], s[82:83], v16, s88, 0
	v_xor_b32_e32 v17, v17, v104
	v_xor_b32_e32 v19, v19, v102
	v_xor_b32_e32 v17, v97, v17
	v_xor_b32_e32 v19, v98, v19
	v_mad_u64_u32 v[102:103], s[82:83], v17, s19, 0
	v_mad_u64_u32 v[104:105], s[82:83], v19, s88, 0
	v_xor_b32_e32 v16, v105, v16
	v_xor_b32_e32 v17, v103, v18
	v_mov_b32_e32 v100, 0
	v_xor_b32_e32 v16, v82, v16
	v_xor_b32_e32 v18, v83, v17
	v_mov_b32_e32 v17, v104
	v_mov_b32_e32 v19, v102
	s_branch .LBB114_23
.LBB114_30:                             ;   in Loop: Header=BB114_22 Depth=2
	s_or_b64 exec, exec, s[78:79]
	v_add_u32_e32 v70, 1, v23
	v_pk_mov_b32 v[8:9], v[12:13], v[12:13] op_sel:[0,1]
	v_cmp_eq_u32_e32 vcc, 4, v70
	v_pk_mov_b32 v[10:11], v[14:15], v[14:15] op_sel:[0,1]
	s_and_saveexec_b64 s[2:3], vcc
	s_cbranch_execz .LBB114_32
; %bb.31:                               ;   in Loop: Header=BB114_22 Depth=2
	v_add_co_u32_e32 v4, vcc, 1, v4
	v_cndmask_b32_e64 v8, 0, 1, vcc
	v_addc_co_u32_e32 v5, vcc, 0, v5, vcc
	v_cmp_eq_u32_e32 vcc, 0, v5
	v_cndmask_b32_e32 v8, 0, v8, vcc
	v_add_u32_e32 v6, v8, v6
	v_cmp_eq_u32_e32 vcc, 0, v6
	v_cndmask_b32_e32 v8, 0, v8, vcc
	v_add_u32_e32 v7, v8, v7
	v_mad_u64_u32 v[8:9], s[78:79], v4, s19, 0
	v_mad_u64_u32 v[10:11], s[78:79], v6, s88, 0
	v_xor_b32_e32 v11, v11, v62
	v_xor_b32_e32 v9, v9, v63
	v_xor_b32_e32 v11, v5, v11
	v_xor_b32_e32 v9, v7, v9
	v_mad_u64_u32 v[100:101], s[78:79], v11, s19, 0
	v_mad_u64_u32 v[102:103], s[78:79], v9, s88, 0
	v_xor_b32_e32 v9, v103, v10
	v_xor_b32_e32 v8, v101, v8
	v_xor_b32_e32 v9, v3, v9
	v_xor_b32_e32 v10, v84, v8
	;; [unrolled: 6-line block ×9, first 2 shown]
	v_mad_u64_u32 v[100:101], s[78:79], v9, s19, 0
	v_mad_u64_u32 v[102:103], s[78:79], v11, s88, 0
	v_xor_b32_e32 v8, v103, v8
	v_xor_b32_e32 v9, v101, v10
	v_mov_b32_e32 v70, 0
	v_xor_b32_e32 v8, v82, v8
	v_xor_b32_e32 v10, v83, v9
	v_mov_b32_e32 v9, v102
	v_mov_b32_e32 v11, v100
.LBB114_32:                             ;   in Loop: Header=BB114_22 Depth=2
	s_or_b64 exec, exec, s[2:3]
	v_cmp_eq_u32_e32 vcc, 1, v23
	v_cndmask_b32_e32 v12, v12, v13, vcc
	v_cmp_eq_u32_e32 vcc, 2, v23
	v_cndmask_b32_e32 v12, v12, v14, vcc
	;; [unrolled: 2-line block ×3, first 2 shown]
	v_cvt_f32_u32_e32 v14, v12
	v_mov_b32_e32 v15, 0x2f800000
	v_mul_f64 v[12:13], v[18:19], v[18:19]
	v_mul_f64 v[12:13], v[18:19], v[12:13]
	v_fmac_f32_e32 v15, 0x2f800000, v14
	v_cvt_f64_f32_e32 v[14:15], v15
	v_add_f64 v[18:19], -v[14:15], 1.0
	v_mul_f64 v[14:15], v[16:17], v[16:17]
	v_mul_f64 v[16:17], v[14:15], s[64:65]
	v_fma_f64 v[16:17], v[14:15], v[16:17], 1.0
	v_cmp_nlt_f64_e32 vcc, v[18:19], v[16:17]
                                        ; implicit-def: $sgpr78_sgpr79
	s_and_saveexec_b64 s[2:3], vcc
	s_xor_b64 s[2:3], exec, s[2:3]
	s_cbranch_execz .LBB114_36
; %bb.33:                               ;   in Loop: Header=BB114_22 Depth=2
	v_frexp_mant_f64_e32 v[16:17], v[18:19]
	v_cmp_gt_f64_e32 vcc, s[26:27], v[16:17]
	v_cndmask_b32_e64 v23, v73, 2.0, vcc
	v_frexp_exp_i32_f64_e32 v100, v[18:19]
	v_mul_f64 v[16:17], v[16:17], v[22:23]
	v_subbrev_co_u32_e32 v23, vcc, 0, v100, vcc
	v_add_f64 v[100:101], v[16:17], 1.0
	v_rcp_f64_e32 v[102:103], v[100:101]
	v_add_f64 v[106:107], v[100:101], -1.0
	v_add_f64 v[104:105], v[16:17], -1.0
	v_add_f64 v[16:17], v[16:17], -v[106:107]
	v_fma_f64 v[106:107], -v[100:101], v[102:103], 1.0
	v_fmac_f64_e32 v[102:103], v[106:107], v[102:103]
	v_fma_f64 v[106:107], -v[100:101], v[102:103], 1.0
	v_fmac_f64_e32 v[102:103], v[106:107], v[102:103]
	v_mul_f64 v[106:107], v[104:105], v[102:103]
	v_mul_f64 v[108:109], v[100:101], v[106:107]
	v_fma_f64 v[100:101], v[106:107], v[100:101], -v[108:109]
	v_fmac_f64_e32 v[100:101], v[106:107], v[16:17]
	v_add_f64 v[16:17], v[108:109], v[100:101]
	v_add_f64 v[110:111], v[104:105], -v[16:17]
	v_add_f64 v[108:109], v[16:17], -v[108:109]
	v_add_f64 v[104:105], v[104:105], -v[110:111]
	v_add_f64 v[16:17], v[104:105], -v[16:17]
	v_add_f64 v[100:101], v[108:109], -v[100:101]
	v_add_f64 v[16:17], v[100:101], v[16:17]
	v_add_f64 v[16:17], v[110:111], v[16:17]
	v_mul_f64 v[16:17], v[102:103], v[16:17]
	v_add_f64 v[100:101], v[106:107], v[16:17]
	v_add_f64 v[102:103], v[100:101], -v[106:107]
	v_add_f64 v[16:17], v[16:17], -v[102:103]
	v_mul_f64 v[102:103], v[100:101], v[100:101]
	v_pk_mov_b32 v[104:105], s[66:67], s[66:67] op_sel:[0,1]
	v_fma_f64 v[106:107], s[68:69], v[102:103], v[104:105]
	v_fma_f64 v[106:107], v[102:103], v[106:107], s[70:71]
	;; [unrolled: 1-line block ×5, first 2 shown]
	s_mov_b32 s75, s27
	v_fma_f64 v[106:107], v[102:103], v[106:107], s[74:75]
	v_ldexp_f64 v[108:109], v[100:101], 1
	v_mul_f64 v[100:101], v[100:101], v[102:103]
	v_mul_f64 v[100:101], v[100:101], v[106:107]
	v_add_f64 v[102:103], v[108:109], v[100:101]
	v_add_f64 v[106:107], v[102:103], -v[108:109]
	v_ldexp_f64 v[16:17], v[16:17], 1
	v_add_f64 v[100:101], v[100:101], -v[106:107]
	v_add_f64 v[16:17], v[16:17], v[100:101]
	v_add_f64 v[100:101], v[102:103], v[16:17]
	v_add_f64 v[102:103], v[100:101], -v[102:103]
	v_add_f64 v[16:17], v[16:17], -v[102:103]
	v_cvt_f64_i32_e32 v[102:103], v23
	v_mul_f64 v[106:107], v[102:103], s[36:37]
	v_fma_f64 v[108:109], v[102:103], s[36:37], -v[106:107]
	v_fmac_f64_e32 v[108:109], s[38:39], v[102:103]
	v_add_f64 v[102:103], v[106:107], v[108:109]
	v_add_f64 v[106:107], v[102:103], -v[106:107]
	v_add_f64 v[106:107], v[108:109], -v[106:107]
	v_add_f64 v[108:109], v[102:103], v[100:101]
	v_add_f64 v[110:111], v[108:109], -v[102:103]
	v_add_f64 v[112:113], v[108:109], -v[110:111]
	;; [unrolled: 1-line block ×4, first 2 shown]
	v_add_f64 v[100:101], v[100:101], v[102:103]
	v_add_f64 v[102:103], v[106:107], v[16:17]
	v_add_f64 v[110:111], v[102:103], -v[106:107]
	v_add_f64 v[112:113], v[102:103], -v[110:111]
	v_add_f64 v[100:101], v[102:103], v[100:101]
	v_add_f64 v[106:107], v[106:107], -v[112:113]
	v_add_f64 v[16:17], v[16:17], -v[110:111]
	v_add_f64 v[102:103], v[108:109], v[100:101]
	v_add_f64 v[16:17], v[16:17], v[106:107]
	v_add_f64 v[106:107], v[102:103], -v[108:109]
	v_add_f64 v[100:101], v[100:101], -v[106:107]
	v_add_f64 v[16:17], v[16:17], v[100:101]
	v_add_f64 v[16:17], v[102:103], v[16:17]
	v_cmp_class_f64_e64 vcc, v[18:19], s92
	v_cndmask_b32_e32 v16, v16, v18, vcc
	v_cndmask_b32_e32 v17, v17, v19, vcc
	v_cmp_ngt_f64_e32 vcc, 0, v[18:19]
	v_cndmask_b32_e32 v17, v75, v17, vcc
	v_cmp_nge_f64_e32 vcc, 0, v[18:19]
	v_cndmask_b32_e32 v16, 0, v16, vcc
	v_cmp_neq_f64_e32 vcc, 0, v[18:19]
	v_frexp_mant_f64_e32 v[100:101], v[12:13]
	v_cndmask_b32_e32 v17, v79, v17, vcc
	v_cmp_gt_f64_e32 vcc, s[26:27], v[100:101]
	v_cndmask_b32_e64 v23, v73, 2.0, vcc
	v_frexp_exp_i32_f64_e32 v102, v[12:13]
	v_mul_f64 v[100:101], v[100:101], v[22:23]
	v_subbrev_co_u32_e32 v23, vcc, 0, v102, vcc
	v_add_f64 v[102:103], v[100:101], 1.0
	v_rcp_f64_e32 v[106:107], v[102:103]
	v_add_f64 v[110:111], v[102:103], -1.0
	v_add_f64 v[108:109], v[100:101], -1.0
	v_add_f64 v[100:101], v[100:101], -v[110:111]
	v_fma_f64 v[110:111], -v[102:103], v[106:107], 1.0
	v_fmac_f64_e32 v[106:107], v[110:111], v[106:107]
	v_fma_f64 v[110:111], -v[102:103], v[106:107], 1.0
	v_fmac_f64_e32 v[106:107], v[110:111], v[106:107]
	v_mul_f64 v[110:111], v[108:109], v[106:107]
	v_mul_f64 v[112:113], v[102:103], v[110:111]
	v_fma_f64 v[102:103], v[110:111], v[102:103], -v[112:113]
	v_fmac_f64_e32 v[102:103], v[110:111], v[100:101]
	v_add_f64 v[100:101], v[112:113], v[102:103]
	v_add_f64 v[114:115], v[108:109], -v[100:101]
	v_add_f64 v[112:113], v[100:101], -v[112:113]
	;; [unrolled: 1-line block ×5, first 2 shown]
	v_add_f64 v[100:101], v[102:103], v[100:101]
	v_add_f64 v[100:101], v[114:115], v[100:101]
	v_mul_f64 v[100:101], v[106:107], v[100:101]
	v_add_f64 v[102:103], v[110:111], v[100:101]
	v_add_f64 v[106:107], v[102:103], -v[110:111]
	v_add_f64 v[100:101], v[100:101], -v[106:107]
	v_mul_f64 v[106:107], v[102:103], v[102:103]
	v_fmac_f64_e32 v[104:105], s[68:69], v[106:107]
	v_fma_f64 v[104:105], v[106:107], v[104:105], s[70:71]
	v_fma_f64 v[104:105], v[106:107], v[104:105], s[72:73]
	;; [unrolled: 1-line block ×5, first 2 shown]
	v_ldexp_f64 v[108:109], v[102:103], 1
	v_mul_f64 v[102:103], v[102:103], v[106:107]
	v_mul_f64 v[102:103], v[102:103], v[104:105]
	v_add_f64 v[104:105], v[108:109], v[102:103]
	v_add_f64 v[106:107], v[104:105], -v[108:109]
	v_ldexp_f64 v[100:101], v[100:101], 1
	v_add_f64 v[102:103], v[102:103], -v[106:107]
	v_add_f64 v[100:101], v[100:101], v[102:103]
	v_add_f64 v[102:103], v[104:105], v[100:101]
	v_add_f64 v[104:105], v[102:103], -v[104:105]
	v_add_f64 v[100:101], v[100:101], -v[104:105]
	v_cvt_f64_i32_e32 v[104:105], v23
	v_mul_f64 v[106:107], v[104:105], s[36:37]
	v_fma_f64 v[108:109], v[104:105], s[36:37], -v[106:107]
	v_fmac_f64_e32 v[108:109], s[38:39], v[104:105]
	v_add_f64 v[104:105], v[106:107], v[108:109]
	v_add_f64 v[106:107], v[104:105], -v[106:107]
	v_add_f64 v[106:107], v[108:109], -v[106:107]
	v_add_f64 v[108:109], v[104:105], v[102:103]
	v_add_f64 v[110:111], v[108:109], -v[104:105]
	v_add_f64 v[112:113], v[108:109], -v[110:111]
	;; [unrolled: 1-line block ×4, first 2 shown]
	v_add_f64 v[102:103], v[102:103], v[104:105]
	v_add_f64 v[104:105], v[106:107], v[100:101]
	v_add_f64 v[110:111], v[104:105], -v[106:107]
	v_add_f64 v[112:113], v[104:105], -v[110:111]
	v_add_f64 v[102:103], v[104:105], v[102:103]
	v_add_f64 v[106:107], v[106:107], -v[112:113]
	v_add_f64 v[100:101], v[100:101], -v[110:111]
	v_add_f64 v[104:105], v[108:109], v[102:103]
	v_add_f64 v[100:101], v[100:101], v[106:107]
	v_add_f64 v[106:107], v[104:105], -v[108:109]
	v_add_f64 v[102:103], v[102:103], -v[106:107]
	v_add_f64 v[100:101], v[100:101], v[102:103]
	v_add_f64 v[100:101], v[104:105], v[100:101]
	v_cmp_class_f64_e64 vcc, v[12:13], s92
	v_cndmask_b32_e32 v23, v100, v12, vcc
	v_cndmask_b32_e32 v100, v101, v13, vcc
	v_cmp_ngt_f64_e32 vcc, 0, v[12:13]
	v_cndmask_b32_e32 v101, v75, v100, vcc
	v_cmp_nge_f64_e32 vcc, 0, v[12:13]
	v_cndmask_b32_e32 v100, 0, v23, vcc
	v_cmp_neq_f64_e32 vcc, 0, v[12:13]
	v_add_f64 v[18:19], -v[12:13], 1.0
	v_cndmask_b32_e32 v101, v79, v101, vcc
	v_add_f64 v[18:19], v[18:19], v[100:101]
	v_mul_f64 v[18:19], v[0:1], v[18:19]
	v_fmac_f64_e32 v[18:19], 0.5, v[14:15]
	v_cmp_lt_f64_e32 vcc, v[16:17], v[18:19]
	s_mov_b64 s[78:79], -1
	s_and_saveexec_b64 s[80:81], vcc
; %bb.34:                               ;   in Loop: Header=BB114_22 Depth=2
	v_mul_f64 v[68:69], v[66:67], v[12:13]
	s_xor_b64 s[78:79], exec, -1
; %bb.35:                               ;   in Loop: Header=BB114_22 Depth=2
	s_or_b64 exec, exec, s[80:81]
	s_and_b64 s[78:79], s[78:79], exec
                                        ; implicit-def: $vgpr12_vgpr13
.LBB114_36:                             ;   in Loop: Header=BB114_22 Depth=2
	s_andn2_saveexec_b64 s[2:3], s[2:3]
	s_cbranch_execz .LBB114_21
; %bb.37:                               ;   in Loop: Header=BB114_22 Depth=2
	v_mul_f64 v[68:69], v[66:67], v[12:13]
	s_andn2_b64 s[78:79], s[78:79], exec
	s_branch .LBB114_21
.LBB114_38:
	s_endpgm
	.section	.rodata,"a",@progbits
	.p2align	6, 0x0
	.amdhsa_kernel _ZN2at4cuda12_GLOBAL__N_121kernelPointwiseApply2IZN12_GLOBAL__N_117gamma_cuda_kernelIdEEvRKNS_10TensorBaseES7_NS_15PhiloxCudaStateEEUlRdRKdE_ddjLi2ELin1ELi1ELi256ELi2EEEvNS0_6detail10TensorInfoIT0_T2_EENSE_IT1_SG_EESG_T_
		.amdhsa_group_segment_fixed_size 0
		.amdhsa_private_segment_fixed_size 0
		.amdhsa_kernarg_size 728
		.amdhsa_user_sgpr_count 6
		.amdhsa_user_sgpr_private_segment_buffer 1
		.amdhsa_user_sgpr_dispatch_ptr 0
		.amdhsa_user_sgpr_queue_ptr 0
		.amdhsa_user_sgpr_kernarg_segment_ptr 1
		.amdhsa_user_sgpr_dispatch_id 0
		.amdhsa_user_sgpr_flat_scratch_init 0
		.amdhsa_user_sgpr_kernarg_preload_length 0
		.amdhsa_user_sgpr_kernarg_preload_offset 0
		.amdhsa_user_sgpr_private_segment_size 0
		.amdhsa_uses_dynamic_stack 0
		.amdhsa_system_sgpr_private_segment_wavefront_offset 0
		.amdhsa_system_sgpr_workgroup_id_x 1
		.amdhsa_system_sgpr_workgroup_id_y 0
		.amdhsa_system_sgpr_workgroup_id_z 0
		.amdhsa_system_sgpr_workgroup_info 0
		.amdhsa_system_vgpr_workitem_id 0
		.amdhsa_next_free_vgpr 117
		.amdhsa_next_free_sgpr 96
		.amdhsa_accum_offset 120
		.amdhsa_reserve_vcc 1
		.amdhsa_reserve_flat_scratch 0
		.amdhsa_float_round_mode_32 0
		.amdhsa_float_round_mode_16_64 0
		.amdhsa_float_denorm_mode_32 3
		.amdhsa_float_denorm_mode_16_64 3
		.amdhsa_dx10_clamp 1
		.amdhsa_ieee_mode 1
		.amdhsa_fp16_overflow 0
		.amdhsa_tg_split 0
		.amdhsa_exception_fp_ieee_invalid_op 0
		.amdhsa_exception_fp_denorm_src 0
		.amdhsa_exception_fp_ieee_div_zero 0
		.amdhsa_exception_fp_ieee_overflow 0
		.amdhsa_exception_fp_ieee_underflow 0
		.amdhsa_exception_fp_ieee_inexact 0
		.amdhsa_exception_int_div_zero 0
	.end_amdhsa_kernel
	.section	.text._ZN2at4cuda12_GLOBAL__N_121kernelPointwiseApply2IZN12_GLOBAL__N_117gamma_cuda_kernelIdEEvRKNS_10TensorBaseES7_NS_15PhiloxCudaStateEEUlRdRKdE_ddjLi2ELin1ELi1ELi256ELi2EEEvNS0_6detail10TensorInfoIT0_T2_EENSE_IT1_SG_EESG_T_,"axG",@progbits,_ZN2at4cuda12_GLOBAL__N_121kernelPointwiseApply2IZN12_GLOBAL__N_117gamma_cuda_kernelIdEEvRKNS_10TensorBaseES7_NS_15PhiloxCudaStateEEUlRdRKdE_ddjLi2ELin1ELi1ELi256ELi2EEEvNS0_6detail10TensorInfoIT0_T2_EENSE_IT1_SG_EESG_T_,comdat
.Lfunc_end114:
	.size	_ZN2at4cuda12_GLOBAL__N_121kernelPointwiseApply2IZN12_GLOBAL__N_117gamma_cuda_kernelIdEEvRKNS_10TensorBaseES7_NS_15PhiloxCudaStateEEUlRdRKdE_ddjLi2ELin1ELi1ELi256ELi2EEEvNS0_6detail10TensorInfoIT0_T2_EENSE_IT1_SG_EESG_T_, .Lfunc_end114-_ZN2at4cuda12_GLOBAL__N_121kernelPointwiseApply2IZN12_GLOBAL__N_117gamma_cuda_kernelIdEEvRKNS_10TensorBaseES7_NS_15PhiloxCudaStateEEUlRdRKdE_ddjLi2ELin1ELi1ELi256ELi2EEEvNS0_6detail10TensorInfoIT0_T2_EENSE_IT1_SG_EESG_T_
                                        ; -- End function
	.section	.AMDGPU.csdata,"",@progbits
; Kernel info:
; codeLenInByte = 7720
; NumSgprs: 100
; NumVgprs: 117
; NumAgprs: 0
; TotalNumVgprs: 117
; ScratchSize: 0
; MemoryBound: 0
; FloatMode: 240
; IeeeMode: 1
; LDSByteSize: 0 bytes/workgroup (compile time only)
; SGPRBlocks: 12
; VGPRBlocks: 14
; NumSGPRsForWavesPerEU: 100
; NumVGPRsForWavesPerEU: 117
; AccumOffset: 120
; Occupancy: 4
; WaveLimiterHint : 1
; COMPUTE_PGM_RSRC2:SCRATCH_EN: 0
; COMPUTE_PGM_RSRC2:USER_SGPR: 6
; COMPUTE_PGM_RSRC2:TRAP_HANDLER: 0
; COMPUTE_PGM_RSRC2:TGID_X_EN: 1
; COMPUTE_PGM_RSRC2:TGID_Y_EN: 0
; COMPUTE_PGM_RSRC2:TGID_Z_EN: 0
; COMPUTE_PGM_RSRC2:TIDIG_COMP_CNT: 0
; COMPUTE_PGM_RSRC3_GFX90A:ACCUM_OFFSET: 29
; COMPUTE_PGM_RSRC3_GFX90A:TG_SPLIT: 0
	.section	.text._ZN2at4cuda12_GLOBAL__N_121kernelPointwiseApply2IZN12_GLOBAL__N_117gamma_cuda_kernelIdEEvRKNS_10TensorBaseES7_NS_15PhiloxCudaStateEEUlRdRKdE_ddjLin1ELi1ELi1ELi256ELi2EEEvNS0_6detail10TensorInfoIT0_T2_EENSE_IT1_SG_EESG_T_,"axG",@progbits,_ZN2at4cuda12_GLOBAL__N_121kernelPointwiseApply2IZN12_GLOBAL__N_117gamma_cuda_kernelIdEEvRKNS_10TensorBaseES7_NS_15PhiloxCudaStateEEUlRdRKdE_ddjLin1ELi1ELi1ELi256ELi2EEEvNS0_6detail10TensorInfoIT0_T2_EENSE_IT1_SG_EESG_T_,comdat
	.globl	_ZN2at4cuda12_GLOBAL__N_121kernelPointwiseApply2IZN12_GLOBAL__N_117gamma_cuda_kernelIdEEvRKNS_10TensorBaseES7_NS_15PhiloxCudaStateEEUlRdRKdE_ddjLin1ELi1ELi1ELi256ELi2EEEvNS0_6detail10TensorInfoIT0_T2_EENSE_IT1_SG_EESG_T_ ; -- Begin function _ZN2at4cuda12_GLOBAL__N_121kernelPointwiseApply2IZN12_GLOBAL__N_117gamma_cuda_kernelIdEEvRKNS_10TensorBaseES7_NS_15PhiloxCudaStateEEUlRdRKdE_ddjLin1ELi1ELi1ELi256ELi2EEEvNS0_6detail10TensorInfoIT0_T2_EENSE_IT1_SG_EESG_T_
	.p2align	8
	.type	_ZN2at4cuda12_GLOBAL__N_121kernelPointwiseApply2IZN12_GLOBAL__N_117gamma_cuda_kernelIdEEvRKNS_10TensorBaseES7_NS_15PhiloxCudaStateEEUlRdRKdE_ddjLin1ELi1ELi1ELi256ELi2EEEvNS0_6detail10TensorInfoIT0_T2_EENSE_IT1_SG_EESG_T_,@function
_ZN2at4cuda12_GLOBAL__N_121kernelPointwiseApply2IZN12_GLOBAL__N_117gamma_cuda_kernelIdEEvRKNS_10TensorBaseES7_NS_15PhiloxCudaStateEEUlRdRKdE_ddjLin1ELi1ELi1ELi256ELi2EEEvNS0_6detail10TensorInfoIT0_T2_EENSE_IT1_SG_EESG_T_: ; @_ZN2at4cuda12_GLOBAL__N_121kernelPointwiseApply2IZN12_GLOBAL__N_117gamma_cuda_kernelIdEEvRKNS_10TensorBaseES7_NS_15PhiloxCudaStateEEUlRdRKdE_ddjLin1ELi1ELi1ELi256ELi2EEEvNS0_6detail10TensorInfoIT0_T2_EENSE_IT1_SG_EESG_T_
; %bb.0:
	s_load_dword s2, s[4:5], 0x1e4
	s_load_dword s33, s[4:5], 0x1b0
	s_add_u32 s0, s4, 0x1d8
	s_addc_u32 s1, s5, 0
	s_waitcnt lgkmcnt(0)
	s_and_b32 s2, s2, 0xffff
	s_mul_i32 s6, s6, s2
	v_add_u32_e32 v2, s6, v0
	v_cmp_gt_u32_e32 vcc, s33, v2
	s_and_saveexec_b64 s[6:7], vcc
	s_cbranch_execz .LBB115_36
; %bb.1:
	s_load_dword s84, s[4:5], 0x144
	s_load_dwordx4 s[12:15], s[4:5], 0x1b8
	s_load_dwordx2 s[10:11], s[4:5], 0xd8
	s_load_dword s3, s[4:5], 0xd0
	s_load_dword s87, s[0:1], 0x0
	s_load_dwordx2 s[16:17], s[4:5], 0x1c8
	s_load_dword s6, s[4:5], 0x1d0
	s_load_dword s7, s[4:5], 0x6c
	s_waitcnt lgkmcnt(0)
	s_cmp_gt_i32 s3, 1
                                        ; implicit-def: $vgpr116 : SGPR spill to VGPR lane
                                        ; kill: killed $sgpr0 killed $sgpr1
	s_cselect_b64 s[0:1], -1, 0
	s_mul_i32 s87, s87, s2
	s_bitcmp1_b32 s6, 0
	v_writelane_b32 v116, s7, 0
	s_cselect_b64 s[6:7], -1, 0
	s_add_i32 s88, s3, 1
	s_add_i32 s2, s3, -1
	s_mov_b32 s3, 0
	s_load_dwordx2 s[18:19], s[4:5], 0x0
	s_lshl_b64 s[2:3], s[2:3], 2
	s_add_u32 s2, s2, s4
	s_mov_b32 s86, 0xcd9e8d57
	s_addc_u32 s3, s3, s5
	v_cndmask_b32_e64 v0, 0, 1, s[0:1]
	v_mad_u64_u32 v[20:21], s[8:9], v2, s86, 0
	s_add_u32 s20, s2, 8
	v_cmp_ne_u32_e64 s[0:1], 1, v0
	v_cndmask_b32_e64 v0, 0, 1, s[6:7]
	s_mov_b32 s24, 0x55555555
	s_mov_b32 s28, 0x9b27acf1
	;; [unrolled: 1-line block ×6, first 2 shown]
	s_brev_b32 s56, 6
	s_mov_b32 s58, 0
	s_mov_b32 s60, 0
	s_mov_b32 s62, -2.0
	s_mov_b32 s64, 0x6b47b09a
	s_mov_b32 s66, 0xbf559e2b
	s_mov_b32 s68, 0xd7f4df2e
	s_mov_b32 s70, 0x16291751
	s_mov_b32 s74, 0
	v_mov_b32_e32 v22, 0
	v_mov_b32_e32 v24, v21
	s_addc_u32 s21, s3, 0
	s_mov_b64 s[22:23], 0
	v_mov_b32_e32 v21, s11
	v_cmp_ne_u32_e64 s[2:3], 1, v0
	s_mov_b32 s11, 0xd2511f53
	s_mov_b32 s25, 0x3fe55555
	;; [unrolled: 1-line block ×7, first 2 shown]
	s_movk_i32 s90, 0x204
	s_mov_b32 s43, 0x7ff00000
	s_mov_b32 s47, 0xbfe62e42
	;; [unrolled: 1-line block ×4, first 2 shown]
	v_mov_b32_e32 v25, 0x260
	s_mov_b32 s91, 0x3c6ef372
	s_mov_b32 s92, 0x76cf5d0a
	;; [unrolled: 1-line block ×18, first 2 shown]
	v_mov_b32_e32 v72, 0x3ff00000
	v_mov_b32_e32 v26, 0x968915a9
	;; [unrolled: 1-line block ×43, first 2 shown]
	s_mov_b32 s89, 0xdb3d7428
	s_mov_b32 s59, 0x40220000
	s_brev_b32 s61, 8
	s_mov_b32 s63, 0xbfa0f27b
	s_mov_b32 s65, 0x3fc38538
	;; [unrolled: 1-line block ×7, first 2 shown]
	s_branch .LBB115_4
.LBB115_2:                              ;   in Loop: Header=BB115_4 Depth=1
	s_or_b64 exec, exec, s[8:9]
.LBB115_3:                              ;   in Loop: Header=BB115_4 Depth=1
	s_or_b64 exec, exec, s[6:7]
	v_lshlrev_b64 v[0:1], 3, v[60:61]
	s_waitcnt lgkmcnt(0)
	v_mov_b32_e32 v3, s19
	v_add_co_u32_e32 v0, vcc, s18, v0
	v_addc_co_u32_e32 v1, vcc, v3, v1, vcc
	v_cmp_ngt_f64_e32 vcc, s[74:75], v[68:69]
	v_add_u32_e32 v80, s87, v80
	v_cndmask_b32_e32 v5, v79, v69, vcc
	v_cndmask_b32_e32 v4, 0, v68, vcc
	v_cmp_le_u32_e32 vcc, s33, v80
	s_or_b64 s[22:23], vcc, s[22:23]
	global_store_dwordx2 v[0:1], v[4:5], off
	s_andn2_b64 exec, exec, s[22:23]
	s_cbranch_execz .LBB115_36
.LBB115_4:                              ; =>This Loop Header: Depth=1
                                        ;     Child Loop BB115_7 Depth 2
                                        ;     Child Loop BB115_20 Depth 2
                                        ;       Child Loop BB115_23 Depth 3
	v_sub_u32_e32 v0, s33, v80
	v_cmp_lt_i32_e64 s[4:5], 0, v0
	v_pk_mov_b32 v[60:61], 0, 0
	s_and_saveexec_b64 s[6:7], s[4:5]
	s_cbranch_execz .LBB115_9
; %bb.5:                                ;   in Loop: Header=BB115_4 Depth=1
	s_and_b64 vcc, exec, s[0:1]
	v_mov_b32_e32 v0, 0
	v_mov_b32_e32 v3, v80
	s_cbranch_vccnz .LBB115_8
; %bb.6:                                ;   in Loop: Header=BB115_4 Depth=1
	v_mov_b32_e32 v0, 0
	s_mov_b64 s[8:9], s[20:21]
	s_mov_b32 s38, s88
	v_mov_b32_e32 v3, v80
.LBB115_7:                              ;   Parent Loop BB115_4 Depth=1
                                        ; =>  This Inner Loop Header: Depth=2
	s_load_dword s46, s[8:9], 0x0
	s_load_dword s48, s[8:9], 0x64
	v_mov_b32_e32 v1, v3
	s_add_i32 s38, s38, -1
	s_waitcnt lgkmcnt(0)
	v_cvt_f32_u32_e32 v3, s46
	s_sub_i32 s73, 0, s46
	s_add_u32 s8, s8, -4
	s_addc_u32 s9, s9, -1
	v_rcp_iflag_f32_e32 v3, v3
	s_cmp_gt_u32 s38, 2
	v_mul_f32_e32 v3, 0x4f7ffffe, v3
	v_cvt_u32_f32_e32 v3, v3
	v_mul_lo_u32 v4, s73, v3
	v_mul_hi_u32 v4, v3, v4
	v_add_u32_e32 v3, v3, v4
	v_mul_hi_u32 v3, v1, v3
	v_mul_lo_u32 v4, v3, s46
	v_sub_u32_e32 v4, v1, v4
	v_add_u32_e32 v5, 1, v3
	v_subrev_u32_e32 v6, s46, v4
	v_cmp_le_u32_e32 vcc, s46, v4
	v_cndmask_b32_e32 v3, v3, v5, vcc
	v_cndmask_b32_e32 v4, v4, v6, vcc
	v_add_u32_e32 v5, 1, v3
	v_cmp_le_u32_e32 vcc, s46, v4
	v_cndmask_b32_e32 v3, v3, v5, vcc
	v_mul_lo_u32 v4, v3, s46
	v_sub_u32_e32 v1, v1, v4
	v_mad_u64_u32 v[0:1], s[76:77], s48, v1, v[0:1]
	s_cbranch_scc1 .LBB115_7
.LBB115_8:                              ;   in Loop: Header=BB115_4 Depth=1
	v_readlane_b32 s8, v116, 0
	v_mad_u64_u32 v[60:61], s[8:9], s8, v3, v[0:1]
	v_mov_b32_e32 v61, v22
.LBB115_9:                              ;   in Loop: Header=BB115_4 Depth=1
	s_or_b64 exec, exec, s[6:7]
	v_mul_lo_u32 v0, v80, s84
	v_cndmask_b32_e64 v0, 0, v0, s[4:5]
	v_mov_b32_e32 v1, v22
	v_lshlrev_b64 v[0:1], 3, v[0:1]
	v_add_co_u32_e32 v0, vcc, s10, v0
	v_addc_co_u32_e32 v1, vcc, v21, v1, vcc
	global_load_dwordx2 v[16:17], v[0:1], off
	s_and_b64 vcc, exec, s[2:3]
	v_pk_mov_b32 v[0:1], s[14:15], s[14:15] op_sel:[0,1]
	v_pk_mov_b32 v[62:63], s[12:13], s[12:13] op_sel:[0,1]
	s_cbranch_vccnz .LBB115_11
; %bb.10:                               ;   in Loop: Header=BB115_4 Depth=1
	v_pk_mov_b32 v[0:1], s[14:15], s[14:15] op_sel:[0,1]
	flat_load_dwordx2 v[0:1], v[0:1]
	v_pk_mov_b32 v[4:5], s[12:13], s[12:13] op_sel:[0,1]
	flat_load_dwordx2 v[62:63], v[4:5]
	v_mov_b32_e32 v3, s17
	s_waitcnt vmcnt(0) lgkmcnt(0)
	v_add_co_u32_e32 v0, vcc, s16, v0
	v_addc_co_u32_e32 v1, vcc, v1, v3, vcc
.LBB115_11:                             ;   in Loop: Header=BB115_4 Depth=1
	v_and_b32_e32 v70, 3, v0
	v_alignbit_b32 v0, v1, v0, 2
	v_mad_u64_u32 v[6:7], s[4:5], v0, s11, 0
	v_lshrrev_b32_e32 v1, 2, v1
	v_xor_b32_e32 v5, v7, v63
	v_xor_b32_e32 v7, v24, v62
	v_mov_b32_e32 v4, v63
	v_xor_b32_e32 v7, v7, v1
	v_add_co_u32_e32 v23, vcc, s51, v4
	v_mad_u64_u32 v[8:9], s[4:5], v7, s11, 0
	v_mad_u64_u32 v[10:11], s[4:5], v5, s86, 0
	v_add_co_u32_e32 v68, vcc, 0x9e3779b9, v62
	v_xor_b32_e32 v5, v20, v11
	v_xor_b32_e32 v7, v23, v9
	v_xor_b32_e32 v5, v5, v68
	v_xor_b32_e32 v9, v7, v6
	v_add_co_u32_e32 v71, vcc, s91, v62
	v_add_co_u32_e32 v69, vcc, s92, v4
	v_mad_u64_u32 v[6:7], s[4:5], v5, s11, 0
	v_mad_u64_u32 v[12:13], s[4:5], v9, s86, 0
	v_xor_b32_e32 v5, v71, v13
	v_xor_b32_e32 v7, v69, v7
	v_xor_b32_e32 v5, v5, v10
	v_xor_b32_e32 v7, v7, v8
	v_add_co_u32_e32 v84, vcc, s52, v62
	v_add_co_u32_e32 v83, vcc, s93, v4
	v_mad_u64_u32 v[8:9], s[4:5], v5, s11, 0
	v_mad_u64_u32 v[10:11], s[4:5], v7, s86, 0
	v_xor_b32_e32 v5, v84, v11
	v_xor_b32_e32 v7, v83, v9
	v_xor_b32_e32 v5, v5, v12
	v_xor_b32_e32 v9, v7, v6
	v_add_co_u32_e32 v86, vcc, s94, v62
	v_add_co_u32_e32 v85, vcc, s53, v4
	v_mad_u64_u32 v[6:7], s[4:5], v5, s11, 0
	v_mad_u64_u32 v[12:13], s[4:5], v9, s86, 0
	v_xor_b32_e32 v5, v86, v13
	v_xor_b32_e32 v7, v85, v7
	v_xor_b32_e32 v5, v5, v10
	v_xor_b32_e32 v7, v7, v8
	v_add_co_u32_e32 v88, vcc, s95, v62
	v_add_co_u32_e32 v87, vcc, s54, v4
	v_mad_u64_u32 v[8:9], s[4:5], v5, s11, 0
	v_mad_u64_u32 v[10:11], s[4:5], v7, s86, 0
	v_xor_b32_e32 v5, v88, v11
	v_xor_b32_e32 v7, v87, v9
	v_xor_b32_e32 v5, v5, v12
	v_xor_b32_e32 v9, v7, v6
	v_add_co_u32_e32 v90, vcc, s55, v62
	v_add_co_u32_e32 v89, vcc, s26, v4
	v_mad_u64_u32 v[6:7], s[4:5], v5, s11, 0
	v_mad_u64_u32 v[12:13], s[4:5], v9, s86, 0
	v_xor_b32_e32 v5, v90, v13
	v_xor_b32_e32 v7, v89, v7
	v_xor_b32_e32 v5, v5, v10
	v_xor_b32_e32 v7, v7, v8
	v_add_co_u32_e32 v92, vcc, s27, v62
	v_add_co_u32_e32 v91, vcc, s40, v4
	v_mad_u64_u32 v[8:9], s[4:5], v5, s11, 0
	v_mad_u64_u32 v[10:11], s[4:5], v7, s86, 0
	v_xor_b32_e32 v5, v92, v11
	v_xor_b32_e32 v7, v91, v9
	v_xor_b32_e32 v5, v5, v12
	v_xor_b32_e32 v6, v7, v6
	v_add_co_u32_e32 v94, vcc, s85, v62
	v_add_co_u32_e32 v93, vcc, s89, v4
	v_mad_u64_u32 v[4:5], s[4:5], v5, s11, 0
	v_mad_u64_u32 v[6:7], s[4:5], v6, s86, 0
	v_xor_b32_e32 v7, v94, v7
	v_xor_b32_e32 v5, v93, v5
	;; [unrolled: 1-line block ×4, first 2 shown]
	v_mad_u64_u32 v[18:19], s[4:5], v7, s11, 0
	v_mad_u64_u32 v[64:65], s[4:5], v5, s86, 0
	v_mov_b32_e32 v3, v22
	v_add_u32_e32 v81, 0x8ff34781, v62
	v_add_u32_e32 v82, 0x96a522ad, v63
	v_xor_b32_e32 v5, v65, v6
	v_xor_b32_e32 v4, v19, v4
	;; [unrolled: 1-line block ×4, first 2 shown]
	v_mov_b32_e32 v66, 0
	v_pk_mov_b32 v[6:7], v[2:3], v[2:3] op_sel:[0,1]
	v_mov_b32_e32 v9, v64
	v_mov_b32_e32 v11, v18
	s_waitcnt vmcnt(0)
	v_cmp_gt_f64_e32 vcc, 1.0, v[16:17]
	s_mov_b64 s[4:5], -1
	v_mov_b32_e32 v67, 0x3ff00000
	v_pk_mov_b32 v[4:5], v[0:1], v[0:1] op_sel:[0,1]
                                        ; implicit-def: $sgpr76_sgpr77
	s_and_saveexec_b64 s[78:79], vcc
	s_cbranch_execz .LBB115_17
; %bb.12:                               ;   in Loop: Header=BB115_4 Depth=1
	v_mov_b32_e32 v66, 0
	v_cmp_neq_f64_e32 vcc, 0, v[16:17]
	s_mov_b64 s[76:77], 0
	v_mov_b32_e32 v67, 0x3ff00000
	s_mov_b64 s[82:83], 0
                                        ; implicit-def: $vgpr4_vgpr5_vgpr6_vgpr7
	s_and_saveexec_b64 s[80:81], vcc
	s_cbranch_execz .LBB115_16
; %bb.13:                               ;   in Loop: Header=BB115_4 Depth=1
	v_add_u32_e32 v65, 1, v70
	v_pk_mov_b32 v[14:15], v[10:11], v[10:11] op_sel:[0,1]
	v_pk_mov_b32 v[6:7], v[2:3], v[2:3] op_sel:[0,1]
	v_cmp_eq_u32_e32 vcc, 4, v65
	v_pk_mov_b32 v[12:13], v[8:9], v[8:9] op_sel:[0,1]
	v_pk_mov_b32 v[4:5], v[0:1], v[0:1] op_sel:[0,1]
	s_and_saveexec_b64 s[4:5], vcc
	s_cbranch_execz .LBB115_15
; %bb.14:                               ;   in Loop: Header=BB115_4 Depth=1
	v_add_co_u32_e32 v4, vcc, 1, v0
	v_cndmask_b32_e64 v0, 0, 1, vcc
	v_addc_co_u32_e32 v5, vcc, 0, v1, vcc
	v_cmp_eq_u32_e32 vcc, 0, v5
	v_cndmask_b32_e32 v0, 0, v0, vcc
	v_add_u32_e32 v6, v0, v2
	v_cmp_eq_u32_e32 vcc, 0, v6
	v_cndmask_b32_e32 v7, 0, v0, vcc
	v_mad_u64_u32 v[0:1], s[6:7], v4, s11, 0
	v_mad_u64_u32 v[12:13], s[6:7], v6, s86, 0
	v_xor_b32_e32 v3, v13, v62
	v_xor_b32_e32 v1, v1, v63
	v_xor_b32_e32 v3, v5, v3
	v_xor_b32_e32 v1, v7, v1
	v_mad_u64_u32 v[14:15], s[6:7], v3, s11, 0
	v_mad_u64_u32 v[66:67], s[6:7], v1, s86, 0
	v_xor_b32_e32 v1, v68, v67
	v_xor_b32_e32 v3, v23, v15
	v_xor_b32_e32 v1, v1, v12
	v_xor_b32_e32 v3, v3, v0
	;; [unrolled: 6-line block ×9, first 2 shown]
	v_mad_u64_u32 v[66:67], s[6:7], v3, s11, 0
	v_mad_u64_u32 v[68:69], s[6:7], v1, s86, 0
	v_xor_b32_e32 v1, v69, v12
	v_xor_b32_e32 v0, v67, v0
	v_mov_b32_e32 v65, 0
	v_xor_b32_e32 v12, v81, v1
	v_xor_b32_e32 v14, v82, v0
	v_mov_b32_e32 v13, v68
	v_mov_b32_e32 v15, v66
.LBB115_15:                             ;   in Loop: Header=BB115_4 Depth=1
	s_or_b64 exec, exec, s[4:5]
	v_cmp_eq_u32_e32 vcc, 1, v70
	v_cndmask_b32_e32 v0, v8, v64, vcc
	v_cmp_eq_u32_e32 vcc, 2, v70
	v_cndmask_b32_e32 v0, v0, v10, vcc
	;; [unrolled: 2-line block ×3, first 2 shown]
	v_cvt_f32_u32_e32 v3, v0
	v_div_scale_f64 v[0:1], s[4:5], v[16:17], v[16:17], 1.0
	v_rcp_f64_e32 v[8:9], v[0:1]
	v_mov_b32_e32 v10, 0x2f800000
	v_fmac_f32_e32 v10, 0x2f800000, v3
	v_cvt_f64_f32_e32 v[10:11], v10
	v_fma_f64 v[18:19], -v[0:1], v[8:9], 1.0
	v_fmac_f64_e32 v[8:9], v[8:9], v[18:19]
	v_fma_f64 v[18:19], -v[0:1], v[8:9], 1.0
	v_fmac_f64_e32 v[8:9], v[8:9], v[18:19]
	v_div_scale_f64 v[18:19], vcc, 1.0, v[16:17], 1.0
	v_mul_f64 v[66:67], v[18:19], v[8:9]
	v_fma_f64 v[0:1], -v[0:1], v[66:67], v[18:19]
	v_add_f64 v[10:11], -v[10:11], 1.0
	s_nop 0
	v_div_fmas_f64 v[0:1], v[0:1], v[8:9], v[66:67]
	v_div_fixup_f64 v[18:19], v[0:1], v[16:17], 1.0
	v_cmp_eq_f64_e32 vcc, 1.0, v[10:11]
	v_cndmask_b32_e32 v1, v19, v72, vcc
	v_cndmask_b32_e64 v0, v18, 0, vcc
	v_cmp_eq_f64_e64 s[4:5], 0, v[0:1]
	v_and_b32_e32 v3, 0x7fffffff, v11
	v_cndmask_b32_e64 v9, v11, v72, s[4:5]
	v_cndmask_b32_e64 v8, v10, 0, s[4:5]
	;; [unrolled: 1-line block ×4, first 2 shown]
	v_frexp_mant_f64_e32 v[66:67], v[10:11]
	v_cmp_gt_f64_e64 s[4:5], s[24:25], v[66:67]
	v_cndmask_b32_e64 v23, v72, 2.0, s[4:5]
	v_mul_f64 v[66:67], v[66:67], v[22:23]
	v_add_f64 v[68:69], v[66:67], 1.0
	v_rcp_f64_e32 v[70:71], v[68:69]
	v_add_f64 v[86:87], v[68:69], -1.0
	v_add_f64 v[84:85], v[66:67], -1.0
	v_add_f64 v[66:67], v[66:67], -v[86:87]
	v_fma_f64 v[86:87], -v[68:69], v[70:71], 1.0
	v_fmac_f64_e32 v[70:71], v[86:87], v[70:71]
	v_fma_f64 v[86:87], -v[68:69], v[70:71], 1.0
	v_fmac_f64_e32 v[70:71], v[86:87], v[70:71]
	v_mul_f64 v[86:87], v[84:85], v[70:71]
	v_mul_f64 v[88:89], v[68:69], v[86:87]
	v_fma_f64 v[68:69], v[86:87], v[68:69], -v[88:89]
	v_fmac_f64_e32 v[68:69], v[86:87], v[66:67]
	v_add_f64 v[66:67], v[88:89], v[68:69]
	v_add_f64 v[90:91], v[84:85], -v[66:67]
	v_add_f64 v[88:89], v[66:67], -v[88:89]
	;; [unrolled: 1-line block ×5, first 2 shown]
	v_add_f64 v[66:67], v[68:69], v[66:67]
	v_add_f64 v[66:67], v[90:91], v[66:67]
	v_mul_f64 v[66:67], v[70:71], v[66:67]
	v_add_f64 v[68:69], v[86:87], v[66:67]
	v_add_f64 v[70:71], v[68:69], -v[86:87]
	v_add_f64 v[66:67], v[66:67], -v[70:71]
	v_mul_f64 v[70:71], v[68:69], v[68:69]
	v_fma_f64 v[84:85], v[68:69], v[68:69], -v[70:71]
	v_add_f64 v[86:87], v[66:67], v[66:67]
	v_frexp_exp_i32_f64_e32 v3, v[10:11]
	v_fmac_f64_e32 v[84:85], v[68:69], v[86:87]
	v_subbrev_co_u32_e64 v3, s[4:5], 0, v3, s[4:5]
	v_add_f64 v[86:87], v[70:71], v[84:85]
	v_add_f64 v[70:71], v[86:87], -v[70:71]
	s_mov_b32 s4, 0x4222de17
	v_add_f64 v[70:71], v[84:85], -v[70:71]
	v_pk_mov_b32 v[84:85], v[26:27], v[26:27] op_sel:[0,1]
	s_mov_b32 s5, 0x3fbdee67
	v_fmac_f64_e32 v[84:85], s[4:5], v[86:87]
	v_pk_mov_b32 v[88:89], v[28:29], v[28:29] op_sel:[0,1]
	v_fmac_f64_e32 v[88:89], v[86:87], v[84:85]
	v_pk_mov_b32 v[84:85], v[30:31], v[30:31] op_sel:[0,1]
	;; [unrolled: 2-line block ×7, first 2 shown]
	v_fmac_f64_e32 v[88:89], v[86:87], v[84:85]
	v_cvt_f64_i32_e32 v[84:85], v3
	v_mul_f64 v[90:91], v[84:85], s[34:35]
	v_mul_f64 v[96:97], v[68:69], v[86:87]
	v_fma_f64 v[92:93], v[84:85], s[34:35], -v[90:91]
	v_fma_f64 v[98:99], v[86:87], v[68:69], -v[96:97]
	v_fmac_f64_e32 v[92:93], s[36:37], v[84:85]
	v_fmac_f64_e32 v[98:99], v[86:87], v[66:67]
	v_add_f64 v[84:85], v[90:91], v[92:93]
	v_fmac_f64_e32 v[98:99], v[70:71], v[68:69]
	v_add_f64 v[90:91], v[84:85], -v[90:91]
	v_ldexp_f64 v[94:95], v[66:67], 1
	v_add_f64 v[66:67], v[96:97], v[98:99]
	v_add_f64 v[90:91], v[92:93], -v[90:91]
	v_ldexp_f64 v[92:93], v[68:69], 1
	v_add_f64 v[68:69], v[66:67], -v[96:97]
	v_mul_f64 v[96:97], v[86:87], v[88:89]
	v_fma_f64 v[86:87], v[86:87], v[88:89], -v[96:97]
	v_fmac_f64_e32 v[86:87], v[70:71], v[88:89]
	v_add_f64 v[70:71], v[96:97], v[86:87]
	v_add_f64 v[88:89], v[70:71], -v[96:97]
	v_add_f64 v[86:87], v[86:87], -v[88:89]
	v_add_f64 v[88:89], v[70:71], s[24:25]
	s_mov_b32 s38, s24
	s_mov_b32 s4, 0xd5df274d
	v_add_f64 v[96:97], v[88:89], s[38:39]
	s_mov_b32 s5, 0x3c8543b0
	v_add_f64 v[70:71], v[70:71], -v[96:97]
	v_add_f64 v[86:87], v[86:87], s[4:5]
	v_add_f64 v[70:71], v[86:87], v[70:71]
	;; [unrolled: 1-line block ×3, first 2 shown]
	v_add_f64 v[88:89], v[88:89], -v[86:87]
	v_add_f64 v[70:71], v[70:71], v[88:89]
	v_mul_f64 v[88:89], v[66:67], v[86:87]
	v_fma_f64 v[96:97], v[66:67], v[86:87], -v[88:89]
	v_add_f64 v[68:69], v[98:99], -v[68:69]
	v_fmac_f64_e32 v[96:97], v[66:67], v[70:71]
	v_fmac_f64_e32 v[96:97], v[68:69], v[86:87]
	v_add_f64 v[66:67], v[88:89], v[96:97]
	v_add_f64 v[68:69], v[66:67], -v[88:89]
	v_add_f64 v[70:71], v[92:93], v[66:67]
	v_add_f64 v[68:69], v[96:97], -v[68:69]
	v_add_f64 v[86:87], v[70:71], -v[92:93]
	v_add_f64 v[66:67], v[66:67], -v[86:87]
	v_add_f64 v[68:69], v[94:95], v[68:69]
	v_add_f64 v[66:67], v[68:69], v[66:67]
	;; [unrolled: 1-line block ×3, first 2 shown]
	v_add_f64 v[70:71], v[68:69], -v[70:71]
	v_add_f64 v[66:67], v[66:67], -v[70:71]
	v_add_f64 v[70:71], v[84:85], v[68:69]
	v_add_f64 v[86:87], v[70:71], -v[84:85]
	v_add_f64 v[88:89], v[70:71], -v[86:87]
	;; [unrolled: 1-line block ×4, first 2 shown]
	v_add_f64 v[68:69], v[68:69], v[84:85]
	v_add_f64 v[84:85], v[90:91], v[66:67]
	v_add_f64 v[86:87], v[84:85], -v[90:91]
	v_add_f64 v[68:69], v[84:85], v[68:69]
	v_add_f64 v[88:89], v[84:85], -v[86:87]
	v_add_f64 v[84:85], v[70:71], v[68:69]
	v_add_f64 v[88:89], v[90:91], -v[88:89]
	v_add_f64 v[66:67], v[66:67], -v[86:87]
	v_add_f64 v[70:71], v[84:85], -v[70:71]
	v_add_f64 v[66:67], v[66:67], v[88:89]
	v_add_f64 v[68:69], v[68:69], -v[70:71]
	v_add_f64 v[66:67], v[66:67], v[68:69]
	v_add_f64 v[68:69], v[84:85], v[66:67]
	v_add_f64 v[70:71], v[68:69], -v[84:85]
	v_add_f64 v[66:67], v[66:67], -v[70:71]
	v_mul_f64 v[70:71], v[0:1], v[68:69]
	v_fma_f64 v[68:69], v[0:1], v[68:69], -v[70:71]
	v_fmac_f64_e32 v[68:69], v[0:1], v[66:67]
	v_add_f64 v[66:67], v[70:71], v[68:69]
	v_cmp_class_f64_e64 s[4:5], v[70:71], s90
	v_add_f64 v[84:85], v[66:67], -v[70:71]
	v_cndmask_b32_e64 v67, v67, v71, s[4:5]
	v_cndmask_b32_e64 v66, v66, v70, s[4:5]
	v_add_f64 v[68:69], v[68:69], -v[84:85]
	v_cmp_neq_f64_e64 s[4:5], |v[66:67]|, s[42:43]
	v_cndmask_b32_e64 v69, 0, v69, s[4:5]
	v_cndmask_b32_e64 v68, 0, v68, s[4:5]
	s_mov_b32 s4, 0x652b82fe
	s_mov_b32 s5, 0x3ff71547
	v_mul_f64 v[70:71], v[66:67], s[4:5]
	v_rndne_f64_e32 v[70:71], v[70:71]
	s_mov_b32 s46, s34
	v_fma_f64 v[84:85], s[46:47], v[70:71], v[66:67]
	s_mov_b32 s48, s36
	s_mov_b32 s4, 0x6a5dcb37
	v_fmac_f64_e32 v[84:85], s[48:49], v[70:71]
	v_pk_mov_b32 v[86:87], v[42:43], v[42:43] op_sel:[0,1]
	s_mov_b32 s5, 0x3e5ade15
	v_fmac_f64_e32 v[86:87], s[4:5], v[84:85]
	v_pk_mov_b32 v[88:89], v[44:45], v[44:45] op_sel:[0,1]
	v_fmac_f64_e32 v[88:89], v[84:85], v[86:87]
	v_pk_mov_b32 v[86:87], v[46:47], v[46:47] op_sel:[0,1]
	;; [unrolled: 2-line block ×8, first 2 shown]
	v_fmac_f64_e32 v[86:87], v[84:85], v[88:89]
	v_fma_f64 v[86:87], v[84:85], v[86:87], 1.0
	s_mov_b32 s4, 0
	v_fma_f64 v[84:85], v[84:85], v[86:87], 1.0
	v_cvt_i32_f64_e32 v3, v[70:71]
	s_mov_b32 s5, 0x40900000
	s_mov_b32 s6, 0
	v_ldexp_f64 v[70:71], v[84:85], v3
	v_cmp_lt_f64_e64 s[4:5], s[4:5], v[66:67]
	s_mov_b32 s7, 0xc090cc00
	v_cndmask_b32_e64 v3, v70, 0, s[4:5]
	v_cndmask_b32_e64 v23, v71, v73, s[4:5]
	v_cmp_ngt_f64_e64 s[6:7], s[6:7], v[66:67]
	v_and_b32_e32 v71, 0x7fffffff, v71
	v_cndmask_b32_e64 v67, 0, v23, s[6:7]
	v_cndmask_b32_e64 v66, 0, v3, s[6:7]
	v_cmp_eq_f64_e64 s[8:9], s[42:43], v[70:71]
	v_pk_mov_b32 v[84:85], v[66:67], v[66:67] op_sel:[0,1]
	s_or_b64 s[4:5], s[4:5], s[8:9]
	v_fmac_f64_e32 v[84:85], v[84:85], v[68:69]
	s_and_b64 s[4:5], s[6:7], s[4:5]
	v_cndmask_b32_e64 v3, v84, v66, s[4:5]
	v_cndmask_b32_e64 v23, v85, v67, s[4:5]
	v_trunc_f64_e32 v[66:67], v[0:1]
	v_cmp_eq_f64_e64 s[4:5], v[66:67], v[0:1]
	v_mul_f64 v[66:67], v[0:1], 0.5
	v_trunc_f64_e32 v[68:69], v[66:67]
	v_cmp_neq_f64_e64 s[6:7], v[68:69], v[66:67]
	s_and_b64 s[6:7], s[4:5], s[6:7]
	v_cndmask_b32_e64 v64, v72, v9, s[6:7]
	s_brev_b32 s38, -2
	v_bfi_b32 v23, s38, v23, v64
	v_and_b32_e32 v19, 0x7fffffff, v19
	v_cndmask_b32_e64 v64, v74, v23, s[4:5]
	v_cndmask_b32_e64 v66, 0, v3, s[4:5]
	v_cmp_gt_f64_e64 s[4:5], 0, v[8:9]
	v_cndmask_b32_e32 v19, v19, v72, vcc
	v_cndmask_b32_e64 v18, v18, 0, vcc
	v_cndmask_b32_e64 v3, v3, v66, s[4:5]
	v_cndmask_b32_e64 v23, v23, v64, s[4:5]
	v_cmp_neq_f64_e32 vcc, v[0:1], v[18:19]
	v_cmp_gt_f64_e64 s[4:5], 1.0, v[10:11]
	s_xor_b64 s[4:5], vcc, s[4:5]
	v_cndmask_b32_e64 v64, v19, 0, s[4:5]
	v_cndmask_b32_e64 v66, v18, 0, s[4:5]
	v_cmp_eq_f64_e32 vcc, 1.0, v[10:11]
	v_cmp_eq_f64_e64 s[4:5], 0, v[8:9]
	v_cmp_gt_f64_e64 s[8:9], 0, v[0:1]
	v_cndmask_b32_e32 v66, v66, v10, vcc
	v_cndmask_b32_e32 v64, v64, v11, vcc
	v_cmp_eq_f64_e32 vcc, s[42:43], v[18:19]
	s_xor_b64 s[8:9], s[8:9], s[4:5]
	v_cndmask_b32_e32 v18, v23, v64, vcc
	v_cndmask_b32_e32 v3, v3, v66, vcc
	v_cmp_eq_f64_e32 vcc, s[42:43], v[10:11]
	v_cndmask_b32_e64 v0, v73, 0, s[8:9]
	v_cndmask_b32_e64 v1, 0, v9, s[6:7]
	v_bfi_b32 v0, s38, v0, v1
	s_or_b64 vcc, vcc, s[4:5]
	v_pk_mov_b32 v[8:9], v[12:13], v[12:13] op_sel:[0,1]
	s_mov_b64 s[82:83], exec
	v_cndmask_b32_e64 v66, v3, 0, vcc
	v_cndmask_b32_e32 v67, v18, v0, vcc
	v_add_f64 v[16:17], v[16:17], 1.0
	v_pk_mov_b32 v[10:11], v[14:15], v[14:15] op_sel:[0,1]
	v_mov_b32_e32 v70, v65
.LBB115_16:                             ;   in Loop: Header=BB115_4 Depth=1
	s_or_b64 exec, exec, s[80:81]
	s_orn2_b64 s[4:5], s[82:83], exec
.LBB115_17:                             ;   in Loop: Header=BB115_4 Depth=1
	s_or_b64 exec, exec, s[78:79]
	v_pk_mov_b32 v[68:69], s[76:77], s[76:77] op_sel:[0,1]
	s_and_saveexec_b64 s[6:7], s[4:5]
	s_cbranch_execz .LBB115_3
; %bb.18:                               ;   in Loop: Header=BB115_4 Depth=1
	v_add_f64 v[0:1], v[16:17], s[56:57]
	v_mul_f64 v[12:13], v[0:1], s[58:59]
	v_cmp_gt_f64_e32 vcc, s[60:61], v[12:13]
	v_cndmask_b32_e64 v3, 0, 1, vcc
	v_lshlrev_b32_e32 v3, 8, v3
	v_ldexp_f64 v[12:13], v[12:13], v3
	v_rsq_f64_e32 v[14:15], v[12:13]
	v_cndmask_b32_e32 v3, 0, v75, vcc
	v_cmp_class_f64_e32 vcc, v[12:13], v25
	v_mov_b32_e32 v98, 0
	v_mul_f64 v[16:17], v[12:13], v[14:15]
	v_mul_f64 v[14:15], v[14:15], 0.5
	v_fma_f64 v[18:19], -v[14:15], v[16:17], 0.5
	v_fmac_f64_e32 v[16:17], v[16:17], v[18:19]
	v_fmac_f64_e32 v[14:15], v[14:15], v[18:19]
	v_fma_f64 v[18:19], -v[16:17], v[16:17], v[12:13]
	v_fmac_f64_e32 v[16:17], v[18:19], v[14:15]
	v_fma_f64 v[18:19], -v[16:17], v[16:17], v[12:13]
	v_fmac_f64_e32 v[16:17], v[18:19], v[14:15]
	v_ldexp_f64 v[14:15], v[16:17], v3
	v_cndmask_b32_e32 v13, v15, v13, vcc
	v_cndmask_b32_e32 v12, v14, v12, vcc
	v_div_scale_f64 v[14:15], s[4:5], v[12:13], v[12:13], 1.0
	v_rcp_f64_e32 v[16:17], v[14:15]
	v_mul_f64 v[66:67], v[66:67], v[0:1]
	v_add_u32_e32 v3, 0x9e3779b9, v62
	v_add_u32_e32 v83, 0xbb67ae85, v63
	v_fma_f64 v[18:19], -v[14:15], v[16:17], 1.0
	v_fmac_f64_e32 v[16:17], v[16:17], v[18:19]
	v_fma_f64 v[18:19], -v[14:15], v[16:17], 1.0
	v_fmac_f64_e32 v[16:17], v[16:17], v[18:19]
	v_div_scale_f64 v[18:19], vcc, 1.0, v[12:13], 1.0
	v_mul_f64 v[64:65], v[18:19], v[16:17]
	v_fma_f64 v[14:15], -v[14:15], v[64:65], v[18:19]
	v_add_u32_e32 v84, 0x3c6ef372, v62
	s_nop 0
	v_div_fmas_f64 v[14:15], v[14:15], v[16:17], v[64:65]
	v_div_fixup_f64 v[64:65], v[14:15], v[12:13], 1.0
	v_add_u32_e32 v85, 0x76cf5d0a, v63
	v_add_u32_e32 v86, 0xdaa66d2b, v62
	;; [unrolled: 1-line block ×13, first 2 shown]
	s_mov_b64 s[8:9], 0
                                        ; implicit-def: $vgpr71
                                        ; implicit-def: $vgpr68_vgpr69
	s_branch .LBB115_20
.LBB115_19:                             ;   in Loop: Header=BB115_20 Depth=2
	s_or_b64 exec, exec, s[4:5]
	s_xor_b64 s[4:5], s[76:77], -1
	s_and_b64 s[4:5], exec, s[4:5]
	s_or_b64 s[8:9], s[4:5], s[8:9]
	s_andn2_b64 exec, exec, s[8:9]
	s_cbranch_execz .LBB115_2
.LBB115_20:                             ;   Parent Loop BB115_4 Depth=1
                                        ; =>  This Loop Header: Depth=2
                                        ;       Child Loop BB115_23 Depth 3
	v_pk_mov_b32 v[14:15], v[10:11], v[10:11] op_sel:[0,1]
	s_mov_b64 s[76:77], 0
	v_mov_b32_e32 v23, v70
	v_pk_mov_b32 v[12:13], v[8:9], v[8:9] op_sel:[0,1]
	s_branch .LBB115_23
.LBB115_21:                             ;   in Loop: Header=BB115_23 Depth=3
	s_or_b64 exec, exec, s[4:5]
	v_cmp_eq_u32_e32 vcc, 1, v23
	v_cndmask_b32_e32 v12, v12, v13, vcc
	v_cmp_eq_u32_e32 vcc, 2, v23
	v_cndmask_b32_e32 v12, v12, v14, vcc
	;; [unrolled: 2-line block ×4, first 2 shown]
	v_cvt_f32_u32_e32 v9, v12
	v_cmp_eq_u32_e32 vcc, 2, v70
	v_cndmask_b32_e32 v8, v8, v10, vcc
	v_mov_b32_e32 v10, 0x2f800000
	v_fmac_f32_e32 v10, 0x2f800000, v9
	v_cmp_gt_f32_e32 vcc, s41, v10
	v_cndmask_b32_e32 v9, 1.0, v76, vcc
	v_mul_f32_e32 v9, v10, v9
	v_log_f32_e32 v9, v9
	v_cmp_eq_u32_e64 s[4:5], 3, v70
	v_cndmask_b32_e64 v8, v8, v11, s[4:5]
	v_cvt_f32_u32_e32 v8, v8
	v_mul_f32_e32 v10, 0x3f317217, v9
	v_fma_f32 v11, v9, s44, -v10
	v_fmac_f32_e32 v11, 0x3377d1cf, v9
	v_add_f32_e32 v10, v10, v11
	v_cmp_lt_f32_e64 s[4:5], |v9|, s45
	v_cndmask_b32_e64 v9, v9, v10, s[4:5]
	v_cndmask_b32_e32 v10, 0, v77, vcc
	v_sub_f32_e32 v9, v9, v10
	v_mul_f32_e32 v9, -2.0, v9
	v_mul_f32_e32 v10, 0x4f800000, v9
	v_cmp_gt_f32_e32 vcc, s50, v9
	v_cndmask_b32_e32 v10, v9, v10, vcc
	v_sqrt_f32_e32 v9, v10
	v_mov_b32_e32 v11, 0x30c90fdb
	v_fmac_f32_e32 v11, 0x30c90fdb, v8
	v_mov_b32_e32 v98, 1
	v_add_u32_e32 v8, -1, v9
	v_fma_f32 v12, -v8, v9, v10
	v_cmp_ge_f32_e64 s[4:5], 0, v12
	v_add_u32_e32 v12, 1, v9
	v_cndmask_b32_e64 v8, v9, v8, s[4:5]
	v_fma_f32 v9, -v12, v9, v10
	v_cmp_lt_f32_e64 s[4:5], 0, v9
	v_mul_f32_e32 v9, 0.15915494, v11
	v_cndmask_b32_e64 v12, v8, v12, s[4:5]
	v_sin_f32_e32 v8, v9
	v_cos_f32_e32 v9, v9
	v_mul_f32_e32 v13, 0x37800000, v12
	v_cndmask_b32_e32 v11, v12, v13, vcc
	v_cmp_class_f32_e32 vcc, v10, v25
	v_cndmask_b32_e32 v10, v11, v10, vcc
	v_pk_mov_b32 v[12:13], v[16:17], v[16:17] op_sel:[0,1]
	v_pk_mul_f32 v[70:71], v[10:11], v[8:9] op_sel_hi:[0,1]
	v_pk_mov_b32 v[14:15], v[18:19], v[18:19] op_sel:[0,1]
	v_mov_b32_e32 v23, v99
.LBB115_22:                             ;   in Loop: Header=BB115_23 Depth=3
	s_or_b64 exec, exec, s[78:79]
	v_cvt_f64_f32_e32 v[16:17], v70
	v_fma_f64 v[18:19], v[64:65], v[16:17], 1.0
	v_cmp_nge_f64_e32 vcc, 0, v[18:19]
	s_or_b64 s[76:77], vcc, s[76:77]
	s_andn2_b64 exec, exec, s[76:77]
	s_cbranch_execz .LBB115_28
.LBB115_23:                             ;   Parent Loop BB115_4 Depth=1
                                        ;     Parent Loop BB115_20 Depth=2
                                        ; =>    This Inner Loop Header: Depth=3
	v_cmp_eq_u32_e32 vcc, 0, v98
	v_mov_b32_e32 v98, 0
	v_mov_b32_e32 v70, v71
	s_and_saveexec_b64 s[78:79], vcc
	s_cbranch_execz .LBB115_22
; %bb.24:                               ;   in Loop: Header=BB115_23 Depth=3
	v_add_u32_e32 v70, 1, v23
	v_pk_mov_b32 v[8:9], v[12:13], v[12:13] op_sel:[0,1]
	v_cmp_eq_u32_e32 vcc, 4, v70
	v_pk_mov_b32 v[10:11], v[14:15], v[14:15] op_sel:[0,1]
	s_and_saveexec_b64 s[4:5], vcc
	s_cbranch_execz .LBB115_26
; %bb.25:                               ;   in Loop: Header=BB115_23 Depth=3
	v_add_co_u32_e32 v4, vcc, 1, v4
	v_cndmask_b32_e64 v8, 0, 1, vcc
	v_addc_co_u32_e32 v5, vcc, 0, v5, vcc
	v_cmp_eq_u32_e32 vcc, 0, v5
	v_cndmask_b32_e32 v8, 0, v8, vcc
	v_add_u32_e32 v6, v8, v6
	v_cmp_eq_u32_e32 vcc, 0, v6
	v_cndmask_b32_e32 v8, 0, v8, vcc
	v_add_u32_e32 v7, v8, v7
	v_mad_u64_u32 v[8:9], s[80:81], v4, s11, 0
	v_mad_u64_u32 v[10:11], s[80:81], v6, s86, 0
	v_xor_b32_e32 v11, v11, v62
	v_xor_b32_e32 v9, v9, v63
	v_xor_b32_e32 v11, v5, v11
	v_xor_b32_e32 v9, v7, v9
	v_mad_u64_u32 v[16:17], s[80:81], v11, s11, 0
	v_mad_u64_u32 v[18:19], s[80:81], v9, s86, 0
	v_xor_b32_e32 v9, v19, v10
	v_xor_b32_e32 v8, v17, v8
	v_xor_b32_e32 v9, v3, v9
	v_xor_b32_e32 v10, v83, v8
	;; [unrolled: 6-line block ×9, first 2 shown]
	v_mad_u64_u32 v[16:17], s[80:81], v9, s11, 0
	v_mad_u64_u32 v[18:19], s[80:81], v11, s86, 0
	v_xor_b32_e32 v8, v19, v8
	v_xor_b32_e32 v9, v17, v10
	v_mov_b32_e32 v70, 0
	v_xor_b32_e32 v8, v81, v8
	v_xor_b32_e32 v10, v82, v9
	v_mov_b32_e32 v9, v18
	v_mov_b32_e32 v11, v16
.LBB115_26:                             ;   in Loop: Header=BB115_23 Depth=3
	s_or_b64 exec, exec, s[4:5]
	v_add_u32_e32 v99, 1, v70
	v_pk_mov_b32 v[18:19], v[10:11], v[10:11] op_sel:[0,1]
	v_cmp_eq_u32_e32 vcc, 4, v99
	v_pk_mov_b32 v[16:17], v[8:9], v[8:9] op_sel:[0,1]
	s_and_saveexec_b64 s[4:5], vcc
	s_cbranch_execz .LBB115_21
; %bb.27:                               ;   in Loop: Header=BB115_23 Depth=3
	v_add_co_u32_e32 v4, vcc, 1, v4
	v_cndmask_b32_e64 v16, 0, 1, vcc
	v_addc_co_u32_e32 v5, vcc, 0, v5, vcc
	v_cmp_eq_u32_e32 vcc, 0, v5
	v_cndmask_b32_e32 v16, 0, v16, vcc
	v_add_u32_e32 v6, v16, v6
	v_cmp_eq_u32_e32 vcc, 0, v6
	v_cndmask_b32_e32 v16, 0, v16, vcc
	v_add_u32_e32 v7, v16, v7
	v_mad_u64_u32 v[16:17], s[80:81], v4, s11, 0
	v_mad_u64_u32 v[18:19], s[80:81], v6, s86, 0
	v_xor_b32_e32 v19, v19, v62
	v_xor_b32_e32 v17, v17, v63
	v_xor_b32_e32 v19, v5, v19
	v_xor_b32_e32 v17, v7, v17
	v_mad_u64_u32 v[100:101], s[80:81], v19, s11, 0
	v_mad_u64_u32 v[102:103], s[80:81], v17, s86, 0
	v_xor_b32_e32 v17, v103, v18
	v_xor_b32_e32 v16, v101, v16
	v_xor_b32_e32 v17, v3, v17
	v_xor_b32_e32 v18, v83, v16
	v_mad_u64_u32 v[16:17], s[80:81], v17, s11, 0
	v_mad_u64_u32 v[18:19], s[80:81], v18, s86, 0
	v_xor_b32_e32 v19, v19, v102
	v_xor_b32_e32 v17, v17, v100
	v_xor_b32_e32 v19, v84, v19
	v_xor_b32_e32 v17, v85, v17
	v_mad_u64_u32 v[100:101], s[80:81], v19, s11, 0
	v_mad_u64_u32 v[102:103], s[80:81], v17, s86, 0
	v_xor_b32_e32 v17, v103, v18
	v_xor_b32_e32 v16, v101, v16
	v_xor_b32_e32 v17, v86, v17
	v_xor_b32_e32 v18, v87, v16
	v_mad_u64_u32 v[16:17], s[80:81], v17, s11, 0
	v_mad_u64_u32 v[18:19], s[80:81], v18, s86, 0
	v_xor_b32_e32 v19, v19, v102
	v_xor_b32_e32 v17, v17, v100
	v_xor_b32_e32 v19, v88, v19
	v_xor_b32_e32 v17, v89, v17
	v_mad_u64_u32 v[100:101], s[80:81], v19, s11, 0
	v_mad_u64_u32 v[102:103], s[80:81], v17, s86, 0
	v_xor_b32_e32 v17, v103, v18
	v_xor_b32_e32 v16, v101, v16
	v_xor_b32_e32 v17, v90, v17
	v_xor_b32_e32 v18, v91, v16
	v_mad_u64_u32 v[16:17], s[80:81], v17, s11, 0
	v_mad_u64_u32 v[18:19], s[80:81], v18, s86, 0
	v_xor_b32_e32 v19, v19, v102
	v_xor_b32_e32 v17, v17, v100
	v_xor_b32_e32 v19, v92, v19
	v_xor_b32_e32 v17, v93, v17
	v_mad_u64_u32 v[100:101], s[80:81], v19, s11, 0
	v_mad_u64_u32 v[102:103], s[80:81], v17, s86, 0
	v_xor_b32_e32 v17, v103, v18
	v_xor_b32_e32 v16, v101, v16
	v_xor_b32_e32 v17, v94, v17
	v_xor_b32_e32 v16, v95, v16
	v_mad_u64_u32 v[18:19], s[80:81], v17, s11, 0
	v_mad_u64_u32 v[16:17], s[80:81], v16, s86, 0
	v_xor_b32_e32 v17, v17, v102
	v_xor_b32_e32 v19, v19, v100
	v_xor_b32_e32 v17, v96, v17
	v_xor_b32_e32 v19, v97, v19
	v_mad_u64_u32 v[100:101], s[80:81], v17, s11, 0
	v_mad_u64_u32 v[102:103], s[80:81], v19, s86, 0
	v_xor_b32_e32 v16, v103, v16
	v_xor_b32_e32 v17, v101, v18
	v_mov_b32_e32 v99, 0
	v_xor_b32_e32 v16, v81, v16
	v_xor_b32_e32 v18, v82, v17
	v_mov_b32_e32 v17, v102
	v_mov_b32_e32 v19, v100
	s_branch .LBB115_21
.LBB115_28:                             ;   in Loop: Header=BB115_20 Depth=2
	s_or_b64 exec, exec, s[76:77]
	v_add_u32_e32 v70, 1, v23
	v_pk_mov_b32 v[8:9], v[12:13], v[12:13] op_sel:[0,1]
	v_cmp_eq_u32_e32 vcc, 4, v70
	v_pk_mov_b32 v[10:11], v[14:15], v[14:15] op_sel:[0,1]
	s_and_saveexec_b64 s[4:5], vcc
	s_cbranch_execz .LBB115_30
; %bb.29:                               ;   in Loop: Header=BB115_20 Depth=2
	v_add_co_u32_e32 v4, vcc, 1, v4
	v_cndmask_b32_e64 v8, 0, 1, vcc
	v_addc_co_u32_e32 v5, vcc, 0, v5, vcc
	v_cmp_eq_u32_e32 vcc, 0, v5
	v_cndmask_b32_e32 v8, 0, v8, vcc
	v_add_u32_e32 v6, v8, v6
	v_cmp_eq_u32_e32 vcc, 0, v6
	v_cndmask_b32_e32 v8, 0, v8, vcc
	v_add_u32_e32 v7, v8, v7
	v_mad_u64_u32 v[8:9], s[76:77], v4, s11, 0
	v_mad_u64_u32 v[10:11], s[76:77], v6, s86, 0
	v_xor_b32_e32 v11, v11, v62
	v_xor_b32_e32 v9, v9, v63
	v_xor_b32_e32 v11, v5, v11
	v_xor_b32_e32 v9, v7, v9
	v_mad_u64_u32 v[100:101], s[76:77], v11, s11, 0
	v_mad_u64_u32 v[102:103], s[76:77], v9, s86, 0
	v_xor_b32_e32 v9, v103, v10
	v_xor_b32_e32 v8, v101, v8
	v_xor_b32_e32 v9, v3, v9
	v_xor_b32_e32 v10, v83, v8
	;; [unrolled: 6-line block ×9, first 2 shown]
	v_mad_u64_u32 v[100:101], s[76:77], v9, s11, 0
	v_mad_u64_u32 v[102:103], s[76:77], v11, s86, 0
	v_xor_b32_e32 v8, v103, v8
	v_xor_b32_e32 v9, v101, v10
	v_mov_b32_e32 v70, 0
	v_xor_b32_e32 v8, v81, v8
	v_xor_b32_e32 v10, v82, v9
	v_mov_b32_e32 v9, v102
	v_mov_b32_e32 v11, v100
.LBB115_30:                             ;   in Loop: Header=BB115_20 Depth=2
	s_or_b64 exec, exec, s[4:5]
	v_cmp_eq_u32_e32 vcc, 1, v23
	v_cndmask_b32_e32 v12, v12, v13, vcc
	v_cmp_eq_u32_e32 vcc, 2, v23
	v_cndmask_b32_e32 v12, v12, v14, vcc
	;; [unrolled: 2-line block ×3, first 2 shown]
	v_cvt_f32_u32_e32 v14, v12
	v_mov_b32_e32 v15, 0x2f800000
	v_mul_f64 v[12:13], v[18:19], v[18:19]
	v_mul_f64 v[12:13], v[18:19], v[12:13]
	v_fmac_f32_e32 v15, 0x2f800000, v14
	v_cvt_f64_f32_e32 v[14:15], v15
	v_add_f64 v[18:19], -v[14:15], 1.0
	v_mul_f64 v[14:15], v[16:17], v[16:17]
	v_mul_f64 v[16:17], v[14:15], s[62:63]
	v_fma_f64 v[16:17], v[14:15], v[16:17], 1.0
	v_cmp_nlt_f64_e32 vcc, v[18:19], v[16:17]
                                        ; implicit-def: $sgpr76_sgpr77
	s_and_saveexec_b64 s[4:5], vcc
	s_xor_b64 s[4:5], exec, s[4:5]
	s_cbranch_execz .LBB115_34
; %bb.31:                               ;   in Loop: Header=BB115_20 Depth=2
	v_frexp_mant_f64_e32 v[16:17], v[18:19]
	v_cmp_gt_f64_e32 vcc, s[24:25], v[16:17]
	v_cndmask_b32_e64 v23, v72, 2.0, vcc
	v_mul_f64 v[16:17], v[16:17], v[22:23]
	v_add_f64 v[100:101], v[16:17], 1.0
	v_rcp_f64_e32 v[102:103], v[100:101]
	v_add_f64 v[106:107], v[100:101], -1.0
	v_add_f64 v[104:105], v[16:17], -1.0
	v_add_f64 v[16:17], v[16:17], -v[106:107]
	v_fma_f64 v[106:107], -v[100:101], v[102:103], 1.0
	v_fmac_f64_e32 v[102:103], v[106:107], v[102:103]
	v_fma_f64 v[106:107], -v[100:101], v[102:103], 1.0
	v_fmac_f64_e32 v[102:103], v[106:107], v[102:103]
	v_mul_f64 v[106:107], v[104:105], v[102:103]
	v_mul_f64 v[108:109], v[100:101], v[106:107]
	v_fma_f64 v[100:101], v[106:107], v[100:101], -v[108:109]
	v_fmac_f64_e32 v[100:101], v[106:107], v[16:17]
	v_add_f64 v[16:17], v[108:109], v[100:101]
	v_add_f64 v[110:111], v[104:105], -v[16:17]
	v_add_f64 v[108:109], v[16:17], -v[108:109]
	;; [unrolled: 1-line block ×5, first 2 shown]
	v_add_f64 v[16:17], v[100:101], v[16:17]
	v_add_f64 v[16:17], v[110:111], v[16:17]
	v_mul_f64 v[16:17], v[102:103], v[16:17]
	v_add_f64 v[100:101], v[106:107], v[16:17]
	v_add_f64 v[102:103], v[100:101], -v[106:107]
	v_add_f64 v[16:17], v[16:17], -v[102:103]
	v_mul_f64 v[102:103], v[100:101], v[100:101]
	v_pk_mov_b32 v[104:105], s[64:65], s[64:65] op_sel:[0,1]
	v_fma_f64 v[106:107], s[66:67], v[102:103], v[104:105]
	v_fma_f64 v[106:107], v[102:103], v[106:107], s[68:69]
	;; [unrolled: 1-line block ×5, first 2 shown]
	s_mov_b32 s73, s25
	v_fma_f64 v[106:107], v[102:103], v[106:107], s[72:73]
	v_ldexp_f64 v[108:109], v[100:101], 1
	v_mul_f64 v[100:101], v[100:101], v[102:103]
	v_mul_f64 v[100:101], v[100:101], v[106:107]
	v_add_f64 v[102:103], v[108:109], v[100:101]
	v_add_f64 v[106:107], v[102:103], -v[108:109]
	v_ldexp_f64 v[16:17], v[16:17], 1
	v_add_f64 v[100:101], v[100:101], -v[106:107]
	v_add_f64 v[16:17], v[16:17], v[100:101]
	v_frexp_exp_i32_f64_e32 v99, v[18:19]
	v_add_f64 v[100:101], v[102:103], v[16:17]
	v_subbrev_co_u32_e32 v23, vcc, 0, v99, vcc
	v_add_f64 v[102:103], v[100:101], -v[102:103]
	v_add_f64 v[16:17], v[16:17], -v[102:103]
	v_cvt_f64_i32_e32 v[102:103], v23
	v_mul_f64 v[106:107], v[102:103], s[34:35]
	v_fma_f64 v[108:109], v[102:103], s[34:35], -v[106:107]
	v_fmac_f64_e32 v[108:109], s[36:37], v[102:103]
	v_add_f64 v[102:103], v[106:107], v[108:109]
	v_add_f64 v[106:107], v[102:103], -v[106:107]
	v_add_f64 v[106:107], v[108:109], -v[106:107]
	v_add_f64 v[108:109], v[102:103], v[100:101]
	v_add_f64 v[110:111], v[108:109], -v[102:103]
	v_add_f64 v[112:113], v[108:109], -v[110:111]
	;; [unrolled: 1-line block ×4, first 2 shown]
	v_add_f64 v[100:101], v[100:101], v[102:103]
	v_add_f64 v[102:103], v[106:107], v[16:17]
	v_add_f64 v[110:111], v[102:103], -v[106:107]
	v_add_f64 v[112:113], v[102:103], -v[110:111]
	v_add_f64 v[100:101], v[102:103], v[100:101]
	v_add_f64 v[106:107], v[106:107], -v[112:113]
	v_add_f64 v[16:17], v[16:17], -v[110:111]
	v_add_f64 v[102:103], v[108:109], v[100:101]
	v_add_f64 v[16:17], v[16:17], v[106:107]
	v_add_f64 v[106:107], v[102:103], -v[108:109]
	v_add_f64 v[100:101], v[100:101], -v[106:107]
	v_add_f64 v[16:17], v[16:17], v[100:101]
	v_add_f64 v[16:17], v[102:103], v[16:17]
	v_cmp_class_f64_e64 vcc, v[18:19], s90
	v_cndmask_b32_e32 v16, v16, v18, vcc
	v_cndmask_b32_e32 v17, v17, v19, vcc
	v_cmp_ngt_f64_e32 vcc, 0, v[18:19]
	v_cndmask_b32_e32 v17, v74, v17, vcc
	v_cmp_nge_f64_e32 vcc, 0, v[18:19]
	v_cndmask_b32_e32 v16, 0, v16, vcc
	v_cmp_neq_f64_e32 vcc, 0, v[18:19]
	v_frexp_mant_f64_e32 v[100:101], v[12:13]
	v_cndmask_b32_e32 v17, v78, v17, vcc
	v_cmp_gt_f64_e32 vcc, s[24:25], v[100:101]
	v_cndmask_b32_e64 v23, v72, 2.0, vcc
	v_mul_f64 v[100:101], v[100:101], v[22:23]
	v_add_f64 v[102:103], v[100:101], 1.0
	v_rcp_f64_e32 v[106:107], v[102:103]
	v_add_f64 v[110:111], v[102:103], -1.0
	v_add_f64 v[108:109], v[100:101], -1.0
	v_add_f64 v[100:101], v[100:101], -v[110:111]
	v_fma_f64 v[110:111], -v[102:103], v[106:107], 1.0
	v_fmac_f64_e32 v[106:107], v[110:111], v[106:107]
	v_fma_f64 v[110:111], -v[102:103], v[106:107], 1.0
	v_fmac_f64_e32 v[106:107], v[110:111], v[106:107]
	v_mul_f64 v[110:111], v[108:109], v[106:107]
	v_mul_f64 v[112:113], v[102:103], v[110:111]
	v_fma_f64 v[102:103], v[110:111], v[102:103], -v[112:113]
	v_fmac_f64_e32 v[102:103], v[110:111], v[100:101]
	v_add_f64 v[100:101], v[112:113], v[102:103]
	v_add_f64 v[114:115], v[108:109], -v[100:101]
	v_add_f64 v[112:113], v[100:101], -v[112:113]
	;; [unrolled: 1-line block ×5, first 2 shown]
	v_add_f64 v[100:101], v[102:103], v[100:101]
	v_add_f64 v[100:101], v[114:115], v[100:101]
	v_mul_f64 v[100:101], v[106:107], v[100:101]
	v_add_f64 v[102:103], v[110:111], v[100:101]
	v_add_f64 v[106:107], v[102:103], -v[110:111]
	v_add_f64 v[100:101], v[100:101], -v[106:107]
	v_mul_f64 v[106:107], v[102:103], v[102:103]
	v_fmac_f64_e32 v[104:105], s[66:67], v[106:107]
	v_fma_f64 v[104:105], v[106:107], v[104:105], s[68:69]
	v_fma_f64 v[104:105], v[106:107], v[104:105], s[70:71]
	;; [unrolled: 1-line block ×5, first 2 shown]
	v_ldexp_f64 v[108:109], v[102:103], 1
	v_mul_f64 v[102:103], v[102:103], v[106:107]
	v_mul_f64 v[102:103], v[102:103], v[104:105]
	v_add_f64 v[104:105], v[108:109], v[102:103]
	v_add_f64 v[106:107], v[104:105], -v[108:109]
	v_ldexp_f64 v[100:101], v[100:101], 1
	v_add_f64 v[102:103], v[102:103], -v[106:107]
	v_add_f64 v[100:101], v[100:101], v[102:103]
	v_frexp_exp_i32_f64_e32 v99, v[12:13]
	v_add_f64 v[102:103], v[104:105], v[100:101]
	v_subbrev_co_u32_e32 v23, vcc, 0, v99, vcc
	v_add_f64 v[104:105], v[102:103], -v[104:105]
	v_add_f64 v[100:101], v[100:101], -v[104:105]
	v_cvt_f64_i32_e32 v[104:105], v23
	v_mul_f64 v[106:107], v[104:105], s[34:35]
	v_fma_f64 v[108:109], v[104:105], s[34:35], -v[106:107]
	v_fmac_f64_e32 v[108:109], s[36:37], v[104:105]
	v_add_f64 v[104:105], v[106:107], v[108:109]
	v_add_f64 v[106:107], v[104:105], -v[106:107]
	v_add_f64 v[106:107], v[108:109], -v[106:107]
	v_add_f64 v[108:109], v[104:105], v[102:103]
	v_add_f64 v[110:111], v[108:109], -v[104:105]
	v_add_f64 v[112:113], v[108:109], -v[110:111]
	;; [unrolled: 1-line block ×4, first 2 shown]
	v_add_f64 v[102:103], v[102:103], v[104:105]
	v_add_f64 v[104:105], v[106:107], v[100:101]
	v_add_f64 v[110:111], v[104:105], -v[106:107]
	v_add_f64 v[112:113], v[104:105], -v[110:111]
	v_add_f64 v[102:103], v[104:105], v[102:103]
	v_add_f64 v[106:107], v[106:107], -v[112:113]
	v_add_f64 v[100:101], v[100:101], -v[110:111]
	v_add_f64 v[104:105], v[108:109], v[102:103]
	v_add_f64 v[100:101], v[100:101], v[106:107]
	v_add_f64 v[106:107], v[104:105], -v[108:109]
	v_add_f64 v[102:103], v[102:103], -v[106:107]
	v_add_f64 v[100:101], v[100:101], v[102:103]
	v_add_f64 v[100:101], v[104:105], v[100:101]
	v_cmp_class_f64_e64 vcc, v[12:13], s90
	v_cndmask_b32_e32 v23, v100, v12, vcc
	v_cndmask_b32_e32 v99, v101, v13, vcc
	v_cmp_ngt_f64_e32 vcc, 0, v[12:13]
	v_cndmask_b32_e32 v99, v74, v99, vcc
	v_cmp_nge_f64_e32 vcc, 0, v[12:13]
	v_cndmask_b32_e32 v100, 0, v23, vcc
	v_cmp_neq_f64_e32 vcc, 0, v[12:13]
	v_add_f64 v[18:19], -v[12:13], 1.0
	v_cndmask_b32_e32 v101, v78, v99, vcc
	v_add_f64 v[18:19], v[18:19], v[100:101]
	v_mul_f64 v[18:19], v[0:1], v[18:19]
	v_fmac_f64_e32 v[18:19], 0.5, v[14:15]
	v_cmp_lt_f64_e32 vcc, v[16:17], v[18:19]
	s_mov_b64 s[76:77], -1
	s_and_saveexec_b64 s[78:79], vcc
; %bb.32:                               ;   in Loop: Header=BB115_20 Depth=2
	v_mul_f64 v[68:69], v[66:67], v[12:13]
	s_xor_b64 s[76:77], exec, -1
; %bb.33:                               ;   in Loop: Header=BB115_20 Depth=2
	s_or_b64 exec, exec, s[78:79]
	s_and_b64 s[76:77], s[76:77], exec
                                        ; implicit-def: $vgpr12_vgpr13
.LBB115_34:                             ;   in Loop: Header=BB115_20 Depth=2
	s_andn2_saveexec_b64 s[4:5], s[4:5]
	s_cbranch_execz .LBB115_19
; %bb.35:                               ;   in Loop: Header=BB115_20 Depth=2
	v_mul_f64 v[68:69], v[66:67], v[12:13]
	s_andn2_b64 s[76:77], s[76:77], exec
	s_branch .LBB115_19
.LBB115_36:
	s_endpgm
	.section	.rodata,"a",@progbits
	.p2align	6, 0x0
	.amdhsa_kernel _ZN2at4cuda12_GLOBAL__N_121kernelPointwiseApply2IZN12_GLOBAL__N_117gamma_cuda_kernelIdEEvRKNS_10TensorBaseES7_NS_15PhiloxCudaStateEEUlRdRKdE_ddjLin1ELi1ELi1ELi256ELi2EEEvNS0_6detail10TensorInfoIT0_T2_EENSE_IT1_SG_EESG_T_
		.amdhsa_group_segment_fixed_size 0
		.amdhsa_private_segment_fixed_size 0
		.amdhsa_kernarg_size 728
		.amdhsa_user_sgpr_count 6
		.amdhsa_user_sgpr_private_segment_buffer 1
		.amdhsa_user_sgpr_dispatch_ptr 0
		.amdhsa_user_sgpr_queue_ptr 0
		.amdhsa_user_sgpr_kernarg_segment_ptr 1
		.amdhsa_user_sgpr_dispatch_id 0
		.amdhsa_user_sgpr_flat_scratch_init 0
		.amdhsa_user_sgpr_kernarg_preload_length 0
		.amdhsa_user_sgpr_kernarg_preload_offset 0
		.amdhsa_user_sgpr_private_segment_size 0
		.amdhsa_uses_dynamic_stack 0
		.amdhsa_system_sgpr_private_segment_wavefront_offset 0
		.amdhsa_system_sgpr_workgroup_id_x 1
		.amdhsa_system_sgpr_workgroup_id_y 0
		.amdhsa_system_sgpr_workgroup_id_z 0
		.amdhsa_system_sgpr_workgroup_info 0
		.amdhsa_system_vgpr_workitem_id 0
		.amdhsa_next_free_vgpr 117
		.amdhsa_next_free_sgpr 96
		.amdhsa_accum_offset 120
		.amdhsa_reserve_vcc 1
		.amdhsa_reserve_flat_scratch 0
		.amdhsa_float_round_mode_32 0
		.amdhsa_float_round_mode_16_64 0
		.amdhsa_float_denorm_mode_32 3
		.amdhsa_float_denorm_mode_16_64 3
		.amdhsa_dx10_clamp 1
		.amdhsa_ieee_mode 1
		.amdhsa_fp16_overflow 0
		.amdhsa_tg_split 0
		.amdhsa_exception_fp_ieee_invalid_op 0
		.amdhsa_exception_fp_denorm_src 0
		.amdhsa_exception_fp_ieee_div_zero 0
		.amdhsa_exception_fp_ieee_overflow 0
		.amdhsa_exception_fp_ieee_underflow 0
		.amdhsa_exception_fp_ieee_inexact 0
		.amdhsa_exception_int_div_zero 0
	.end_amdhsa_kernel
	.section	.text._ZN2at4cuda12_GLOBAL__N_121kernelPointwiseApply2IZN12_GLOBAL__N_117gamma_cuda_kernelIdEEvRKNS_10TensorBaseES7_NS_15PhiloxCudaStateEEUlRdRKdE_ddjLin1ELi1ELi1ELi256ELi2EEEvNS0_6detail10TensorInfoIT0_T2_EENSE_IT1_SG_EESG_T_,"axG",@progbits,_ZN2at4cuda12_GLOBAL__N_121kernelPointwiseApply2IZN12_GLOBAL__N_117gamma_cuda_kernelIdEEvRKNS_10TensorBaseES7_NS_15PhiloxCudaStateEEUlRdRKdE_ddjLin1ELi1ELi1ELi256ELi2EEEvNS0_6detail10TensorInfoIT0_T2_EENSE_IT1_SG_EESG_T_,comdat
.Lfunc_end115:
	.size	_ZN2at4cuda12_GLOBAL__N_121kernelPointwiseApply2IZN12_GLOBAL__N_117gamma_cuda_kernelIdEEvRKNS_10TensorBaseES7_NS_15PhiloxCudaStateEEUlRdRKdE_ddjLin1ELi1ELi1ELi256ELi2EEEvNS0_6detail10TensorInfoIT0_T2_EENSE_IT1_SG_EESG_T_, .Lfunc_end115-_ZN2at4cuda12_GLOBAL__N_121kernelPointwiseApply2IZN12_GLOBAL__N_117gamma_cuda_kernelIdEEvRKNS_10TensorBaseES7_NS_15PhiloxCudaStateEEUlRdRKdE_ddjLin1ELi1ELi1ELi256ELi2EEEvNS0_6detail10TensorInfoIT0_T2_EENSE_IT1_SG_EESG_T_
                                        ; -- End function
	.section	.AMDGPU.csdata,"",@progbits
; Kernel info:
; codeLenInByte = 7572
; NumSgprs: 100
; NumVgprs: 117
; NumAgprs: 0
; TotalNumVgprs: 117
; ScratchSize: 0
; MemoryBound: 0
; FloatMode: 240
; IeeeMode: 1
; LDSByteSize: 0 bytes/workgroup (compile time only)
; SGPRBlocks: 12
; VGPRBlocks: 14
; NumSGPRsForWavesPerEU: 100
; NumVGPRsForWavesPerEU: 117
; AccumOffset: 120
; Occupancy: 4
; WaveLimiterHint : 1
; COMPUTE_PGM_RSRC2:SCRATCH_EN: 0
; COMPUTE_PGM_RSRC2:USER_SGPR: 6
; COMPUTE_PGM_RSRC2:TRAP_HANDLER: 0
; COMPUTE_PGM_RSRC2:TGID_X_EN: 1
; COMPUTE_PGM_RSRC2:TGID_Y_EN: 0
; COMPUTE_PGM_RSRC2:TGID_Z_EN: 0
; COMPUTE_PGM_RSRC2:TIDIG_COMP_CNT: 0
; COMPUTE_PGM_RSRC3_GFX90A:ACCUM_OFFSET: 29
; COMPUTE_PGM_RSRC3_GFX90A:TG_SPLIT: 0
	.section	.text._ZN2at4cuda12_GLOBAL__N_121kernelPointwiseApply2IZN12_GLOBAL__N_117gamma_cuda_kernelIdEEvRKNS_10TensorBaseES7_NS_15PhiloxCudaStateEEUlRdRKdE_ddjLin1ELi2ELi1ELi256ELi2EEEvNS0_6detail10TensorInfoIT0_T2_EENSE_IT1_SG_EESG_T_,"axG",@progbits,_ZN2at4cuda12_GLOBAL__N_121kernelPointwiseApply2IZN12_GLOBAL__N_117gamma_cuda_kernelIdEEvRKNS_10TensorBaseES7_NS_15PhiloxCudaStateEEUlRdRKdE_ddjLin1ELi2ELi1ELi256ELi2EEEvNS0_6detail10TensorInfoIT0_T2_EENSE_IT1_SG_EESG_T_,comdat
	.globl	_ZN2at4cuda12_GLOBAL__N_121kernelPointwiseApply2IZN12_GLOBAL__N_117gamma_cuda_kernelIdEEvRKNS_10TensorBaseES7_NS_15PhiloxCudaStateEEUlRdRKdE_ddjLin1ELi2ELi1ELi256ELi2EEEvNS0_6detail10TensorInfoIT0_T2_EENSE_IT1_SG_EESG_T_ ; -- Begin function _ZN2at4cuda12_GLOBAL__N_121kernelPointwiseApply2IZN12_GLOBAL__N_117gamma_cuda_kernelIdEEvRKNS_10TensorBaseES7_NS_15PhiloxCudaStateEEUlRdRKdE_ddjLin1ELi2ELi1ELi256ELi2EEEvNS0_6detail10TensorInfoIT0_T2_EENSE_IT1_SG_EESG_T_
	.p2align	8
	.type	_ZN2at4cuda12_GLOBAL__N_121kernelPointwiseApply2IZN12_GLOBAL__N_117gamma_cuda_kernelIdEEvRKNS_10TensorBaseES7_NS_15PhiloxCudaStateEEUlRdRKdE_ddjLin1ELi2ELi1ELi256ELi2EEEvNS0_6detail10TensorInfoIT0_T2_EENSE_IT1_SG_EESG_T_,@function
_ZN2at4cuda12_GLOBAL__N_121kernelPointwiseApply2IZN12_GLOBAL__N_117gamma_cuda_kernelIdEEvRKNS_10TensorBaseES7_NS_15PhiloxCudaStateEEUlRdRKdE_ddjLin1ELi2ELi1ELi256ELi2EEEvNS0_6detail10TensorInfoIT0_T2_EENSE_IT1_SG_EESG_T_: ; @_ZN2at4cuda12_GLOBAL__N_121kernelPointwiseApply2IZN12_GLOBAL__N_117gamma_cuda_kernelIdEEvRKNS_10TensorBaseES7_NS_15PhiloxCudaStateEEUlRdRKdE_ddjLin1ELi2ELi1ELi256ELi2EEEvNS0_6detail10TensorInfoIT0_T2_EENSE_IT1_SG_EESG_T_
; %bb.0:
	s_load_dword s2, s[4:5], 0x1e4
	s_load_dword s33, s[4:5], 0x1b0
	s_add_u32 s0, s4, 0x1d8
	s_addc_u32 s1, s5, 0
	s_waitcnt lgkmcnt(0)
	s_and_b32 s2, s2, 0xffff
	s_mul_i32 s6, s6, s2
	v_add_u32_e32 v2, s6, v0
	v_cmp_gt_u32_e32 vcc, s33, v2
	s_and_saveexec_b64 s[6:7], vcc
	s_cbranch_execz .LBB116_38
; %bb.1:
	s_load_dword s86, s[4:5], 0xe4
	s_load_dwordx2 s[12:13], s[4:5], 0x144
	s_load_dwordx2 s[14:15], s[4:5], 0xd8
	s_load_dword s22, s[4:5], 0xd0
	s_load_dwordx2 s[16:17], s[4:5], 0x1c8
	s_load_dwordx4 s[8:11], s[4:5], 0x1b8
	s_load_dword s89, s[0:1], 0x0
	s_load_dword s3, s[4:5], 0x1d0
	;; [unrolled: 1-line block ×3, first 2 shown]
	s_waitcnt lgkmcnt(0)
	v_cvt_f32_u32_e32 v0, s86
	s_cmp_gt_i32 s22, 1
                                        ; kill: killed $sgpr0 killed $sgpr1
	s_cselect_b64 s[0:1], -1, 0
	s_bitcmp1_b32 s3, 0
	v_rcp_iflag_f32_e32 v0, v0
	s_cselect_b64 s[20:21], -1, 0
	s_mul_i32 s89, s89, s2
	s_sub_i32 s2, 0, s86
	v_mul_f32_e32 v0, 0x4f7ffffe, v0
	v_cvt_u32_f32_e32 v0, v0
	s_mov_b32 s3, 0
	s_load_dwordx2 s[18:19], s[4:5], 0x0
	s_add_i32 s90, s22, 1
	v_mul_lo_u32 v1, s2, v0
	s_add_i32 s2, s22, -1
	s_lshl_b64 s[2:3], s[2:3], 2
                                        ; implicit-def: $vgpr116 : SGPR spill to VGPR lane
	s_mov_b32 s88, 0xcd9e8d57
	s_add_u32 s2, s2, s4
	v_writelane_b32 v116, s6, 0
	v_mad_u64_u32 v[20:21], s[6:7], v2, s88, 0
	v_mul_hi_u32 v1, v0, v1
	s_addc_u32 s3, s3, s5
	v_mov_b32_e32 v24, v21
	v_add_u32_e32 v21, v0, v1
	s_add_u32 s22, s2, 8
	v_cndmask_b32_e64 v0, 0, 1, s[0:1]
	s_mov_b32 s26, 0x55555555
	s_mov_b32 s30, 0x9b27acf1
	s_mov_b32 s34, 0x998ef7b6
	s_mov_b32 s36, 0xfefa39ef
	s_mov_b32 s38, 0x3b39803f
	s_mov_b32 s44, 0
	s_mov_b32 s60, 0
	s_mov_b32 s62, 0
	s_mov_b32 s64, -2.0
	s_mov_b32 s66, 0x6b47b09a
	s_mov_b32 s68, 0xbf559e2b
	;; [unrolled: 1-line block ×5, first 2 shown]
	v_mov_b32_e32 v22, 0
	s_addc_u32 s23, s3, 0
	s_mov_b64 s[24:25], 0
	v_cmp_ne_u32_e64 s[0:1], 1, v0
	v_mov_b32_e32 v25, s15
	s_mov_b32 s15, 0xd2511f53
	s_mov_b32 s27, 0x3fe55555
	;; [unrolled: 1-line block ×7, first 2 shown]
	s_movk_i32 s92, 0x204
	s_mov_b32 s45, 0x7ff00000
	s_mov_b32 s49, 0xbfe62e42
	;; [unrolled: 1-line block ×3, first 2 shown]
	v_mov_b32_e32 v72, 0x260
	s_mov_b32 s93, 0x3c6ef372
	s_mov_b32 s94, 0x76cf5d0a
	;; [unrolled: 1-line block ×18, first 2 shown]
	v_mov_b32_e32 v73, 0x3ff00000
	v_mov_b32_e32 v26, 0x968915a9
	;; [unrolled: 1-line block ×43, first 2 shown]
	s_mov_b32 s59, 0xdb3d7428
	s_mov_b32 s61, 0x40220000
	s_brev_b32 s63, 8
	s_mov_b32 s65, 0xbfa0f27b
	s_mov_b32 s67, 0x3fc38538
	;; [unrolled: 1-line block ×7, first 2 shown]
	s_branch .LBB116_4
.LBB116_2:                              ;   in Loop: Header=BB116_4 Depth=1
	s_or_b64 exec, exec, s[6:7]
.LBB116_3:                              ;   in Loop: Header=BB116_4 Depth=1
	s_or_b64 exec, exec, s[4:5]
	v_lshlrev_b64 v[0:1], 3, v[60:61]
	s_waitcnt lgkmcnt(0)
	v_mov_b32_e32 v3, s19
	v_add_co_u32_e32 v0, vcc, s18, v0
	v_addc_co_u32_e32 v1, vcc, v3, v1, vcc
	v_cmp_ngt_f64_e32 vcc, s[76:77], v[68:69]
	v_add_u32_e32 v81, s89, v81
	v_cndmask_b32_e32 v5, v80, v69, vcc
	v_cndmask_b32_e32 v4, 0, v68, vcc
	v_cmp_le_u32_e32 vcc, s33, v81
	s_or_b64 s[24:25], vcc, s[24:25]
	global_store_dwordx2 v[0:1], v[4:5], off
	s_andn2_b64 exec, exec, s[24:25]
	s_cbranch_execz .LBB116_38
.LBB116_4:                              ; =>This Loop Header: Depth=1
                                        ;     Child Loop BB116_7 Depth 2
                                        ;     Child Loop BB116_22 Depth 2
                                        ;       Child Loop BB116_25 Depth 3
	v_sub_u32_e32 v0, s33, v81
	v_cmp_lt_i32_e64 s[2:3], 0, v0
	v_pk_mov_b32 v[60:61], 0, 0
	s_and_saveexec_b64 s[4:5], s[2:3]
	s_cbranch_execz .LBB116_9
; %bb.5:                                ;   in Loop: Header=BB116_4 Depth=1
	s_and_b64 vcc, exec, s[0:1]
	v_mov_b32_e32 v0, 0
	v_mov_b32_e32 v3, v81
	s_cbranch_vccnz .LBB116_8
; %bb.6:                                ;   in Loop: Header=BB116_4 Depth=1
	v_mov_b32_e32 v0, 0
	s_mov_b64 s[6:7], s[22:23]
	s_mov_b32 s40, s90
	v_mov_b32_e32 v3, v81
.LBB116_7:                              ;   Parent Loop BB116_4 Depth=1
                                        ; =>  This Inner Loop Header: Depth=2
	s_load_dword s48, s[6:7], 0x0
	s_load_dword s50, s[6:7], 0x64
	v_mov_b32_e32 v1, v3
	s_add_i32 s40, s40, -1
	s_waitcnt lgkmcnt(0)
	v_cvt_f32_u32_e32 v3, s48
	s_sub_i32 s75, 0, s48
	s_add_u32 s6, s6, -4
	s_addc_u32 s7, s7, -1
	v_rcp_iflag_f32_e32 v3, v3
	s_cmp_gt_u32 s40, 2
	v_mul_f32_e32 v3, 0x4f7ffffe, v3
	v_cvt_u32_f32_e32 v3, v3
	v_mul_lo_u32 v4, s75, v3
	v_mul_hi_u32 v4, v3, v4
	v_add_u32_e32 v3, v3, v4
	v_mul_hi_u32 v3, v1, v3
	v_mul_lo_u32 v4, v3, s48
	v_sub_u32_e32 v4, v1, v4
	v_add_u32_e32 v5, 1, v3
	v_subrev_u32_e32 v6, s48, v4
	v_cmp_le_u32_e32 vcc, s48, v4
	v_cndmask_b32_e32 v3, v3, v5, vcc
	v_cndmask_b32_e32 v4, v4, v6, vcc
	v_add_u32_e32 v5, 1, v3
	v_cmp_le_u32_e32 vcc, s48, v4
	v_cndmask_b32_e32 v3, v3, v5, vcc
	v_mul_lo_u32 v4, v3, s48
	v_sub_u32_e32 v1, v1, v4
	v_mad_u64_u32 v[0:1], s[78:79], s50, v1, v[0:1]
	s_cbranch_scc1 .LBB116_7
.LBB116_8:                              ;   in Loop: Header=BB116_4 Depth=1
	v_readlane_b32 s6, v116, 0
	v_mad_u64_u32 v[60:61], s[6:7], s6, v3, v[0:1]
	v_mov_b32_e32 v61, v22
.LBB116_9:                              ;   in Loop: Header=BB116_4 Depth=1
	s_or_b64 exec, exec, s[4:5]
	v_pk_mov_b32 v[0:1], 0, 0
	s_and_saveexec_b64 s[4:5], s[2:3]
	s_cbranch_execz .LBB116_11
; %bb.10:                               ;   in Loop: Header=BB116_4 Depth=1
	v_mul_hi_u32 v0, v81, v21
	v_mul_lo_u32 v1, v0, s86
	v_sub_u32_e32 v1, v81, v1
	v_add_u32_e32 v3, 1, v0
	v_cmp_le_u32_e32 vcc, s86, v1
	v_cndmask_b32_e32 v0, v0, v3, vcc
	v_subrev_u32_e32 v3, s86, v1
	v_cndmask_b32_e32 v1, v1, v3, vcc
	v_add_u32_e32 v3, 1, v0
	v_cmp_le_u32_e32 vcc, s86, v1
	v_cndmask_b32_e32 v1, v0, v3, vcc
	v_mul_lo_u32 v0, v1, s86
	v_sub_u32_e32 v0, v81, v0
	v_mul_lo_u32 v0, v0, s13
	v_mad_u64_u32 v[0:1], s[2:3], v1, s12, v[0:1]
	v_mov_b32_e32 v1, v22
.LBB116_11:                             ;   in Loop: Header=BB116_4 Depth=1
	s_or_b64 exec, exec, s[4:5]
	v_lshlrev_b64 v[0:1], 3, v[0:1]
	v_add_co_u32_e32 v0, vcc, s14, v0
	v_addc_co_u32_e32 v1, vcc, v25, v1, vcc
	global_load_dwordx2 v[16:17], v[0:1], off
	s_andn2_b64 vcc, exec, s[20:21]
	v_pk_mov_b32 v[0:1], s[10:11], s[10:11] op_sel:[0,1]
	v_pk_mov_b32 v[62:63], s[8:9], s[8:9] op_sel:[0,1]
	s_cbranch_vccnz .LBB116_13
; %bb.12:                               ;   in Loop: Header=BB116_4 Depth=1
	v_pk_mov_b32 v[0:1], s[10:11], s[10:11] op_sel:[0,1]
	flat_load_dwordx2 v[0:1], v[0:1]
	v_pk_mov_b32 v[4:5], s[8:9], s[8:9] op_sel:[0,1]
	flat_load_dwordx2 v[62:63], v[4:5]
	v_mov_b32_e32 v3, s17
	s_waitcnt vmcnt(0) lgkmcnt(0)
	v_add_co_u32_e32 v0, vcc, s16, v0
	v_addc_co_u32_e32 v1, vcc, v1, v3, vcc
.LBB116_13:                             ;   in Loop: Header=BB116_4 Depth=1
	v_and_b32_e32 v70, 3, v0
	v_alignbit_b32 v0, v1, v0, 2
	v_mad_u64_u32 v[6:7], s[2:3], v0, s15, 0
	v_lshrrev_b32_e32 v1, 2, v1
	v_xor_b32_e32 v5, v7, v63
	v_xor_b32_e32 v7, v24, v62
	v_mov_b32_e32 v4, v63
	v_xor_b32_e32 v7, v7, v1
	v_add_co_u32_e32 v23, vcc, s55, v4
	v_mad_u64_u32 v[8:9], s[2:3], v7, s15, 0
	v_mad_u64_u32 v[10:11], s[2:3], v5, s88, 0
	v_add_co_u32_e32 v68, vcc, 0x9e3779b9, v62
	v_xor_b32_e32 v5, v20, v11
	v_xor_b32_e32 v7, v23, v9
	v_xor_b32_e32 v5, v5, v68
	v_xor_b32_e32 v9, v7, v6
	v_add_co_u32_e32 v71, vcc, s93, v62
	v_add_co_u32_e32 v69, vcc, s94, v4
	v_mad_u64_u32 v[6:7], s[2:3], v5, s15, 0
	v_mad_u64_u32 v[12:13], s[2:3], v9, s88, 0
	v_xor_b32_e32 v5, v71, v13
	v_xor_b32_e32 v7, v69, v7
	v_xor_b32_e32 v5, v5, v10
	v_xor_b32_e32 v7, v7, v8
	v_add_co_u32_e32 v85, vcc, s56, v62
	v_add_co_u32_e32 v84, vcc, s95, v4
	v_mad_u64_u32 v[8:9], s[2:3], v5, s15, 0
	v_mad_u64_u32 v[10:11], s[2:3], v7, s88, 0
	;; [unrolled: 8-line block ×7, first 2 shown]
	v_xor_b32_e32 v7, v95, v7
	v_xor_b32_e32 v5, v94, v5
	;; [unrolled: 1-line block ×4, first 2 shown]
	v_mad_u64_u32 v[18:19], s[2:3], v7, s15, 0
	v_mad_u64_u32 v[64:65], s[2:3], v5, s88, 0
	v_mov_b32_e32 v3, v22
	v_add_u32_e32 v82, 0x8ff34781, v62
	v_add_u32_e32 v83, 0x96a522ad, v63
	v_xor_b32_e32 v5, v65, v6
	v_xor_b32_e32 v4, v19, v4
	;; [unrolled: 1-line block ×4, first 2 shown]
	v_mov_b32_e32 v66, 0
	v_pk_mov_b32 v[6:7], v[2:3], v[2:3] op_sel:[0,1]
	v_mov_b32_e32 v9, v64
	v_mov_b32_e32 v11, v18
	s_waitcnt vmcnt(0)
	v_cmp_gt_f64_e32 vcc, 1.0, v[16:17]
	s_mov_b64 s[2:3], -1
	v_mov_b32_e32 v67, 0x3ff00000
	v_pk_mov_b32 v[4:5], v[0:1], v[0:1] op_sel:[0,1]
                                        ; implicit-def: $sgpr78_sgpr79
	s_and_saveexec_b64 s[80:81], vcc
	s_cbranch_execz .LBB116_19
; %bb.14:                               ;   in Loop: Header=BB116_4 Depth=1
	v_mov_b32_e32 v66, 0
	v_cmp_neq_f64_e32 vcc, 0, v[16:17]
	s_mov_b64 s[78:79], 0
	v_mov_b32_e32 v67, 0x3ff00000
	s_mov_b64 s[84:85], 0
                                        ; implicit-def: $vgpr4_vgpr5_vgpr6_vgpr7
	s_and_saveexec_b64 s[82:83], vcc
	s_cbranch_execz .LBB116_18
; %bb.15:                               ;   in Loop: Header=BB116_4 Depth=1
	v_add_u32_e32 v65, 1, v70
	v_pk_mov_b32 v[14:15], v[10:11], v[10:11] op_sel:[0,1]
	v_pk_mov_b32 v[6:7], v[2:3], v[2:3] op_sel:[0,1]
	v_cmp_eq_u32_e32 vcc, 4, v65
	v_pk_mov_b32 v[12:13], v[8:9], v[8:9] op_sel:[0,1]
	v_pk_mov_b32 v[4:5], v[0:1], v[0:1] op_sel:[0,1]
	s_and_saveexec_b64 s[2:3], vcc
	s_cbranch_execz .LBB116_17
; %bb.16:                               ;   in Loop: Header=BB116_4 Depth=1
	v_add_co_u32_e32 v4, vcc, 1, v0
	v_cndmask_b32_e64 v0, 0, 1, vcc
	v_addc_co_u32_e32 v5, vcc, 0, v1, vcc
	v_cmp_eq_u32_e32 vcc, 0, v5
	v_cndmask_b32_e32 v0, 0, v0, vcc
	v_add_u32_e32 v6, v0, v2
	v_cmp_eq_u32_e32 vcc, 0, v6
	v_cndmask_b32_e32 v7, 0, v0, vcc
	v_mad_u64_u32 v[0:1], s[4:5], v4, s15, 0
	v_mad_u64_u32 v[12:13], s[4:5], v6, s88, 0
	v_xor_b32_e32 v3, v13, v62
	v_xor_b32_e32 v1, v1, v63
	v_xor_b32_e32 v3, v5, v3
	v_xor_b32_e32 v1, v7, v1
	v_mad_u64_u32 v[14:15], s[4:5], v3, s15, 0
	v_mad_u64_u32 v[66:67], s[4:5], v1, s88, 0
	v_xor_b32_e32 v1, v68, v67
	v_xor_b32_e32 v3, v23, v15
	v_xor_b32_e32 v1, v1, v12
	v_xor_b32_e32 v3, v3, v0
	;; [unrolled: 6-line block ×9, first 2 shown]
	v_mad_u64_u32 v[66:67], s[4:5], v3, s15, 0
	v_mad_u64_u32 v[68:69], s[4:5], v1, s88, 0
	v_xor_b32_e32 v1, v69, v12
	v_xor_b32_e32 v0, v67, v0
	v_mov_b32_e32 v65, 0
	v_xor_b32_e32 v12, v82, v1
	v_xor_b32_e32 v14, v83, v0
	v_mov_b32_e32 v13, v68
	v_mov_b32_e32 v15, v66
.LBB116_17:                             ;   in Loop: Header=BB116_4 Depth=1
	s_or_b64 exec, exec, s[2:3]
	v_cmp_eq_u32_e32 vcc, 1, v70
	v_cndmask_b32_e32 v0, v8, v64, vcc
	v_cmp_eq_u32_e32 vcc, 2, v70
	v_cndmask_b32_e32 v0, v0, v10, vcc
	;; [unrolled: 2-line block ×3, first 2 shown]
	v_cvt_f32_u32_e32 v3, v0
	v_div_scale_f64 v[0:1], s[2:3], v[16:17], v[16:17], 1.0
	v_rcp_f64_e32 v[8:9], v[0:1]
	v_mov_b32_e32 v10, 0x2f800000
	v_fmac_f32_e32 v10, 0x2f800000, v3
	v_cvt_f64_f32_e32 v[10:11], v10
	v_fma_f64 v[18:19], -v[0:1], v[8:9], 1.0
	v_fmac_f64_e32 v[8:9], v[8:9], v[18:19]
	v_fma_f64 v[18:19], -v[0:1], v[8:9], 1.0
	v_fmac_f64_e32 v[8:9], v[8:9], v[18:19]
	v_div_scale_f64 v[18:19], vcc, 1.0, v[16:17], 1.0
	v_mul_f64 v[66:67], v[18:19], v[8:9]
	v_fma_f64 v[0:1], -v[0:1], v[66:67], v[18:19]
	v_add_f64 v[10:11], -v[10:11], 1.0
	s_nop 0
	v_div_fmas_f64 v[0:1], v[0:1], v[8:9], v[66:67]
	v_div_fixup_f64 v[18:19], v[0:1], v[16:17], 1.0
	v_cmp_eq_f64_e32 vcc, 1.0, v[10:11]
	v_cndmask_b32_e32 v1, v19, v73, vcc
	v_cndmask_b32_e64 v0, v18, 0, vcc
	v_cmp_eq_f64_e64 s[2:3], 0, v[0:1]
	v_and_b32_e32 v3, 0x7fffffff, v11
	v_cndmask_b32_e64 v9, v11, v73, s[2:3]
	v_cndmask_b32_e64 v8, v10, 0, s[2:3]
	v_cndmask_b32_e64 v11, v3, v73, s[2:3]
	v_cndmask_b32_e64 v10, v10, 0, s[2:3]
	v_frexp_mant_f64_e32 v[66:67], v[10:11]
	v_cmp_gt_f64_e64 s[2:3], s[26:27], v[66:67]
	v_cndmask_b32_e64 v23, v73, 2.0, s[2:3]
	v_mul_f64 v[66:67], v[66:67], v[22:23]
	v_add_f64 v[68:69], v[66:67], 1.0
	v_rcp_f64_e32 v[70:71], v[68:69]
	v_add_f64 v[86:87], v[68:69], -1.0
	v_add_f64 v[84:85], v[66:67], -1.0
	v_add_f64 v[66:67], v[66:67], -v[86:87]
	v_fma_f64 v[86:87], -v[68:69], v[70:71], 1.0
	v_fmac_f64_e32 v[70:71], v[86:87], v[70:71]
	v_fma_f64 v[86:87], -v[68:69], v[70:71], 1.0
	v_fmac_f64_e32 v[70:71], v[86:87], v[70:71]
	v_mul_f64 v[86:87], v[84:85], v[70:71]
	v_mul_f64 v[88:89], v[68:69], v[86:87]
	v_fma_f64 v[68:69], v[86:87], v[68:69], -v[88:89]
	v_fmac_f64_e32 v[68:69], v[86:87], v[66:67]
	v_add_f64 v[66:67], v[88:89], v[68:69]
	v_add_f64 v[90:91], v[84:85], -v[66:67]
	v_add_f64 v[88:89], v[66:67], -v[88:89]
	;; [unrolled: 1-line block ×5, first 2 shown]
	v_add_f64 v[66:67], v[68:69], v[66:67]
	v_add_f64 v[66:67], v[90:91], v[66:67]
	v_mul_f64 v[66:67], v[70:71], v[66:67]
	v_add_f64 v[68:69], v[86:87], v[66:67]
	v_add_f64 v[70:71], v[68:69], -v[86:87]
	v_add_f64 v[66:67], v[66:67], -v[70:71]
	v_mul_f64 v[70:71], v[68:69], v[68:69]
	v_fma_f64 v[84:85], v[68:69], v[68:69], -v[70:71]
	v_add_f64 v[86:87], v[66:67], v[66:67]
	v_frexp_exp_i32_f64_e32 v3, v[10:11]
	v_fmac_f64_e32 v[84:85], v[68:69], v[86:87]
	v_subbrev_co_u32_e64 v3, s[2:3], 0, v3, s[2:3]
	v_add_f64 v[86:87], v[70:71], v[84:85]
	v_add_f64 v[70:71], v[86:87], -v[70:71]
	s_mov_b32 s2, 0x4222de17
	v_add_f64 v[70:71], v[84:85], -v[70:71]
	v_pk_mov_b32 v[84:85], v[26:27], v[26:27] op_sel:[0,1]
	s_mov_b32 s3, 0x3fbdee67
	v_fmac_f64_e32 v[84:85], s[2:3], v[86:87]
	v_pk_mov_b32 v[88:89], v[28:29], v[28:29] op_sel:[0,1]
	v_fmac_f64_e32 v[88:89], v[86:87], v[84:85]
	v_pk_mov_b32 v[84:85], v[30:31], v[30:31] op_sel:[0,1]
	v_fmac_f64_e32 v[84:85], v[86:87], v[88:89]
	v_pk_mov_b32 v[88:89], v[32:33], v[32:33] op_sel:[0,1]
	v_fmac_f64_e32 v[88:89], v[86:87], v[84:85]
	v_pk_mov_b32 v[84:85], v[34:35], v[34:35] op_sel:[0,1]
	v_fmac_f64_e32 v[84:85], v[86:87], v[88:89]
	v_pk_mov_b32 v[88:89], v[36:37], v[36:37] op_sel:[0,1]
	v_fmac_f64_e32 v[88:89], v[86:87], v[84:85]
	v_pk_mov_b32 v[84:85], v[38:39], v[38:39] op_sel:[0,1]
	v_fmac_f64_e32 v[84:85], v[86:87], v[88:89]
	v_pk_mov_b32 v[88:89], v[40:41], v[40:41] op_sel:[0,1]
	v_fmac_f64_e32 v[88:89], v[86:87], v[84:85]
	v_cvt_f64_i32_e32 v[84:85], v3
	v_mul_f64 v[90:91], v[84:85], s[36:37]
	v_mul_f64 v[96:97], v[68:69], v[86:87]
	v_fma_f64 v[92:93], v[84:85], s[36:37], -v[90:91]
	v_fma_f64 v[98:99], v[86:87], v[68:69], -v[96:97]
	v_fmac_f64_e32 v[92:93], s[38:39], v[84:85]
	v_fmac_f64_e32 v[98:99], v[86:87], v[66:67]
	v_add_f64 v[84:85], v[90:91], v[92:93]
	v_fmac_f64_e32 v[98:99], v[70:71], v[68:69]
	v_add_f64 v[90:91], v[84:85], -v[90:91]
	v_ldexp_f64 v[94:95], v[66:67], 1
	v_add_f64 v[66:67], v[96:97], v[98:99]
	v_add_f64 v[90:91], v[92:93], -v[90:91]
	v_ldexp_f64 v[92:93], v[68:69], 1
	v_add_f64 v[68:69], v[66:67], -v[96:97]
	v_mul_f64 v[96:97], v[86:87], v[88:89]
	v_fma_f64 v[86:87], v[86:87], v[88:89], -v[96:97]
	v_fmac_f64_e32 v[86:87], v[70:71], v[88:89]
	v_add_f64 v[70:71], v[96:97], v[86:87]
	v_add_f64 v[88:89], v[70:71], -v[96:97]
	v_add_f64 v[86:87], v[86:87], -v[88:89]
	v_add_f64 v[88:89], v[70:71], s[26:27]
	s_mov_b32 s40, s26
	s_mov_b32 s2, 0xd5df274d
	v_add_f64 v[96:97], v[88:89], s[40:41]
	s_mov_b32 s3, 0x3c8543b0
	v_add_f64 v[70:71], v[70:71], -v[96:97]
	v_add_f64 v[86:87], v[86:87], s[2:3]
	v_add_f64 v[70:71], v[86:87], v[70:71]
	;; [unrolled: 1-line block ×3, first 2 shown]
	v_add_f64 v[88:89], v[88:89], -v[86:87]
	v_add_f64 v[70:71], v[70:71], v[88:89]
	v_mul_f64 v[88:89], v[66:67], v[86:87]
	v_fma_f64 v[96:97], v[66:67], v[86:87], -v[88:89]
	v_add_f64 v[68:69], v[98:99], -v[68:69]
	v_fmac_f64_e32 v[96:97], v[66:67], v[70:71]
	v_fmac_f64_e32 v[96:97], v[68:69], v[86:87]
	v_add_f64 v[66:67], v[88:89], v[96:97]
	v_add_f64 v[68:69], v[66:67], -v[88:89]
	v_add_f64 v[70:71], v[92:93], v[66:67]
	v_add_f64 v[68:69], v[96:97], -v[68:69]
	v_add_f64 v[86:87], v[70:71], -v[92:93]
	;; [unrolled: 1-line block ×3, first 2 shown]
	v_add_f64 v[68:69], v[94:95], v[68:69]
	v_add_f64 v[66:67], v[68:69], v[66:67]
	;; [unrolled: 1-line block ×3, first 2 shown]
	v_add_f64 v[70:71], v[68:69], -v[70:71]
	v_add_f64 v[66:67], v[66:67], -v[70:71]
	v_add_f64 v[70:71], v[84:85], v[68:69]
	v_add_f64 v[86:87], v[70:71], -v[84:85]
	v_add_f64 v[88:89], v[70:71], -v[86:87]
	;; [unrolled: 1-line block ×4, first 2 shown]
	v_add_f64 v[68:69], v[68:69], v[84:85]
	v_add_f64 v[84:85], v[90:91], v[66:67]
	v_add_f64 v[86:87], v[84:85], -v[90:91]
	v_add_f64 v[68:69], v[84:85], v[68:69]
	v_add_f64 v[88:89], v[84:85], -v[86:87]
	;; [unrolled: 2-line block ×3, first 2 shown]
	v_add_f64 v[66:67], v[66:67], -v[86:87]
	v_add_f64 v[70:71], v[84:85], -v[70:71]
	v_add_f64 v[66:67], v[66:67], v[88:89]
	v_add_f64 v[68:69], v[68:69], -v[70:71]
	v_add_f64 v[66:67], v[66:67], v[68:69]
	v_add_f64 v[68:69], v[84:85], v[66:67]
	v_add_f64 v[70:71], v[68:69], -v[84:85]
	v_add_f64 v[66:67], v[66:67], -v[70:71]
	v_mul_f64 v[70:71], v[0:1], v[68:69]
	v_fma_f64 v[68:69], v[0:1], v[68:69], -v[70:71]
	v_fmac_f64_e32 v[68:69], v[0:1], v[66:67]
	v_add_f64 v[66:67], v[70:71], v[68:69]
	v_cmp_class_f64_e64 s[2:3], v[70:71], s92
	v_add_f64 v[84:85], v[66:67], -v[70:71]
	v_cndmask_b32_e64 v67, v67, v71, s[2:3]
	v_cndmask_b32_e64 v66, v66, v70, s[2:3]
	v_add_f64 v[68:69], v[68:69], -v[84:85]
	v_cmp_neq_f64_e64 s[2:3], |v[66:67]|, s[44:45]
	v_cndmask_b32_e64 v69, 0, v69, s[2:3]
	v_cndmask_b32_e64 v68, 0, v68, s[2:3]
	s_mov_b32 s2, 0x652b82fe
	s_mov_b32 s3, 0x3ff71547
	v_mul_f64 v[70:71], v[66:67], s[2:3]
	v_rndne_f64_e32 v[70:71], v[70:71]
	s_mov_b32 s48, s36
	v_fma_f64 v[84:85], s[48:49], v[70:71], v[66:67]
	s_mov_b32 s50, s38
	s_mov_b32 s2, 0x6a5dcb37
	v_fmac_f64_e32 v[84:85], s[50:51], v[70:71]
	v_pk_mov_b32 v[86:87], v[42:43], v[42:43] op_sel:[0,1]
	s_mov_b32 s3, 0x3e5ade15
	v_fmac_f64_e32 v[86:87], s[2:3], v[84:85]
	v_pk_mov_b32 v[88:89], v[44:45], v[44:45] op_sel:[0,1]
	v_fmac_f64_e32 v[88:89], v[84:85], v[86:87]
	v_pk_mov_b32 v[86:87], v[46:47], v[46:47] op_sel:[0,1]
	v_fmac_f64_e32 v[86:87], v[84:85], v[88:89]
	v_pk_mov_b32 v[88:89], v[48:49], v[48:49] op_sel:[0,1]
	v_fmac_f64_e32 v[88:89], v[84:85], v[86:87]
	v_pk_mov_b32 v[86:87], v[50:51], v[50:51] op_sel:[0,1]
	v_fmac_f64_e32 v[86:87], v[84:85], v[88:89]
	v_pk_mov_b32 v[88:89], v[52:53], v[52:53] op_sel:[0,1]
	v_fmac_f64_e32 v[88:89], v[84:85], v[86:87]
	v_pk_mov_b32 v[86:87], v[54:55], v[54:55] op_sel:[0,1]
	v_fmac_f64_e32 v[86:87], v[84:85], v[88:89]
	v_pk_mov_b32 v[88:89], v[56:57], v[56:57] op_sel:[0,1]
	v_fmac_f64_e32 v[88:89], v[84:85], v[86:87]
	v_pk_mov_b32 v[86:87], v[58:59], v[58:59] op_sel:[0,1]
	v_fmac_f64_e32 v[86:87], v[84:85], v[88:89]
	v_fma_f64 v[86:87], v[84:85], v[86:87], 1.0
	s_mov_b32 s2, 0
	v_fma_f64 v[84:85], v[84:85], v[86:87], 1.0
	v_cvt_i32_f64_e32 v3, v[70:71]
	s_mov_b32 s3, 0x40900000
	s_mov_b32 s4, 0
	v_ldexp_f64 v[70:71], v[84:85], v3
	v_cmp_lt_f64_e64 s[2:3], s[2:3], v[66:67]
	s_mov_b32 s5, 0xc090cc00
	v_cndmask_b32_e64 v3, v70, 0, s[2:3]
	v_cndmask_b32_e64 v23, v71, v74, s[2:3]
	v_cmp_ngt_f64_e64 s[4:5], s[4:5], v[66:67]
	v_and_b32_e32 v71, 0x7fffffff, v71
	v_cndmask_b32_e64 v67, 0, v23, s[4:5]
	v_cndmask_b32_e64 v66, 0, v3, s[4:5]
	v_cmp_eq_f64_e64 s[6:7], s[44:45], v[70:71]
	v_pk_mov_b32 v[84:85], v[66:67], v[66:67] op_sel:[0,1]
	s_or_b64 s[2:3], s[2:3], s[6:7]
	v_fmac_f64_e32 v[84:85], v[84:85], v[68:69]
	s_and_b64 s[2:3], s[4:5], s[2:3]
	v_cndmask_b32_e64 v3, v84, v66, s[2:3]
	v_cndmask_b32_e64 v23, v85, v67, s[2:3]
	v_trunc_f64_e32 v[66:67], v[0:1]
	v_cmp_eq_f64_e64 s[2:3], v[66:67], v[0:1]
	v_mul_f64 v[66:67], v[0:1], 0.5
	v_trunc_f64_e32 v[68:69], v[66:67]
	v_cmp_neq_f64_e64 s[4:5], v[68:69], v[66:67]
	s_and_b64 s[4:5], s[2:3], s[4:5]
	v_cndmask_b32_e64 v64, v73, v9, s[4:5]
	s_brev_b32 s40, -2
	v_bfi_b32 v23, s40, v23, v64
	v_and_b32_e32 v19, 0x7fffffff, v19
	v_cndmask_b32_e64 v64, v75, v23, s[2:3]
	v_cndmask_b32_e64 v66, 0, v3, s[2:3]
	v_cmp_gt_f64_e64 s[2:3], 0, v[8:9]
	v_cndmask_b32_e32 v19, v19, v73, vcc
	v_cndmask_b32_e64 v18, v18, 0, vcc
	v_cndmask_b32_e64 v3, v3, v66, s[2:3]
	v_cndmask_b32_e64 v23, v23, v64, s[2:3]
	v_cmp_neq_f64_e32 vcc, v[0:1], v[18:19]
	v_cmp_gt_f64_e64 s[2:3], 1.0, v[10:11]
	s_xor_b64 s[2:3], vcc, s[2:3]
	v_cndmask_b32_e64 v64, v19, 0, s[2:3]
	v_cndmask_b32_e64 v66, v18, 0, s[2:3]
	v_cmp_eq_f64_e32 vcc, 1.0, v[10:11]
	v_cmp_eq_f64_e64 s[2:3], 0, v[8:9]
	v_cmp_gt_f64_e64 s[6:7], 0, v[0:1]
	v_cndmask_b32_e32 v66, v66, v10, vcc
	v_cndmask_b32_e32 v64, v64, v11, vcc
	v_cmp_eq_f64_e32 vcc, s[44:45], v[18:19]
	s_xor_b64 s[6:7], s[6:7], s[2:3]
	v_cndmask_b32_e32 v18, v23, v64, vcc
	v_cndmask_b32_e32 v3, v3, v66, vcc
	v_cmp_eq_f64_e32 vcc, s[44:45], v[10:11]
	v_cndmask_b32_e64 v0, v74, 0, s[6:7]
	v_cndmask_b32_e64 v1, 0, v9, s[4:5]
	v_bfi_b32 v0, s40, v0, v1
	s_or_b64 vcc, vcc, s[2:3]
	v_pk_mov_b32 v[8:9], v[12:13], v[12:13] op_sel:[0,1]
	s_mov_b64 s[84:85], exec
	v_cndmask_b32_e64 v66, v3, 0, vcc
	v_cndmask_b32_e32 v67, v18, v0, vcc
	v_add_f64 v[16:17], v[16:17], 1.0
	v_pk_mov_b32 v[10:11], v[14:15], v[14:15] op_sel:[0,1]
	v_mov_b32_e32 v70, v65
.LBB116_18:                             ;   in Loop: Header=BB116_4 Depth=1
	s_or_b64 exec, exec, s[82:83]
	s_orn2_b64 s[2:3], s[84:85], exec
.LBB116_19:                             ;   in Loop: Header=BB116_4 Depth=1
	s_or_b64 exec, exec, s[80:81]
	v_pk_mov_b32 v[68:69], s[78:79], s[78:79] op_sel:[0,1]
	s_and_saveexec_b64 s[4:5], s[2:3]
	s_cbranch_execz .LBB116_3
; %bb.20:                               ;   in Loop: Header=BB116_4 Depth=1
	s_brev_b32 s2, 6
	s_mov_b32 s3, 0xbfd55555
	v_add_f64 v[0:1], v[16:17], s[2:3]
	v_mul_f64 v[12:13], v[0:1], s[60:61]
	v_cmp_gt_f64_e32 vcc, s[62:63], v[12:13]
	v_cndmask_b32_e64 v3, 0, 1, vcc
	v_lshlrev_b32_e32 v3, 8, v3
	v_ldexp_f64 v[12:13], v[12:13], v3
	v_rsq_f64_e32 v[14:15], v[12:13]
	v_cndmask_b32_e32 v3, 0, v76, vcc
	v_cmp_class_f64_e32 vcc, v[12:13], v72
	v_mov_b32_e32 v99, 0
	v_mul_f64 v[16:17], v[12:13], v[14:15]
	v_mul_f64 v[14:15], v[14:15], 0.5
	v_fma_f64 v[18:19], -v[14:15], v[16:17], 0.5
	v_fmac_f64_e32 v[16:17], v[16:17], v[18:19]
	v_fmac_f64_e32 v[14:15], v[14:15], v[18:19]
	v_fma_f64 v[18:19], -v[16:17], v[16:17], v[12:13]
	v_fmac_f64_e32 v[16:17], v[18:19], v[14:15]
	v_fma_f64 v[18:19], -v[16:17], v[16:17], v[12:13]
	v_fmac_f64_e32 v[16:17], v[18:19], v[14:15]
	v_ldexp_f64 v[14:15], v[16:17], v3
	v_cndmask_b32_e32 v13, v15, v13, vcc
	v_cndmask_b32_e32 v12, v14, v12, vcc
	v_div_scale_f64 v[14:15], s[2:3], v[12:13], v[12:13], 1.0
	v_rcp_f64_e32 v[16:17], v[14:15]
	v_mul_f64 v[66:67], v[66:67], v[0:1]
	v_add_u32_e32 v3, 0x9e3779b9, v62
	v_add_u32_e32 v84, 0xbb67ae85, v63
	v_fma_f64 v[18:19], -v[14:15], v[16:17], 1.0
	v_fmac_f64_e32 v[16:17], v[16:17], v[18:19]
	v_fma_f64 v[18:19], -v[14:15], v[16:17], 1.0
	v_fmac_f64_e32 v[16:17], v[16:17], v[18:19]
	v_div_scale_f64 v[18:19], vcc, 1.0, v[12:13], 1.0
	v_mul_f64 v[64:65], v[18:19], v[16:17]
	v_fma_f64 v[14:15], -v[14:15], v[64:65], v[18:19]
	v_add_u32_e32 v85, 0x3c6ef372, v62
	s_nop 0
	v_div_fmas_f64 v[14:15], v[14:15], v[16:17], v[64:65]
	v_div_fixup_f64 v[64:65], v[14:15], v[12:13], 1.0
	v_add_u32_e32 v86, 0x76cf5d0a, v63
	v_add_u32_e32 v87, 0xdaa66d2b, v62
	v_add_u32_e32 v88, 0x32370b8f, v63
	v_add_u32_e32 v89, 0x78dde6e4, v62
	v_add_u32_e32 v90, 0xed9eba14, v63
	v_add_u32_e32 v91, 0x1715609d, v62
	v_add_u32_e32 v92, 0xa9066899, v63
	v_add_u32_e32 v93, 0xb54cda56, v62
	v_add_u32_e32 v94, 0x646e171e, v63
	v_add_u32_e32 v95, 0x5384540f, v62
	v_add_u32_e32 v96, 0x1fd5c5a3, v63
	v_add_u32_e32 v97, 0xf1bbcdc8, v62
	v_add_u32_e32 v98, 0xdb3d7428, v63
	s_mov_b64 s[6:7], 0
                                        ; implicit-def: $vgpr71
                                        ; implicit-def: $vgpr68_vgpr69
	s_branch .LBB116_22
.LBB116_21:                             ;   in Loop: Header=BB116_22 Depth=2
	s_or_b64 exec, exec, s[2:3]
	s_xor_b64 s[2:3], s[78:79], -1
	s_and_b64 s[2:3], exec, s[2:3]
	s_or_b64 s[6:7], s[2:3], s[6:7]
	s_andn2_b64 exec, exec, s[6:7]
	s_cbranch_execz .LBB116_2
.LBB116_22:                             ;   Parent Loop BB116_4 Depth=1
                                        ; =>  This Loop Header: Depth=2
                                        ;       Child Loop BB116_25 Depth 3
	v_pk_mov_b32 v[14:15], v[10:11], v[10:11] op_sel:[0,1]
	s_mov_b64 s[78:79], 0
	v_mov_b32_e32 v23, v70
	v_pk_mov_b32 v[12:13], v[8:9], v[8:9] op_sel:[0,1]
	s_branch .LBB116_25
.LBB116_23:                             ;   in Loop: Header=BB116_25 Depth=3
	s_or_b64 exec, exec, s[2:3]
	v_cmp_eq_u32_e32 vcc, 1, v23
	v_cndmask_b32_e32 v12, v12, v13, vcc
	v_cmp_eq_u32_e32 vcc, 2, v23
	v_cndmask_b32_e32 v12, v12, v14, vcc
	;; [unrolled: 2-line block ×4, first 2 shown]
	v_cvt_f32_u32_e32 v9, v12
	v_cmp_eq_u32_e32 vcc, 2, v70
	v_cndmask_b32_e32 v8, v8, v10, vcc
	v_mov_b32_e32 v10, 0x2f800000
	v_fmac_f32_e32 v10, 0x2f800000, v9
	v_cmp_gt_f32_e32 vcc, s47, v10
	v_cndmask_b32_e32 v9, 1.0, v77, vcc
	v_mul_f32_e32 v9, v10, v9
	v_log_f32_e32 v9, v9
	v_cmp_eq_u32_e64 s[2:3], 3, v70
	v_cndmask_b32_e64 v8, v8, v11, s[2:3]
	v_cvt_f32_u32_e32 v8, v8
	v_mul_f32_e32 v10, 0x3f317217, v9
	v_fma_f32 v11, v9, s52, -v10
	v_fmac_f32_e32 v11, 0x3377d1cf, v9
	v_add_f32_e32 v10, v10, v11
	v_cmp_lt_f32_e64 s[2:3], |v9|, s53
	v_cndmask_b32_e64 v9, v9, v10, s[2:3]
	v_cndmask_b32_e32 v10, 0, v78, vcc
	v_sub_f32_e32 v9, v9, v10
	v_mul_f32_e32 v9, -2.0, v9
	v_mul_f32_e32 v10, 0x4f800000, v9
	v_cmp_gt_f32_e32 vcc, s54, v9
	v_cndmask_b32_e32 v10, v9, v10, vcc
	v_sqrt_f32_e32 v9, v10
	v_mov_b32_e32 v11, 0x30c90fdb
	v_fmac_f32_e32 v11, 0x30c90fdb, v8
	v_mov_b32_e32 v99, 1
	v_add_u32_e32 v8, -1, v9
	v_fma_f32 v12, -v8, v9, v10
	v_cmp_ge_f32_e64 s[2:3], 0, v12
	v_add_u32_e32 v12, 1, v9
	v_cndmask_b32_e64 v8, v9, v8, s[2:3]
	v_fma_f32 v9, -v12, v9, v10
	v_cmp_lt_f32_e64 s[2:3], 0, v9
	v_mul_f32_e32 v9, 0.15915494, v11
	v_cndmask_b32_e64 v12, v8, v12, s[2:3]
	v_sin_f32_e32 v8, v9
	v_cos_f32_e32 v9, v9
	v_mul_f32_e32 v13, 0x37800000, v12
	v_cndmask_b32_e32 v11, v12, v13, vcc
	v_cmp_class_f32_e32 vcc, v10, v72
	v_cndmask_b32_e32 v10, v11, v10, vcc
	v_pk_mov_b32 v[12:13], v[16:17], v[16:17] op_sel:[0,1]
	v_pk_mul_f32 v[70:71], v[10:11], v[8:9] op_sel_hi:[0,1]
	v_pk_mov_b32 v[14:15], v[18:19], v[18:19] op_sel:[0,1]
	v_mov_b32_e32 v23, v100
.LBB116_24:                             ;   in Loop: Header=BB116_25 Depth=3
	s_or_b64 exec, exec, s[80:81]
	v_cvt_f64_f32_e32 v[16:17], v70
	v_fma_f64 v[18:19], v[64:65], v[16:17], 1.0
	v_cmp_nge_f64_e32 vcc, 0, v[18:19]
	s_or_b64 s[78:79], vcc, s[78:79]
	s_andn2_b64 exec, exec, s[78:79]
	s_cbranch_execz .LBB116_30
.LBB116_25:                             ;   Parent Loop BB116_4 Depth=1
                                        ;     Parent Loop BB116_22 Depth=2
                                        ; =>    This Inner Loop Header: Depth=3
	v_cmp_eq_u32_e32 vcc, 0, v99
	v_mov_b32_e32 v99, 0
	v_mov_b32_e32 v70, v71
	s_and_saveexec_b64 s[80:81], vcc
	s_cbranch_execz .LBB116_24
; %bb.26:                               ;   in Loop: Header=BB116_25 Depth=3
	v_add_u32_e32 v70, 1, v23
	v_pk_mov_b32 v[8:9], v[12:13], v[12:13] op_sel:[0,1]
	v_cmp_eq_u32_e32 vcc, 4, v70
	v_pk_mov_b32 v[10:11], v[14:15], v[14:15] op_sel:[0,1]
	s_and_saveexec_b64 s[2:3], vcc
	s_cbranch_execz .LBB116_28
; %bb.27:                               ;   in Loop: Header=BB116_25 Depth=3
	v_add_co_u32_e32 v4, vcc, 1, v4
	v_cndmask_b32_e64 v8, 0, 1, vcc
	v_addc_co_u32_e32 v5, vcc, 0, v5, vcc
	v_cmp_eq_u32_e32 vcc, 0, v5
	v_cndmask_b32_e32 v8, 0, v8, vcc
	v_add_u32_e32 v6, v8, v6
	v_cmp_eq_u32_e32 vcc, 0, v6
	v_cndmask_b32_e32 v8, 0, v8, vcc
	v_add_u32_e32 v7, v8, v7
	v_mad_u64_u32 v[8:9], s[82:83], v4, s15, 0
	v_mad_u64_u32 v[10:11], s[82:83], v6, s88, 0
	v_xor_b32_e32 v11, v11, v62
	v_xor_b32_e32 v9, v9, v63
	v_xor_b32_e32 v11, v5, v11
	v_xor_b32_e32 v9, v7, v9
	v_mad_u64_u32 v[16:17], s[82:83], v11, s15, 0
	v_mad_u64_u32 v[18:19], s[82:83], v9, s88, 0
	v_xor_b32_e32 v9, v19, v10
	v_xor_b32_e32 v8, v17, v8
	v_xor_b32_e32 v9, v3, v9
	v_xor_b32_e32 v10, v84, v8
	;; [unrolled: 6-line block ×9, first 2 shown]
	v_mad_u64_u32 v[16:17], s[82:83], v9, s15, 0
	v_mad_u64_u32 v[18:19], s[82:83], v11, s88, 0
	v_xor_b32_e32 v8, v19, v8
	v_xor_b32_e32 v9, v17, v10
	v_mov_b32_e32 v70, 0
	v_xor_b32_e32 v8, v82, v8
	v_xor_b32_e32 v10, v83, v9
	v_mov_b32_e32 v9, v18
	v_mov_b32_e32 v11, v16
.LBB116_28:                             ;   in Loop: Header=BB116_25 Depth=3
	s_or_b64 exec, exec, s[2:3]
	v_add_u32_e32 v100, 1, v70
	v_pk_mov_b32 v[18:19], v[10:11], v[10:11] op_sel:[0,1]
	v_cmp_eq_u32_e32 vcc, 4, v100
	v_pk_mov_b32 v[16:17], v[8:9], v[8:9] op_sel:[0,1]
	s_and_saveexec_b64 s[2:3], vcc
	s_cbranch_execz .LBB116_23
; %bb.29:                               ;   in Loop: Header=BB116_25 Depth=3
	v_add_co_u32_e32 v4, vcc, 1, v4
	v_cndmask_b32_e64 v16, 0, 1, vcc
	v_addc_co_u32_e32 v5, vcc, 0, v5, vcc
	v_cmp_eq_u32_e32 vcc, 0, v5
	v_cndmask_b32_e32 v16, 0, v16, vcc
	v_add_u32_e32 v6, v16, v6
	v_cmp_eq_u32_e32 vcc, 0, v6
	v_cndmask_b32_e32 v16, 0, v16, vcc
	v_add_u32_e32 v7, v16, v7
	v_mad_u64_u32 v[16:17], s[82:83], v4, s15, 0
	v_mad_u64_u32 v[18:19], s[82:83], v6, s88, 0
	v_xor_b32_e32 v19, v19, v62
	v_xor_b32_e32 v17, v17, v63
	v_xor_b32_e32 v19, v5, v19
	v_xor_b32_e32 v17, v7, v17
	v_mad_u64_u32 v[102:103], s[82:83], v19, s15, 0
	v_mad_u64_u32 v[104:105], s[82:83], v17, s88, 0
	v_xor_b32_e32 v17, v105, v18
	v_xor_b32_e32 v16, v103, v16
	v_xor_b32_e32 v17, v3, v17
	v_xor_b32_e32 v18, v84, v16
	;; [unrolled: 6-line block ×9, first 2 shown]
	v_mad_u64_u32 v[102:103], s[82:83], v17, s15, 0
	v_mad_u64_u32 v[104:105], s[82:83], v19, s88, 0
	v_xor_b32_e32 v16, v105, v16
	v_xor_b32_e32 v17, v103, v18
	v_mov_b32_e32 v100, 0
	v_xor_b32_e32 v16, v82, v16
	v_xor_b32_e32 v18, v83, v17
	v_mov_b32_e32 v17, v104
	v_mov_b32_e32 v19, v102
	s_branch .LBB116_23
.LBB116_30:                             ;   in Loop: Header=BB116_22 Depth=2
	s_or_b64 exec, exec, s[78:79]
	v_add_u32_e32 v70, 1, v23
	v_pk_mov_b32 v[8:9], v[12:13], v[12:13] op_sel:[0,1]
	v_cmp_eq_u32_e32 vcc, 4, v70
	v_pk_mov_b32 v[10:11], v[14:15], v[14:15] op_sel:[0,1]
	s_and_saveexec_b64 s[2:3], vcc
	s_cbranch_execz .LBB116_32
; %bb.31:                               ;   in Loop: Header=BB116_22 Depth=2
	v_add_co_u32_e32 v4, vcc, 1, v4
	v_cndmask_b32_e64 v8, 0, 1, vcc
	v_addc_co_u32_e32 v5, vcc, 0, v5, vcc
	v_cmp_eq_u32_e32 vcc, 0, v5
	v_cndmask_b32_e32 v8, 0, v8, vcc
	v_add_u32_e32 v6, v8, v6
	v_cmp_eq_u32_e32 vcc, 0, v6
	v_cndmask_b32_e32 v8, 0, v8, vcc
	v_add_u32_e32 v7, v8, v7
	v_mad_u64_u32 v[8:9], s[78:79], v4, s15, 0
	v_mad_u64_u32 v[10:11], s[78:79], v6, s88, 0
	v_xor_b32_e32 v11, v11, v62
	v_xor_b32_e32 v9, v9, v63
	v_xor_b32_e32 v11, v5, v11
	v_xor_b32_e32 v9, v7, v9
	v_mad_u64_u32 v[100:101], s[78:79], v11, s15, 0
	v_mad_u64_u32 v[102:103], s[78:79], v9, s88, 0
	v_xor_b32_e32 v9, v103, v10
	v_xor_b32_e32 v8, v101, v8
	v_xor_b32_e32 v9, v3, v9
	v_xor_b32_e32 v10, v84, v8
	;; [unrolled: 6-line block ×9, first 2 shown]
	v_mad_u64_u32 v[100:101], s[78:79], v9, s15, 0
	v_mad_u64_u32 v[102:103], s[78:79], v11, s88, 0
	v_xor_b32_e32 v8, v103, v8
	v_xor_b32_e32 v9, v101, v10
	v_mov_b32_e32 v70, 0
	v_xor_b32_e32 v8, v82, v8
	v_xor_b32_e32 v10, v83, v9
	v_mov_b32_e32 v9, v102
	v_mov_b32_e32 v11, v100
.LBB116_32:                             ;   in Loop: Header=BB116_22 Depth=2
	s_or_b64 exec, exec, s[2:3]
	v_cmp_eq_u32_e32 vcc, 1, v23
	v_cndmask_b32_e32 v12, v12, v13, vcc
	v_cmp_eq_u32_e32 vcc, 2, v23
	v_cndmask_b32_e32 v12, v12, v14, vcc
	v_cmp_eq_u32_e32 vcc, 3, v23
	v_cndmask_b32_e32 v12, v12, v15, vcc
	v_cvt_f32_u32_e32 v14, v12
	v_mov_b32_e32 v15, 0x2f800000
	v_mul_f64 v[12:13], v[18:19], v[18:19]
	v_mul_f64 v[12:13], v[18:19], v[12:13]
	v_fmac_f32_e32 v15, 0x2f800000, v14
	v_cvt_f64_f32_e32 v[14:15], v15
	v_add_f64 v[18:19], -v[14:15], 1.0
	v_mul_f64 v[14:15], v[16:17], v[16:17]
	v_mul_f64 v[16:17], v[14:15], s[64:65]
	v_fma_f64 v[16:17], v[14:15], v[16:17], 1.0
	v_cmp_nlt_f64_e32 vcc, v[18:19], v[16:17]
                                        ; implicit-def: $sgpr78_sgpr79
	s_and_saveexec_b64 s[2:3], vcc
	s_xor_b64 s[2:3], exec, s[2:3]
	s_cbranch_execz .LBB116_36
; %bb.33:                               ;   in Loop: Header=BB116_22 Depth=2
	v_frexp_mant_f64_e32 v[16:17], v[18:19]
	v_cmp_gt_f64_e32 vcc, s[26:27], v[16:17]
	v_cndmask_b32_e64 v23, v73, 2.0, vcc
	v_frexp_exp_i32_f64_e32 v100, v[18:19]
	v_mul_f64 v[16:17], v[16:17], v[22:23]
	v_subbrev_co_u32_e32 v23, vcc, 0, v100, vcc
	v_add_f64 v[100:101], v[16:17], 1.0
	v_rcp_f64_e32 v[102:103], v[100:101]
	v_add_f64 v[106:107], v[100:101], -1.0
	v_add_f64 v[104:105], v[16:17], -1.0
	v_add_f64 v[16:17], v[16:17], -v[106:107]
	v_fma_f64 v[106:107], -v[100:101], v[102:103], 1.0
	v_fmac_f64_e32 v[102:103], v[106:107], v[102:103]
	v_fma_f64 v[106:107], -v[100:101], v[102:103], 1.0
	v_fmac_f64_e32 v[102:103], v[106:107], v[102:103]
	v_mul_f64 v[106:107], v[104:105], v[102:103]
	v_mul_f64 v[108:109], v[100:101], v[106:107]
	v_fma_f64 v[100:101], v[106:107], v[100:101], -v[108:109]
	v_fmac_f64_e32 v[100:101], v[106:107], v[16:17]
	v_add_f64 v[16:17], v[108:109], v[100:101]
	v_add_f64 v[110:111], v[104:105], -v[16:17]
	v_add_f64 v[108:109], v[16:17], -v[108:109]
	;; [unrolled: 1-line block ×5, first 2 shown]
	v_add_f64 v[16:17], v[100:101], v[16:17]
	v_add_f64 v[16:17], v[110:111], v[16:17]
	v_mul_f64 v[16:17], v[102:103], v[16:17]
	v_add_f64 v[100:101], v[106:107], v[16:17]
	v_add_f64 v[102:103], v[100:101], -v[106:107]
	v_add_f64 v[16:17], v[16:17], -v[102:103]
	v_mul_f64 v[102:103], v[100:101], v[100:101]
	v_pk_mov_b32 v[104:105], s[66:67], s[66:67] op_sel:[0,1]
	v_fma_f64 v[106:107], s[68:69], v[102:103], v[104:105]
	v_fma_f64 v[106:107], v[102:103], v[106:107], s[70:71]
	;; [unrolled: 1-line block ×5, first 2 shown]
	s_mov_b32 s75, s27
	v_fma_f64 v[106:107], v[102:103], v[106:107], s[74:75]
	v_ldexp_f64 v[108:109], v[100:101], 1
	v_mul_f64 v[100:101], v[100:101], v[102:103]
	v_mul_f64 v[100:101], v[100:101], v[106:107]
	v_add_f64 v[102:103], v[108:109], v[100:101]
	v_add_f64 v[106:107], v[102:103], -v[108:109]
	v_ldexp_f64 v[16:17], v[16:17], 1
	v_add_f64 v[100:101], v[100:101], -v[106:107]
	v_add_f64 v[16:17], v[16:17], v[100:101]
	v_add_f64 v[100:101], v[102:103], v[16:17]
	v_add_f64 v[102:103], v[100:101], -v[102:103]
	v_add_f64 v[16:17], v[16:17], -v[102:103]
	v_cvt_f64_i32_e32 v[102:103], v23
	v_mul_f64 v[106:107], v[102:103], s[36:37]
	v_fma_f64 v[108:109], v[102:103], s[36:37], -v[106:107]
	v_fmac_f64_e32 v[108:109], s[38:39], v[102:103]
	v_add_f64 v[102:103], v[106:107], v[108:109]
	v_add_f64 v[106:107], v[102:103], -v[106:107]
	v_add_f64 v[106:107], v[108:109], -v[106:107]
	v_add_f64 v[108:109], v[102:103], v[100:101]
	v_add_f64 v[110:111], v[108:109], -v[102:103]
	v_add_f64 v[112:113], v[108:109], -v[110:111]
	;; [unrolled: 1-line block ×4, first 2 shown]
	v_add_f64 v[100:101], v[100:101], v[102:103]
	v_add_f64 v[102:103], v[106:107], v[16:17]
	v_add_f64 v[110:111], v[102:103], -v[106:107]
	v_add_f64 v[112:113], v[102:103], -v[110:111]
	v_add_f64 v[100:101], v[102:103], v[100:101]
	v_add_f64 v[106:107], v[106:107], -v[112:113]
	v_add_f64 v[16:17], v[16:17], -v[110:111]
	v_add_f64 v[102:103], v[108:109], v[100:101]
	v_add_f64 v[16:17], v[16:17], v[106:107]
	v_add_f64 v[106:107], v[102:103], -v[108:109]
	v_add_f64 v[100:101], v[100:101], -v[106:107]
	v_add_f64 v[16:17], v[16:17], v[100:101]
	v_add_f64 v[16:17], v[102:103], v[16:17]
	v_cmp_class_f64_e64 vcc, v[18:19], s92
	v_cndmask_b32_e32 v16, v16, v18, vcc
	v_cndmask_b32_e32 v17, v17, v19, vcc
	v_cmp_ngt_f64_e32 vcc, 0, v[18:19]
	v_cndmask_b32_e32 v17, v75, v17, vcc
	v_cmp_nge_f64_e32 vcc, 0, v[18:19]
	v_cndmask_b32_e32 v16, 0, v16, vcc
	v_cmp_neq_f64_e32 vcc, 0, v[18:19]
	v_frexp_mant_f64_e32 v[100:101], v[12:13]
	v_cndmask_b32_e32 v17, v79, v17, vcc
	v_cmp_gt_f64_e32 vcc, s[26:27], v[100:101]
	v_cndmask_b32_e64 v23, v73, 2.0, vcc
	v_frexp_exp_i32_f64_e32 v102, v[12:13]
	v_mul_f64 v[100:101], v[100:101], v[22:23]
	v_subbrev_co_u32_e32 v23, vcc, 0, v102, vcc
	v_add_f64 v[102:103], v[100:101], 1.0
	v_rcp_f64_e32 v[106:107], v[102:103]
	v_add_f64 v[110:111], v[102:103], -1.0
	v_add_f64 v[108:109], v[100:101], -1.0
	v_add_f64 v[100:101], v[100:101], -v[110:111]
	v_fma_f64 v[110:111], -v[102:103], v[106:107], 1.0
	v_fmac_f64_e32 v[106:107], v[110:111], v[106:107]
	v_fma_f64 v[110:111], -v[102:103], v[106:107], 1.0
	v_fmac_f64_e32 v[106:107], v[110:111], v[106:107]
	v_mul_f64 v[110:111], v[108:109], v[106:107]
	v_mul_f64 v[112:113], v[102:103], v[110:111]
	v_fma_f64 v[102:103], v[110:111], v[102:103], -v[112:113]
	v_fmac_f64_e32 v[102:103], v[110:111], v[100:101]
	v_add_f64 v[100:101], v[112:113], v[102:103]
	v_add_f64 v[114:115], v[108:109], -v[100:101]
	v_add_f64 v[112:113], v[100:101], -v[112:113]
	;; [unrolled: 1-line block ×5, first 2 shown]
	v_add_f64 v[100:101], v[102:103], v[100:101]
	v_add_f64 v[100:101], v[114:115], v[100:101]
	v_mul_f64 v[100:101], v[106:107], v[100:101]
	v_add_f64 v[102:103], v[110:111], v[100:101]
	v_add_f64 v[106:107], v[102:103], -v[110:111]
	v_add_f64 v[100:101], v[100:101], -v[106:107]
	v_mul_f64 v[106:107], v[102:103], v[102:103]
	v_fmac_f64_e32 v[104:105], s[68:69], v[106:107]
	v_fma_f64 v[104:105], v[106:107], v[104:105], s[70:71]
	v_fma_f64 v[104:105], v[106:107], v[104:105], s[72:73]
	;; [unrolled: 1-line block ×5, first 2 shown]
	v_ldexp_f64 v[108:109], v[102:103], 1
	v_mul_f64 v[102:103], v[102:103], v[106:107]
	v_mul_f64 v[102:103], v[102:103], v[104:105]
	v_add_f64 v[104:105], v[108:109], v[102:103]
	v_add_f64 v[106:107], v[104:105], -v[108:109]
	v_ldexp_f64 v[100:101], v[100:101], 1
	v_add_f64 v[102:103], v[102:103], -v[106:107]
	v_add_f64 v[100:101], v[100:101], v[102:103]
	v_add_f64 v[102:103], v[104:105], v[100:101]
	v_add_f64 v[104:105], v[102:103], -v[104:105]
	v_add_f64 v[100:101], v[100:101], -v[104:105]
	v_cvt_f64_i32_e32 v[104:105], v23
	v_mul_f64 v[106:107], v[104:105], s[36:37]
	v_fma_f64 v[108:109], v[104:105], s[36:37], -v[106:107]
	v_fmac_f64_e32 v[108:109], s[38:39], v[104:105]
	v_add_f64 v[104:105], v[106:107], v[108:109]
	v_add_f64 v[106:107], v[104:105], -v[106:107]
	v_add_f64 v[106:107], v[108:109], -v[106:107]
	v_add_f64 v[108:109], v[104:105], v[102:103]
	v_add_f64 v[110:111], v[108:109], -v[104:105]
	v_add_f64 v[112:113], v[108:109], -v[110:111]
	;; [unrolled: 1-line block ×4, first 2 shown]
	v_add_f64 v[102:103], v[102:103], v[104:105]
	v_add_f64 v[104:105], v[106:107], v[100:101]
	v_add_f64 v[110:111], v[104:105], -v[106:107]
	v_add_f64 v[112:113], v[104:105], -v[110:111]
	v_add_f64 v[102:103], v[104:105], v[102:103]
	v_add_f64 v[106:107], v[106:107], -v[112:113]
	v_add_f64 v[100:101], v[100:101], -v[110:111]
	v_add_f64 v[104:105], v[108:109], v[102:103]
	v_add_f64 v[100:101], v[100:101], v[106:107]
	v_add_f64 v[106:107], v[104:105], -v[108:109]
	v_add_f64 v[102:103], v[102:103], -v[106:107]
	v_add_f64 v[100:101], v[100:101], v[102:103]
	v_add_f64 v[100:101], v[104:105], v[100:101]
	v_cmp_class_f64_e64 vcc, v[12:13], s92
	v_cndmask_b32_e32 v23, v100, v12, vcc
	v_cndmask_b32_e32 v100, v101, v13, vcc
	v_cmp_ngt_f64_e32 vcc, 0, v[12:13]
	v_cndmask_b32_e32 v101, v75, v100, vcc
	v_cmp_nge_f64_e32 vcc, 0, v[12:13]
	v_cndmask_b32_e32 v100, 0, v23, vcc
	v_cmp_neq_f64_e32 vcc, 0, v[12:13]
	v_add_f64 v[18:19], -v[12:13], 1.0
	v_cndmask_b32_e32 v101, v79, v101, vcc
	v_add_f64 v[18:19], v[18:19], v[100:101]
	v_mul_f64 v[18:19], v[0:1], v[18:19]
	v_fmac_f64_e32 v[18:19], 0.5, v[14:15]
	v_cmp_lt_f64_e32 vcc, v[16:17], v[18:19]
	s_mov_b64 s[78:79], -1
	s_and_saveexec_b64 s[80:81], vcc
; %bb.34:                               ;   in Loop: Header=BB116_22 Depth=2
	v_mul_f64 v[68:69], v[66:67], v[12:13]
	s_xor_b64 s[78:79], exec, -1
; %bb.35:                               ;   in Loop: Header=BB116_22 Depth=2
	s_or_b64 exec, exec, s[80:81]
	s_and_b64 s[78:79], s[78:79], exec
                                        ; implicit-def: $vgpr12_vgpr13
.LBB116_36:                             ;   in Loop: Header=BB116_22 Depth=2
	s_andn2_saveexec_b64 s[2:3], s[2:3]
	s_cbranch_execz .LBB116_21
; %bb.37:                               ;   in Loop: Header=BB116_22 Depth=2
	v_mul_f64 v[68:69], v[66:67], v[12:13]
	s_andn2_b64 s[78:79], s[78:79], exec
	s_branch .LBB116_21
.LBB116_38:
	s_endpgm
	.section	.rodata,"a",@progbits
	.p2align	6, 0x0
	.amdhsa_kernel _ZN2at4cuda12_GLOBAL__N_121kernelPointwiseApply2IZN12_GLOBAL__N_117gamma_cuda_kernelIdEEvRKNS_10TensorBaseES7_NS_15PhiloxCudaStateEEUlRdRKdE_ddjLin1ELi2ELi1ELi256ELi2EEEvNS0_6detail10TensorInfoIT0_T2_EENSE_IT1_SG_EESG_T_
		.amdhsa_group_segment_fixed_size 0
		.amdhsa_private_segment_fixed_size 0
		.amdhsa_kernarg_size 728
		.amdhsa_user_sgpr_count 6
		.amdhsa_user_sgpr_private_segment_buffer 1
		.amdhsa_user_sgpr_dispatch_ptr 0
		.amdhsa_user_sgpr_queue_ptr 0
		.amdhsa_user_sgpr_kernarg_segment_ptr 1
		.amdhsa_user_sgpr_dispatch_id 0
		.amdhsa_user_sgpr_flat_scratch_init 0
		.amdhsa_user_sgpr_kernarg_preload_length 0
		.amdhsa_user_sgpr_kernarg_preload_offset 0
		.amdhsa_user_sgpr_private_segment_size 0
		.amdhsa_uses_dynamic_stack 0
		.amdhsa_system_sgpr_private_segment_wavefront_offset 0
		.amdhsa_system_sgpr_workgroup_id_x 1
		.amdhsa_system_sgpr_workgroup_id_y 0
		.amdhsa_system_sgpr_workgroup_id_z 0
		.amdhsa_system_sgpr_workgroup_info 0
		.amdhsa_system_vgpr_workitem_id 0
		.amdhsa_next_free_vgpr 117
		.amdhsa_next_free_sgpr 96
		.amdhsa_accum_offset 120
		.amdhsa_reserve_vcc 1
		.amdhsa_reserve_flat_scratch 0
		.amdhsa_float_round_mode_32 0
		.amdhsa_float_round_mode_16_64 0
		.amdhsa_float_denorm_mode_32 3
		.amdhsa_float_denorm_mode_16_64 3
		.amdhsa_dx10_clamp 1
		.amdhsa_ieee_mode 1
		.amdhsa_fp16_overflow 0
		.amdhsa_tg_split 0
		.amdhsa_exception_fp_ieee_invalid_op 0
		.amdhsa_exception_fp_denorm_src 0
		.amdhsa_exception_fp_ieee_div_zero 0
		.amdhsa_exception_fp_ieee_overflow 0
		.amdhsa_exception_fp_ieee_underflow 0
		.amdhsa_exception_fp_ieee_inexact 0
		.amdhsa_exception_int_div_zero 0
	.end_amdhsa_kernel
	.section	.text._ZN2at4cuda12_GLOBAL__N_121kernelPointwiseApply2IZN12_GLOBAL__N_117gamma_cuda_kernelIdEEvRKNS_10TensorBaseES7_NS_15PhiloxCudaStateEEUlRdRKdE_ddjLin1ELi2ELi1ELi256ELi2EEEvNS0_6detail10TensorInfoIT0_T2_EENSE_IT1_SG_EESG_T_,"axG",@progbits,_ZN2at4cuda12_GLOBAL__N_121kernelPointwiseApply2IZN12_GLOBAL__N_117gamma_cuda_kernelIdEEvRKNS_10TensorBaseES7_NS_15PhiloxCudaStateEEUlRdRKdE_ddjLin1ELi2ELi1ELi256ELi2EEEvNS0_6detail10TensorInfoIT0_T2_EENSE_IT1_SG_EESG_T_,comdat
.Lfunc_end116:
	.size	_ZN2at4cuda12_GLOBAL__N_121kernelPointwiseApply2IZN12_GLOBAL__N_117gamma_cuda_kernelIdEEvRKNS_10TensorBaseES7_NS_15PhiloxCudaStateEEUlRdRKdE_ddjLin1ELi2ELi1ELi256ELi2EEEvNS0_6detail10TensorInfoIT0_T2_EENSE_IT1_SG_EESG_T_, .Lfunc_end116-_ZN2at4cuda12_GLOBAL__N_121kernelPointwiseApply2IZN12_GLOBAL__N_117gamma_cuda_kernelIdEEvRKNS_10TensorBaseES7_NS_15PhiloxCudaStateEEUlRdRKdE_ddjLin1ELi2ELi1ELi256ELi2EEEvNS0_6detail10TensorInfoIT0_T2_EENSE_IT1_SG_EESG_T_
                                        ; -- End function
	.section	.AMDGPU.csdata,"",@progbits
; Kernel info:
; codeLenInByte = 7692
; NumSgprs: 100
; NumVgprs: 117
; NumAgprs: 0
; TotalNumVgprs: 117
; ScratchSize: 0
; MemoryBound: 0
; FloatMode: 240
; IeeeMode: 1
; LDSByteSize: 0 bytes/workgroup (compile time only)
; SGPRBlocks: 12
; VGPRBlocks: 14
; NumSGPRsForWavesPerEU: 100
; NumVGPRsForWavesPerEU: 117
; AccumOffset: 120
; Occupancy: 4
; WaveLimiterHint : 1
; COMPUTE_PGM_RSRC2:SCRATCH_EN: 0
; COMPUTE_PGM_RSRC2:USER_SGPR: 6
; COMPUTE_PGM_RSRC2:TRAP_HANDLER: 0
; COMPUTE_PGM_RSRC2:TGID_X_EN: 1
; COMPUTE_PGM_RSRC2:TGID_Y_EN: 0
; COMPUTE_PGM_RSRC2:TGID_Z_EN: 0
; COMPUTE_PGM_RSRC2:TIDIG_COMP_CNT: 0
; COMPUTE_PGM_RSRC3_GFX90A:ACCUM_OFFSET: 29
; COMPUTE_PGM_RSRC3_GFX90A:TG_SPLIT: 0
	.section	.text._ZN2at4cuda12_GLOBAL__N_121kernelPointwiseApply2IZN12_GLOBAL__N_117gamma_cuda_kernelIdEEvRKNS_10TensorBaseES7_NS_15PhiloxCudaStateEEUlRdRKdE_ddjLin1ELin1ELi1ELi256ELi2EEEvNS0_6detail10TensorInfoIT0_T2_EENSE_IT1_SG_EESG_T_,"axG",@progbits,_ZN2at4cuda12_GLOBAL__N_121kernelPointwiseApply2IZN12_GLOBAL__N_117gamma_cuda_kernelIdEEvRKNS_10TensorBaseES7_NS_15PhiloxCudaStateEEUlRdRKdE_ddjLin1ELin1ELi1ELi256ELi2EEEvNS0_6detail10TensorInfoIT0_T2_EENSE_IT1_SG_EESG_T_,comdat
	.globl	_ZN2at4cuda12_GLOBAL__N_121kernelPointwiseApply2IZN12_GLOBAL__N_117gamma_cuda_kernelIdEEvRKNS_10TensorBaseES7_NS_15PhiloxCudaStateEEUlRdRKdE_ddjLin1ELin1ELi1ELi256ELi2EEEvNS0_6detail10TensorInfoIT0_T2_EENSE_IT1_SG_EESG_T_ ; -- Begin function _ZN2at4cuda12_GLOBAL__N_121kernelPointwiseApply2IZN12_GLOBAL__N_117gamma_cuda_kernelIdEEvRKNS_10TensorBaseES7_NS_15PhiloxCudaStateEEUlRdRKdE_ddjLin1ELin1ELi1ELi256ELi2EEEvNS0_6detail10TensorInfoIT0_T2_EENSE_IT1_SG_EESG_T_
	.p2align	8
	.type	_ZN2at4cuda12_GLOBAL__N_121kernelPointwiseApply2IZN12_GLOBAL__N_117gamma_cuda_kernelIdEEvRKNS_10TensorBaseES7_NS_15PhiloxCudaStateEEUlRdRKdE_ddjLin1ELin1ELi1ELi256ELi2EEEvNS0_6detail10TensorInfoIT0_T2_EENSE_IT1_SG_EESG_T_,@function
_ZN2at4cuda12_GLOBAL__N_121kernelPointwiseApply2IZN12_GLOBAL__N_117gamma_cuda_kernelIdEEvRKNS_10TensorBaseES7_NS_15PhiloxCudaStateEEUlRdRKdE_ddjLin1ELin1ELi1ELi256ELi2EEEvNS0_6detail10TensorInfoIT0_T2_EENSE_IT1_SG_EESG_T_: ; @_ZN2at4cuda12_GLOBAL__N_121kernelPointwiseApply2IZN12_GLOBAL__N_117gamma_cuda_kernelIdEEvRKNS_10TensorBaseES7_NS_15PhiloxCudaStateEEUlRdRKdE_ddjLin1ELin1ELi1ELi256ELi2EEEvNS0_6detail10TensorInfoIT0_T2_EENSE_IT1_SG_EESG_T_
; %bb.0:
	s_load_dword s2, s[4:5], 0x1e4
	s_load_dword s33, s[4:5], 0x1b0
	s_add_u32 s0, s4, 0x1d8
	s_addc_u32 s1, s5, 0
	s_waitcnt lgkmcnt(0)
	s_and_b32 s2, s2, 0xffff
	s_mul_i32 s6, s6, s2
	v_add_u32_e32 v2, s6, v0
	v_cmp_gt_u32_e32 vcc, s33, v2
	s_and_saveexec_b64 s[6:7], vcc
	s_cbranch_execz .LBB117_41
; %bb.1:
	s_load_dword s91, s[0:1], 0x0
	s_load_dword s3, s[4:5], 0x1d0
	;; [unrolled: 1-line block ×3, first 2 shown]
	s_load_dwordx2 s[6:7], s[4:5], 0x1c8
	s_load_dwordx4 s[8:11], s[4:5], 0x1b8
	s_load_dword s26, s[4:5], 0x1a8
	s_load_dwordx2 s[12:13], s[4:5], 0xd8
	s_load_dword s14, s[4:5], 0x6c
                                        ; kill: killed $sgpr0 killed $sgpr1
	s_load_dword s0, s[4:5], 0x144
	s_load_dwordx2 s[18:19], s[4:5], 0x0
	s_add_u32 s24, s4, 0xd8
	s_addc_u32 s25, s5, 0
                                        ; implicit-def: $vgpr116 : SGPR spill to VGPR lane
	s_waitcnt lgkmcnt(0)
	s_cmp_gt_i32 s22, 1
	v_writelane_b32 v116, s14, 0
	s_cselect_b64 s[14:15], -1, 0
	s_cmp_gt_i32 s26, 1
	s_mov_b32 s90, 0xcd9e8d57
	v_writelane_b32 v116, s0, 1
	s_cselect_b64 s[16:17], -1, 0
	s_bitcmp1_b32 s3, 0
	v_mad_u64_u32 v[20:21], s[0:1], v2, s90, 0
	s_cselect_b64 s[20:21], -1, 0
	s_add_i32 s0, s22, 1
	v_writelane_b32 v116, s0, 2
	s_add_i32 s0, s22, -1
	s_mov_b32 s1, 0
	s_mul_i32 s91, s91, s2
	s_lshl_b64 s[2:3], s[0:1], 2
	s_add_u32 s0, s2, s4
	s_addc_u32 s2, s3, s5
	s_add_u32 s22, s0, 8
	s_addc_u32 s23, s2, 0
	s_add_i32 s0, s26, 1
	v_writelane_b32 v116, s0, 3
	s_add_i32 s0, s26, -1
	s_lshl_b64 s[0:1], s[0:1], 2
	s_add_u32 s0, s0, s24
	s_addc_u32 s1, s1, s25
	s_add_u32 s24, s0, 8
	s_mov_b32 s28, 0x55555555
	s_mov_b32 s34, 0x9b27acf1
	;; [unrolled: 1-line block ×8, first 2 shown]
	s_mov_b32 s66, -2.0
	s_mov_b32 s68, 0x6b47b09a
	s_mov_b32 s70, 0xbf559e2b
	s_mov_b32 s72, 0xd7f4df2e
	s_mov_b32 s74, 0x16291751
	s_mov_b32 s78, 0
	v_mov_b32_e32 v22, 0
	v_mov_b32_e32 v24, v21
	s_addc_u32 s25, s1, 0
	s_mov_b64 s[26:27], 0
	v_mov_b32_e32 v21, s13
	s_mov_b32 s13, 0xd2511f53
	s_mov_b32 s29, 0x3fe55555
	;; [unrolled: 1-line block ×7, first 2 shown]
	s_movk_i32 s95, 0x204
	s_mov_b32 s47, 0x7ff00000
	s_mov_b32 s51, 0xbfe62e42
	;; [unrolled: 1-line block ×3, first 2 shown]
	v_mov_b32_e32 v25, 0x260
	s_mov_b32 s30, 0x3c6ef372
	s_mov_b32 s31, 0x76cf5d0a
	;; [unrolled: 1-line block ×19, first 2 shown]
	v_mov_b32_e32 v72, 0x3ff00000
	v_mov_b32_e32 v26, 0x968915a9
	;; [unrolled: 1-line block ×43, first 2 shown]
	s_mov_b32 s63, 0x40220000
	s_brev_b32 s65, 8
	s_mov_b32 s67, 0xbfa0f27b
	s_mov_b32 s69, 0x3fc38538
	;; [unrolled: 1-line block ×7, first 2 shown]
	s_branch .LBB117_4
.LBB117_2:                              ;   in Loop: Header=BB117_4 Depth=1
	s_or_b64 exec, exec, s[4:5]
.LBB117_3:                              ;   in Loop: Header=BB117_4 Depth=1
	s_or_b64 exec, exec, s[2:3]
	v_lshlrev_b64 v[0:1], 3, v[60:61]
	v_mov_b32_e32 v3, s19
	v_add_co_u32_e32 v0, vcc, s18, v0
	v_addc_co_u32_e32 v1, vcc, v3, v1, vcc
	v_cmp_ngt_f64_e32 vcc, s[78:79], v[68:69]
	v_add_u32_e32 v80, s91, v80
	v_cndmask_b32_e32 v5, v79, v69, vcc
	v_cndmask_b32_e32 v4, 0, v68, vcc
	v_cmp_le_u32_e32 vcc, s33, v80
	s_or_b64 s[26:27], vcc, s[26:27]
	global_store_dwordx2 v[0:1], v[4:5], off
	s_andn2_b64 exec, exec, s[26:27]
	s_cbranch_execz .LBB117_41
.LBB117_4:                              ; =>This Loop Header: Depth=1
                                        ;     Child Loop BB117_7 Depth 2
                                        ;     Child Loop BB117_12 Depth 2
	;; [unrolled: 1-line block ×3, first 2 shown]
                                        ;       Child Loop BB117_28 Depth 3
	v_sub_u32_e32 v0, s33, v80
	v_cmp_lt_i32_e64 s[0:1], 0, v0
	v_pk_mov_b32 v[60:61], 0, 0
	s_and_saveexec_b64 s[2:3], s[0:1]
	s_cbranch_execz .LBB117_9
; %bb.5:                                ;   in Loop: Header=BB117_4 Depth=1
	s_andn2_b64 vcc, exec, s[14:15]
	v_mov_b32_e32 v0, 0
	v_mov_b32_e32 v3, v80
	s_cbranch_vccnz .LBB117_8
; %bb.6:                                ;   in Loop: Header=BB117_4 Depth=1
	v_mov_b32_e32 v0, 0
	s_mov_b64 s[4:5], s[22:23]
	v_readlane_b32 s42, v116, 2
	v_mov_b32_e32 v3, v80
.LBB117_7:                              ;   Parent Loop BB117_4 Depth=1
                                        ; =>  This Inner Loop Header: Depth=2
	s_load_dword s50, s[4:5], 0x0
	s_load_dword s52, s[4:5], 0x64
	v_mov_b32_e32 v1, v3
	s_add_i32 s42, s42, -1
	s_waitcnt lgkmcnt(0)
	v_cvt_f32_u32_e32 v3, s50
	s_sub_i32 s77, 0, s50
	s_add_u32 s4, s4, -4
	s_addc_u32 s5, s5, -1
	v_rcp_iflag_f32_e32 v3, v3
	s_cmp_gt_u32 s42, 2
	v_mul_f32_e32 v3, 0x4f7ffffe, v3
	v_cvt_u32_f32_e32 v3, v3
	v_mul_lo_u32 v4, s77, v3
	v_mul_hi_u32 v4, v3, v4
	v_add_u32_e32 v3, v3, v4
	v_mul_hi_u32 v3, v1, v3
	v_mul_lo_u32 v4, v3, s50
	v_sub_u32_e32 v4, v1, v4
	v_add_u32_e32 v5, 1, v3
	v_subrev_u32_e32 v6, s50, v4
	v_cmp_le_u32_e32 vcc, s50, v4
	v_cndmask_b32_e32 v3, v3, v5, vcc
	v_cndmask_b32_e32 v4, v4, v6, vcc
	v_add_u32_e32 v5, 1, v3
	v_cmp_le_u32_e32 vcc, s50, v4
	v_cndmask_b32_e32 v3, v3, v5, vcc
	v_mul_lo_u32 v4, v3, s50
	v_sub_u32_e32 v1, v1, v4
	v_mad_u64_u32 v[0:1], s[80:81], s52, v1, v[0:1]
	s_cbranch_scc1 .LBB117_7
.LBB117_8:                              ;   in Loop: Header=BB117_4 Depth=1
	v_readlane_b32 s4, v116, 0
	v_mad_u64_u32 v[60:61], s[4:5], s4, v3, v[0:1]
	v_mov_b32_e32 v61, v22
.LBB117_9:                              ;   in Loop: Header=BB117_4 Depth=1
	s_or_b64 exec, exec, s[2:3]
	v_pk_mov_b32 v[0:1], 0, 0
	s_and_saveexec_b64 s[2:3], s[0:1]
	s_cbranch_execz .LBB117_14
; %bb.10:                               ;   in Loop: Header=BB117_4 Depth=1
	s_andn2_b64 vcc, exec, s[16:17]
	v_mov_b32_e32 v0, 0
	v_mov_b32_e32 v3, v80
	s_cbranch_vccnz .LBB117_13
; %bb.11:                               ;   in Loop: Header=BB117_4 Depth=1
	v_mov_b32_e32 v0, 0
	s_mov_b64 s[0:1], s[24:25]
	v_readlane_b32 s4, v116, 3
	v_mov_b32_e32 v3, v80
.LBB117_12:                             ;   Parent Loop BB117_4 Depth=1
                                        ; =>  This Inner Loop Header: Depth=2
	s_load_dword s5, s[0:1], 0x0
	s_load_dword s42, s[0:1], 0x64
	v_mov_b32_e32 v1, v3
	s_add_i32 s4, s4, -1
	s_waitcnt lgkmcnt(0)
	v_cvt_f32_u32_e32 v3, s5
	s_sub_i32 s50, 0, s5
	s_add_u32 s0, s0, -4
	s_addc_u32 s1, s1, -1
	v_rcp_iflag_f32_e32 v3, v3
	s_cmp_gt_u32 s4, 2
	v_mul_f32_e32 v3, 0x4f7ffffe, v3
	v_cvt_u32_f32_e32 v3, v3
	v_mul_lo_u32 v4, s50, v3
	v_mul_hi_u32 v4, v3, v4
	v_add_u32_e32 v3, v3, v4
	v_mul_hi_u32 v3, v1, v3
	v_mul_lo_u32 v4, v3, s5
	v_sub_u32_e32 v4, v1, v4
	v_add_u32_e32 v5, 1, v3
	v_cmp_le_u32_e32 vcc, s5, v4
	v_cndmask_b32_e32 v3, v3, v5, vcc
	v_subrev_u32_e32 v5, s5, v4
	v_cndmask_b32_e32 v4, v4, v5, vcc
	v_add_u32_e32 v5, 1, v3
	v_cmp_le_u32_e32 vcc, s5, v4
	v_cndmask_b32_e32 v3, v3, v5, vcc
	v_mul_lo_u32 v4, v3, s5
	v_sub_u32_e32 v1, v1, v4
	v_mad_u64_u32 v[0:1], s[80:81], s42, v1, v[0:1]
	s_cbranch_scc1 .LBB117_12
.LBB117_13:                             ;   in Loop: Header=BB117_4 Depth=1
	v_readlane_b32 s0, v116, 1
	v_mad_u64_u32 v[0:1], s[0:1], s0, v3, v[0:1]
	v_mov_b32_e32 v1, v22
.LBB117_14:                             ;   in Loop: Header=BB117_4 Depth=1
	s_or_b64 exec, exec, s[2:3]
	v_lshlrev_b64 v[0:1], 3, v[0:1]
	v_add_co_u32_e32 v0, vcc, s12, v0
	v_addc_co_u32_e32 v1, vcc, v21, v1, vcc
	global_load_dwordx2 v[16:17], v[0:1], off
	s_andn2_b64 vcc, exec, s[20:21]
	v_pk_mov_b32 v[0:1], s[10:11], s[10:11] op_sel:[0,1]
	v_pk_mov_b32 v[62:63], s[8:9], s[8:9] op_sel:[0,1]
	s_cbranch_vccnz .LBB117_16
; %bb.15:                               ;   in Loop: Header=BB117_4 Depth=1
	v_pk_mov_b32 v[0:1], s[10:11], s[10:11] op_sel:[0,1]
	flat_load_dwordx2 v[0:1], v[0:1]
	v_pk_mov_b32 v[4:5], s[8:9], s[8:9] op_sel:[0,1]
	flat_load_dwordx2 v[62:63], v[4:5]
	v_mov_b32_e32 v3, s7
	s_waitcnt vmcnt(0) lgkmcnt(0)
	v_add_co_u32_e32 v0, vcc, s6, v0
	v_addc_co_u32_e32 v1, vcc, v1, v3, vcc
.LBB117_16:                             ;   in Loop: Header=BB117_4 Depth=1
	v_and_b32_e32 v70, 3, v0
	v_alignbit_b32 v0, v1, v0, 2
	v_mad_u64_u32 v[6:7], s[0:1], v0, s13, 0
	v_lshrrev_b32_e32 v1, 2, v1
	v_xor_b32_e32 v5, v7, v63
	v_xor_b32_e32 v7, v24, v62
	v_mov_b32_e32 v4, v63
	v_xor_b32_e32 v7, v7, v1
	v_add_co_u32_e32 v23, vcc, s88, v4
	v_mad_u64_u32 v[8:9], s[0:1], v7, s13, 0
	v_mad_u64_u32 v[10:11], s[0:1], v5, s90, 0
	v_add_co_u32_e32 v68, vcc, 0x9e3779b9, v62
	v_xor_b32_e32 v5, v20, v11
	v_xor_b32_e32 v7, v23, v9
	v_xor_b32_e32 v5, v5, v68
	v_xor_b32_e32 v9, v7, v6
	v_add_co_u32_e32 v71, vcc, s30, v62
	v_add_co_u32_e32 v69, vcc, s31, v4
	v_mad_u64_u32 v[6:7], s[0:1], v5, s13, 0
	v_mad_u64_u32 v[12:13], s[0:1], v9, s90, 0
	v_xor_b32_e32 v5, v71, v13
	v_xor_b32_e32 v7, v69, v7
	v_xor_b32_e32 v5, v5, v10
	v_xor_b32_e32 v7, v7, v8
	v_add_co_u32_e32 v84, vcc, s89, v62
	v_add_co_u32_e32 v83, vcc, s44, v4
	v_mad_u64_u32 v[8:9], s[0:1], v5, s13, 0
	v_mad_u64_u32 v[10:11], s[0:1], v7, s90, 0
	;; [unrolled: 8-line block ×7, first 2 shown]
	v_xor_b32_e32 v7, v94, v7
	v_xor_b32_e32 v5, v93, v5
	;; [unrolled: 1-line block ×4, first 2 shown]
	v_mad_u64_u32 v[18:19], s[0:1], v7, s13, 0
	v_mad_u64_u32 v[64:65], s[0:1], v5, s90, 0
	v_mov_b32_e32 v3, v22
	v_add_u32_e32 v81, 0x8ff34781, v62
	v_add_u32_e32 v82, 0x96a522ad, v63
	v_xor_b32_e32 v5, v65, v6
	v_xor_b32_e32 v4, v19, v4
	;; [unrolled: 1-line block ×4, first 2 shown]
	v_mov_b32_e32 v66, 0
	v_pk_mov_b32 v[6:7], v[2:3], v[2:3] op_sel:[0,1]
	v_mov_b32_e32 v9, v64
	v_mov_b32_e32 v11, v18
	s_waitcnt vmcnt(0)
	v_cmp_gt_f64_e32 vcc, 1.0, v[16:17]
	s_mov_b64 s[0:1], -1
	v_mov_b32_e32 v67, 0x3ff00000
	v_pk_mov_b32 v[4:5], v[0:1], v[0:1] op_sel:[0,1]
                                        ; implicit-def: $sgpr80_sgpr81
	s_and_saveexec_b64 s[82:83], vcc
	s_cbranch_execz .LBB117_22
; %bb.17:                               ;   in Loop: Header=BB117_4 Depth=1
	v_mov_b32_e32 v66, 0
	v_cmp_neq_f64_e32 vcc, 0, v[16:17]
	s_mov_b64 s[80:81], 0
	v_mov_b32_e32 v67, 0x3ff00000
	s_mov_b64 s[86:87], 0
                                        ; implicit-def: $vgpr4_vgpr5_vgpr6_vgpr7
	s_and_saveexec_b64 s[84:85], vcc
	s_cbranch_execz .LBB117_21
; %bb.18:                               ;   in Loop: Header=BB117_4 Depth=1
	v_add_u32_e32 v65, 1, v70
	v_pk_mov_b32 v[14:15], v[10:11], v[10:11] op_sel:[0,1]
	v_pk_mov_b32 v[6:7], v[2:3], v[2:3] op_sel:[0,1]
	v_cmp_eq_u32_e32 vcc, 4, v65
	v_pk_mov_b32 v[12:13], v[8:9], v[8:9] op_sel:[0,1]
	v_pk_mov_b32 v[4:5], v[0:1], v[0:1] op_sel:[0,1]
	s_and_saveexec_b64 s[0:1], vcc
	s_cbranch_execz .LBB117_20
; %bb.19:                               ;   in Loop: Header=BB117_4 Depth=1
	v_add_co_u32_e32 v4, vcc, 1, v0
	v_cndmask_b32_e64 v0, 0, 1, vcc
	v_addc_co_u32_e32 v5, vcc, 0, v1, vcc
	v_cmp_eq_u32_e32 vcc, 0, v5
	v_cndmask_b32_e32 v0, 0, v0, vcc
	v_add_u32_e32 v6, v0, v2
	v_cmp_eq_u32_e32 vcc, 0, v6
	v_cndmask_b32_e32 v7, 0, v0, vcc
	v_mad_u64_u32 v[0:1], s[2:3], v4, s13, 0
	v_mad_u64_u32 v[12:13], s[2:3], v6, s90, 0
	v_xor_b32_e32 v3, v13, v62
	v_xor_b32_e32 v1, v1, v63
	v_xor_b32_e32 v3, v5, v3
	v_xor_b32_e32 v1, v7, v1
	v_mad_u64_u32 v[14:15], s[2:3], v3, s13, 0
	v_mad_u64_u32 v[66:67], s[2:3], v1, s90, 0
	v_xor_b32_e32 v1, v68, v67
	v_xor_b32_e32 v3, v23, v15
	v_xor_b32_e32 v1, v1, v12
	v_xor_b32_e32 v3, v3, v0
	v_mad_u64_u32 v[0:1], s[2:3], v1, s13, 0
	v_mad_u64_u32 v[12:13], s[2:3], v3, s90, 0
	v_xor_b32_e32 v3, v71, v13
	v_xor_b32_e32 v1, v69, v1
	v_xor_b32_e32 v3, v3, v66
	v_xor_b32_e32 v1, v1, v14
	v_mad_u64_u32 v[14:15], s[2:3], v3, s13, 0
	v_mad_u64_u32 v[66:67], s[2:3], v1, s90, 0
	v_xor_b32_e32 v1, v84, v67
	v_xor_b32_e32 v3, v83, v15
	v_xor_b32_e32 v1, v1, v12
	v_xor_b32_e32 v3, v3, v0
	v_mad_u64_u32 v[0:1], s[2:3], v1, s13, 0
	v_mad_u64_u32 v[12:13], s[2:3], v3, s90, 0
	v_xor_b32_e32 v3, v86, v13
	v_xor_b32_e32 v1, v85, v1
	v_xor_b32_e32 v3, v3, v66
	v_xor_b32_e32 v1, v1, v14
	v_mad_u64_u32 v[14:15], s[2:3], v3, s13, 0
	v_mad_u64_u32 v[66:67], s[2:3], v1, s90, 0
	v_xor_b32_e32 v1, v88, v67
	v_xor_b32_e32 v3, v87, v15
	v_xor_b32_e32 v1, v1, v12
	v_xor_b32_e32 v3, v3, v0
	v_mad_u64_u32 v[0:1], s[2:3], v1, s13, 0
	v_mad_u64_u32 v[12:13], s[2:3], v3, s90, 0
	v_xor_b32_e32 v3, v90, v13
	v_xor_b32_e32 v1, v89, v1
	v_xor_b32_e32 v3, v3, v66
	v_xor_b32_e32 v1, v1, v14
	v_mad_u64_u32 v[14:15], s[2:3], v3, s13, 0
	v_mad_u64_u32 v[66:67], s[2:3], v1, s90, 0
	v_xor_b32_e32 v1, v92, v67
	v_xor_b32_e32 v3, v91, v15
	v_xor_b32_e32 v1, v1, v12
	v_xor_b32_e32 v3, v3, v0
	v_mad_u64_u32 v[0:1], s[2:3], v1, s13, 0
	v_mad_u64_u32 v[12:13], s[2:3], v3, s90, 0
	v_xor_b32_e32 v3, v94, v13
	v_xor_b32_e32 v1, v93, v1
	v_xor_b32_e32 v3, v3, v66
	v_xor_b32_e32 v1, v1, v14
	v_mad_u64_u32 v[66:67], s[2:3], v3, s13, 0
	v_mad_u64_u32 v[68:69], s[2:3], v1, s90, 0
	v_xor_b32_e32 v1, v69, v12
	v_xor_b32_e32 v0, v67, v0
	v_mov_b32_e32 v65, 0
	v_xor_b32_e32 v12, v81, v1
	v_xor_b32_e32 v14, v82, v0
	v_mov_b32_e32 v13, v68
	v_mov_b32_e32 v15, v66
.LBB117_20:                             ;   in Loop: Header=BB117_4 Depth=1
	s_or_b64 exec, exec, s[0:1]
	v_cmp_eq_u32_e32 vcc, 1, v70
	v_cndmask_b32_e32 v0, v8, v64, vcc
	v_cmp_eq_u32_e32 vcc, 2, v70
	v_cndmask_b32_e32 v0, v0, v10, vcc
	;; [unrolled: 2-line block ×3, first 2 shown]
	v_cvt_f32_u32_e32 v3, v0
	v_div_scale_f64 v[0:1], s[0:1], v[16:17], v[16:17], 1.0
	v_rcp_f64_e32 v[8:9], v[0:1]
	v_mov_b32_e32 v10, 0x2f800000
	v_fmac_f32_e32 v10, 0x2f800000, v3
	v_cvt_f64_f32_e32 v[10:11], v10
	v_fma_f64 v[18:19], -v[0:1], v[8:9], 1.0
	v_fmac_f64_e32 v[8:9], v[8:9], v[18:19]
	v_fma_f64 v[18:19], -v[0:1], v[8:9], 1.0
	v_fmac_f64_e32 v[8:9], v[8:9], v[18:19]
	v_div_scale_f64 v[18:19], vcc, 1.0, v[16:17], 1.0
	v_mul_f64 v[66:67], v[18:19], v[8:9]
	v_fma_f64 v[0:1], -v[0:1], v[66:67], v[18:19]
	v_add_f64 v[10:11], -v[10:11], 1.0
	s_nop 0
	v_div_fmas_f64 v[0:1], v[0:1], v[8:9], v[66:67]
	v_div_fixup_f64 v[18:19], v[0:1], v[16:17], 1.0
	v_cmp_eq_f64_e32 vcc, 1.0, v[10:11]
	v_cndmask_b32_e32 v1, v19, v72, vcc
	v_cndmask_b32_e64 v0, v18, 0, vcc
	v_cmp_eq_f64_e64 s[0:1], 0, v[0:1]
	v_and_b32_e32 v3, 0x7fffffff, v11
	v_cndmask_b32_e64 v9, v11, v72, s[0:1]
	v_cndmask_b32_e64 v8, v10, 0, s[0:1]
	;; [unrolled: 1-line block ×4, first 2 shown]
	v_frexp_mant_f64_e32 v[66:67], v[10:11]
	v_cmp_gt_f64_e64 s[0:1], s[28:29], v[66:67]
	v_cndmask_b32_e64 v23, v72, 2.0, s[0:1]
	v_mul_f64 v[66:67], v[66:67], v[22:23]
	v_add_f64 v[68:69], v[66:67], 1.0
	v_rcp_f64_e32 v[70:71], v[68:69]
	v_add_f64 v[86:87], v[68:69], -1.0
	v_add_f64 v[84:85], v[66:67], -1.0
	v_add_f64 v[66:67], v[66:67], -v[86:87]
	v_fma_f64 v[86:87], -v[68:69], v[70:71], 1.0
	v_fmac_f64_e32 v[70:71], v[86:87], v[70:71]
	v_fma_f64 v[86:87], -v[68:69], v[70:71], 1.0
	v_fmac_f64_e32 v[70:71], v[86:87], v[70:71]
	v_mul_f64 v[86:87], v[84:85], v[70:71]
	v_mul_f64 v[88:89], v[68:69], v[86:87]
	v_fma_f64 v[68:69], v[86:87], v[68:69], -v[88:89]
	v_fmac_f64_e32 v[68:69], v[86:87], v[66:67]
	v_add_f64 v[66:67], v[88:89], v[68:69]
	v_add_f64 v[90:91], v[84:85], -v[66:67]
	v_add_f64 v[88:89], v[66:67], -v[88:89]
	;; [unrolled: 1-line block ×5, first 2 shown]
	v_add_f64 v[66:67], v[68:69], v[66:67]
	v_add_f64 v[66:67], v[90:91], v[66:67]
	v_mul_f64 v[66:67], v[70:71], v[66:67]
	v_add_f64 v[68:69], v[86:87], v[66:67]
	v_add_f64 v[70:71], v[68:69], -v[86:87]
	v_add_f64 v[66:67], v[66:67], -v[70:71]
	v_mul_f64 v[70:71], v[68:69], v[68:69]
	v_fma_f64 v[84:85], v[68:69], v[68:69], -v[70:71]
	v_add_f64 v[86:87], v[66:67], v[66:67]
	v_frexp_exp_i32_f64_e32 v3, v[10:11]
	v_fmac_f64_e32 v[84:85], v[68:69], v[86:87]
	v_subbrev_co_u32_e64 v3, s[0:1], 0, v3, s[0:1]
	v_add_f64 v[86:87], v[70:71], v[84:85]
	v_add_f64 v[70:71], v[86:87], -v[70:71]
	s_mov_b32 s0, 0x4222de17
	v_add_f64 v[70:71], v[84:85], -v[70:71]
	v_pk_mov_b32 v[84:85], v[26:27], v[26:27] op_sel:[0,1]
	s_mov_b32 s1, 0x3fbdee67
	v_fmac_f64_e32 v[84:85], s[0:1], v[86:87]
	v_pk_mov_b32 v[88:89], v[28:29], v[28:29] op_sel:[0,1]
	v_fmac_f64_e32 v[88:89], v[86:87], v[84:85]
	v_pk_mov_b32 v[84:85], v[30:31], v[30:31] op_sel:[0,1]
	;; [unrolled: 2-line block ×7, first 2 shown]
	v_fmac_f64_e32 v[88:89], v[86:87], v[84:85]
	v_cvt_f64_i32_e32 v[84:85], v3
	v_mul_f64 v[90:91], v[84:85], s[38:39]
	v_mul_f64 v[96:97], v[68:69], v[86:87]
	v_fma_f64 v[92:93], v[84:85], s[38:39], -v[90:91]
	v_fma_f64 v[98:99], v[86:87], v[68:69], -v[96:97]
	v_fmac_f64_e32 v[92:93], s[40:41], v[84:85]
	v_fmac_f64_e32 v[98:99], v[86:87], v[66:67]
	v_add_f64 v[84:85], v[90:91], v[92:93]
	v_fmac_f64_e32 v[98:99], v[70:71], v[68:69]
	v_add_f64 v[90:91], v[84:85], -v[90:91]
	v_ldexp_f64 v[94:95], v[66:67], 1
	v_add_f64 v[66:67], v[96:97], v[98:99]
	v_add_f64 v[90:91], v[92:93], -v[90:91]
	v_ldexp_f64 v[92:93], v[68:69], 1
	v_add_f64 v[68:69], v[66:67], -v[96:97]
	v_mul_f64 v[96:97], v[86:87], v[88:89]
	v_fma_f64 v[86:87], v[86:87], v[88:89], -v[96:97]
	v_fmac_f64_e32 v[86:87], v[70:71], v[88:89]
	v_add_f64 v[70:71], v[96:97], v[86:87]
	v_add_f64 v[88:89], v[70:71], -v[96:97]
	v_add_f64 v[86:87], v[86:87], -v[88:89]
	v_add_f64 v[88:89], v[70:71], s[28:29]
	s_mov_b32 s42, s28
	s_mov_b32 s0, 0xd5df274d
	v_add_f64 v[96:97], v[88:89], s[42:43]
	s_mov_b32 s1, 0x3c8543b0
	v_add_f64 v[70:71], v[70:71], -v[96:97]
	v_add_f64 v[86:87], v[86:87], s[0:1]
	v_add_f64 v[70:71], v[86:87], v[70:71]
	;; [unrolled: 1-line block ×3, first 2 shown]
	v_add_f64 v[88:89], v[88:89], -v[86:87]
	v_add_f64 v[70:71], v[70:71], v[88:89]
	v_mul_f64 v[88:89], v[66:67], v[86:87]
	v_fma_f64 v[96:97], v[66:67], v[86:87], -v[88:89]
	v_add_f64 v[68:69], v[98:99], -v[68:69]
	v_fmac_f64_e32 v[96:97], v[66:67], v[70:71]
	v_fmac_f64_e32 v[96:97], v[68:69], v[86:87]
	v_add_f64 v[66:67], v[88:89], v[96:97]
	v_add_f64 v[68:69], v[66:67], -v[88:89]
	v_add_f64 v[70:71], v[92:93], v[66:67]
	v_add_f64 v[68:69], v[96:97], -v[68:69]
	v_add_f64 v[86:87], v[70:71], -v[92:93]
	;; [unrolled: 1-line block ×3, first 2 shown]
	v_add_f64 v[68:69], v[94:95], v[68:69]
	v_add_f64 v[66:67], v[68:69], v[66:67]
	;; [unrolled: 1-line block ×3, first 2 shown]
	v_add_f64 v[70:71], v[68:69], -v[70:71]
	v_add_f64 v[66:67], v[66:67], -v[70:71]
	v_add_f64 v[70:71], v[84:85], v[68:69]
	v_add_f64 v[86:87], v[70:71], -v[84:85]
	v_add_f64 v[88:89], v[70:71], -v[86:87]
	;; [unrolled: 1-line block ×4, first 2 shown]
	v_add_f64 v[68:69], v[68:69], v[84:85]
	v_add_f64 v[84:85], v[90:91], v[66:67]
	v_add_f64 v[86:87], v[84:85], -v[90:91]
	v_add_f64 v[68:69], v[84:85], v[68:69]
	v_add_f64 v[88:89], v[84:85], -v[86:87]
	;; [unrolled: 2-line block ×3, first 2 shown]
	v_add_f64 v[66:67], v[66:67], -v[86:87]
	v_add_f64 v[70:71], v[84:85], -v[70:71]
	v_add_f64 v[66:67], v[66:67], v[88:89]
	v_add_f64 v[68:69], v[68:69], -v[70:71]
	v_add_f64 v[66:67], v[66:67], v[68:69]
	v_add_f64 v[68:69], v[84:85], v[66:67]
	v_add_f64 v[70:71], v[68:69], -v[84:85]
	v_add_f64 v[66:67], v[66:67], -v[70:71]
	v_mul_f64 v[70:71], v[0:1], v[68:69]
	v_fma_f64 v[68:69], v[0:1], v[68:69], -v[70:71]
	v_fmac_f64_e32 v[68:69], v[0:1], v[66:67]
	v_add_f64 v[66:67], v[70:71], v[68:69]
	v_cmp_class_f64_e64 s[0:1], v[70:71], s95
	v_add_f64 v[84:85], v[66:67], -v[70:71]
	v_cndmask_b32_e64 v67, v67, v71, s[0:1]
	v_cndmask_b32_e64 v66, v66, v70, s[0:1]
	v_add_f64 v[68:69], v[68:69], -v[84:85]
	v_cmp_neq_f64_e64 s[0:1], |v[66:67]|, s[46:47]
	v_cndmask_b32_e64 v69, 0, v69, s[0:1]
	v_cndmask_b32_e64 v68, 0, v68, s[0:1]
	s_mov_b32 s0, 0x652b82fe
	s_mov_b32 s1, 0x3ff71547
	v_mul_f64 v[70:71], v[66:67], s[0:1]
	v_rndne_f64_e32 v[70:71], v[70:71]
	s_mov_b32 s50, s38
	v_fma_f64 v[84:85], s[50:51], v[70:71], v[66:67]
	s_mov_b32 s52, s40
	s_mov_b32 s0, 0x6a5dcb37
	v_fmac_f64_e32 v[84:85], s[52:53], v[70:71]
	v_pk_mov_b32 v[86:87], v[42:43], v[42:43] op_sel:[0,1]
	s_mov_b32 s1, 0x3e5ade15
	v_fmac_f64_e32 v[86:87], s[0:1], v[84:85]
	v_pk_mov_b32 v[88:89], v[44:45], v[44:45] op_sel:[0,1]
	v_fmac_f64_e32 v[88:89], v[84:85], v[86:87]
	v_pk_mov_b32 v[86:87], v[46:47], v[46:47] op_sel:[0,1]
	;; [unrolled: 2-line block ×8, first 2 shown]
	v_fmac_f64_e32 v[86:87], v[84:85], v[88:89]
	v_fma_f64 v[86:87], v[84:85], v[86:87], 1.0
	s_mov_b32 s0, 0
	v_fma_f64 v[84:85], v[84:85], v[86:87], 1.0
	v_cvt_i32_f64_e32 v3, v[70:71]
	s_mov_b32 s1, 0x40900000
	s_mov_b32 s2, 0
	v_ldexp_f64 v[70:71], v[84:85], v3
	v_cmp_lt_f64_e64 s[0:1], s[0:1], v[66:67]
	s_mov_b32 s3, 0xc090cc00
	v_cndmask_b32_e64 v3, v70, 0, s[0:1]
	v_cndmask_b32_e64 v23, v71, v73, s[0:1]
	v_cmp_ngt_f64_e64 s[2:3], s[2:3], v[66:67]
	v_and_b32_e32 v71, 0x7fffffff, v71
	v_cndmask_b32_e64 v67, 0, v23, s[2:3]
	v_cndmask_b32_e64 v66, 0, v3, s[2:3]
	v_cmp_eq_f64_e64 s[4:5], s[46:47], v[70:71]
	v_pk_mov_b32 v[84:85], v[66:67], v[66:67] op_sel:[0,1]
	s_or_b64 s[0:1], s[0:1], s[4:5]
	v_fmac_f64_e32 v[84:85], v[84:85], v[68:69]
	s_and_b64 s[0:1], s[2:3], s[0:1]
	v_cndmask_b32_e64 v3, v84, v66, s[0:1]
	v_cndmask_b32_e64 v23, v85, v67, s[0:1]
	v_trunc_f64_e32 v[66:67], v[0:1]
	v_cmp_eq_f64_e64 s[0:1], v[66:67], v[0:1]
	v_mul_f64 v[66:67], v[0:1], 0.5
	v_trunc_f64_e32 v[68:69], v[66:67]
	v_cmp_neq_f64_e64 s[2:3], v[68:69], v[66:67]
	s_and_b64 s[2:3], s[0:1], s[2:3]
	v_cndmask_b32_e64 v64, v72, v9, s[2:3]
	s_brev_b32 s42, -2
	v_bfi_b32 v23, s42, v23, v64
	v_and_b32_e32 v19, 0x7fffffff, v19
	v_cndmask_b32_e64 v64, v74, v23, s[0:1]
	v_cndmask_b32_e64 v66, 0, v3, s[0:1]
	v_cmp_gt_f64_e64 s[0:1], 0, v[8:9]
	v_cndmask_b32_e32 v19, v19, v72, vcc
	v_cndmask_b32_e64 v18, v18, 0, vcc
	v_cndmask_b32_e64 v3, v3, v66, s[0:1]
	v_cndmask_b32_e64 v23, v23, v64, s[0:1]
	v_cmp_neq_f64_e32 vcc, v[0:1], v[18:19]
	v_cmp_gt_f64_e64 s[0:1], 1.0, v[10:11]
	s_xor_b64 s[0:1], vcc, s[0:1]
	v_cndmask_b32_e64 v64, v19, 0, s[0:1]
	v_cndmask_b32_e64 v66, v18, 0, s[0:1]
	v_cmp_eq_f64_e32 vcc, 1.0, v[10:11]
	v_cmp_eq_f64_e64 s[0:1], 0, v[8:9]
	v_cmp_gt_f64_e64 s[4:5], 0, v[0:1]
	v_cndmask_b32_e32 v66, v66, v10, vcc
	v_cndmask_b32_e32 v64, v64, v11, vcc
	v_cmp_eq_f64_e32 vcc, s[46:47], v[18:19]
	s_xor_b64 s[4:5], s[4:5], s[0:1]
	v_cndmask_b32_e32 v18, v23, v64, vcc
	v_cndmask_b32_e32 v3, v3, v66, vcc
	v_cmp_eq_f64_e32 vcc, s[46:47], v[10:11]
	v_cndmask_b32_e64 v0, v73, 0, s[4:5]
	v_cndmask_b32_e64 v1, 0, v9, s[2:3]
	v_bfi_b32 v0, s42, v0, v1
	s_or_b64 vcc, vcc, s[0:1]
	v_pk_mov_b32 v[8:9], v[12:13], v[12:13] op_sel:[0,1]
	s_mov_b64 s[86:87], exec
	v_cndmask_b32_e64 v66, v3, 0, vcc
	v_cndmask_b32_e32 v67, v18, v0, vcc
	v_add_f64 v[16:17], v[16:17], 1.0
	v_pk_mov_b32 v[10:11], v[14:15], v[14:15] op_sel:[0,1]
	v_mov_b32_e32 v70, v65
.LBB117_21:                             ;   in Loop: Header=BB117_4 Depth=1
	s_or_b64 exec, exec, s[84:85]
	s_orn2_b64 s[0:1], s[86:87], exec
.LBB117_22:                             ;   in Loop: Header=BB117_4 Depth=1
	s_or_b64 exec, exec, s[82:83]
	v_pk_mov_b32 v[68:69], s[80:81], s[80:81] op_sel:[0,1]
	s_and_saveexec_b64 s[2:3], s[0:1]
	s_cbranch_execz .LBB117_3
; %bb.23:                               ;   in Loop: Header=BB117_4 Depth=1
	s_brev_b32 s0, 6
	s_mov_b32 s1, 0xbfd55555
	v_add_f64 v[0:1], v[16:17], s[0:1]
	v_mul_f64 v[12:13], v[0:1], s[62:63]
	v_cmp_gt_f64_e32 vcc, s[64:65], v[12:13]
	v_cndmask_b32_e64 v3, 0, 1, vcc
	v_lshlrev_b32_e32 v3, 8, v3
	v_ldexp_f64 v[12:13], v[12:13], v3
	v_rsq_f64_e32 v[14:15], v[12:13]
	v_cndmask_b32_e32 v3, 0, v75, vcc
	v_cmp_class_f64_e32 vcc, v[12:13], v25
	v_mov_b32_e32 v98, 0
	v_mul_f64 v[16:17], v[12:13], v[14:15]
	v_mul_f64 v[14:15], v[14:15], 0.5
	v_fma_f64 v[18:19], -v[14:15], v[16:17], 0.5
	v_fmac_f64_e32 v[16:17], v[16:17], v[18:19]
	v_fmac_f64_e32 v[14:15], v[14:15], v[18:19]
	v_fma_f64 v[18:19], -v[16:17], v[16:17], v[12:13]
	v_fmac_f64_e32 v[16:17], v[18:19], v[14:15]
	v_fma_f64 v[18:19], -v[16:17], v[16:17], v[12:13]
	v_fmac_f64_e32 v[16:17], v[18:19], v[14:15]
	v_ldexp_f64 v[14:15], v[16:17], v3
	v_cndmask_b32_e32 v13, v15, v13, vcc
	v_cndmask_b32_e32 v12, v14, v12, vcc
	v_div_scale_f64 v[14:15], s[0:1], v[12:13], v[12:13], 1.0
	v_rcp_f64_e32 v[16:17], v[14:15]
	v_mul_f64 v[66:67], v[66:67], v[0:1]
	v_add_u32_e32 v3, 0x9e3779b9, v62
	v_add_u32_e32 v83, 0xbb67ae85, v63
	v_fma_f64 v[18:19], -v[14:15], v[16:17], 1.0
	v_fmac_f64_e32 v[16:17], v[16:17], v[18:19]
	v_fma_f64 v[18:19], -v[14:15], v[16:17], 1.0
	v_fmac_f64_e32 v[16:17], v[16:17], v[18:19]
	v_div_scale_f64 v[18:19], vcc, 1.0, v[12:13], 1.0
	v_mul_f64 v[64:65], v[18:19], v[16:17]
	v_fma_f64 v[14:15], -v[14:15], v[64:65], v[18:19]
	v_add_u32_e32 v84, 0x3c6ef372, v62
	s_nop 0
	v_div_fmas_f64 v[14:15], v[14:15], v[16:17], v[64:65]
	v_div_fixup_f64 v[64:65], v[14:15], v[12:13], 1.0
	v_add_u32_e32 v85, 0x76cf5d0a, v63
	v_add_u32_e32 v86, 0xdaa66d2b, v62
	;; [unrolled: 1-line block ×13, first 2 shown]
	s_mov_b64 s[4:5], 0
                                        ; implicit-def: $vgpr71
                                        ; implicit-def: $vgpr68_vgpr69
	s_branch .LBB117_25
.LBB117_24:                             ;   in Loop: Header=BB117_25 Depth=2
	s_or_b64 exec, exec, s[0:1]
	s_xor_b64 s[0:1], s[80:81], -1
	s_and_b64 s[0:1], exec, s[0:1]
	s_or_b64 s[4:5], s[0:1], s[4:5]
	s_andn2_b64 exec, exec, s[4:5]
	s_cbranch_execz .LBB117_2
.LBB117_25:                             ;   Parent Loop BB117_4 Depth=1
                                        ; =>  This Loop Header: Depth=2
                                        ;       Child Loop BB117_28 Depth 3
	v_pk_mov_b32 v[14:15], v[10:11], v[10:11] op_sel:[0,1]
	s_mov_b64 s[80:81], 0
	v_mov_b32_e32 v23, v70
	v_pk_mov_b32 v[12:13], v[8:9], v[8:9] op_sel:[0,1]
	s_branch .LBB117_28
.LBB117_26:                             ;   in Loop: Header=BB117_28 Depth=3
	s_or_b64 exec, exec, s[0:1]
	v_cmp_eq_u32_e32 vcc, 1, v23
	v_cndmask_b32_e32 v12, v12, v13, vcc
	v_cmp_eq_u32_e32 vcc, 2, v23
	v_cndmask_b32_e32 v12, v12, v14, vcc
	;; [unrolled: 2-line block ×4, first 2 shown]
	v_cvt_f32_u32_e32 v9, v12
	v_cmp_eq_u32_e32 vcc, 2, v70
	v_cndmask_b32_e32 v8, v8, v10, vcc
	v_mov_b32_e32 v10, 0x2f800000
	v_fmac_f32_e32 v10, 0x2f800000, v9
	v_cmp_gt_f32_e32 vcc, s56, v10
	v_cndmask_b32_e32 v9, 1.0, v76, vcc
	v_mul_f32_e32 v9, v10, v9
	v_log_f32_e32 v9, v9
	v_cmp_eq_u32_e64 s[0:1], 3, v70
	v_cndmask_b32_e64 v8, v8, v11, s[0:1]
	v_cvt_f32_u32_e32 v8, v8
	v_mul_f32_e32 v10, 0x3f317217, v9
	v_fma_f32 v11, v9, s57, -v10
	v_fmac_f32_e32 v11, 0x3377d1cf, v9
	v_add_f32_e32 v10, v10, v11
	v_cmp_lt_f32_e64 s[0:1], |v9|, s58
	v_cndmask_b32_e64 v9, v9, v10, s[0:1]
	v_cndmask_b32_e32 v10, 0, v77, vcc
	v_sub_f32_e32 v9, v9, v10
	v_mul_f32_e32 v9, -2.0, v9
	v_mul_f32_e32 v10, 0x4f800000, v9
	v_cmp_gt_f32_e32 vcc, s59, v9
	v_cndmask_b32_e32 v10, v9, v10, vcc
	v_sqrt_f32_e32 v9, v10
	v_mov_b32_e32 v11, 0x30c90fdb
	v_fmac_f32_e32 v11, 0x30c90fdb, v8
	v_mov_b32_e32 v98, 1
	v_add_u32_e32 v8, -1, v9
	v_fma_f32 v12, -v8, v9, v10
	v_cmp_ge_f32_e64 s[0:1], 0, v12
	v_add_u32_e32 v12, 1, v9
	v_cndmask_b32_e64 v8, v9, v8, s[0:1]
	v_fma_f32 v9, -v12, v9, v10
	v_cmp_lt_f32_e64 s[0:1], 0, v9
	v_mul_f32_e32 v9, 0.15915494, v11
	v_cndmask_b32_e64 v12, v8, v12, s[0:1]
	v_sin_f32_e32 v8, v9
	v_cos_f32_e32 v9, v9
	v_mul_f32_e32 v13, 0x37800000, v12
	v_cndmask_b32_e32 v11, v12, v13, vcc
	v_cmp_class_f32_e32 vcc, v10, v25
	v_cndmask_b32_e32 v10, v11, v10, vcc
	v_pk_mov_b32 v[12:13], v[16:17], v[16:17] op_sel:[0,1]
	v_pk_mul_f32 v[70:71], v[10:11], v[8:9] op_sel_hi:[0,1]
	v_pk_mov_b32 v[14:15], v[18:19], v[18:19] op_sel:[0,1]
	v_mov_b32_e32 v23, v99
.LBB117_27:                             ;   in Loop: Header=BB117_28 Depth=3
	s_or_b64 exec, exec, s[82:83]
	v_cvt_f64_f32_e32 v[16:17], v70
	v_fma_f64 v[18:19], v[64:65], v[16:17], 1.0
	v_cmp_nge_f64_e32 vcc, 0, v[18:19]
	s_or_b64 s[80:81], vcc, s[80:81]
	s_andn2_b64 exec, exec, s[80:81]
	s_cbranch_execz .LBB117_33
.LBB117_28:                             ;   Parent Loop BB117_4 Depth=1
                                        ;     Parent Loop BB117_25 Depth=2
                                        ; =>    This Inner Loop Header: Depth=3
	v_cmp_eq_u32_e32 vcc, 0, v98
	v_mov_b32_e32 v98, 0
	v_mov_b32_e32 v70, v71
	s_and_saveexec_b64 s[82:83], vcc
	s_cbranch_execz .LBB117_27
; %bb.29:                               ;   in Loop: Header=BB117_28 Depth=3
	v_add_u32_e32 v70, 1, v23
	v_pk_mov_b32 v[8:9], v[12:13], v[12:13] op_sel:[0,1]
	v_cmp_eq_u32_e32 vcc, 4, v70
	v_pk_mov_b32 v[10:11], v[14:15], v[14:15] op_sel:[0,1]
	s_and_saveexec_b64 s[0:1], vcc
	s_cbranch_execz .LBB117_31
; %bb.30:                               ;   in Loop: Header=BB117_28 Depth=3
	v_add_co_u32_e32 v4, vcc, 1, v4
	v_cndmask_b32_e64 v8, 0, 1, vcc
	v_addc_co_u32_e32 v5, vcc, 0, v5, vcc
	v_cmp_eq_u32_e32 vcc, 0, v5
	v_cndmask_b32_e32 v8, 0, v8, vcc
	v_add_u32_e32 v6, v8, v6
	v_cmp_eq_u32_e32 vcc, 0, v6
	v_cndmask_b32_e32 v8, 0, v8, vcc
	v_add_u32_e32 v7, v8, v7
	v_mad_u64_u32 v[8:9], s[84:85], v4, s13, 0
	v_mad_u64_u32 v[10:11], s[84:85], v6, s90, 0
	v_xor_b32_e32 v11, v11, v62
	v_xor_b32_e32 v9, v9, v63
	v_xor_b32_e32 v11, v5, v11
	v_xor_b32_e32 v9, v7, v9
	v_mad_u64_u32 v[16:17], s[84:85], v11, s13, 0
	v_mad_u64_u32 v[18:19], s[84:85], v9, s90, 0
	v_xor_b32_e32 v9, v19, v10
	v_xor_b32_e32 v8, v17, v8
	v_xor_b32_e32 v9, v3, v9
	v_xor_b32_e32 v10, v83, v8
	v_mad_u64_u32 v[8:9], s[84:85], v9, s13, 0
	v_mad_u64_u32 v[10:11], s[84:85], v10, s90, 0
	v_xor_b32_e32 v11, v11, v18
	v_xor_b32_e32 v9, v9, v16
	v_xor_b32_e32 v11, v84, v11
	v_xor_b32_e32 v9, v85, v9
	v_mad_u64_u32 v[16:17], s[84:85], v11, s13, 0
	v_mad_u64_u32 v[18:19], s[84:85], v9, s90, 0
	v_xor_b32_e32 v9, v19, v10
	v_xor_b32_e32 v8, v17, v8
	v_xor_b32_e32 v9, v86, v9
	v_xor_b32_e32 v10, v87, v8
	v_mad_u64_u32 v[8:9], s[84:85], v9, s13, 0
	v_mad_u64_u32 v[10:11], s[84:85], v10, s90, 0
	v_xor_b32_e32 v11, v11, v18
	v_xor_b32_e32 v9, v9, v16
	v_xor_b32_e32 v11, v88, v11
	v_xor_b32_e32 v9, v89, v9
	v_mad_u64_u32 v[16:17], s[84:85], v11, s13, 0
	v_mad_u64_u32 v[18:19], s[84:85], v9, s90, 0
	v_xor_b32_e32 v9, v19, v10
	v_xor_b32_e32 v8, v17, v8
	v_xor_b32_e32 v9, v90, v9
	v_xor_b32_e32 v10, v91, v8
	v_mad_u64_u32 v[8:9], s[84:85], v9, s13, 0
	v_mad_u64_u32 v[10:11], s[84:85], v10, s90, 0
	v_xor_b32_e32 v11, v11, v18
	v_xor_b32_e32 v9, v9, v16
	v_xor_b32_e32 v11, v92, v11
	v_xor_b32_e32 v9, v93, v9
	v_mad_u64_u32 v[16:17], s[84:85], v11, s13, 0
	v_mad_u64_u32 v[18:19], s[84:85], v9, s90, 0
	v_xor_b32_e32 v9, v19, v10
	v_xor_b32_e32 v8, v17, v8
	v_xor_b32_e32 v9, v94, v9
	v_xor_b32_e32 v8, v95, v8
	v_mad_u64_u32 v[10:11], s[84:85], v9, s13, 0
	v_mad_u64_u32 v[8:9], s[84:85], v8, s90, 0
	v_xor_b32_e32 v9, v9, v18
	v_xor_b32_e32 v11, v11, v16
	v_xor_b32_e32 v9, v96, v9
	v_xor_b32_e32 v11, v97, v11
	v_mad_u64_u32 v[16:17], s[84:85], v9, s13, 0
	v_mad_u64_u32 v[18:19], s[84:85], v11, s90, 0
	v_xor_b32_e32 v8, v19, v8
	v_xor_b32_e32 v9, v17, v10
	v_mov_b32_e32 v70, 0
	v_xor_b32_e32 v8, v81, v8
	v_xor_b32_e32 v10, v82, v9
	v_mov_b32_e32 v9, v18
	v_mov_b32_e32 v11, v16
.LBB117_31:                             ;   in Loop: Header=BB117_28 Depth=3
	s_or_b64 exec, exec, s[0:1]
	v_add_u32_e32 v99, 1, v70
	v_pk_mov_b32 v[18:19], v[10:11], v[10:11] op_sel:[0,1]
	v_cmp_eq_u32_e32 vcc, 4, v99
	v_pk_mov_b32 v[16:17], v[8:9], v[8:9] op_sel:[0,1]
	s_and_saveexec_b64 s[0:1], vcc
	s_cbranch_execz .LBB117_26
; %bb.32:                               ;   in Loop: Header=BB117_28 Depth=3
	v_add_co_u32_e32 v4, vcc, 1, v4
	v_cndmask_b32_e64 v16, 0, 1, vcc
	v_addc_co_u32_e32 v5, vcc, 0, v5, vcc
	v_cmp_eq_u32_e32 vcc, 0, v5
	v_cndmask_b32_e32 v16, 0, v16, vcc
	v_add_u32_e32 v6, v16, v6
	v_cmp_eq_u32_e32 vcc, 0, v6
	v_cndmask_b32_e32 v16, 0, v16, vcc
	v_add_u32_e32 v7, v16, v7
	v_mad_u64_u32 v[16:17], s[84:85], v4, s13, 0
	v_mad_u64_u32 v[18:19], s[84:85], v6, s90, 0
	v_xor_b32_e32 v19, v19, v62
	v_xor_b32_e32 v17, v17, v63
	v_xor_b32_e32 v19, v5, v19
	v_xor_b32_e32 v17, v7, v17
	v_mad_u64_u32 v[100:101], s[84:85], v19, s13, 0
	v_mad_u64_u32 v[102:103], s[84:85], v17, s90, 0
	v_xor_b32_e32 v17, v103, v18
	v_xor_b32_e32 v16, v101, v16
	v_xor_b32_e32 v17, v3, v17
	v_xor_b32_e32 v18, v83, v16
	;; [unrolled: 6-line block ×9, first 2 shown]
	v_mad_u64_u32 v[100:101], s[84:85], v17, s13, 0
	v_mad_u64_u32 v[102:103], s[84:85], v19, s90, 0
	v_xor_b32_e32 v16, v103, v16
	v_xor_b32_e32 v17, v101, v18
	v_mov_b32_e32 v99, 0
	v_xor_b32_e32 v16, v81, v16
	v_xor_b32_e32 v18, v82, v17
	v_mov_b32_e32 v17, v102
	v_mov_b32_e32 v19, v100
	s_branch .LBB117_26
.LBB117_33:                             ;   in Loop: Header=BB117_25 Depth=2
	s_or_b64 exec, exec, s[80:81]
	v_add_u32_e32 v70, 1, v23
	v_pk_mov_b32 v[8:9], v[12:13], v[12:13] op_sel:[0,1]
	v_cmp_eq_u32_e32 vcc, 4, v70
	v_pk_mov_b32 v[10:11], v[14:15], v[14:15] op_sel:[0,1]
	s_and_saveexec_b64 s[0:1], vcc
	s_cbranch_execz .LBB117_35
; %bb.34:                               ;   in Loop: Header=BB117_25 Depth=2
	v_add_co_u32_e32 v4, vcc, 1, v4
	v_cndmask_b32_e64 v8, 0, 1, vcc
	v_addc_co_u32_e32 v5, vcc, 0, v5, vcc
	v_cmp_eq_u32_e32 vcc, 0, v5
	v_cndmask_b32_e32 v8, 0, v8, vcc
	v_add_u32_e32 v6, v8, v6
	v_cmp_eq_u32_e32 vcc, 0, v6
	v_cndmask_b32_e32 v8, 0, v8, vcc
	v_add_u32_e32 v7, v8, v7
	v_mad_u64_u32 v[8:9], s[80:81], v4, s13, 0
	v_mad_u64_u32 v[10:11], s[80:81], v6, s90, 0
	v_xor_b32_e32 v11, v11, v62
	v_xor_b32_e32 v9, v9, v63
	v_xor_b32_e32 v11, v5, v11
	v_xor_b32_e32 v9, v7, v9
	v_mad_u64_u32 v[100:101], s[80:81], v11, s13, 0
	v_mad_u64_u32 v[102:103], s[80:81], v9, s90, 0
	v_xor_b32_e32 v9, v103, v10
	v_xor_b32_e32 v8, v101, v8
	v_xor_b32_e32 v9, v3, v9
	v_xor_b32_e32 v10, v83, v8
	;; [unrolled: 6-line block ×9, first 2 shown]
	v_mad_u64_u32 v[100:101], s[80:81], v9, s13, 0
	v_mad_u64_u32 v[102:103], s[80:81], v11, s90, 0
	v_xor_b32_e32 v8, v103, v8
	v_xor_b32_e32 v9, v101, v10
	v_mov_b32_e32 v70, 0
	v_xor_b32_e32 v8, v81, v8
	v_xor_b32_e32 v10, v82, v9
	v_mov_b32_e32 v9, v102
	v_mov_b32_e32 v11, v100
.LBB117_35:                             ;   in Loop: Header=BB117_25 Depth=2
	s_or_b64 exec, exec, s[0:1]
	v_cmp_eq_u32_e32 vcc, 1, v23
	v_cndmask_b32_e32 v12, v12, v13, vcc
	v_cmp_eq_u32_e32 vcc, 2, v23
	v_cndmask_b32_e32 v12, v12, v14, vcc
	v_cmp_eq_u32_e32 vcc, 3, v23
	v_cndmask_b32_e32 v12, v12, v15, vcc
	v_cvt_f32_u32_e32 v14, v12
	v_mov_b32_e32 v15, 0x2f800000
	v_mul_f64 v[12:13], v[18:19], v[18:19]
	v_mul_f64 v[12:13], v[18:19], v[12:13]
	v_fmac_f32_e32 v15, 0x2f800000, v14
	v_cvt_f64_f32_e32 v[14:15], v15
	v_add_f64 v[18:19], -v[14:15], 1.0
	v_mul_f64 v[14:15], v[16:17], v[16:17]
	v_mul_f64 v[16:17], v[14:15], s[66:67]
	v_fma_f64 v[16:17], v[14:15], v[16:17], 1.0
	v_cmp_nlt_f64_e32 vcc, v[18:19], v[16:17]
                                        ; implicit-def: $sgpr80_sgpr81
	s_and_saveexec_b64 s[0:1], vcc
	s_xor_b64 s[0:1], exec, s[0:1]
	s_cbranch_execz .LBB117_39
; %bb.36:                               ;   in Loop: Header=BB117_25 Depth=2
	v_frexp_mant_f64_e32 v[16:17], v[18:19]
	v_cmp_gt_f64_e32 vcc, s[28:29], v[16:17]
	v_cndmask_b32_e64 v23, v72, 2.0, vcc
	v_mul_f64 v[16:17], v[16:17], v[22:23]
	v_add_f64 v[100:101], v[16:17], 1.0
	v_rcp_f64_e32 v[102:103], v[100:101]
	v_add_f64 v[106:107], v[100:101], -1.0
	v_add_f64 v[104:105], v[16:17], -1.0
	v_add_f64 v[16:17], v[16:17], -v[106:107]
	v_fma_f64 v[106:107], -v[100:101], v[102:103], 1.0
	v_fmac_f64_e32 v[102:103], v[106:107], v[102:103]
	v_fma_f64 v[106:107], -v[100:101], v[102:103], 1.0
	v_fmac_f64_e32 v[102:103], v[106:107], v[102:103]
	v_mul_f64 v[106:107], v[104:105], v[102:103]
	v_mul_f64 v[108:109], v[100:101], v[106:107]
	v_fma_f64 v[100:101], v[106:107], v[100:101], -v[108:109]
	v_fmac_f64_e32 v[100:101], v[106:107], v[16:17]
	v_add_f64 v[16:17], v[108:109], v[100:101]
	v_add_f64 v[110:111], v[104:105], -v[16:17]
	v_add_f64 v[108:109], v[16:17], -v[108:109]
	;; [unrolled: 1-line block ×5, first 2 shown]
	v_add_f64 v[16:17], v[100:101], v[16:17]
	v_add_f64 v[16:17], v[110:111], v[16:17]
	v_mul_f64 v[16:17], v[102:103], v[16:17]
	v_add_f64 v[100:101], v[106:107], v[16:17]
	v_add_f64 v[102:103], v[100:101], -v[106:107]
	v_add_f64 v[16:17], v[16:17], -v[102:103]
	v_mul_f64 v[102:103], v[100:101], v[100:101]
	v_pk_mov_b32 v[104:105], s[68:69], s[68:69] op_sel:[0,1]
	v_fma_f64 v[106:107], s[70:71], v[102:103], v[104:105]
	v_fma_f64 v[106:107], v[102:103], v[106:107], s[72:73]
	;; [unrolled: 1-line block ×5, first 2 shown]
	s_mov_b32 s77, s29
	v_fma_f64 v[106:107], v[102:103], v[106:107], s[76:77]
	v_ldexp_f64 v[108:109], v[100:101], 1
	v_mul_f64 v[100:101], v[100:101], v[102:103]
	v_mul_f64 v[100:101], v[100:101], v[106:107]
	v_add_f64 v[102:103], v[108:109], v[100:101]
	v_add_f64 v[106:107], v[102:103], -v[108:109]
	v_ldexp_f64 v[16:17], v[16:17], 1
	v_add_f64 v[100:101], v[100:101], -v[106:107]
	v_add_f64 v[16:17], v[16:17], v[100:101]
	v_frexp_exp_i32_f64_e32 v99, v[18:19]
	v_add_f64 v[100:101], v[102:103], v[16:17]
	v_subbrev_co_u32_e32 v23, vcc, 0, v99, vcc
	v_add_f64 v[102:103], v[100:101], -v[102:103]
	v_add_f64 v[16:17], v[16:17], -v[102:103]
	v_cvt_f64_i32_e32 v[102:103], v23
	v_mul_f64 v[106:107], v[102:103], s[38:39]
	v_fma_f64 v[108:109], v[102:103], s[38:39], -v[106:107]
	v_fmac_f64_e32 v[108:109], s[40:41], v[102:103]
	v_add_f64 v[102:103], v[106:107], v[108:109]
	v_add_f64 v[106:107], v[102:103], -v[106:107]
	v_add_f64 v[106:107], v[108:109], -v[106:107]
	v_add_f64 v[108:109], v[102:103], v[100:101]
	v_add_f64 v[110:111], v[108:109], -v[102:103]
	v_add_f64 v[112:113], v[108:109], -v[110:111]
	;; [unrolled: 1-line block ×4, first 2 shown]
	v_add_f64 v[100:101], v[100:101], v[102:103]
	v_add_f64 v[102:103], v[106:107], v[16:17]
	v_add_f64 v[110:111], v[102:103], -v[106:107]
	v_add_f64 v[112:113], v[102:103], -v[110:111]
	v_add_f64 v[100:101], v[102:103], v[100:101]
	v_add_f64 v[106:107], v[106:107], -v[112:113]
	v_add_f64 v[16:17], v[16:17], -v[110:111]
	v_add_f64 v[102:103], v[108:109], v[100:101]
	v_add_f64 v[16:17], v[16:17], v[106:107]
	v_add_f64 v[106:107], v[102:103], -v[108:109]
	v_add_f64 v[100:101], v[100:101], -v[106:107]
	v_add_f64 v[16:17], v[16:17], v[100:101]
	v_add_f64 v[16:17], v[102:103], v[16:17]
	v_cmp_class_f64_e64 vcc, v[18:19], s95
	v_cndmask_b32_e32 v16, v16, v18, vcc
	v_cndmask_b32_e32 v17, v17, v19, vcc
	v_cmp_ngt_f64_e32 vcc, 0, v[18:19]
	v_cndmask_b32_e32 v17, v74, v17, vcc
	v_cmp_nge_f64_e32 vcc, 0, v[18:19]
	v_cndmask_b32_e32 v16, 0, v16, vcc
	v_cmp_neq_f64_e32 vcc, 0, v[18:19]
	v_frexp_mant_f64_e32 v[100:101], v[12:13]
	v_cndmask_b32_e32 v17, v78, v17, vcc
	v_cmp_gt_f64_e32 vcc, s[28:29], v[100:101]
	v_cndmask_b32_e64 v23, v72, 2.0, vcc
	v_mul_f64 v[100:101], v[100:101], v[22:23]
	v_add_f64 v[102:103], v[100:101], 1.0
	v_rcp_f64_e32 v[106:107], v[102:103]
	v_add_f64 v[110:111], v[102:103], -1.0
	v_add_f64 v[108:109], v[100:101], -1.0
	v_add_f64 v[100:101], v[100:101], -v[110:111]
	v_fma_f64 v[110:111], -v[102:103], v[106:107], 1.0
	v_fmac_f64_e32 v[106:107], v[110:111], v[106:107]
	v_fma_f64 v[110:111], -v[102:103], v[106:107], 1.0
	v_fmac_f64_e32 v[106:107], v[110:111], v[106:107]
	v_mul_f64 v[110:111], v[108:109], v[106:107]
	v_mul_f64 v[112:113], v[102:103], v[110:111]
	v_fma_f64 v[102:103], v[110:111], v[102:103], -v[112:113]
	v_fmac_f64_e32 v[102:103], v[110:111], v[100:101]
	v_add_f64 v[100:101], v[112:113], v[102:103]
	v_add_f64 v[114:115], v[108:109], -v[100:101]
	v_add_f64 v[112:113], v[100:101], -v[112:113]
	;; [unrolled: 1-line block ×5, first 2 shown]
	v_add_f64 v[100:101], v[102:103], v[100:101]
	v_add_f64 v[100:101], v[114:115], v[100:101]
	v_mul_f64 v[100:101], v[106:107], v[100:101]
	v_add_f64 v[102:103], v[110:111], v[100:101]
	v_add_f64 v[106:107], v[102:103], -v[110:111]
	v_add_f64 v[100:101], v[100:101], -v[106:107]
	v_mul_f64 v[106:107], v[102:103], v[102:103]
	v_fmac_f64_e32 v[104:105], s[70:71], v[106:107]
	v_fma_f64 v[104:105], v[106:107], v[104:105], s[72:73]
	v_fma_f64 v[104:105], v[106:107], v[104:105], s[74:75]
	;; [unrolled: 1-line block ×5, first 2 shown]
	v_ldexp_f64 v[108:109], v[102:103], 1
	v_mul_f64 v[102:103], v[102:103], v[106:107]
	v_mul_f64 v[102:103], v[102:103], v[104:105]
	v_add_f64 v[104:105], v[108:109], v[102:103]
	v_add_f64 v[106:107], v[104:105], -v[108:109]
	v_ldexp_f64 v[100:101], v[100:101], 1
	v_add_f64 v[102:103], v[102:103], -v[106:107]
	v_add_f64 v[100:101], v[100:101], v[102:103]
	v_frexp_exp_i32_f64_e32 v99, v[12:13]
	v_add_f64 v[102:103], v[104:105], v[100:101]
	v_subbrev_co_u32_e32 v23, vcc, 0, v99, vcc
	v_add_f64 v[104:105], v[102:103], -v[104:105]
	v_add_f64 v[100:101], v[100:101], -v[104:105]
	v_cvt_f64_i32_e32 v[104:105], v23
	v_mul_f64 v[106:107], v[104:105], s[38:39]
	v_fma_f64 v[108:109], v[104:105], s[38:39], -v[106:107]
	v_fmac_f64_e32 v[108:109], s[40:41], v[104:105]
	v_add_f64 v[104:105], v[106:107], v[108:109]
	v_add_f64 v[106:107], v[104:105], -v[106:107]
	v_add_f64 v[106:107], v[108:109], -v[106:107]
	v_add_f64 v[108:109], v[104:105], v[102:103]
	v_add_f64 v[110:111], v[108:109], -v[104:105]
	v_add_f64 v[112:113], v[108:109], -v[110:111]
	;; [unrolled: 1-line block ×4, first 2 shown]
	v_add_f64 v[102:103], v[102:103], v[104:105]
	v_add_f64 v[104:105], v[106:107], v[100:101]
	v_add_f64 v[110:111], v[104:105], -v[106:107]
	v_add_f64 v[112:113], v[104:105], -v[110:111]
	v_add_f64 v[102:103], v[104:105], v[102:103]
	v_add_f64 v[106:107], v[106:107], -v[112:113]
	v_add_f64 v[100:101], v[100:101], -v[110:111]
	v_add_f64 v[104:105], v[108:109], v[102:103]
	v_add_f64 v[100:101], v[100:101], v[106:107]
	v_add_f64 v[106:107], v[104:105], -v[108:109]
	v_add_f64 v[102:103], v[102:103], -v[106:107]
	v_add_f64 v[100:101], v[100:101], v[102:103]
	v_add_f64 v[100:101], v[104:105], v[100:101]
	v_cmp_class_f64_e64 vcc, v[12:13], s95
	v_cndmask_b32_e32 v23, v100, v12, vcc
	v_cndmask_b32_e32 v99, v101, v13, vcc
	v_cmp_ngt_f64_e32 vcc, 0, v[12:13]
	v_cndmask_b32_e32 v99, v74, v99, vcc
	v_cmp_nge_f64_e32 vcc, 0, v[12:13]
	v_cndmask_b32_e32 v100, 0, v23, vcc
	v_cmp_neq_f64_e32 vcc, 0, v[12:13]
	v_add_f64 v[18:19], -v[12:13], 1.0
	v_cndmask_b32_e32 v101, v78, v99, vcc
	v_add_f64 v[18:19], v[18:19], v[100:101]
	v_mul_f64 v[18:19], v[0:1], v[18:19]
	v_fmac_f64_e32 v[18:19], 0.5, v[14:15]
	v_cmp_lt_f64_e32 vcc, v[16:17], v[18:19]
	s_mov_b64 s[80:81], -1
	s_and_saveexec_b64 s[82:83], vcc
; %bb.37:                               ;   in Loop: Header=BB117_25 Depth=2
	v_mul_f64 v[68:69], v[66:67], v[12:13]
	s_xor_b64 s[80:81], exec, -1
; %bb.38:                               ;   in Loop: Header=BB117_25 Depth=2
	s_or_b64 exec, exec, s[82:83]
	s_and_b64 s[80:81], s[80:81], exec
                                        ; implicit-def: $vgpr12_vgpr13
.LBB117_39:                             ;   in Loop: Header=BB117_25 Depth=2
	s_andn2_saveexec_b64 s[0:1], s[0:1]
	s_cbranch_execz .LBB117_24
; %bb.40:                               ;   in Loop: Header=BB117_25 Depth=2
	v_mul_f64 v[68:69], v[66:67], v[12:13]
	s_andn2_b64 s[80:81], s[80:81], exec
	s_branch .LBB117_24
.LBB117_41:
	s_endpgm
	.section	.rodata,"a",@progbits
	.p2align	6, 0x0
	.amdhsa_kernel _ZN2at4cuda12_GLOBAL__N_121kernelPointwiseApply2IZN12_GLOBAL__N_117gamma_cuda_kernelIdEEvRKNS_10TensorBaseES7_NS_15PhiloxCudaStateEEUlRdRKdE_ddjLin1ELin1ELi1ELi256ELi2EEEvNS0_6detail10TensorInfoIT0_T2_EENSE_IT1_SG_EESG_T_
		.amdhsa_group_segment_fixed_size 0
		.amdhsa_private_segment_fixed_size 0
		.amdhsa_kernarg_size 728
		.amdhsa_user_sgpr_count 6
		.amdhsa_user_sgpr_private_segment_buffer 1
		.amdhsa_user_sgpr_dispatch_ptr 0
		.amdhsa_user_sgpr_queue_ptr 0
		.amdhsa_user_sgpr_kernarg_segment_ptr 1
		.amdhsa_user_sgpr_dispatch_id 0
		.amdhsa_user_sgpr_flat_scratch_init 0
		.amdhsa_user_sgpr_kernarg_preload_length 0
		.amdhsa_user_sgpr_kernarg_preload_offset 0
		.amdhsa_user_sgpr_private_segment_size 0
		.amdhsa_uses_dynamic_stack 0
		.amdhsa_system_sgpr_private_segment_wavefront_offset 0
		.amdhsa_system_sgpr_workgroup_id_x 1
		.amdhsa_system_sgpr_workgroup_id_y 0
		.amdhsa_system_sgpr_workgroup_id_z 0
		.amdhsa_system_sgpr_workgroup_info 0
		.amdhsa_system_vgpr_workitem_id 0
		.amdhsa_next_free_vgpr 117
		.amdhsa_next_free_sgpr 96
		.amdhsa_accum_offset 120
		.amdhsa_reserve_vcc 1
		.amdhsa_reserve_flat_scratch 0
		.amdhsa_float_round_mode_32 0
		.amdhsa_float_round_mode_16_64 0
		.amdhsa_float_denorm_mode_32 3
		.amdhsa_float_denorm_mode_16_64 3
		.amdhsa_dx10_clamp 1
		.amdhsa_ieee_mode 1
		.amdhsa_fp16_overflow 0
		.amdhsa_tg_split 0
		.amdhsa_exception_fp_ieee_invalid_op 0
		.amdhsa_exception_fp_denorm_src 0
		.amdhsa_exception_fp_ieee_div_zero 0
		.amdhsa_exception_fp_ieee_overflow 0
		.amdhsa_exception_fp_ieee_underflow 0
		.amdhsa_exception_fp_ieee_inexact 0
		.amdhsa_exception_int_div_zero 0
	.end_amdhsa_kernel
	.section	.text._ZN2at4cuda12_GLOBAL__N_121kernelPointwiseApply2IZN12_GLOBAL__N_117gamma_cuda_kernelIdEEvRKNS_10TensorBaseES7_NS_15PhiloxCudaStateEEUlRdRKdE_ddjLin1ELin1ELi1ELi256ELi2EEEvNS0_6detail10TensorInfoIT0_T2_EENSE_IT1_SG_EESG_T_,"axG",@progbits,_ZN2at4cuda12_GLOBAL__N_121kernelPointwiseApply2IZN12_GLOBAL__N_117gamma_cuda_kernelIdEEvRKNS_10TensorBaseES7_NS_15PhiloxCudaStateEEUlRdRKdE_ddjLin1ELin1ELi1ELi256ELi2EEEvNS0_6detail10TensorInfoIT0_T2_EENSE_IT1_SG_EESG_T_,comdat
.Lfunc_end117:
	.size	_ZN2at4cuda12_GLOBAL__N_121kernelPointwiseApply2IZN12_GLOBAL__N_117gamma_cuda_kernelIdEEvRKNS_10TensorBaseES7_NS_15PhiloxCudaStateEEUlRdRKdE_ddjLin1ELin1ELi1ELi256ELi2EEEvNS0_6detail10TensorInfoIT0_T2_EENSE_IT1_SG_EESG_T_, .Lfunc_end117-_ZN2at4cuda12_GLOBAL__N_121kernelPointwiseApply2IZN12_GLOBAL__N_117gamma_cuda_kernelIdEEvRKNS_10TensorBaseES7_NS_15PhiloxCudaStateEEUlRdRKdE_ddjLin1ELin1ELi1ELi256ELi2EEEvNS0_6detail10TensorInfoIT0_T2_EENSE_IT1_SG_EESG_T_
                                        ; -- End function
	.section	.AMDGPU.csdata,"",@progbits
; Kernel info:
; codeLenInByte = 7836
; NumSgprs: 100
; NumVgprs: 117
; NumAgprs: 0
; TotalNumVgprs: 117
; ScratchSize: 0
; MemoryBound: 0
; FloatMode: 240
; IeeeMode: 1
; LDSByteSize: 0 bytes/workgroup (compile time only)
; SGPRBlocks: 12
; VGPRBlocks: 14
; NumSGPRsForWavesPerEU: 100
; NumVGPRsForWavesPerEU: 117
; AccumOffset: 120
; Occupancy: 4
; WaveLimiterHint : 1
; COMPUTE_PGM_RSRC2:SCRATCH_EN: 0
; COMPUTE_PGM_RSRC2:USER_SGPR: 6
; COMPUTE_PGM_RSRC2:TRAP_HANDLER: 0
; COMPUTE_PGM_RSRC2:TGID_X_EN: 1
; COMPUTE_PGM_RSRC2:TGID_Y_EN: 0
; COMPUTE_PGM_RSRC2:TGID_Z_EN: 0
; COMPUTE_PGM_RSRC2:TIDIG_COMP_CNT: 0
; COMPUTE_PGM_RSRC3_GFX90A:ACCUM_OFFSET: 29
; COMPUTE_PGM_RSRC3_GFX90A:TG_SPLIT: 0
	.section	.text._ZN2at4cuda12_GLOBAL__N_121kernelPointwiseApply2IZN12_GLOBAL__N_117gamma_cuda_kernelIdEEvRKNS_10TensorBaseES7_NS_15PhiloxCudaStateEEUlRdRKdE_ddmLi1ELi1ELi1ELi256ELi2EEEvNS0_6detail10TensorInfoIT0_T2_EENSE_IT1_SG_EESG_T_,"axG",@progbits,_ZN2at4cuda12_GLOBAL__N_121kernelPointwiseApply2IZN12_GLOBAL__N_117gamma_cuda_kernelIdEEvRKNS_10TensorBaseES7_NS_15PhiloxCudaStateEEUlRdRKdE_ddmLi1ELi1ELi1ELi256ELi2EEEvNS0_6detail10TensorInfoIT0_T2_EENSE_IT1_SG_EESG_T_,comdat
	.globl	_ZN2at4cuda12_GLOBAL__N_121kernelPointwiseApply2IZN12_GLOBAL__N_117gamma_cuda_kernelIdEEvRKNS_10TensorBaseES7_NS_15PhiloxCudaStateEEUlRdRKdE_ddmLi1ELi1ELi1ELi256ELi2EEEvNS0_6detail10TensorInfoIT0_T2_EENSE_IT1_SG_EESG_T_ ; -- Begin function _ZN2at4cuda12_GLOBAL__N_121kernelPointwiseApply2IZN12_GLOBAL__N_117gamma_cuda_kernelIdEEvRKNS_10TensorBaseES7_NS_15PhiloxCudaStateEEUlRdRKdE_ddmLi1ELi1ELi1ELi256ELi2EEEvNS0_6detail10TensorInfoIT0_T2_EENSE_IT1_SG_EESG_T_
	.p2align	8
	.type	_ZN2at4cuda12_GLOBAL__N_121kernelPointwiseApply2IZN12_GLOBAL__N_117gamma_cuda_kernelIdEEvRKNS_10TensorBaseES7_NS_15PhiloxCudaStateEEUlRdRKdE_ddmLi1ELi1ELi1ELi256ELi2EEEvNS0_6detail10TensorInfoIT0_T2_EENSE_IT1_SG_EESG_T_,@function
_ZN2at4cuda12_GLOBAL__N_121kernelPointwiseApply2IZN12_GLOBAL__N_117gamma_cuda_kernelIdEEvRKNS_10TensorBaseES7_NS_15PhiloxCudaStateEEUlRdRKdE_ddmLi1ELi1ELi1ELi256ELi2EEEvNS0_6detail10TensorInfoIT0_T2_EENSE_IT1_SG_EESG_T_: ; @_ZN2at4cuda12_GLOBAL__N_121kernelPointwiseApply2IZN12_GLOBAL__N_117gamma_cuda_kernelIdEEvRKNS_10TensorBaseES7_NS_15PhiloxCudaStateEEUlRdRKdE_ddmLi1ELi1ELi1ELi256ELi2EEEvNS0_6detail10TensorInfoIT0_T2_EENSE_IT1_SG_EESG_T_
; %bb.0:
	s_load_dword s2, s[4:5], 0x374
	s_load_dwordx8 s[12:19], s[4:5], 0x340
	s_add_u32 s0, s4, 0x368
	s_addc_u32 s1, s5, 0
	v_mov_b32_e32 v20, 0
	s_waitcnt lgkmcnt(0)
	s_and_b32 s2, s2, 0xffff
	s_mul_i32 s6, s6, s2
	v_add_u32_e32 v2, s6, v0
	v_mov_b32_e32 v3, v20
	v_cmp_gt_u64_e32 vcc, s[12:13], v[2:3]
	s_and_saveexec_b64 s[6:7], vcc
	s_cbranch_execz .LBB118_31
; %bb.1:
	s_load_dword s3, s[4:5], 0x360
	s_load_dwordx2 s[10:11], s[4:5], 0x0
	s_load_dwordx2 s[20:21], s[4:5], 0xd0
	;; [unrolled: 1-line block ×4, first 2 shown]
	s_load_dword s6, s[0:1], 0x0
	s_mov_b32 s33, 0xcd9e8d57
	s_waitcnt lgkmcnt(0)
	s_bitcmp1_b32 s3, 0
	v_mad_u64_u32 v[22:23], s[0:1], v2, s33, 0
	s_cselect_b64 s[0:1], -1, 0
	v_cndmask_b32_e64 v0, 0, 1, s[0:1]
	s_mov_b32 s28, 0x55555555
	s_mov_b32 s34, 0x9b27acf1
	;; [unrolled: 1-line block ×7, first 2 shown]
	s_mov_b32 s66, -2.0
	s_mov_b32 s68, 0x6b47b09a
	s_mov_b32 s70, 0xbf559e2b
	;; [unrolled: 1-line block ×5, first 2 shown]
	v_mov_b32_e32 v24, v23
	s_mul_i32 s88, s6, s2
	s_mov_b32 s89, 0
	s_mov_b64 s[26:27], 0
	v_mov_b32_e32 v23, s23
	v_cmp_ne_u32_e64 s[0:1], 1, v0
	s_mov_b32 s23, 0xd2511f53
	s_mov_b32 s90, 0x9e3779b9
	;; [unrolled: 1-line block ×6, first 2 shown]
	s_brev_b32 s63, -2
	s_mov_b32 s29, 0x3fe55555
	s_mov_b32 s35, 0x3fd24924
	;; [unrolled: 1-line block ×6, first 2 shown]
	s_movk_i32 s30, 0x204
	s_mov_b32 s47, 0x7ff00000
	s_mov_b32 s51, 0xbfe62e42
	;; [unrolled: 1-line block ×3, first 2 shown]
	s_brev_b32 s65, 8
	v_mov_b32_e32 v25, 0x260
	s_mov_b32 s31, 0x32370b8f
	s_mov_b32 s44, 0x78dde6e4
	;; [unrolled: 1-line block ×16, first 2 shown]
	v_mov_b32_e32 v72, 0x3ff00000
	v_mov_b32_e32 v26, 0x968915a9
	;; [unrolled: 1-line block ×42, first 2 shown]
	v_pk_mov_b32 v[60:61], v[2:3], v[2:3] op_sel:[0,1]
	s_mov_b32 s69, 0x3fc38538
	s_mov_b32 s71, 0x3fc3ab76
	;; [unrolled: 1-line block ×6, first 2 shown]
	s_branch .LBB118_4
.LBB118_2:                              ;   in Loop: Header=BB118_4 Depth=1
	s_or_b64 exec, exec, s[8:9]
.LBB118_3:                              ;   in Loop: Header=BB118_4 Depth=1
	s_or_b64 exec, exec, s[6:7]
	v_mul_lo_u32 v3, v61, s20
	v_mul_lo_u32 v4, v60, s21
	v_mad_u64_u32 v[0:1], s[4:5], v60, s20, 0
	v_add3_u32 v1, v1, v4, v3
	v_cndmask_b32_e64 v1, 0, v1, s[2:3]
	v_cndmask_b32_e64 v0, 0, v0, s[2:3]
	v_lshlrev_b64 v[0:1], 3, v[0:1]
	v_mov_b32_e32 v3, s11
	v_add_co_u32_e32 v0, vcc, s10, v0
	v_addc_co_u32_e32 v1, vcc, v3, v1, vcc
	v_cmp_ngt_f64_e32 vcc, s[78:79], v[64:65]
	v_cndmask_b32_e32 v5, v79, v65, vcc
	v_cndmask_b32_e32 v4, 0, v64, vcc
	v_mov_b32_e32 v3, s89
	v_add_co_u32_e32 v60, vcc, s88, v60
	v_addc_co_u32_e32 v61, vcc, v61, v3, vcc
	v_cmp_le_u64_e32 vcc, s[12:13], v[60:61]
	s_or_b64 s[26:27], vcc, s[26:27]
	global_store_dwordx2 v[0:1], v[4:5], off
	s_andn2_b64 exec, exec, s[26:27]
	s_cbranch_execz .LBB118_31
.LBB118_4:                              ; =>This Loop Header: Depth=1
                                        ;     Child Loop BB118_15 Depth 2
                                        ;       Child Loop BB118_18 Depth 3
	v_sub_u32_e32 v3, s12, v60
	v_mul_lo_u32 v4, v61, s24
	v_mul_lo_u32 v5, v60, s25
	v_mad_u64_u32 v[0:1], s[2:3], v60, s24, 0
	v_add3_u32 v1, v1, v5, v4
	v_cmp_lt_i32_e64 s[2:3], 0, v3
	v_cndmask_b32_e64 v1, 0, v1, s[2:3]
	v_cndmask_b32_e64 v0, 0, v0, s[2:3]
	v_lshlrev_b64 v[0:1], 3, v[0:1]
	v_add_co_u32_e32 v0, vcc, s22, v0
	v_addc_co_u32_e32 v1, vcc, v23, v1, vcc
	global_load_dwordx2 v[16:17], v[0:1], off
	s_and_b64 vcc, exec, s[0:1]
	v_pk_mov_b32 v[0:1], s[16:17], s[16:17] op_sel:[0,1]
	v_pk_mov_b32 v[62:63], s[14:15], s[14:15] op_sel:[0,1]
	s_cbranch_vccnz .LBB118_6
; %bb.5:                                ;   in Loop: Header=BB118_4 Depth=1
	v_pk_mov_b32 v[0:1], s[16:17], s[16:17] op_sel:[0,1]
	flat_load_dwordx2 v[0:1], v[0:1]
	v_pk_mov_b32 v[4:5], s[14:15], s[14:15] op_sel:[0,1]
	flat_load_dwordx2 v[62:63], v[4:5]
	v_mov_b32_e32 v3, s19
	s_waitcnt vmcnt(0) lgkmcnt(0)
	v_add_co_u32_e32 v0, vcc, s18, v0
	v_addc_co_u32_e32 v1, vcc, v1, v3, vcc
.LBB118_6:                              ;   in Loop: Header=BB118_4 Depth=1
	v_and_b32_e32 v70, 3, v0
	v_alignbit_b32 v0, v1, v0, 2
	v_mad_u64_u32 v[6:7], s[4:5], v0, s23, 0
	v_lshrrev_b32_e32 v1, 2, v1
	v_xor_b32_e32 v5, v7, v63
	v_xor_b32_e32 v7, v24, v62
	v_mov_b32_e32 v4, v63
	v_xor_b32_e32 v7, v7, v1
	v_add_co_u32_e32 v21, vcc, s91, v4
	v_mad_u64_u32 v[8:9], s[4:5], v7, s23, 0
	v_mad_u64_u32 v[10:11], s[4:5], v5, s33, 0
	v_add_co_u32_e32 v66, vcc, s90, v62
	v_xor_b32_e32 v5, v22, v11
	v_xor_b32_e32 v7, v21, v9
	v_xor_b32_e32 v5, v5, v66
	v_xor_b32_e32 v9, v7, v6
	v_add_co_u32_e32 v71, vcc, s92, v62
	v_add_co_u32_e32 v67, vcc, s93, v4
	v_mad_u64_u32 v[6:7], s[4:5], v5, s23, 0
	v_mad_u64_u32 v[12:13], s[4:5], v9, s33, 0
	v_xor_b32_e32 v5, v71, v13
	v_xor_b32_e32 v7, v67, v7
	v_xor_b32_e32 v5, v5, v10
	v_xor_b32_e32 v7, v7, v8
	v_add_co_u32_e32 v83, vcc, s94, v62
	v_add_co_u32_e32 v82, vcc, s31, v4
	v_mad_u64_u32 v[8:9], s[4:5], v5, s23, 0
	v_mad_u64_u32 v[10:11], s[4:5], v7, s33, 0
	;; [unrolled: 8-line block ×7, first 2 shown]
	v_xor_b32_e32 v7, v93, v7
	v_xor_b32_e32 v5, v92, v5
	;; [unrolled: 1-line block ×4, first 2 shown]
	v_mad_u64_u32 v[18:19], s[4:5], v7, s23, 0
	v_mad_u64_u32 v[64:65], s[4:5], v5, s33, 0
	v_mov_b32_e32 v3, v20
	v_add_u32_e32 v80, 0x8ff34781, v62
	v_add_u32_e32 v81, 0x96a522ad, v63
	v_xor_b32_e32 v5, v65, v6
	v_xor_b32_e32 v4, v19, v4
	;; [unrolled: 1-line block ×4, first 2 shown]
	v_mov_b32_e32 v68, 0
	v_pk_mov_b32 v[6:7], v[2:3], v[2:3] op_sel:[0,1]
	v_mov_b32_e32 v9, v64
	v_mov_b32_e32 v11, v18
	s_waitcnt vmcnt(0)
	v_cmp_gt_f64_e32 vcc, 1.0, v[16:17]
	s_mov_b64 s[4:5], -1
	v_mov_b32_e32 v69, 0x3ff00000
	v_pk_mov_b32 v[4:5], v[0:1], v[0:1] op_sel:[0,1]
                                        ; implicit-def: $sgpr80_sgpr81
	s_and_saveexec_b64 s[82:83], vcc
	s_cbranch_execz .LBB118_12
; %bb.7:                                ;   in Loop: Header=BB118_4 Depth=1
	v_mov_b32_e32 v68, 0
	v_cmp_neq_f64_e32 vcc, 0, v[16:17]
	s_mov_b64 s[80:81], 0
	v_mov_b32_e32 v69, 0x3ff00000
	s_mov_b64 s[86:87], 0
                                        ; implicit-def: $vgpr4_vgpr5_vgpr6_vgpr7
	s_and_saveexec_b64 s[84:85], vcc
	s_cbranch_execz .LBB118_11
; %bb.8:                                ;   in Loop: Header=BB118_4 Depth=1
	v_add_u32_e32 v65, 1, v70
	v_pk_mov_b32 v[14:15], v[10:11], v[10:11] op_sel:[0,1]
	v_pk_mov_b32 v[6:7], v[2:3], v[2:3] op_sel:[0,1]
	v_cmp_eq_u32_e32 vcc, 4, v65
	v_pk_mov_b32 v[12:13], v[8:9], v[8:9] op_sel:[0,1]
	v_pk_mov_b32 v[4:5], v[0:1], v[0:1] op_sel:[0,1]
	s_and_saveexec_b64 s[4:5], vcc
	s_cbranch_execz .LBB118_10
; %bb.9:                                ;   in Loop: Header=BB118_4 Depth=1
	v_add_co_u32_e32 v4, vcc, 1, v0
	v_cndmask_b32_e64 v0, 0, 1, vcc
	v_addc_co_u32_e32 v5, vcc, 0, v1, vcc
	v_cmp_eq_u32_e32 vcc, 0, v5
	v_cndmask_b32_e32 v0, 0, v0, vcc
	v_add_u32_e32 v6, v0, v2
	v_cmp_eq_u32_e32 vcc, 0, v6
	v_cndmask_b32_e32 v7, 0, v0, vcc
	v_mad_u64_u32 v[0:1], s[6:7], v4, s23, 0
	v_mad_u64_u32 v[12:13], s[6:7], v6, s33, 0
	v_xor_b32_e32 v3, v13, v62
	v_xor_b32_e32 v1, v1, v63
	v_xor_b32_e32 v3, v5, v3
	v_xor_b32_e32 v1, v7, v1
	v_mad_u64_u32 v[14:15], s[6:7], v3, s23, 0
	v_mad_u64_u32 v[68:69], s[6:7], v1, s33, 0
	v_xor_b32_e32 v1, v66, v69
	v_xor_b32_e32 v3, v21, v15
	v_xor_b32_e32 v1, v1, v12
	v_xor_b32_e32 v3, v3, v0
	;; [unrolled: 6-line block ×9, first 2 shown]
	v_mad_u64_u32 v[66:67], s[6:7], v3, s23, 0
	v_mad_u64_u32 v[68:69], s[6:7], v1, s33, 0
	v_xor_b32_e32 v1, v69, v12
	v_xor_b32_e32 v0, v67, v0
	v_mov_b32_e32 v65, 0
	v_xor_b32_e32 v12, v80, v1
	v_xor_b32_e32 v14, v81, v0
	v_mov_b32_e32 v13, v68
	v_mov_b32_e32 v15, v66
.LBB118_10:                             ;   in Loop: Header=BB118_4 Depth=1
	s_or_b64 exec, exec, s[4:5]
	v_cmp_eq_u32_e32 vcc, 1, v70
	v_cndmask_b32_e32 v0, v8, v64, vcc
	v_cmp_eq_u32_e32 vcc, 2, v70
	v_cndmask_b32_e32 v0, v0, v10, vcc
	v_cmp_eq_u32_e32 vcc, 3, v70
	v_cndmask_b32_e32 v0, v0, v18, vcc
	v_cvt_f32_u32_e32 v3, v0
	v_div_scale_f64 v[0:1], s[4:5], v[16:17], v[16:17], 1.0
	v_rcp_f64_e32 v[8:9], v[0:1]
	v_mov_b32_e32 v10, 0x2f800000
	v_fmac_f32_e32 v10, 0x2f800000, v3
	v_cvt_f64_f32_e32 v[10:11], v10
	v_fma_f64 v[18:19], -v[0:1], v[8:9], 1.0
	v_fmac_f64_e32 v[8:9], v[8:9], v[18:19]
	v_fma_f64 v[18:19], -v[0:1], v[8:9], 1.0
	v_fmac_f64_e32 v[8:9], v[8:9], v[18:19]
	v_div_scale_f64 v[18:19], vcc, 1.0, v[16:17], 1.0
	v_mul_f64 v[66:67], v[18:19], v[8:9]
	v_fma_f64 v[0:1], -v[0:1], v[66:67], v[18:19]
	v_add_f64 v[10:11], -v[10:11], 1.0
	s_nop 0
	v_div_fmas_f64 v[0:1], v[0:1], v[8:9], v[66:67]
	v_div_fixup_f64 v[18:19], v[0:1], v[16:17], 1.0
	v_cmp_eq_f64_e32 vcc, 1.0, v[10:11]
	v_cndmask_b32_e32 v1, v19, v72, vcc
	v_cndmask_b32_e64 v0, v18, 0, vcc
	v_cmp_eq_f64_e64 s[4:5], 0, v[0:1]
	v_and_b32_e32 v3, 0x7fffffff, v11
	v_cndmask_b32_e64 v9, v11, v72, s[4:5]
	v_cndmask_b32_e64 v8, v10, 0, s[4:5]
	;; [unrolled: 1-line block ×4, first 2 shown]
	v_frexp_mant_f64_e32 v[66:67], v[10:11]
	v_cmp_gt_f64_e64 s[4:5], s[28:29], v[66:67]
	v_cndmask_b32_e64 v21, v72, 2.0, s[4:5]
	v_mul_f64 v[66:67], v[66:67], v[20:21]
	v_add_f64 v[68:69], v[66:67], 1.0
	v_rcp_f64_e32 v[70:71], v[68:69]
	v_add_f64 v[84:85], v[68:69], -1.0
	v_add_f64 v[82:83], v[66:67], -1.0
	v_add_f64 v[66:67], v[66:67], -v[84:85]
	v_fma_f64 v[84:85], -v[68:69], v[70:71], 1.0
	v_fmac_f64_e32 v[70:71], v[84:85], v[70:71]
	v_fma_f64 v[84:85], -v[68:69], v[70:71], 1.0
	v_fmac_f64_e32 v[70:71], v[84:85], v[70:71]
	v_mul_f64 v[84:85], v[82:83], v[70:71]
	v_mul_f64 v[86:87], v[68:69], v[84:85]
	v_fma_f64 v[68:69], v[84:85], v[68:69], -v[86:87]
	v_fmac_f64_e32 v[68:69], v[84:85], v[66:67]
	v_add_f64 v[66:67], v[86:87], v[68:69]
	v_add_f64 v[88:89], v[82:83], -v[66:67]
	v_add_f64 v[86:87], v[66:67], -v[86:87]
	;; [unrolled: 1-line block ×5, first 2 shown]
	v_add_f64 v[66:67], v[68:69], v[66:67]
	v_add_f64 v[66:67], v[88:89], v[66:67]
	v_mul_f64 v[66:67], v[70:71], v[66:67]
	v_add_f64 v[68:69], v[84:85], v[66:67]
	v_add_f64 v[70:71], v[68:69], -v[84:85]
	v_add_f64 v[66:67], v[66:67], -v[70:71]
	v_mul_f64 v[70:71], v[68:69], v[68:69]
	v_fma_f64 v[82:83], v[68:69], v[68:69], -v[70:71]
	v_add_f64 v[84:85], v[66:67], v[66:67]
	v_frexp_exp_i32_f64_e32 v3, v[10:11]
	v_fmac_f64_e32 v[82:83], v[68:69], v[84:85]
	v_subbrev_co_u32_e64 v3, s[4:5], 0, v3, s[4:5]
	v_add_f64 v[84:85], v[70:71], v[82:83]
	v_add_f64 v[70:71], v[84:85], -v[70:71]
	s_mov_b32 s4, 0x4222de17
	v_add_f64 v[70:71], v[82:83], -v[70:71]
	v_pk_mov_b32 v[82:83], v[26:27], v[26:27] op_sel:[0,1]
	s_mov_b32 s5, 0x3fbdee67
	v_fmac_f64_e32 v[82:83], s[4:5], v[84:85]
	v_pk_mov_b32 v[86:87], v[28:29], v[28:29] op_sel:[0,1]
	v_fmac_f64_e32 v[86:87], v[84:85], v[82:83]
	v_pk_mov_b32 v[82:83], v[30:31], v[30:31] op_sel:[0,1]
	;; [unrolled: 2-line block ×7, first 2 shown]
	v_fmac_f64_e32 v[86:87], v[84:85], v[82:83]
	v_cvt_f64_i32_e32 v[82:83], v3
	v_mul_f64 v[88:89], v[82:83], s[38:39]
	v_mul_f64 v[94:95], v[68:69], v[84:85]
	v_fma_f64 v[90:91], v[82:83], s[38:39], -v[88:89]
	v_fma_f64 v[96:97], v[84:85], v[68:69], -v[94:95]
	v_fmac_f64_e32 v[90:91], s[40:41], v[82:83]
	v_fmac_f64_e32 v[96:97], v[84:85], v[66:67]
	v_add_f64 v[82:83], v[88:89], v[90:91]
	v_fmac_f64_e32 v[96:97], v[70:71], v[68:69]
	v_add_f64 v[88:89], v[82:83], -v[88:89]
	v_ldexp_f64 v[92:93], v[66:67], 1
	v_add_f64 v[66:67], v[94:95], v[96:97]
	v_add_f64 v[88:89], v[90:91], -v[88:89]
	v_ldexp_f64 v[90:91], v[68:69], 1
	v_add_f64 v[68:69], v[66:67], -v[94:95]
	v_mul_f64 v[94:95], v[84:85], v[86:87]
	v_fma_f64 v[84:85], v[84:85], v[86:87], -v[94:95]
	v_fmac_f64_e32 v[84:85], v[70:71], v[86:87]
	v_add_f64 v[70:71], v[94:95], v[84:85]
	v_add_f64 v[86:87], v[70:71], -v[94:95]
	v_add_f64 v[84:85], v[84:85], -v[86:87]
	v_add_f64 v[86:87], v[70:71], s[28:29]
	s_mov_b32 s42, s28
	s_mov_b32 s4, 0xd5df274d
	v_add_f64 v[94:95], v[86:87], s[42:43]
	s_mov_b32 s5, 0x3c8543b0
	v_add_f64 v[70:71], v[70:71], -v[94:95]
	v_add_f64 v[84:85], v[84:85], s[4:5]
	v_add_f64 v[70:71], v[84:85], v[70:71]
	;; [unrolled: 1-line block ×3, first 2 shown]
	v_add_f64 v[86:87], v[86:87], -v[84:85]
	v_add_f64 v[70:71], v[70:71], v[86:87]
	v_mul_f64 v[86:87], v[66:67], v[84:85]
	v_fma_f64 v[94:95], v[66:67], v[84:85], -v[86:87]
	v_add_f64 v[68:69], v[96:97], -v[68:69]
	v_fmac_f64_e32 v[94:95], v[66:67], v[70:71]
	v_fmac_f64_e32 v[94:95], v[68:69], v[84:85]
	v_add_f64 v[66:67], v[86:87], v[94:95]
	v_add_f64 v[68:69], v[66:67], -v[86:87]
	v_add_f64 v[70:71], v[90:91], v[66:67]
	v_add_f64 v[68:69], v[94:95], -v[68:69]
	v_add_f64 v[84:85], v[70:71], -v[90:91]
	;; [unrolled: 1-line block ×3, first 2 shown]
	v_add_f64 v[68:69], v[92:93], v[68:69]
	v_add_f64 v[66:67], v[68:69], v[66:67]
	;; [unrolled: 1-line block ×3, first 2 shown]
	v_add_f64 v[70:71], v[68:69], -v[70:71]
	v_add_f64 v[66:67], v[66:67], -v[70:71]
	v_add_f64 v[70:71], v[82:83], v[68:69]
	v_add_f64 v[84:85], v[70:71], -v[82:83]
	v_add_f64 v[86:87], v[70:71], -v[84:85]
	v_add_f64 v[82:83], v[82:83], -v[86:87]
	v_add_f64 v[68:69], v[68:69], -v[84:85]
	v_add_f64 v[68:69], v[68:69], v[82:83]
	v_add_f64 v[82:83], v[88:89], v[66:67]
	v_add_f64 v[84:85], v[82:83], -v[88:89]
	v_add_f64 v[68:69], v[82:83], v[68:69]
	v_add_f64 v[86:87], v[82:83], -v[84:85]
	;; [unrolled: 2-line block ×3, first 2 shown]
	v_add_f64 v[66:67], v[66:67], -v[84:85]
	v_add_f64 v[70:71], v[82:83], -v[70:71]
	v_add_f64 v[66:67], v[66:67], v[86:87]
	v_add_f64 v[68:69], v[68:69], -v[70:71]
	v_add_f64 v[66:67], v[66:67], v[68:69]
	v_add_f64 v[68:69], v[82:83], v[66:67]
	v_add_f64 v[70:71], v[68:69], -v[82:83]
	v_add_f64 v[66:67], v[66:67], -v[70:71]
	v_mul_f64 v[70:71], v[0:1], v[68:69]
	v_fma_f64 v[68:69], v[0:1], v[68:69], -v[70:71]
	v_fmac_f64_e32 v[68:69], v[0:1], v[66:67]
	v_add_f64 v[66:67], v[70:71], v[68:69]
	v_cmp_class_f64_e64 s[4:5], v[70:71], s30
	v_add_f64 v[82:83], v[66:67], -v[70:71]
	v_cndmask_b32_e64 v67, v67, v71, s[4:5]
	v_cndmask_b32_e64 v66, v66, v70, s[4:5]
	v_add_f64 v[68:69], v[68:69], -v[82:83]
	v_cmp_neq_f64_e64 s[4:5], |v[66:67]|, s[46:47]
	v_cndmask_b32_e64 v69, 0, v69, s[4:5]
	v_cndmask_b32_e64 v68, 0, v68, s[4:5]
	s_mov_b32 s4, 0x652b82fe
	s_mov_b32 s5, 0x3ff71547
	v_mul_f64 v[70:71], v[66:67], s[4:5]
	v_rndne_f64_e32 v[70:71], v[70:71]
	s_mov_b32 s50, s38
	v_fma_f64 v[82:83], s[50:51], v[70:71], v[66:67]
	s_mov_b32 s52, s40
	s_mov_b32 s4, 0x6a5dcb37
	v_fmac_f64_e32 v[82:83], s[52:53], v[70:71]
	v_pk_mov_b32 v[84:85], v[42:43], v[42:43] op_sel:[0,1]
	s_mov_b32 s5, 0x3e5ade15
	v_fmac_f64_e32 v[84:85], s[4:5], v[82:83]
	v_pk_mov_b32 v[86:87], v[44:45], v[44:45] op_sel:[0,1]
	v_fmac_f64_e32 v[86:87], v[82:83], v[84:85]
	v_pk_mov_b32 v[84:85], v[46:47], v[46:47] op_sel:[0,1]
	;; [unrolled: 2-line block ×8, first 2 shown]
	v_fmac_f64_e32 v[84:85], v[82:83], v[86:87]
	v_fma_f64 v[84:85], v[82:83], v[84:85], 1.0
	s_mov_b32 s4, 0
	v_fma_f64 v[82:83], v[82:83], v[84:85], 1.0
	v_cvt_i32_f64_e32 v3, v[70:71]
	s_mov_b32 s5, 0x40900000
	s_mov_b32 s6, 0
	v_ldexp_f64 v[70:71], v[82:83], v3
	v_cmp_lt_f64_e64 s[4:5], s[4:5], v[66:67]
	s_mov_b32 s7, 0xc090cc00
	v_cndmask_b32_e64 v3, v70, 0, s[4:5]
	v_cndmask_b32_e64 v21, v71, v73, s[4:5]
	v_cmp_ngt_f64_e64 s[6:7], s[6:7], v[66:67]
	v_and_b32_e32 v71, 0x7fffffff, v71
	v_cndmask_b32_e64 v67, 0, v21, s[6:7]
	v_cndmask_b32_e64 v66, 0, v3, s[6:7]
	v_cmp_eq_f64_e64 s[8:9], s[46:47], v[70:71]
	v_pk_mov_b32 v[82:83], v[66:67], v[66:67] op_sel:[0,1]
	s_or_b64 s[4:5], s[4:5], s[8:9]
	v_fmac_f64_e32 v[82:83], v[82:83], v[68:69]
	s_and_b64 s[4:5], s[6:7], s[4:5]
	v_cndmask_b32_e64 v3, v82, v66, s[4:5]
	v_cndmask_b32_e64 v21, v83, v67, s[4:5]
	v_trunc_f64_e32 v[66:67], v[0:1]
	v_cmp_eq_f64_e64 s[4:5], v[66:67], v[0:1]
	v_mul_f64 v[66:67], v[0:1], 0.5
	v_trunc_f64_e32 v[68:69], v[66:67]
	v_cmp_neq_f64_e64 s[6:7], v[68:69], v[66:67]
	s_and_b64 s[6:7], s[4:5], s[6:7]
	v_cndmask_b32_e64 v64, v72, v9, s[6:7]
	v_bfi_b32 v21, s63, v21, v64
	v_and_b32_e32 v19, 0x7fffffff, v19
	v_cndmask_b32_e64 v64, v74, v21, s[4:5]
	v_cndmask_b32_e64 v66, 0, v3, s[4:5]
	v_cmp_gt_f64_e64 s[4:5], 0, v[8:9]
	v_cndmask_b32_e32 v19, v19, v72, vcc
	v_cndmask_b32_e64 v18, v18, 0, vcc
	v_cndmask_b32_e64 v3, v3, v66, s[4:5]
	v_cndmask_b32_e64 v21, v21, v64, s[4:5]
	v_cmp_neq_f64_e32 vcc, v[0:1], v[18:19]
	v_cmp_gt_f64_e64 s[4:5], 1.0, v[10:11]
	s_xor_b64 s[4:5], vcc, s[4:5]
	v_cndmask_b32_e64 v64, v19, 0, s[4:5]
	v_cndmask_b32_e64 v66, v18, 0, s[4:5]
	v_cmp_eq_f64_e32 vcc, 1.0, v[10:11]
	v_cmp_eq_f64_e64 s[4:5], 0, v[8:9]
	v_cmp_gt_f64_e64 s[8:9], 0, v[0:1]
	v_cndmask_b32_e32 v66, v66, v10, vcc
	v_cndmask_b32_e32 v64, v64, v11, vcc
	v_cmp_eq_f64_e32 vcc, s[46:47], v[18:19]
	s_xor_b64 s[8:9], s[8:9], s[4:5]
	v_cndmask_b32_e32 v18, v21, v64, vcc
	v_cndmask_b32_e32 v3, v3, v66, vcc
	v_cmp_eq_f64_e32 vcc, s[46:47], v[10:11]
	v_cndmask_b32_e64 v0, v73, 0, s[8:9]
	v_cndmask_b32_e64 v1, 0, v9, s[6:7]
	v_bfi_b32 v0, s63, v0, v1
	s_or_b64 vcc, vcc, s[4:5]
	v_pk_mov_b32 v[8:9], v[12:13], v[12:13] op_sel:[0,1]
	s_mov_b64 s[86:87], exec
	v_cndmask_b32_e64 v68, v3, 0, vcc
	v_cndmask_b32_e32 v69, v18, v0, vcc
	v_add_f64 v[16:17], v[16:17], 1.0
	v_pk_mov_b32 v[10:11], v[14:15], v[14:15] op_sel:[0,1]
	v_mov_b32_e32 v70, v65
.LBB118_11:                             ;   in Loop: Header=BB118_4 Depth=1
	s_or_b64 exec, exec, s[84:85]
	s_orn2_b64 s[4:5], s[86:87], exec
.LBB118_12:                             ;   in Loop: Header=BB118_4 Depth=1
	s_or_b64 exec, exec, s[82:83]
	v_pk_mov_b32 v[64:65], s[80:81], s[80:81] op_sel:[0,1]
	s_and_saveexec_b64 s[6:7], s[4:5]
	s_cbranch_execz .LBB118_3
; %bb.13:                               ;   in Loop: Header=BB118_4 Depth=1
	s_brev_b32 s4, 6
	s_mov_b32 s5, 0xbfd55555
	v_add_f64 v[0:1], v[16:17], s[4:5]
	s_mov_b32 s4, 0
	s_mov_b32 s5, 0x40220000
	v_mul_f64 v[12:13], v[0:1], s[4:5]
	v_cmp_gt_f64_e32 vcc, s[64:65], v[12:13]
	v_cndmask_b32_e64 v3, 0, 1, vcc
	v_lshlrev_b32_e32 v3, 8, v3
	v_ldexp_f64 v[12:13], v[12:13], v3
	v_rsq_f64_e32 v[14:15], v[12:13]
	v_cndmask_b32_e32 v3, 0, v75, vcc
	v_cmp_class_f64_e32 vcc, v[12:13], v25
	v_mov_b32_e32 v97, 0
	v_mul_f64 v[16:17], v[12:13], v[14:15]
	v_mul_f64 v[14:15], v[14:15], 0.5
	v_fma_f64 v[18:19], -v[14:15], v[16:17], 0.5
	v_fmac_f64_e32 v[16:17], v[16:17], v[18:19]
	v_fmac_f64_e32 v[14:15], v[14:15], v[18:19]
	v_fma_f64 v[18:19], -v[16:17], v[16:17], v[12:13]
	v_fmac_f64_e32 v[16:17], v[18:19], v[14:15]
	v_fma_f64 v[18:19], -v[16:17], v[16:17], v[12:13]
	v_fmac_f64_e32 v[16:17], v[18:19], v[14:15]
	v_ldexp_f64 v[14:15], v[16:17], v3
	v_cndmask_b32_e32 v13, v15, v13, vcc
	v_cndmask_b32_e32 v12, v14, v12, vcc
	v_div_scale_f64 v[14:15], s[4:5], v[12:13], v[12:13], 1.0
	v_rcp_f64_e32 v[16:17], v[14:15]
	v_mul_f64 v[68:69], v[68:69], v[0:1]
	v_add_u32_e32 v3, 0x9e3779b9, v62
	v_add_u32_e32 v82, 0xbb67ae85, v63
	v_fma_f64 v[18:19], -v[14:15], v[16:17], 1.0
	v_fmac_f64_e32 v[16:17], v[16:17], v[18:19]
	v_fma_f64 v[18:19], -v[14:15], v[16:17], 1.0
	v_fmac_f64_e32 v[16:17], v[16:17], v[18:19]
	v_div_scale_f64 v[18:19], vcc, 1.0, v[12:13], 1.0
	v_mul_f64 v[64:65], v[18:19], v[16:17]
	v_fma_f64 v[14:15], -v[14:15], v[64:65], v[18:19]
	v_add_u32_e32 v83, 0x3c6ef372, v62
	s_nop 0
	v_div_fmas_f64 v[14:15], v[14:15], v[16:17], v[64:65]
	v_div_fixup_f64 v[66:67], v[14:15], v[12:13], 1.0
	v_add_u32_e32 v84, 0x76cf5d0a, v63
	v_add_u32_e32 v85, 0xdaa66d2b, v62
	;; [unrolled: 1-line block ×13, first 2 shown]
	s_mov_b64 s[8:9], 0
                                        ; implicit-def: $vgpr71
                                        ; implicit-def: $vgpr64_vgpr65
	s_branch .LBB118_15
.LBB118_14:                             ;   in Loop: Header=BB118_15 Depth=2
	s_or_b64 exec, exec, s[4:5]
	s_xor_b64 s[4:5], s[80:81], -1
	s_and_b64 s[4:5], exec, s[4:5]
	s_or_b64 s[8:9], s[4:5], s[8:9]
	s_andn2_b64 exec, exec, s[8:9]
	s_cbranch_execz .LBB118_2
.LBB118_15:                             ;   Parent Loop BB118_4 Depth=1
                                        ; =>  This Loop Header: Depth=2
                                        ;       Child Loop BB118_18 Depth 3
	v_pk_mov_b32 v[14:15], v[10:11], v[10:11] op_sel:[0,1]
	s_mov_b64 s[80:81], 0
	v_mov_b32_e32 v21, v70
	v_pk_mov_b32 v[12:13], v[8:9], v[8:9] op_sel:[0,1]
	s_branch .LBB118_18
.LBB118_16:                             ;   in Loop: Header=BB118_18 Depth=3
	s_or_b64 exec, exec, s[4:5]
	v_cmp_eq_u32_e32 vcc, 1, v21
	v_cndmask_b32_e32 v12, v12, v13, vcc
	v_cmp_eq_u32_e32 vcc, 2, v21
	v_cndmask_b32_e32 v12, v12, v14, vcc
	;; [unrolled: 2-line block ×4, first 2 shown]
	v_cvt_f32_u32_e32 v9, v12
	v_cmp_eq_u32_e32 vcc, 2, v70
	v_cndmask_b32_e32 v8, v8, v10, vcc
	v_mov_b32_e32 v10, 0x2f800000
	v_fmac_f32_e32 v10, 0x2f800000, v9
	v_cmp_gt_f32_e32 vcc, s55, v10
	v_cndmask_b32_e32 v9, 1.0, v76, vcc
	v_mul_f32_e32 v9, v10, v9
	v_log_f32_e32 v9, v9
	v_cmp_eq_u32_e64 s[4:5], 3, v70
	v_cndmask_b32_e64 v8, v8, v11, s[4:5]
	v_cvt_f32_u32_e32 v8, v8
	v_mul_f32_e32 v10, 0x3f317217, v9
	v_fma_f32 v11, v9, s56, -v10
	v_fmac_f32_e32 v11, 0x3377d1cf, v9
	v_add_f32_e32 v10, v10, v11
	v_cmp_lt_f32_e64 s[4:5], |v9|, s57
	v_cndmask_b32_e64 v9, v9, v10, s[4:5]
	v_cndmask_b32_e32 v10, 0, v77, vcc
	v_sub_f32_e32 v9, v9, v10
	v_mul_f32_e32 v9, -2.0, v9
	v_mul_f32_e32 v10, 0x4f800000, v9
	v_cmp_gt_f32_e32 vcc, s58, v9
	v_cndmask_b32_e32 v10, v9, v10, vcc
	v_sqrt_f32_e32 v9, v10
	v_mov_b32_e32 v11, 0x30c90fdb
	v_fmac_f32_e32 v11, 0x30c90fdb, v8
	v_mov_b32_e32 v97, 1
	v_add_u32_e32 v8, -1, v9
	v_fma_f32 v12, -v8, v9, v10
	v_cmp_ge_f32_e64 s[4:5], 0, v12
	v_add_u32_e32 v12, 1, v9
	v_cndmask_b32_e64 v8, v9, v8, s[4:5]
	v_fma_f32 v9, -v12, v9, v10
	v_cmp_lt_f32_e64 s[4:5], 0, v9
	v_mul_f32_e32 v9, 0.15915494, v11
	v_cndmask_b32_e64 v12, v8, v12, s[4:5]
	v_sin_f32_e32 v8, v9
	v_cos_f32_e32 v9, v9
	v_mul_f32_e32 v13, 0x37800000, v12
	v_cndmask_b32_e32 v11, v12, v13, vcc
	v_cmp_class_f32_e32 vcc, v10, v25
	v_cndmask_b32_e32 v10, v11, v10, vcc
	v_pk_mov_b32 v[12:13], v[16:17], v[16:17] op_sel:[0,1]
	v_pk_mul_f32 v[70:71], v[10:11], v[8:9] op_sel_hi:[0,1]
	v_pk_mov_b32 v[14:15], v[18:19], v[18:19] op_sel:[0,1]
	v_mov_b32_e32 v21, v98
.LBB118_17:                             ;   in Loop: Header=BB118_18 Depth=3
	s_or_b64 exec, exec, s[82:83]
	v_cvt_f64_f32_e32 v[16:17], v70
	v_fma_f64 v[18:19], v[66:67], v[16:17], 1.0
	v_cmp_nge_f64_e32 vcc, 0, v[18:19]
	s_or_b64 s[80:81], vcc, s[80:81]
	s_andn2_b64 exec, exec, s[80:81]
	s_cbranch_execz .LBB118_23
.LBB118_18:                             ;   Parent Loop BB118_4 Depth=1
                                        ;     Parent Loop BB118_15 Depth=2
                                        ; =>    This Inner Loop Header: Depth=3
	v_cmp_eq_u32_e32 vcc, 0, v97
	v_mov_b32_e32 v97, 0
	v_mov_b32_e32 v70, v71
	s_and_saveexec_b64 s[82:83], vcc
	s_cbranch_execz .LBB118_17
; %bb.19:                               ;   in Loop: Header=BB118_18 Depth=3
	v_add_u32_e32 v70, 1, v21
	v_pk_mov_b32 v[8:9], v[12:13], v[12:13] op_sel:[0,1]
	v_cmp_eq_u32_e32 vcc, 4, v70
	v_pk_mov_b32 v[10:11], v[14:15], v[14:15] op_sel:[0,1]
	s_and_saveexec_b64 s[4:5], vcc
	s_cbranch_execz .LBB118_21
; %bb.20:                               ;   in Loop: Header=BB118_18 Depth=3
	v_add_co_u32_e32 v4, vcc, 1, v4
	v_cndmask_b32_e64 v8, 0, 1, vcc
	v_addc_co_u32_e32 v5, vcc, 0, v5, vcc
	v_cmp_eq_u32_e32 vcc, 0, v5
	v_cndmask_b32_e32 v8, 0, v8, vcc
	v_add_u32_e32 v6, v8, v6
	v_cmp_eq_u32_e32 vcc, 0, v6
	v_cndmask_b32_e32 v8, 0, v8, vcc
	v_add_u32_e32 v7, v8, v7
	v_mad_u64_u32 v[8:9], s[84:85], v4, s23, 0
	v_mad_u64_u32 v[10:11], s[84:85], v6, s33, 0
	v_xor_b32_e32 v11, v11, v62
	v_xor_b32_e32 v9, v9, v63
	v_xor_b32_e32 v11, v5, v11
	v_xor_b32_e32 v9, v7, v9
	v_mad_u64_u32 v[16:17], s[84:85], v11, s23, 0
	v_mad_u64_u32 v[18:19], s[84:85], v9, s33, 0
	v_xor_b32_e32 v9, v19, v10
	v_xor_b32_e32 v8, v17, v8
	v_xor_b32_e32 v9, v3, v9
	v_xor_b32_e32 v10, v82, v8
	;; [unrolled: 6-line block ×9, first 2 shown]
	v_mad_u64_u32 v[16:17], s[84:85], v9, s23, 0
	v_mad_u64_u32 v[18:19], s[84:85], v11, s33, 0
	v_xor_b32_e32 v8, v19, v8
	v_xor_b32_e32 v9, v17, v10
	v_mov_b32_e32 v70, 0
	v_xor_b32_e32 v8, v80, v8
	v_xor_b32_e32 v10, v81, v9
	v_mov_b32_e32 v9, v18
	v_mov_b32_e32 v11, v16
.LBB118_21:                             ;   in Loop: Header=BB118_18 Depth=3
	s_or_b64 exec, exec, s[4:5]
	v_add_u32_e32 v98, 1, v70
	v_pk_mov_b32 v[18:19], v[10:11], v[10:11] op_sel:[0,1]
	v_cmp_eq_u32_e32 vcc, 4, v98
	v_pk_mov_b32 v[16:17], v[8:9], v[8:9] op_sel:[0,1]
	s_and_saveexec_b64 s[4:5], vcc
	s_cbranch_execz .LBB118_16
; %bb.22:                               ;   in Loop: Header=BB118_18 Depth=3
	v_add_co_u32_e32 v4, vcc, 1, v4
	v_cndmask_b32_e64 v16, 0, 1, vcc
	v_addc_co_u32_e32 v5, vcc, 0, v5, vcc
	v_cmp_eq_u32_e32 vcc, 0, v5
	v_cndmask_b32_e32 v16, 0, v16, vcc
	v_add_u32_e32 v6, v16, v6
	v_cmp_eq_u32_e32 vcc, 0, v6
	v_cndmask_b32_e32 v16, 0, v16, vcc
	v_add_u32_e32 v7, v16, v7
	v_mad_u64_u32 v[16:17], s[84:85], v4, s23, 0
	v_mad_u64_u32 v[18:19], s[84:85], v6, s33, 0
	v_xor_b32_e32 v19, v19, v62
	v_xor_b32_e32 v17, v17, v63
	v_xor_b32_e32 v19, v5, v19
	v_xor_b32_e32 v17, v7, v17
	v_mad_u64_u32 v[100:101], s[84:85], v19, s23, 0
	v_mad_u64_u32 v[102:103], s[84:85], v17, s33, 0
	v_xor_b32_e32 v17, v103, v18
	v_xor_b32_e32 v16, v101, v16
	v_xor_b32_e32 v17, v3, v17
	v_xor_b32_e32 v18, v82, v16
	;; [unrolled: 6-line block ×9, first 2 shown]
	v_mad_u64_u32 v[100:101], s[84:85], v17, s23, 0
	v_mad_u64_u32 v[102:103], s[84:85], v19, s33, 0
	v_xor_b32_e32 v16, v103, v16
	v_xor_b32_e32 v17, v101, v18
	v_mov_b32_e32 v98, 0
	v_xor_b32_e32 v16, v80, v16
	v_xor_b32_e32 v18, v81, v17
	v_mov_b32_e32 v17, v102
	v_mov_b32_e32 v19, v100
	s_branch .LBB118_16
.LBB118_23:                             ;   in Loop: Header=BB118_15 Depth=2
	s_or_b64 exec, exec, s[80:81]
	v_add_u32_e32 v70, 1, v21
	v_pk_mov_b32 v[8:9], v[12:13], v[12:13] op_sel:[0,1]
	v_cmp_eq_u32_e32 vcc, 4, v70
	v_pk_mov_b32 v[10:11], v[14:15], v[14:15] op_sel:[0,1]
	s_and_saveexec_b64 s[4:5], vcc
	s_cbranch_execz .LBB118_25
; %bb.24:                               ;   in Loop: Header=BB118_15 Depth=2
	v_add_co_u32_e32 v4, vcc, 1, v4
	v_cndmask_b32_e64 v8, 0, 1, vcc
	v_addc_co_u32_e32 v5, vcc, 0, v5, vcc
	v_cmp_eq_u32_e32 vcc, 0, v5
	v_cndmask_b32_e32 v8, 0, v8, vcc
	v_add_u32_e32 v6, v8, v6
	v_cmp_eq_u32_e32 vcc, 0, v6
	v_cndmask_b32_e32 v8, 0, v8, vcc
	v_add_u32_e32 v7, v8, v7
	v_mad_u64_u32 v[8:9], s[80:81], v4, s23, 0
	v_mad_u64_u32 v[10:11], s[80:81], v6, s33, 0
	v_xor_b32_e32 v11, v11, v62
	v_xor_b32_e32 v9, v9, v63
	v_xor_b32_e32 v11, v5, v11
	v_xor_b32_e32 v9, v7, v9
	v_mad_u64_u32 v[98:99], s[80:81], v11, s23, 0
	v_mad_u64_u32 v[100:101], s[80:81], v9, s33, 0
	v_xor_b32_e32 v9, v101, v10
	v_xor_b32_e32 v8, v99, v8
	v_xor_b32_e32 v9, v3, v9
	v_xor_b32_e32 v10, v82, v8
	;; [unrolled: 6-line block ×9, first 2 shown]
	v_mad_u64_u32 v[98:99], s[80:81], v9, s23, 0
	v_mad_u64_u32 v[100:101], s[80:81], v11, s33, 0
	v_xor_b32_e32 v8, v101, v8
	v_xor_b32_e32 v9, v99, v10
	v_mov_b32_e32 v70, 0
	v_xor_b32_e32 v8, v80, v8
	v_xor_b32_e32 v10, v81, v9
	v_mov_b32_e32 v9, v100
	v_mov_b32_e32 v11, v98
.LBB118_25:                             ;   in Loop: Header=BB118_15 Depth=2
	s_or_b64 exec, exec, s[4:5]
	v_cmp_eq_u32_e32 vcc, 1, v21
	v_cndmask_b32_e32 v12, v12, v13, vcc
	v_cmp_eq_u32_e32 vcc, 2, v21
	v_cndmask_b32_e32 v12, v12, v14, vcc
	;; [unrolled: 2-line block ×3, first 2 shown]
	v_cvt_f32_u32_e32 v14, v12
	v_mov_b32_e32 v15, 0x2f800000
	v_mul_f64 v[12:13], v[18:19], v[18:19]
	v_mul_f64 v[12:13], v[18:19], v[12:13]
	v_fmac_f32_e32 v15, 0x2f800000, v14
	v_cvt_f64_f32_e32 v[14:15], v15
	v_add_f64 v[18:19], -v[14:15], 1.0
	v_mul_f64 v[14:15], v[16:17], v[16:17]
	v_mul_f64 v[16:17], v[14:15], s[66:67]
	v_fma_f64 v[16:17], v[14:15], v[16:17], 1.0
	v_cmp_nlt_f64_e32 vcc, v[18:19], v[16:17]
                                        ; implicit-def: $sgpr80_sgpr81
	s_and_saveexec_b64 s[4:5], vcc
	s_xor_b64 s[4:5], exec, s[4:5]
	s_cbranch_execz .LBB118_29
; %bb.26:                               ;   in Loop: Header=BB118_15 Depth=2
	v_frexp_mant_f64_e32 v[16:17], v[18:19]
	v_cmp_gt_f64_e32 vcc, s[28:29], v[16:17]
	v_cndmask_b32_e64 v21, v72, 2.0, vcc
	v_frexp_exp_i32_f64_e32 v98, v[18:19]
	v_mul_f64 v[16:17], v[16:17], v[20:21]
	v_subbrev_co_u32_e32 v21, vcc, 0, v98, vcc
	v_add_f64 v[98:99], v[16:17], 1.0
	v_rcp_f64_e32 v[100:101], v[98:99]
	v_add_f64 v[104:105], v[98:99], -1.0
	v_add_f64 v[102:103], v[16:17], -1.0
	v_add_f64 v[16:17], v[16:17], -v[104:105]
	v_fma_f64 v[104:105], -v[98:99], v[100:101], 1.0
	v_fmac_f64_e32 v[100:101], v[104:105], v[100:101]
	v_fma_f64 v[104:105], -v[98:99], v[100:101], 1.0
	v_fmac_f64_e32 v[100:101], v[104:105], v[100:101]
	v_mul_f64 v[104:105], v[102:103], v[100:101]
	v_mul_f64 v[106:107], v[98:99], v[104:105]
	v_fma_f64 v[98:99], v[104:105], v[98:99], -v[106:107]
	v_fmac_f64_e32 v[98:99], v[104:105], v[16:17]
	v_add_f64 v[16:17], v[106:107], v[98:99]
	v_add_f64 v[108:109], v[102:103], -v[16:17]
	v_add_f64 v[106:107], v[16:17], -v[106:107]
	v_add_f64 v[102:103], v[102:103], -v[108:109]
	v_add_f64 v[16:17], v[102:103], -v[16:17]
	v_add_f64 v[98:99], v[106:107], -v[98:99]
	v_add_f64 v[16:17], v[98:99], v[16:17]
	v_add_f64 v[16:17], v[108:109], v[16:17]
	v_mul_f64 v[16:17], v[100:101], v[16:17]
	v_add_f64 v[98:99], v[104:105], v[16:17]
	v_add_f64 v[100:101], v[98:99], -v[104:105]
	v_add_f64 v[16:17], v[16:17], -v[100:101]
	v_mul_f64 v[100:101], v[98:99], v[98:99]
	v_pk_mov_b32 v[102:103], s[68:69], s[68:69] op_sel:[0,1]
	v_fma_f64 v[104:105], s[70:71], v[100:101], v[102:103]
	v_fma_f64 v[104:105], v[100:101], v[104:105], s[72:73]
	;; [unrolled: 1-line block ×5, first 2 shown]
	s_mov_b32 s77, s29
	v_fma_f64 v[104:105], v[100:101], v[104:105], s[76:77]
	v_ldexp_f64 v[106:107], v[98:99], 1
	v_mul_f64 v[98:99], v[98:99], v[100:101]
	v_mul_f64 v[98:99], v[98:99], v[104:105]
	v_add_f64 v[100:101], v[106:107], v[98:99]
	v_add_f64 v[104:105], v[100:101], -v[106:107]
	v_ldexp_f64 v[16:17], v[16:17], 1
	v_add_f64 v[98:99], v[98:99], -v[104:105]
	v_add_f64 v[16:17], v[16:17], v[98:99]
	v_add_f64 v[98:99], v[100:101], v[16:17]
	v_add_f64 v[100:101], v[98:99], -v[100:101]
	v_add_f64 v[16:17], v[16:17], -v[100:101]
	v_cvt_f64_i32_e32 v[100:101], v21
	v_mul_f64 v[104:105], v[100:101], s[38:39]
	v_fma_f64 v[106:107], v[100:101], s[38:39], -v[104:105]
	v_fmac_f64_e32 v[106:107], s[40:41], v[100:101]
	v_add_f64 v[100:101], v[104:105], v[106:107]
	v_add_f64 v[104:105], v[100:101], -v[104:105]
	v_add_f64 v[104:105], v[106:107], -v[104:105]
	v_add_f64 v[106:107], v[100:101], v[98:99]
	v_add_f64 v[108:109], v[106:107], -v[100:101]
	v_add_f64 v[110:111], v[106:107], -v[108:109]
	;; [unrolled: 1-line block ×4, first 2 shown]
	v_add_f64 v[98:99], v[98:99], v[100:101]
	v_add_f64 v[100:101], v[104:105], v[16:17]
	v_add_f64 v[108:109], v[100:101], -v[104:105]
	v_add_f64 v[110:111], v[100:101], -v[108:109]
	v_add_f64 v[98:99], v[100:101], v[98:99]
	v_add_f64 v[104:105], v[104:105], -v[110:111]
	v_add_f64 v[16:17], v[16:17], -v[108:109]
	v_add_f64 v[100:101], v[106:107], v[98:99]
	v_add_f64 v[16:17], v[16:17], v[104:105]
	v_add_f64 v[104:105], v[100:101], -v[106:107]
	v_add_f64 v[98:99], v[98:99], -v[104:105]
	v_add_f64 v[16:17], v[16:17], v[98:99]
	v_add_f64 v[16:17], v[100:101], v[16:17]
	v_cmp_class_f64_e64 vcc, v[18:19], s30
	v_cndmask_b32_e32 v16, v16, v18, vcc
	v_cndmask_b32_e32 v17, v17, v19, vcc
	v_cmp_ngt_f64_e32 vcc, 0, v[18:19]
	v_cndmask_b32_e32 v17, v74, v17, vcc
	v_cmp_nge_f64_e32 vcc, 0, v[18:19]
	v_cndmask_b32_e32 v16, 0, v16, vcc
	v_cmp_neq_f64_e32 vcc, 0, v[18:19]
	v_frexp_mant_f64_e32 v[98:99], v[12:13]
	v_cndmask_b32_e32 v17, v78, v17, vcc
	v_cmp_gt_f64_e32 vcc, s[28:29], v[98:99]
	v_cndmask_b32_e64 v21, v72, 2.0, vcc
	v_frexp_exp_i32_f64_e32 v100, v[12:13]
	v_mul_f64 v[98:99], v[98:99], v[20:21]
	v_subbrev_co_u32_e32 v21, vcc, 0, v100, vcc
	v_add_f64 v[100:101], v[98:99], 1.0
	v_rcp_f64_e32 v[104:105], v[100:101]
	v_add_f64 v[108:109], v[100:101], -1.0
	v_add_f64 v[106:107], v[98:99], -1.0
	v_add_f64 v[98:99], v[98:99], -v[108:109]
	v_fma_f64 v[108:109], -v[100:101], v[104:105], 1.0
	v_fmac_f64_e32 v[104:105], v[108:109], v[104:105]
	v_fma_f64 v[108:109], -v[100:101], v[104:105], 1.0
	v_fmac_f64_e32 v[104:105], v[108:109], v[104:105]
	v_mul_f64 v[108:109], v[106:107], v[104:105]
	v_mul_f64 v[110:111], v[100:101], v[108:109]
	v_fma_f64 v[100:101], v[108:109], v[100:101], -v[110:111]
	v_fmac_f64_e32 v[100:101], v[108:109], v[98:99]
	v_add_f64 v[98:99], v[110:111], v[100:101]
	v_add_f64 v[112:113], v[106:107], -v[98:99]
	v_add_f64 v[110:111], v[98:99], -v[110:111]
	;; [unrolled: 1-line block ×5, first 2 shown]
	v_add_f64 v[98:99], v[100:101], v[98:99]
	v_add_f64 v[98:99], v[112:113], v[98:99]
	v_mul_f64 v[98:99], v[104:105], v[98:99]
	v_add_f64 v[100:101], v[108:109], v[98:99]
	v_add_f64 v[104:105], v[100:101], -v[108:109]
	v_add_f64 v[98:99], v[98:99], -v[104:105]
	v_mul_f64 v[104:105], v[100:101], v[100:101]
	v_fmac_f64_e32 v[102:103], s[70:71], v[104:105]
	v_fma_f64 v[102:103], v[104:105], v[102:103], s[72:73]
	v_fma_f64 v[102:103], v[104:105], v[102:103], s[74:75]
	;; [unrolled: 1-line block ×5, first 2 shown]
	v_ldexp_f64 v[106:107], v[100:101], 1
	v_mul_f64 v[100:101], v[100:101], v[104:105]
	v_mul_f64 v[100:101], v[100:101], v[102:103]
	v_add_f64 v[102:103], v[106:107], v[100:101]
	v_add_f64 v[104:105], v[102:103], -v[106:107]
	v_ldexp_f64 v[98:99], v[98:99], 1
	v_add_f64 v[100:101], v[100:101], -v[104:105]
	v_add_f64 v[98:99], v[98:99], v[100:101]
	v_add_f64 v[100:101], v[102:103], v[98:99]
	v_add_f64 v[102:103], v[100:101], -v[102:103]
	v_add_f64 v[98:99], v[98:99], -v[102:103]
	v_cvt_f64_i32_e32 v[102:103], v21
	v_mul_f64 v[104:105], v[102:103], s[38:39]
	v_fma_f64 v[106:107], v[102:103], s[38:39], -v[104:105]
	v_fmac_f64_e32 v[106:107], s[40:41], v[102:103]
	v_add_f64 v[102:103], v[104:105], v[106:107]
	v_add_f64 v[104:105], v[102:103], -v[104:105]
	v_add_f64 v[104:105], v[106:107], -v[104:105]
	v_add_f64 v[106:107], v[102:103], v[100:101]
	v_add_f64 v[108:109], v[106:107], -v[102:103]
	v_add_f64 v[110:111], v[106:107], -v[108:109]
	;; [unrolled: 1-line block ×4, first 2 shown]
	v_add_f64 v[100:101], v[100:101], v[102:103]
	v_add_f64 v[102:103], v[104:105], v[98:99]
	v_add_f64 v[108:109], v[102:103], -v[104:105]
	v_add_f64 v[110:111], v[102:103], -v[108:109]
	v_add_f64 v[100:101], v[102:103], v[100:101]
	v_add_f64 v[104:105], v[104:105], -v[110:111]
	v_add_f64 v[98:99], v[98:99], -v[108:109]
	v_add_f64 v[102:103], v[106:107], v[100:101]
	v_add_f64 v[98:99], v[98:99], v[104:105]
	v_add_f64 v[104:105], v[102:103], -v[106:107]
	v_add_f64 v[100:101], v[100:101], -v[104:105]
	v_add_f64 v[98:99], v[98:99], v[100:101]
	v_add_f64 v[98:99], v[102:103], v[98:99]
	v_cmp_class_f64_e64 vcc, v[12:13], s30
	v_cndmask_b32_e32 v21, v98, v12, vcc
	v_cndmask_b32_e32 v98, v99, v13, vcc
	v_cmp_ngt_f64_e32 vcc, 0, v[12:13]
	v_cndmask_b32_e32 v99, v74, v98, vcc
	v_cmp_nge_f64_e32 vcc, 0, v[12:13]
	v_cndmask_b32_e32 v98, 0, v21, vcc
	v_cmp_neq_f64_e32 vcc, 0, v[12:13]
	v_add_f64 v[18:19], -v[12:13], 1.0
	v_cndmask_b32_e32 v99, v78, v99, vcc
	v_add_f64 v[18:19], v[18:19], v[98:99]
	v_mul_f64 v[18:19], v[0:1], v[18:19]
	v_fmac_f64_e32 v[18:19], 0.5, v[14:15]
	v_cmp_lt_f64_e32 vcc, v[16:17], v[18:19]
	s_mov_b64 s[80:81], -1
	s_and_saveexec_b64 s[82:83], vcc
; %bb.27:                               ;   in Loop: Header=BB118_15 Depth=2
	v_mul_f64 v[64:65], v[68:69], v[12:13]
	s_xor_b64 s[80:81], exec, -1
; %bb.28:                               ;   in Loop: Header=BB118_15 Depth=2
	s_or_b64 exec, exec, s[82:83]
	s_and_b64 s[80:81], s[80:81], exec
                                        ; implicit-def: $vgpr12_vgpr13
.LBB118_29:                             ;   in Loop: Header=BB118_15 Depth=2
	s_andn2_saveexec_b64 s[4:5], s[4:5]
	s_cbranch_execz .LBB118_14
; %bb.30:                               ;   in Loop: Header=BB118_15 Depth=2
	v_mul_f64 v[64:65], v[68:69], v[12:13]
	s_andn2_b64 s[80:81], s[80:81], exec
	s_branch .LBB118_14
.LBB118_31:
	s_endpgm
	.section	.rodata,"a",@progbits
	.p2align	6, 0x0
	.amdhsa_kernel _ZN2at4cuda12_GLOBAL__N_121kernelPointwiseApply2IZN12_GLOBAL__N_117gamma_cuda_kernelIdEEvRKNS_10TensorBaseES7_NS_15PhiloxCudaStateEEUlRdRKdE_ddmLi1ELi1ELi1ELi256ELi2EEEvNS0_6detail10TensorInfoIT0_T2_EENSE_IT1_SG_EESG_T_
		.amdhsa_group_segment_fixed_size 0
		.amdhsa_private_segment_fixed_size 0
		.amdhsa_kernarg_size 1128
		.amdhsa_user_sgpr_count 6
		.amdhsa_user_sgpr_private_segment_buffer 1
		.amdhsa_user_sgpr_dispatch_ptr 0
		.amdhsa_user_sgpr_queue_ptr 0
		.amdhsa_user_sgpr_kernarg_segment_ptr 1
		.amdhsa_user_sgpr_dispatch_id 0
		.amdhsa_user_sgpr_flat_scratch_init 0
		.amdhsa_user_sgpr_kernarg_preload_length 0
		.amdhsa_user_sgpr_kernarg_preload_offset 0
		.amdhsa_user_sgpr_private_segment_size 0
		.amdhsa_uses_dynamic_stack 0
		.amdhsa_system_sgpr_private_segment_wavefront_offset 0
		.amdhsa_system_sgpr_workgroup_id_x 1
		.amdhsa_system_sgpr_workgroup_id_y 0
		.amdhsa_system_sgpr_workgroup_id_z 0
		.amdhsa_system_sgpr_workgroup_info 0
		.amdhsa_system_vgpr_workitem_id 0
		.amdhsa_next_free_vgpr 114
		.amdhsa_next_free_sgpr 96
		.amdhsa_accum_offset 116
		.amdhsa_reserve_vcc 1
		.amdhsa_reserve_flat_scratch 0
		.amdhsa_float_round_mode_32 0
		.amdhsa_float_round_mode_16_64 0
		.amdhsa_float_denorm_mode_32 3
		.amdhsa_float_denorm_mode_16_64 3
		.amdhsa_dx10_clamp 1
		.amdhsa_ieee_mode 1
		.amdhsa_fp16_overflow 0
		.amdhsa_tg_split 0
		.amdhsa_exception_fp_ieee_invalid_op 0
		.amdhsa_exception_fp_denorm_src 0
		.amdhsa_exception_fp_ieee_div_zero 0
		.amdhsa_exception_fp_ieee_overflow 0
		.amdhsa_exception_fp_ieee_underflow 0
		.amdhsa_exception_fp_ieee_inexact 0
		.amdhsa_exception_int_div_zero 0
	.end_amdhsa_kernel
	.section	.text._ZN2at4cuda12_GLOBAL__N_121kernelPointwiseApply2IZN12_GLOBAL__N_117gamma_cuda_kernelIdEEvRKNS_10TensorBaseES7_NS_15PhiloxCudaStateEEUlRdRKdE_ddmLi1ELi1ELi1ELi256ELi2EEEvNS0_6detail10TensorInfoIT0_T2_EENSE_IT1_SG_EESG_T_,"axG",@progbits,_ZN2at4cuda12_GLOBAL__N_121kernelPointwiseApply2IZN12_GLOBAL__N_117gamma_cuda_kernelIdEEvRKNS_10TensorBaseES7_NS_15PhiloxCudaStateEEUlRdRKdE_ddmLi1ELi1ELi1ELi256ELi2EEEvNS0_6detail10TensorInfoIT0_T2_EENSE_IT1_SG_EESG_T_,comdat
.Lfunc_end118:
	.size	_ZN2at4cuda12_GLOBAL__N_121kernelPointwiseApply2IZN12_GLOBAL__N_117gamma_cuda_kernelIdEEvRKNS_10TensorBaseES7_NS_15PhiloxCudaStateEEUlRdRKdE_ddmLi1ELi1ELi1ELi256ELi2EEEvNS0_6detail10TensorInfoIT0_T2_EENSE_IT1_SG_EESG_T_, .Lfunc_end118-_ZN2at4cuda12_GLOBAL__N_121kernelPointwiseApply2IZN12_GLOBAL__N_117gamma_cuda_kernelIdEEvRKNS_10TensorBaseES7_NS_15PhiloxCudaStateEEUlRdRKdE_ddmLi1ELi1ELi1ELi256ELi2EEEvNS0_6detail10TensorInfoIT0_T2_EENSE_IT1_SG_EESG_T_
                                        ; -- End function
	.section	.AMDGPU.csdata,"",@progbits
; Kernel info:
; codeLenInByte = 7348
; NumSgprs: 100
; NumVgprs: 114
; NumAgprs: 0
; TotalNumVgprs: 114
; ScratchSize: 0
; MemoryBound: 0
; FloatMode: 240
; IeeeMode: 1
; LDSByteSize: 0 bytes/workgroup (compile time only)
; SGPRBlocks: 12
; VGPRBlocks: 14
; NumSGPRsForWavesPerEU: 100
; NumVGPRsForWavesPerEU: 114
; AccumOffset: 116
; Occupancy: 4
; WaveLimiterHint : 1
; COMPUTE_PGM_RSRC2:SCRATCH_EN: 0
; COMPUTE_PGM_RSRC2:USER_SGPR: 6
; COMPUTE_PGM_RSRC2:TRAP_HANDLER: 0
; COMPUTE_PGM_RSRC2:TGID_X_EN: 1
; COMPUTE_PGM_RSRC2:TGID_Y_EN: 0
; COMPUTE_PGM_RSRC2:TGID_Z_EN: 0
; COMPUTE_PGM_RSRC2:TIDIG_COMP_CNT: 0
; COMPUTE_PGM_RSRC3_GFX90A:ACCUM_OFFSET: 28
; COMPUTE_PGM_RSRC3_GFX90A:TG_SPLIT: 0
	.section	.text._ZN2at4cuda12_GLOBAL__N_121kernelPointwiseApply2IZN12_GLOBAL__N_117gamma_cuda_kernelIdEEvRKNS_10TensorBaseES7_NS_15PhiloxCudaStateEEUlRdRKdE_ddmLin1ELin1ELi1ELi256ELi2EEEvNS0_6detail10TensorInfoIT0_T2_EENSE_IT1_SG_EESG_T_,"axG",@progbits,_ZN2at4cuda12_GLOBAL__N_121kernelPointwiseApply2IZN12_GLOBAL__N_117gamma_cuda_kernelIdEEvRKNS_10TensorBaseES7_NS_15PhiloxCudaStateEEUlRdRKdE_ddmLin1ELin1ELi1ELi256ELi2EEEvNS0_6detail10TensorInfoIT0_T2_EENSE_IT1_SG_EESG_T_,comdat
	.globl	_ZN2at4cuda12_GLOBAL__N_121kernelPointwiseApply2IZN12_GLOBAL__N_117gamma_cuda_kernelIdEEvRKNS_10TensorBaseES7_NS_15PhiloxCudaStateEEUlRdRKdE_ddmLin1ELin1ELi1ELi256ELi2EEEvNS0_6detail10TensorInfoIT0_T2_EENSE_IT1_SG_EESG_T_ ; -- Begin function _ZN2at4cuda12_GLOBAL__N_121kernelPointwiseApply2IZN12_GLOBAL__N_117gamma_cuda_kernelIdEEvRKNS_10TensorBaseES7_NS_15PhiloxCudaStateEEUlRdRKdE_ddmLin1ELin1ELi1ELi256ELi2EEEvNS0_6detail10TensorInfoIT0_T2_EENSE_IT1_SG_EESG_T_
	.p2align	8
	.type	_ZN2at4cuda12_GLOBAL__N_121kernelPointwiseApply2IZN12_GLOBAL__N_117gamma_cuda_kernelIdEEvRKNS_10TensorBaseES7_NS_15PhiloxCudaStateEEUlRdRKdE_ddmLin1ELin1ELi1ELi256ELi2EEEvNS0_6detail10TensorInfoIT0_T2_EENSE_IT1_SG_EESG_T_,@function
_ZN2at4cuda12_GLOBAL__N_121kernelPointwiseApply2IZN12_GLOBAL__N_117gamma_cuda_kernelIdEEvRKNS_10TensorBaseES7_NS_15PhiloxCudaStateEEUlRdRKdE_ddmLin1ELin1ELi1ELi256ELi2EEEvNS0_6detail10TensorInfoIT0_T2_EENSE_IT1_SG_EESG_T_: ; @_ZN2at4cuda12_GLOBAL__N_121kernelPointwiseApply2IZN12_GLOBAL__N_117gamma_cuda_kernelIdEEvRKNS_10TensorBaseES7_NS_15PhiloxCudaStateEEUlRdRKdE_ddmLin1ELin1ELi1ELi256ELi2EEEvNS0_6detail10TensorInfoIT0_T2_EENSE_IT1_SG_EESG_T_
; %bb.0:
	s_load_dword s2, s[4:5], 0x374
	s_load_dwordx8 s[8:15], s[4:5], 0x340
	s_add_u32 s0, s4, 0x368
	s_addc_u32 s1, s5, 0
	v_mov_b32_e32 v18, 0
	s_waitcnt lgkmcnt(0)
	s_and_b32 s2, s2, 0xffff
	s_mul_i32 s6, s6, s2
	v_add_u32_e32 v16, s6, v0
	v_mov_b32_e32 v17, v18
	v_cmp_gt_u64_e32 vcc, s[8:9], v[16:17]
	s_and_saveexec_b64 s[6:7], vcc
	s_cbranch_execz .LBB119_49
; %bb.1:
	s_add_u32 s3, s4, 0x1a0
	s_addc_u32 s18, s5, 0
	s_load_dword s19, s[0:1], 0x0
	s_load_dword s28, s[4:5], 0x198
	s_load_dword s26, s[4:5], 0x360
	s_load_dword s30, s[4:5], 0x338
	s_load_dwordx2 s[6:7], s[4:5], 0x1a0
	s_load_dwordx2 s[16:17], s[4:5], 0xd0
	s_waitcnt lgkmcnt(0)
	s_cmp_gt_i32 s28, 1
	s_cselect_b64 s[0:1], -1, 0
                                        ; implicit-def: $vgpr116 : SGPR spill to VGPR lane
	s_cmp_gt_i32 s30, 1
	v_writelane_b32 v116, s0, 0
	v_writelane_b32 v116, s1, 1
	s_cselect_b64 s[0:1], -1, 0
	v_writelane_b32 v116, s0, 2
	s_mov_b32 s33, 0xcd9e8d57
	v_writelane_b32 v116, s1, 3
	v_mad_u64_u32 v[20:21], s[0:1], v16, s33, 0
	s_bitcmp1_b32 s26, 0
	s_mul_i32 s0, s19, s2
	s_mov_b32 s95, 0
	s_cselect_b64 s[26:27], -1, 0
	v_writelane_b32 v116, s0, 4
	s_add_i32 s0, s28, -1
	s_mov_b32 s1, s95
	s_add_i32 s38, s28, 1
	s_lshl_b64 s[0:1], s[0:1], 3
	s_add_u32 s0, s0, s4
	s_addc_u32 s1, s1, s5
	s_add_u32 s28, s0, 8
	s_addc_u32 s29, s1, 0
	s_add_i32 s0, s30, -1
	s_mov_b32 s1, s95
	s_load_dwordx2 s[20:21], s[4:5], 0x270
	s_load_dwordx2 s[24:25], s[4:5], 0x0
	s_add_i32 s39, s30, 1
	s_lshl_b64 s[0:1], s[0:1], 3
	s_add_u32 s0, s0, s3
	s_addc_u32 s1, s1, s18
	s_add_u32 s30, s0, 8
	s_mov_b32 s36, 0x55555555
	s_mov_b32 s40, 0x9b27acf1
	;; [unrolled: 1-line block ×5, first 2 shown]
	s_mov_b32 s72, -2.0
	s_mov_b32 s74, 0x6b47b09a
	s_mov_b32 s76, 0xbf559e2b
	;; [unrolled: 1-line block ×6, first 2 shown]
	v_mov_b32_e32 v22, v21
	s_addc_u32 s31, s1, 0
	s_mov_b64 s[34:35], 0
	s_mov_b32 s50, 0xd2511f53
	s_mov_b32 s37, 0x3fe55555
	s_mov_b32 s41, 0x3fd24924
	s_mov_b32 s43, 0x3fd99999
	s_mov_b32 s45, 0x3fe62e42
	s_mov_b32 s47, 0x3c7abc9e
	s_mov_b32 s49, 0xbfe55555
	s_movk_i32 s54, 0x204
	s_mov_b32 s57, 0xbfe62e42
	s_mov_b32 s59, 0xbc7abc9e
	v_mov_b32_e32 v21, 0x260
	s_mov_b32 s55, 0x3c6ef372
	s_mov_b32 s60, 0x76cf5d0a
	;; [unrolled: 1-line block ×18, first 2 shown]
	v_mov_b32_e32 v23, 0x3ff00000
	v_mov_b32_e32 v24, 0x968915a9
	;; [unrolled: 1-line block ×42, first 2 shown]
	v_pk_mov_b32 v[58:59], v[16:17], v[16:17] op_sel:[0,1]
	s_mov_b32 s19, 0xdb3d7428
	s_mov_b32 s73, 0xbfa0f27b
	;; [unrolled: 1-line block ×9, first 2 shown]
	s_branch .LBB119_4
.LBB119_2:                              ;   in Loop: Header=BB119_4 Depth=1
	s_or_b64 exec, exec, s[4:5]
.LBB119_3:                              ;   in Loop: Header=BB119_4 Depth=1
	s_or_b64 exec, exec, s[2:3]
	v_lshlrev_b64 v[0:1], 3, v[60:61]
	s_waitcnt lgkmcnt(0)
	v_mov_b32_e32 v2, s25
	v_add_co_u32_e32 v0, vcc, s24, v0
	v_addc_co_u32_e32 v1, vcc, v2, v1, vcc
	v_cmp_ngt_f64_e32 vcc, s[84:85], v[70:71]
	v_readlane_b32 s0, v116, 4
	v_cndmask_b32_e32 v3, v80, v71, vcc
	v_cndmask_b32_e32 v2, 0, v70, vcc
	v_mov_b32_e32 v4, s95
	v_add_co_u32_e32 v58, vcc, s0, v58
	v_addc_co_u32_e32 v59, vcc, v59, v4, vcc
	v_cmp_le_u64_e32 vcc, s[8:9], v[58:59]
	s_or_b64 s[34:35], vcc, s[34:35]
	global_store_dwordx2 v[0:1], v[2:3], off
	s_andn2_b64 exec, exec, s[34:35]
	s_cbranch_execz .LBB119_49
.LBB119_4:                              ; =>This Loop Header: Depth=1
                                        ;     Child Loop BB119_6 Depth 2
                                        ;     Child Loop BB119_15 Depth 2
                                        ;     Child Loop BB119_33 Depth 2
                                        ;       Child Loop BB119_36 Depth 3
	v_sub_u32_e32 v0, s8, v58
	v_cmp_lt_i32_e64 s[0:1], 0, v0
	v_pk_mov_b32 v[60:61], 0, 0
	s_and_saveexec_b64 s[4:5], s[0:1]
	s_cbranch_execz .LBB119_13
; %bb.5:                                ;   in Loop: Header=BB119_4 Depth=1
	v_readlane_b32 s2, v116, 0
	v_readlane_b32 s3, v116, 1
	s_andn2_b64 vcc, exec, s[2:3]
	v_pk_mov_b32 v[0:1], 0, 0
	s_mov_b64 s[86:87], s[28:29]
	s_mov_b32 s48, s38
	v_pk_mov_b32 v[2:3], v[58:59], v[58:59] op_sel:[0,1]
	v_pk_mov_b32 v[4:5], v[58:59], v[58:59] op_sel:[0,1]
	s_cbranch_vccnz .LBB119_12
.LBB119_6:                              ;   Parent Loop BB119_4 Depth=1
                                        ; =>  This Inner Loop Header: Depth=2
	s_load_dwordx2 s[88:89], s[86:87], 0x0
                                        ; implicit-def: $vgpr4_vgpr5
	s_waitcnt lgkmcnt(0)
	v_or_b32_e32 v19, s89, v3
	v_cmp_ne_u64_e32 vcc, 0, v[18:19]
	s_and_saveexec_b64 s[2:3], vcc
	s_xor_b64 s[90:91], exec, s[2:3]
	s_cbranch_execz .LBB119_8
; %bb.7:                                ;   in Loop: Header=BB119_6 Depth=2
	v_cvt_f32_u32_e32 v4, s88
	v_cvt_f32_u32_e32 v5, s89
	s_sub_u32 s2, 0, s88
	s_subb_u32 s3, 0, s89
	v_mac_f32_e32 v4, 0x4f800000, v5
	v_rcp_f32_e32 v4, v4
	v_mul_f32_e32 v4, 0x5f7ffffc, v4
	v_mul_f32_e32 v5, 0x2f800000, v4
	v_trunc_f32_e32 v5, v5
	v_mac_f32_e32 v4, 0xcf800000, v5
	v_cvt_u32_f32_e32 v5, v5
	v_cvt_u32_f32_e32 v4, v4
	v_mul_lo_u32 v6, s2, v5
	v_mul_hi_u32 v8, s2, v4
	v_mul_lo_u32 v7, s3, v4
	v_add_u32_e32 v6, v8, v6
	v_mul_lo_u32 v9, s2, v4
	v_add_u32_e32 v6, v6, v7
	v_mul_hi_u32 v8, v4, v9
	v_mul_lo_u32 v10, v4, v6
	v_mul_hi_u32 v7, v4, v6
	v_add_co_u32_e32 v8, vcc, v8, v10
	v_addc_co_u32_e32 v7, vcc, 0, v7, vcc
	v_mul_hi_u32 v11, v5, v9
	v_mul_lo_u32 v9, v5, v9
	v_add_co_u32_e32 v8, vcc, v8, v9
	v_mul_hi_u32 v10, v5, v6
	v_addc_co_u32_e32 v7, vcc, v7, v11, vcc
	v_addc_co_u32_e32 v8, vcc, 0, v10, vcc
	v_mul_lo_u32 v6, v5, v6
	v_add_co_u32_e32 v6, vcc, v7, v6
	v_addc_co_u32_e32 v7, vcc, 0, v8, vcc
	v_add_co_u32_e32 v4, vcc, v4, v6
	v_addc_co_u32_e32 v5, vcc, v5, v7, vcc
	v_mul_lo_u32 v6, s2, v5
	v_mul_hi_u32 v7, s2, v4
	v_add_u32_e32 v6, v7, v6
	v_mul_lo_u32 v7, s3, v4
	v_add_u32_e32 v6, v6, v7
	v_mul_lo_u32 v8, s2, v4
	v_mul_hi_u32 v9, v5, v8
	v_mul_lo_u32 v10, v5, v8
	v_mul_lo_u32 v12, v4, v6
	v_mul_hi_u32 v8, v4, v8
	v_mul_hi_u32 v11, v4, v6
	v_add_co_u32_e32 v8, vcc, v8, v12
	v_addc_co_u32_e32 v11, vcc, 0, v11, vcc
	v_add_co_u32_e32 v8, vcc, v8, v10
	v_mul_hi_u32 v7, v5, v6
	v_addc_co_u32_e32 v8, vcc, v11, v9, vcc
	v_addc_co_u32_e32 v7, vcc, 0, v7, vcc
	v_mul_lo_u32 v6, v5, v6
	v_add_co_u32_e32 v6, vcc, v8, v6
	v_addc_co_u32_e32 v7, vcc, 0, v7, vcc
	v_add_co_u32_e32 v6, vcc, v4, v6
	v_addc_co_u32_e32 v7, vcc, v5, v7, vcc
	v_mad_u64_u32 v[4:5], s[2:3], v2, v7, 0
	v_mul_hi_u32 v8, v2, v6
	v_add_co_u32_e32 v8, vcc, v8, v4
	v_addc_co_u32_e32 v9, vcc, 0, v5, vcc
	v_mad_u64_u32 v[4:5], s[2:3], v3, v7, 0
	v_mad_u64_u32 v[6:7], s[2:3], v3, v6, 0
	v_add_co_u32_e32 v6, vcc, v8, v6
	v_addc_co_u32_e32 v6, vcc, v9, v7, vcc
	v_addc_co_u32_e32 v5, vcc, 0, v5, vcc
	v_add_co_u32_e32 v6, vcc, v6, v4
	v_addc_co_u32_e32 v7, vcc, 0, v5, vcc
	v_mul_lo_u32 v8, s89, v6
	v_mul_lo_u32 v9, s88, v7
	v_mad_u64_u32 v[4:5], s[2:3], s88, v6, 0
	v_add3_u32 v5, v5, v9, v8
	v_sub_u32_e32 v8, v3, v5
	v_mov_b32_e32 v9, s89
	v_sub_co_u32_e32 v4, vcc, v2, v4
	v_subb_co_u32_e64 v8, s[2:3], v8, v9, vcc
	v_subrev_co_u32_e64 v9, s[2:3], s88, v4
	v_subbrev_co_u32_e64 v8, s[2:3], 0, v8, s[2:3]
	v_cmp_le_u32_e64 s[2:3], s89, v8
	v_cndmask_b32_e64 v10, 0, -1, s[2:3]
	v_cmp_le_u32_e64 s[2:3], s88, v9
	v_cndmask_b32_e64 v9, 0, -1, s[2:3]
	v_cmp_eq_u32_e64 s[2:3], s89, v8
	v_cndmask_b32_e64 v8, v10, v9, s[2:3]
	v_add_co_u32_e64 v9, s[2:3], 2, v6
	v_addc_co_u32_e64 v10, s[2:3], 0, v7, s[2:3]
	v_add_co_u32_e64 v11, s[2:3], 1, v6
	v_addc_co_u32_e64 v12, s[2:3], 0, v7, s[2:3]
	v_subb_co_u32_e32 v5, vcc, v3, v5, vcc
	v_cmp_ne_u32_e64 s[2:3], 0, v8
	v_cmp_le_u32_e32 vcc, s89, v5
	v_cndmask_b32_e64 v8, v12, v10, s[2:3]
	v_cndmask_b32_e64 v10, 0, -1, vcc
	v_cmp_le_u32_e32 vcc, s88, v4
	v_cndmask_b32_e64 v4, 0, -1, vcc
	v_cmp_eq_u32_e32 vcc, s89, v5
	v_cndmask_b32_e32 v4, v10, v4, vcc
	v_cmp_ne_u32_e32 vcc, 0, v4
	v_cndmask_b32_e64 v4, v11, v9, s[2:3]
	v_cndmask_b32_e32 v5, v7, v8, vcc
	v_cndmask_b32_e32 v4, v6, v4, vcc
.LBB119_8:                              ;   in Loop: Header=BB119_6 Depth=2
	s_andn2_saveexec_b64 s[2:3], s[90:91]
	s_cbranch_execz .LBB119_10
; %bb.9:                                ;   in Loop: Header=BB119_6 Depth=2
	v_cvt_f32_u32_e32 v4, s88
	s_sub_i32 s56, 0, s88
	v_rcp_iflag_f32_e32 v4, v4
	v_mul_f32_e32 v4, 0x4f7ffffe, v4
	v_cvt_u32_f32_e32 v4, v4
	v_mul_lo_u32 v5, s56, v4
	v_mul_hi_u32 v5, v4, v5
	v_add_u32_e32 v4, v4, v5
	v_mul_hi_u32 v4, v2, v4
	v_mul_lo_u32 v5, v4, s88
	v_sub_u32_e32 v5, v2, v5
	v_add_u32_e32 v6, 1, v4
	v_subrev_u32_e32 v7, s88, v5
	v_cmp_le_u32_e32 vcc, s88, v5
	v_cndmask_b32_e32 v5, v5, v7, vcc
	v_cndmask_b32_e32 v4, v4, v6, vcc
	v_add_u32_e32 v6, 1, v4
	v_cmp_le_u32_e32 vcc, s88, v5
	v_cndmask_b32_e32 v4, v4, v6, vcc
	v_mov_b32_e32 v5, v18
.LBB119_10:                             ;   in Loop: Header=BB119_6 Depth=2
	s_or_b64 exec, exec, s[2:3]
	v_mad_u64_u32 v[6:7], s[2:3], v4, s88, 0
	s_load_dwordx2 s[2:3], s[86:87], 0xc8
	v_mul_lo_u32 v8, v5, s88
	v_mul_lo_u32 v9, v4, s89
	v_add3_u32 v7, v7, v9, v8
	v_sub_co_u32_e32 v2, vcc, v2, v6
	s_add_i32 s48, s48, -1
	v_subb_co_u32_e32 v3, vcc, v3, v7, vcc
	s_add_u32 s86, s86, -8
	s_waitcnt lgkmcnt(0)
	v_mul_lo_u32 v3, s2, v3
	v_mul_lo_u32 v6, s3, v2
	v_mad_u64_u32 v[0:1], s[2:3], s2, v2, v[0:1]
	s_addc_u32 s87, s87, -1
	s_cmp_gt_u32 s48, 2
	v_add3_u32 v1, v6, v1, v3
	s_cbranch_scc0 .LBB119_12
; %bb.11:                               ;   in Loop: Header=BB119_6 Depth=2
	v_pk_mov_b32 v[2:3], v[4:5], v[4:5] op_sel:[0,1]
	s_branch .LBB119_6
.LBB119_12:                             ;   in Loop: Header=BB119_4 Depth=1
	v_mad_u64_u32 v[60:61], s[2:3], s16, v4, v[0:1]
	v_mul_lo_u32 v0, s16, v5
	v_mul_lo_u32 v1, s17, v4
	v_add3_u32 v61, v1, v61, v0
.LBB119_13:                             ;   in Loop: Header=BB119_4 Depth=1
	s_or_b64 exec, exec, s[4:5]
	v_pk_mov_b32 v[0:1], 0, 0
	s_and_saveexec_b64 s[2:3], s[0:1]
	s_cbranch_execz .LBB119_22
; %bb.14:                               ;   in Loop: Header=BB119_4 Depth=1
	v_readlane_b32 s0, v116, 2
	v_readlane_b32 s1, v116, 3
	s_andn2_b64 vcc, exec, s[0:1]
	v_pk_mov_b32 v[0:1], 0, 0
	s_mov_b64 s[4:5], s[30:31]
	s_mov_b32 s48, s39
	v_pk_mov_b32 v[2:3], v[58:59], v[58:59] op_sel:[0,1]
	v_pk_mov_b32 v[4:5], v[58:59], v[58:59] op_sel:[0,1]
	s_cbranch_vccnz .LBB119_21
.LBB119_15:                             ;   Parent Loop BB119_4 Depth=1
                                        ; =>  This Inner Loop Header: Depth=2
	s_load_dwordx2 s[86:87], s[4:5], 0x0
                                        ; implicit-def: $vgpr4_vgpr5
	s_waitcnt lgkmcnt(0)
	v_or_b32_e32 v19, s87, v3
	v_cmp_ne_u64_e32 vcc, 0, v[18:19]
	s_and_saveexec_b64 s[0:1], vcc
	s_xor_b64 s[88:89], exec, s[0:1]
	s_cbranch_execz .LBB119_17
; %bb.16:                               ;   in Loop: Header=BB119_15 Depth=2
	v_cvt_f32_u32_e32 v4, s86
	v_cvt_f32_u32_e32 v5, s87
	s_sub_u32 s0, 0, s86
	s_subb_u32 s1, 0, s87
	v_mac_f32_e32 v4, 0x4f800000, v5
	v_rcp_f32_e32 v4, v4
	v_mul_f32_e32 v4, 0x5f7ffffc, v4
	v_mul_f32_e32 v5, 0x2f800000, v4
	v_trunc_f32_e32 v5, v5
	v_mac_f32_e32 v4, 0xcf800000, v5
	v_cvt_u32_f32_e32 v5, v5
	v_cvt_u32_f32_e32 v4, v4
	v_mul_lo_u32 v6, s0, v5
	v_mul_hi_u32 v8, s0, v4
	v_mul_lo_u32 v7, s1, v4
	v_add_u32_e32 v6, v8, v6
	v_mul_lo_u32 v9, s0, v4
	v_add_u32_e32 v6, v6, v7
	v_mul_hi_u32 v8, v4, v9
	v_mul_lo_u32 v10, v4, v6
	v_mul_hi_u32 v7, v4, v6
	v_add_co_u32_e32 v8, vcc, v8, v10
	v_addc_co_u32_e32 v7, vcc, 0, v7, vcc
	v_mul_hi_u32 v11, v5, v9
	v_mul_lo_u32 v9, v5, v9
	v_add_co_u32_e32 v8, vcc, v8, v9
	v_mul_hi_u32 v10, v5, v6
	v_addc_co_u32_e32 v7, vcc, v7, v11, vcc
	v_addc_co_u32_e32 v8, vcc, 0, v10, vcc
	v_mul_lo_u32 v6, v5, v6
	v_add_co_u32_e32 v6, vcc, v7, v6
	v_addc_co_u32_e32 v7, vcc, 0, v8, vcc
	v_add_co_u32_e32 v4, vcc, v4, v6
	v_addc_co_u32_e32 v5, vcc, v5, v7, vcc
	v_mul_lo_u32 v6, s0, v5
	v_mul_hi_u32 v7, s0, v4
	v_add_u32_e32 v6, v7, v6
	v_mul_lo_u32 v7, s1, v4
	v_add_u32_e32 v6, v6, v7
	v_mul_lo_u32 v8, s0, v4
	v_mul_hi_u32 v9, v5, v8
	v_mul_lo_u32 v10, v5, v8
	v_mul_lo_u32 v12, v4, v6
	v_mul_hi_u32 v8, v4, v8
	v_mul_hi_u32 v11, v4, v6
	v_add_co_u32_e32 v8, vcc, v8, v12
	v_addc_co_u32_e32 v11, vcc, 0, v11, vcc
	v_add_co_u32_e32 v8, vcc, v8, v10
	v_mul_hi_u32 v7, v5, v6
	v_addc_co_u32_e32 v8, vcc, v11, v9, vcc
	v_addc_co_u32_e32 v7, vcc, 0, v7, vcc
	v_mul_lo_u32 v6, v5, v6
	v_add_co_u32_e32 v6, vcc, v8, v6
	v_addc_co_u32_e32 v7, vcc, 0, v7, vcc
	v_add_co_u32_e32 v6, vcc, v4, v6
	v_addc_co_u32_e32 v7, vcc, v5, v7, vcc
	v_mad_u64_u32 v[4:5], s[0:1], v2, v7, 0
	v_mul_hi_u32 v8, v2, v6
	v_add_co_u32_e32 v8, vcc, v8, v4
	v_addc_co_u32_e32 v9, vcc, 0, v5, vcc
	v_mad_u64_u32 v[4:5], s[0:1], v3, v7, 0
	v_mad_u64_u32 v[6:7], s[0:1], v3, v6, 0
	v_add_co_u32_e32 v6, vcc, v8, v6
	v_addc_co_u32_e32 v6, vcc, v9, v7, vcc
	v_addc_co_u32_e32 v5, vcc, 0, v5, vcc
	v_add_co_u32_e32 v6, vcc, v6, v4
	v_addc_co_u32_e32 v7, vcc, 0, v5, vcc
	v_mul_lo_u32 v8, s87, v6
	v_mul_lo_u32 v9, s86, v7
	v_mad_u64_u32 v[4:5], s[0:1], s86, v6, 0
	v_add3_u32 v5, v5, v9, v8
	v_sub_u32_e32 v8, v3, v5
	v_mov_b32_e32 v9, s87
	v_sub_co_u32_e32 v4, vcc, v2, v4
	v_subb_co_u32_e64 v8, s[0:1], v8, v9, vcc
	v_subrev_co_u32_e64 v9, s[0:1], s86, v4
	v_subbrev_co_u32_e64 v8, s[0:1], 0, v8, s[0:1]
	v_cmp_le_u32_e64 s[0:1], s87, v8
	v_cndmask_b32_e64 v10, 0, -1, s[0:1]
	v_cmp_le_u32_e64 s[0:1], s86, v9
	v_cndmask_b32_e64 v9, 0, -1, s[0:1]
	v_cmp_eq_u32_e64 s[0:1], s87, v8
	v_cndmask_b32_e64 v8, v10, v9, s[0:1]
	v_add_co_u32_e64 v9, s[0:1], 2, v6
	v_addc_co_u32_e64 v10, s[0:1], 0, v7, s[0:1]
	v_add_co_u32_e64 v11, s[0:1], 1, v6
	v_addc_co_u32_e64 v12, s[0:1], 0, v7, s[0:1]
	v_subb_co_u32_e32 v5, vcc, v3, v5, vcc
	v_cmp_ne_u32_e64 s[0:1], 0, v8
	v_cmp_le_u32_e32 vcc, s87, v5
	v_cndmask_b32_e64 v8, v12, v10, s[0:1]
	v_cndmask_b32_e64 v10, 0, -1, vcc
	v_cmp_le_u32_e32 vcc, s86, v4
	v_cndmask_b32_e64 v4, 0, -1, vcc
	v_cmp_eq_u32_e32 vcc, s87, v5
	v_cndmask_b32_e32 v4, v10, v4, vcc
	v_cmp_ne_u32_e32 vcc, 0, v4
	v_cndmask_b32_e64 v4, v11, v9, s[0:1]
	v_cndmask_b32_e32 v5, v7, v8, vcc
	v_cndmask_b32_e32 v4, v6, v4, vcc
.LBB119_17:                             ;   in Loop: Header=BB119_15 Depth=2
	s_andn2_saveexec_b64 s[0:1], s[88:89]
	s_cbranch_execz .LBB119_19
; %bb.18:                               ;   in Loop: Header=BB119_15 Depth=2
	v_cvt_f32_u32_e32 v4, s86
	s_sub_i32 s56, 0, s86
	v_rcp_iflag_f32_e32 v4, v4
	v_mul_f32_e32 v4, 0x4f7ffffe, v4
	v_cvt_u32_f32_e32 v4, v4
	v_mul_lo_u32 v5, s56, v4
	v_mul_hi_u32 v5, v4, v5
	v_add_u32_e32 v4, v4, v5
	v_mul_hi_u32 v4, v2, v4
	v_mul_lo_u32 v5, v4, s86
	v_sub_u32_e32 v5, v2, v5
	v_add_u32_e32 v6, 1, v4
	v_subrev_u32_e32 v7, s86, v5
	v_cmp_le_u32_e32 vcc, s86, v5
	v_cndmask_b32_e32 v5, v5, v7, vcc
	v_cndmask_b32_e32 v4, v4, v6, vcc
	v_add_u32_e32 v6, 1, v4
	v_cmp_le_u32_e32 vcc, s86, v5
	v_cndmask_b32_e32 v4, v4, v6, vcc
	v_mov_b32_e32 v5, v18
.LBB119_19:                             ;   in Loop: Header=BB119_15 Depth=2
	s_or_b64 exec, exec, s[0:1]
	v_mad_u64_u32 v[6:7], s[0:1], v4, s86, 0
	s_load_dwordx2 s[0:1], s[4:5], 0xc8
	v_mul_lo_u32 v8, v5, s86
	v_mul_lo_u32 v9, v4, s87
	v_add3_u32 v7, v7, v9, v8
	v_sub_co_u32_e32 v2, vcc, v2, v6
	s_add_i32 s48, s48, -1
	v_subb_co_u32_e32 v3, vcc, v3, v7, vcc
	s_add_u32 s4, s4, -8
	s_waitcnt lgkmcnt(0)
	v_mul_lo_u32 v3, s0, v3
	v_mul_lo_u32 v6, s1, v2
	v_mad_u64_u32 v[0:1], s[0:1], s0, v2, v[0:1]
	s_addc_u32 s5, s5, -1
	s_cmp_gt_u32 s48, 2
	v_add3_u32 v1, v6, v1, v3
	s_cbranch_scc0 .LBB119_21
; %bb.20:                               ;   in Loop: Header=BB119_15 Depth=2
	v_pk_mov_b32 v[2:3], v[4:5], v[4:5] op_sel:[0,1]
	s_branch .LBB119_15
.LBB119_21:                             ;   in Loop: Header=BB119_4 Depth=1
	s_waitcnt lgkmcnt(0)
	v_mad_u64_u32 v[0:1], s[0:1], s20, v4, v[0:1]
	v_mul_lo_u32 v2, s20, v5
	v_mul_lo_u32 v3, s21, v4
	v_add3_u32 v1, v3, v1, v2
.LBB119_22:                             ;   in Loop: Header=BB119_4 Depth=1
	s_or_b64 exec, exec, s[2:3]
	v_lshlrev_b64 v[0:1], 3, v[0:1]
	v_mov_b32_e32 v2, s7
	v_add_co_u32_e32 v0, vcc, s6, v0
	v_addc_co_u32_e32 v1, vcc, v2, v1, vcc
	global_load_dwordx2 v[12:13], v[0:1], off
	s_andn2_b64 vcc, exec, s[26:27]
	v_pk_mov_b32 v[0:1], s[12:13], s[12:13] op_sel:[0,1]
	v_pk_mov_b32 v[62:63], s[10:11], s[10:11] op_sel:[0,1]
	s_cbranch_vccnz .LBB119_24
; %bb.23:                               ;   in Loop: Header=BB119_4 Depth=1
	v_pk_mov_b32 v[0:1], s[12:13], s[12:13] op_sel:[0,1]
	flat_load_dwordx2 v[0:1], v[0:1]
	v_pk_mov_b32 v[2:3], s[10:11], s[10:11] op_sel:[0,1]
	flat_load_dwordx2 v[62:63], v[2:3]
	v_mov_b32_e32 v2, s15
	s_waitcnt vmcnt(0) lgkmcnt(0)
	v_add_co_u32_e32 v0, vcc, s14, v0
	v_addc_co_u32_e32 v1, vcc, v1, v2, vcc
.LBB119_24:                             ;   in Loop: Header=BB119_4 Depth=1
	v_and_b32_e32 v72, 3, v0
	v_alignbit_b32 v0, v1, v0, 2
	v_mad_u64_u32 v[6:7], s[0:1], v0, s50, 0
	v_lshrrev_b32_e32 v1, 2, v1
	v_xor_b32_e32 v5, v7, v63
	v_xor_b32_e32 v7, v22, v62
	v_mov_b32_e32 v4, v63
	v_xor_b32_e32 v7, v7, v1
	v_add_co_u32_e32 v19, vcc, s70, v4
	v_mad_u64_u32 v[8:9], s[0:1], v7, s50, 0
	v_mad_u64_u32 v[10:11], s[0:1], v5, s33, 0
	v_add_co_u32_e32 v67, vcc, 0x9e3779b9, v62
	v_xor_b32_e32 v5, v20, v11
	v_xor_b32_e32 v7, v19, v9
	v_xor_b32_e32 v5, v5, v67
	v_xor_b32_e32 v9, v7, v6
	v_add_co_u32_e32 v71, vcc, s55, v62
	v_add_co_u32_e32 v70, vcc, s60, v4
	v_mad_u64_u32 v[6:7], s[0:1], v5, s50, 0
	v_mad_u64_u32 v[14:15], s[0:1], v9, s33, 0
	v_xor_b32_e32 v5, v71, v15
	v_xor_b32_e32 v7, v70, v7
	v_xor_b32_e32 v5, v5, v10
	v_xor_b32_e32 v7, v7, v8
	v_add_co_u32_e32 v82, vcc, s71, v62
	v_add_co_u32_e32 v73, vcc, s61, v4
	v_mad_u64_u32 v[8:9], s[0:1], v5, s50, 0
	v_mad_u64_u32 v[10:11], s[0:1], v7, s33, 0
	;; [unrolled: 8-line block ×7, first 2 shown]
	v_xor_b32_e32 v5, v92, v5
	v_xor_b32_e32 v7, v91, v7
	;; [unrolled: 1-line block ×4, first 2 shown]
	v_mad_u64_u32 v[14:15], s[0:1], v5, s50, 0
	v_mad_u64_u32 v[64:65], s[0:1], v7, s33, 0
	v_add_u32_e32 v17, 0x8ff34781, v62
	v_add_u32_e32 v81, 0x96a522ad, v63
	v_xor_b32_e32 v4, v65, v4
	v_xor_b32_e32 v5, v15, v6
	v_mov_b32_e32 v68, 0
	v_mov_b32_e32 v2, v16
	;; [unrolled: 1-line block ×3, first 2 shown]
	v_xor_b32_e32 v4, v17, v4
	v_xor_b32_e32 v6, v81, v5
	v_mov_b32_e32 v5, v64
	v_mov_b32_e32 v7, v14
	s_waitcnt vmcnt(0)
	v_cmp_gt_f64_e32 vcc, 1.0, v[12:13]
	s_mov_b64 s[0:1], -1
	v_mov_b32_e32 v69, 0x3ff00000
                                        ; implicit-def: $sgpr86_sgpr87
	s_and_saveexec_b64 s[88:89], vcc
	s_cbranch_execz .LBB119_30
; %bb.25:                               ;   in Loop: Header=BB119_4 Depth=1
	v_mov_b32_e32 v68, 0
	v_cmp_neq_f64_e32 vcc, 0, v[12:13]
	s_mov_b64 s[86:87], 0
	v_mov_b32_e32 v69, 0x3ff00000
	s_mov_b64 s[92:93], 0
	s_and_saveexec_b64 s[90:91], vcc
	s_cbranch_execz .LBB119_29
; %bb.26:                               ;   in Loop: Header=BB119_4 Depth=1
	v_add_u32_e32 v66, 1, v72
	v_pk_mov_b32 v[10:11], v[6:7], v[6:7] op_sel:[0,1]
	v_cmp_eq_u32_e32 vcc, 4, v66
	v_pk_mov_b32 v[8:9], v[4:5], v[4:5] op_sel:[0,1]
	s_and_saveexec_b64 s[0:1], vcc
	s_cbranch_execz .LBB119_28
; %bb.27:                               ;   in Loop: Header=BB119_4 Depth=1
	v_add_co_u32_e32 v0, vcc, 1, v0
	v_cndmask_b32_e64 v2, 0, 1, vcc
	v_addc_co_u32_e32 v1, vcc, 0, v1, vcc
	v_cmp_eq_u32_e32 vcc, 0, v1
	v_cndmask_b32_e32 v3, 0, v2, vcc
	v_add_u32_e32 v2, v3, v16
	v_cmp_eq_u32_e32 vcc, 0, v2
	v_mad_u64_u32 v[8:9], s[2:3], v0, s50, 0
	v_cndmask_b32_e32 v3, 0, v3, vcc
	v_mad_u64_u32 v[10:11], s[2:3], v2, s33, 0
	v_xor_b32_e32 v7, v9, v63
	v_xor_b32_e32 v5, v11, v62
	v_xor_b32_e32 v7, v3, v7
	v_xor_b32_e32 v5, v1, v5
	v_mad_u64_u32 v[94:95], s[2:3], v7, s33, 0
	v_mad_u64_u32 v[68:69], s[2:3], v5, s50, 0
	v_xor_b32_e32 v5, v67, v95
	v_xor_b32_e32 v5, v5, v10
	v_xor_b32_e32 v7, v19, v69
	v_xor_b32_e32 v7, v7, v8
	v_mad_u64_u32 v[8:9], s[2:3], v5, s50, 0
	;; [unrolled: 6-line block ×9, first 2 shown]
	v_mad_u64_u32 v[68:69], s[2:3], v5, s50, 0
	v_xor_b32_e32 v5, v71, v8
	v_xor_b32_e32 v8, v17, v5
	;; [unrolled: 1-line block ×3, first 2 shown]
	v_mov_b32_e32 v66, 0
	v_xor_b32_e32 v10, v81, v5
	v_mov_b32_e32 v9, v70
	v_mov_b32_e32 v11, v68
.LBB119_28:                             ;   in Loop: Header=BB119_4 Depth=1
	s_or_b64 exec, exec, s[0:1]
	v_cmp_eq_u32_e32 vcc, 1, v72
	v_cndmask_b32_e32 v4, v4, v64, vcc
	v_cmp_eq_u32_e32 vcc, 2, v72
	v_cndmask_b32_e32 v4, v4, v6, vcc
	;; [unrolled: 2-line block ×3, first 2 shown]
	v_cvt_f32_u32_e32 v14, v4
	v_div_scale_f64 v[4:5], s[0:1], v[12:13], v[12:13], 1.0
	v_rcp_f64_e32 v[6:7], v[4:5]
	v_mov_b32_e32 v15, 0x2f800000
	v_fmac_f32_e32 v15, 0x2f800000, v14
	v_cvt_f64_f32_e32 v[14:15], v15
	v_fma_f64 v[64:65], -v[4:5], v[6:7], 1.0
	v_fmac_f64_e32 v[6:7], v[6:7], v[64:65]
	v_fma_f64 v[64:65], -v[4:5], v[6:7], 1.0
	v_fmac_f64_e32 v[6:7], v[6:7], v[64:65]
	v_div_scale_f64 v[64:65], vcc, 1.0, v[12:13], 1.0
	v_mul_f64 v[68:69], v[64:65], v[6:7]
	v_fma_f64 v[4:5], -v[4:5], v[68:69], v[64:65]
	v_add_f64 v[14:15], -v[14:15], 1.0
	s_nop 0
	v_div_fmas_f64 v[4:5], v[4:5], v[6:7], v[68:69]
	v_div_fixup_f64 v[64:65], v[4:5], v[12:13], 1.0
	v_cmp_eq_f64_e32 vcc, 1.0, v[14:15]
	v_cndmask_b32_e32 v5, v65, v23, vcc
	v_cndmask_b32_e64 v4, v64, 0, vcc
	v_cmp_eq_f64_e64 s[0:1], 0, v[4:5]
	v_cndmask_b32_e64 v7, v15, v23, s[0:1]
	v_and_b32_e32 v15, 0x7fffffff, v15
	v_cndmask_b32_e64 v6, v14, 0, s[0:1]
	v_cndmask_b32_e64 v15, v15, v23, s[0:1]
	;; [unrolled: 1-line block ×3, first 2 shown]
	v_frexp_mant_f64_e32 v[68:69], v[14:15]
	v_cmp_gt_f64_e64 s[0:1], s[36:37], v[68:69]
	v_cndmask_b32_e64 v19, v23, 2.0, s[0:1]
	v_mul_f64 v[68:69], v[68:69], v[18:19]
	v_add_f64 v[70:71], v[68:69], 1.0
	v_rcp_f64_e32 v[72:73], v[70:71]
	v_add_f64 v[84:85], v[70:71], -1.0
	v_add_f64 v[82:83], v[68:69], -1.0
	v_add_f64 v[68:69], v[68:69], -v[84:85]
	v_fma_f64 v[84:85], -v[70:71], v[72:73], 1.0
	v_fmac_f64_e32 v[72:73], v[84:85], v[72:73]
	v_fma_f64 v[84:85], -v[70:71], v[72:73], 1.0
	v_fmac_f64_e32 v[72:73], v[84:85], v[72:73]
	v_mul_f64 v[84:85], v[82:83], v[72:73]
	v_mul_f64 v[86:87], v[70:71], v[84:85]
	v_fma_f64 v[70:71], v[84:85], v[70:71], -v[86:87]
	v_fmac_f64_e32 v[70:71], v[84:85], v[68:69]
	v_add_f64 v[68:69], v[86:87], v[70:71]
	v_add_f64 v[88:89], v[82:83], -v[68:69]
	v_add_f64 v[86:87], v[68:69], -v[86:87]
	v_add_f64 v[82:83], v[82:83], -v[88:89]
	v_add_f64 v[68:69], v[82:83], -v[68:69]
	v_add_f64 v[70:71], v[86:87], -v[70:71]
	v_add_f64 v[68:69], v[70:71], v[68:69]
	v_add_f64 v[68:69], v[88:89], v[68:69]
	v_mul_f64 v[68:69], v[72:73], v[68:69]
	v_add_f64 v[70:71], v[84:85], v[68:69]
	v_add_f64 v[72:73], v[70:71], -v[84:85]
	v_add_f64 v[68:69], v[68:69], -v[72:73]
	v_mul_f64 v[72:73], v[70:71], v[70:71]
	v_fma_f64 v[82:83], v[70:71], v[70:71], -v[72:73]
	v_add_f64 v[84:85], v[68:69], v[68:69]
	v_frexp_exp_i32_f64_e32 v67, v[14:15]
	v_fmac_f64_e32 v[82:83], v[70:71], v[84:85]
	v_subbrev_co_u32_e64 v19, s[0:1], 0, v67, s[0:1]
	v_add_f64 v[84:85], v[72:73], v[82:83]
	v_add_f64 v[72:73], v[84:85], -v[72:73]
	s_mov_b32 s0, 0x4222de17
	v_add_f64 v[72:73], v[82:83], -v[72:73]
	v_pk_mov_b32 v[82:83], v[24:25], v[24:25] op_sel:[0,1]
	s_mov_b32 s1, 0x3fbdee67
	v_fmac_f64_e32 v[82:83], s[0:1], v[84:85]
	v_pk_mov_b32 v[86:87], v[26:27], v[26:27] op_sel:[0,1]
	v_fmac_f64_e32 v[86:87], v[84:85], v[82:83]
	v_pk_mov_b32 v[82:83], v[28:29], v[28:29] op_sel:[0,1]
	;; [unrolled: 2-line block ×7, first 2 shown]
	v_fmac_f64_e32 v[86:87], v[84:85], v[82:83]
	v_cvt_f64_i32_e32 v[82:83], v19
	v_mul_f64 v[88:89], v[82:83], s[44:45]
	v_mul_f64 v[94:95], v[70:71], v[84:85]
	v_fma_f64 v[90:91], v[82:83], s[44:45], -v[88:89]
	v_fma_f64 v[96:97], v[84:85], v[70:71], -v[94:95]
	v_fmac_f64_e32 v[90:91], s[46:47], v[82:83]
	v_fmac_f64_e32 v[96:97], v[84:85], v[68:69]
	v_add_f64 v[82:83], v[88:89], v[90:91]
	v_fmac_f64_e32 v[96:97], v[72:73], v[70:71]
	v_add_f64 v[88:89], v[82:83], -v[88:89]
	v_ldexp_f64 v[92:93], v[68:69], 1
	v_add_f64 v[68:69], v[94:95], v[96:97]
	v_add_f64 v[88:89], v[90:91], -v[88:89]
	v_ldexp_f64 v[90:91], v[70:71], 1
	v_add_f64 v[70:71], v[68:69], -v[94:95]
	v_mul_f64 v[94:95], v[84:85], v[86:87]
	v_fma_f64 v[84:85], v[84:85], v[86:87], -v[94:95]
	v_fmac_f64_e32 v[84:85], v[72:73], v[86:87]
	v_add_f64 v[72:73], v[94:95], v[84:85]
	v_add_f64 v[86:87], v[72:73], -v[94:95]
	v_add_f64 v[84:85], v[84:85], -v[86:87]
	v_add_f64 v[86:87], v[72:73], s[36:37]
	s_mov_b32 s48, s36
	s_mov_b32 s0, 0xd5df274d
	v_add_f64 v[94:95], v[86:87], s[48:49]
	s_mov_b32 s1, 0x3c8543b0
	v_add_f64 v[72:73], v[72:73], -v[94:95]
	v_add_f64 v[84:85], v[84:85], s[0:1]
	v_add_f64 v[72:73], v[84:85], v[72:73]
	;; [unrolled: 1-line block ×3, first 2 shown]
	v_add_f64 v[86:87], v[86:87], -v[84:85]
	v_add_f64 v[72:73], v[72:73], v[86:87]
	v_mul_f64 v[86:87], v[68:69], v[84:85]
	v_fma_f64 v[94:95], v[68:69], v[84:85], -v[86:87]
	v_add_f64 v[70:71], v[96:97], -v[70:71]
	v_fmac_f64_e32 v[94:95], v[68:69], v[72:73]
	v_fmac_f64_e32 v[94:95], v[70:71], v[84:85]
	v_add_f64 v[68:69], v[86:87], v[94:95]
	v_add_f64 v[70:71], v[68:69], -v[86:87]
	v_add_f64 v[72:73], v[90:91], v[68:69]
	v_add_f64 v[70:71], v[94:95], -v[70:71]
	v_add_f64 v[84:85], v[72:73], -v[90:91]
	;; [unrolled: 1-line block ×3, first 2 shown]
	v_add_f64 v[70:71], v[92:93], v[70:71]
	v_add_f64 v[68:69], v[70:71], v[68:69]
	;; [unrolled: 1-line block ×3, first 2 shown]
	v_add_f64 v[72:73], v[70:71], -v[72:73]
	v_add_f64 v[68:69], v[68:69], -v[72:73]
	v_add_f64 v[72:73], v[82:83], v[70:71]
	v_add_f64 v[84:85], v[72:73], -v[82:83]
	v_add_f64 v[86:87], v[72:73], -v[84:85]
	;; [unrolled: 1-line block ×4, first 2 shown]
	v_add_f64 v[70:71], v[70:71], v[82:83]
	v_add_f64 v[82:83], v[88:89], v[68:69]
	v_add_f64 v[84:85], v[82:83], -v[88:89]
	v_add_f64 v[70:71], v[82:83], v[70:71]
	v_add_f64 v[86:87], v[82:83], -v[84:85]
	;; [unrolled: 2-line block ×3, first 2 shown]
	v_add_f64 v[68:69], v[68:69], -v[84:85]
	v_add_f64 v[72:73], v[82:83], -v[72:73]
	v_add_f64 v[68:69], v[68:69], v[86:87]
	v_add_f64 v[70:71], v[70:71], -v[72:73]
	v_add_f64 v[68:69], v[68:69], v[70:71]
	v_add_f64 v[70:71], v[82:83], v[68:69]
	v_add_f64 v[72:73], v[70:71], -v[82:83]
	v_add_f64 v[68:69], v[68:69], -v[72:73]
	v_mul_f64 v[72:73], v[4:5], v[70:71]
	v_fma_f64 v[70:71], v[4:5], v[70:71], -v[72:73]
	v_fmac_f64_e32 v[70:71], v[4:5], v[68:69]
	v_add_f64 v[68:69], v[72:73], v[70:71]
	v_cmp_class_f64_e64 s[0:1], v[72:73], s54
	v_add_f64 v[82:83], v[68:69], -v[72:73]
	v_cndmask_b32_e64 v69, v69, v73, s[0:1]
	v_cndmask_b32_e64 v68, v68, v72, s[0:1]
	v_add_f64 v[70:71], v[70:71], -v[82:83]
	v_cmp_neq_f64_e64 s[0:1], |v[68:69]|, s[22:23]
	v_cndmask_b32_e64 v71, 0, v71, s[0:1]
	v_cndmask_b32_e64 v70, 0, v70, s[0:1]
	s_mov_b32 s0, 0x652b82fe
	s_mov_b32 s1, 0x3ff71547
	v_mul_f64 v[72:73], v[68:69], s[0:1]
	v_rndne_f64_e32 v[72:73], v[72:73]
	s_mov_b32 s56, s44
	v_fma_f64 v[82:83], s[56:57], v[72:73], v[68:69]
	s_mov_b32 s58, s46
	s_mov_b32 s0, 0x6a5dcb37
	v_fmac_f64_e32 v[82:83], s[58:59], v[72:73]
	v_pk_mov_b32 v[84:85], v[40:41], v[40:41] op_sel:[0,1]
	s_mov_b32 s1, 0x3e5ade15
	v_fmac_f64_e32 v[84:85], s[0:1], v[82:83]
	v_pk_mov_b32 v[86:87], v[42:43], v[42:43] op_sel:[0,1]
	v_fmac_f64_e32 v[86:87], v[82:83], v[84:85]
	v_pk_mov_b32 v[84:85], v[44:45], v[44:45] op_sel:[0,1]
	;; [unrolled: 2-line block ×8, first 2 shown]
	v_fmac_f64_e32 v[84:85], v[82:83], v[86:87]
	v_fma_f64 v[84:85], v[82:83], v[84:85], 1.0
	s_mov_b32 s0, 0
	v_fma_f64 v[82:83], v[82:83], v[84:85], 1.0
	v_cvt_i32_f64_e32 v19, v[72:73]
	s_mov_b32 s1, 0x40900000
	s_mov_b32 s2, 0
	v_ldexp_f64 v[72:73], v[82:83], v19
	v_cmp_lt_f64_e64 s[0:1], s[0:1], v[68:69]
	s_mov_b32 s3, 0xc090cc00
	v_cndmask_b32_e64 v19, v72, 0, s[0:1]
	v_cndmask_b32_e64 v67, v73, v74, s[0:1]
	v_cmp_ngt_f64_e64 s[2:3], s[2:3], v[68:69]
	v_and_b32_e32 v73, 0x7fffffff, v73
	v_cndmask_b32_e64 v69, 0, v67, s[2:3]
	v_cndmask_b32_e64 v68, 0, v19, s[2:3]
	v_cmp_eq_f64_e64 s[4:5], s[22:23], v[72:73]
	v_pk_mov_b32 v[82:83], v[68:69], v[68:69] op_sel:[0,1]
	s_or_b64 s[0:1], s[0:1], s[4:5]
	v_fmac_f64_e32 v[82:83], v[82:83], v[70:71]
	s_and_b64 s[0:1], s[2:3], s[0:1]
	v_cndmask_b32_e64 v19, v82, v68, s[0:1]
	v_cndmask_b32_e64 v67, v83, v69, s[0:1]
	v_trunc_f64_e32 v[68:69], v[4:5]
	v_cmp_eq_f64_e64 s[0:1], v[68:69], v[4:5]
	v_mul_f64 v[68:69], v[4:5], 0.5
	v_trunc_f64_e32 v[70:71], v[68:69]
	v_cmp_neq_f64_e64 s[2:3], v[70:71], v[68:69]
	s_and_b64 s[2:3], s[0:1], s[2:3]
	v_cndmask_b32_e64 v68, v23, v7, s[2:3]
	s_brev_b32 s48, -2
	v_bfi_b32 v67, s48, v67, v68
	v_and_b32_e32 v65, 0x7fffffff, v65
	v_cndmask_b32_e64 v68, v75, v67, s[0:1]
	v_cndmask_b32_e64 v69, 0, v19, s[0:1]
	v_cmp_gt_f64_e64 s[0:1], 0, v[6:7]
	v_cndmask_b32_e32 v65, v65, v23, vcc
	v_cndmask_b32_e64 v64, v64, 0, vcc
	v_cndmask_b32_e64 v19, v19, v69, s[0:1]
	v_cndmask_b32_e64 v67, v67, v68, s[0:1]
	v_cmp_neq_f64_e32 vcc, v[4:5], v[64:65]
	v_cmp_gt_f64_e64 s[0:1], 1.0, v[14:15]
	s_xor_b64 s[0:1], vcc, s[0:1]
	v_cndmask_b32_e64 v68, v65, 0, s[0:1]
	v_cndmask_b32_e64 v69, v64, 0, s[0:1]
	v_cmp_eq_f64_e32 vcc, 1.0, v[14:15]
	v_cmp_eq_f64_e64 s[0:1], 0, v[6:7]
	v_cmp_gt_f64_e64 s[4:5], 0, v[4:5]
	v_cndmask_b32_e32 v69, v69, v14, vcc
	v_cndmask_b32_e32 v68, v68, v15, vcc
	v_cmp_eq_f64_e32 vcc, s[22:23], v[64:65]
	s_xor_b64 s[4:5], s[4:5], s[0:1]
	v_cndmask_b32_e32 v64, v67, v68, vcc
	v_cndmask_b32_e32 v19, v19, v69, vcc
	v_cmp_eq_f64_e32 vcc, s[22:23], v[14:15]
	v_cndmask_b32_e64 v4, v74, 0, s[4:5]
	v_cndmask_b32_e64 v5, 0, v7, s[2:3]
	v_bfi_b32 v4, s48, v4, v5
	s_or_b64 vcc, vcc, s[0:1]
	v_cndmask_b32_e32 v69, v64, v4, vcc
	v_pk_mov_b32 v[4:5], v[8:9], v[8:9] op_sel:[0,1]
	s_mov_b64 s[92:93], exec
	v_cndmask_b32_e64 v68, v19, 0, vcc
	v_add_f64 v[12:13], v[12:13], 1.0
	v_pk_mov_b32 v[6:7], v[10:11], v[10:11] op_sel:[0,1]
	v_mov_b32_e32 v72, v66
.LBB119_29:                             ;   in Loop: Header=BB119_4 Depth=1
	s_or_b64 exec, exec, s[90:91]
	s_orn2_b64 s[0:1], s[92:93], exec
.LBB119_30:                             ;   in Loop: Header=BB119_4 Depth=1
	s_or_b64 exec, exec, s[88:89]
	v_pk_mov_b32 v[70:71], s[86:87], s[86:87] op_sel:[0,1]
	s_and_saveexec_b64 s[2:3], s[0:1]
	s_cbranch_execz .LBB119_3
; %bb.31:                               ;   in Loop: Header=BB119_4 Depth=1
	s_brev_b32 s0, 6
	s_mov_b32 s1, 0xbfd55555
	v_add_f64 v[64:65], v[12:13], s[0:1]
	s_mov_b32 s0, 0
	s_mov_b32 s1, 0x40220000
	v_mul_f64 v[8:9], v[64:65], s[0:1]
	s_mov_b32 s0, 0
	s_brev_b32 s1, 8
	v_cmp_gt_f64_e32 vcc, s[0:1], v[8:9]
	v_cndmask_b32_e64 v10, 0, 1, vcc
	v_lshlrev_b32_e32 v10, 8, v10
	v_ldexp_f64 v[8:9], v[8:9], v10
	v_rsq_f64_e32 v[10:11], v[8:9]
	v_cndmask_b32_e32 v19, 0, v76, vcc
	v_cmp_class_f64_e32 vcc, v[8:9], v21
	v_mov_b32_e32 v98, 0
	v_mul_f64 v[12:13], v[8:9], v[10:11]
	v_mul_f64 v[10:11], v[10:11], 0.5
	v_fma_f64 v[14:15], -v[10:11], v[12:13], 0.5
	v_fmac_f64_e32 v[12:13], v[12:13], v[14:15]
	v_fmac_f64_e32 v[10:11], v[10:11], v[14:15]
	v_fma_f64 v[14:15], -v[12:13], v[12:13], v[8:9]
	v_fmac_f64_e32 v[12:13], v[14:15], v[10:11]
	v_fma_f64 v[14:15], -v[12:13], v[12:13], v[8:9]
	v_fmac_f64_e32 v[12:13], v[14:15], v[10:11]
	v_ldexp_f64 v[10:11], v[12:13], v19
	v_cndmask_b32_e32 v9, v11, v9, vcc
	v_cndmask_b32_e32 v8, v10, v8, vcc
	v_div_scale_f64 v[10:11], s[0:1], v[8:9], v[8:9], 1.0
	v_rcp_f64_e32 v[12:13], v[10:11]
	v_mul_f64 v[68:69], v[68:69], v[64:65]
	v_add_u32_e32 v82, 0x9e3779b9, v62
	v_add_u32_e32 v83, 0xbb67ae85, v63
	v_fma_f64 v[14:15], -v[10:11], v[12:13], 1.0
	v_fmac_f64_e32 v[12:13], v[12:13], v[14:15]
	v_fma_f64 v[14:15], -v[10:11], v[12:13], 1.0
	v_fmac_f64_e32 v[12:13], v[12:13], v[14:15]
	v_div_scale_f64 v[14:15], vcc, 1.0, v[8:9], 1.0
	v_mul_f64 v[66:67], v[14:15], v[12:13]
	v_fma_f64 v[10:11], -v[10:11], v[66:67], v[14:15]
	v_add_u32_e32 v84, 0x3c6ef372, v62
	s_nop 0
	v_div_fmas_f64 v[10:11], v[10:11], v[12:13], v[66:67]
	v_div_fixup_f64 v[66:67], v[10:11], v[8:9], 1.0
	v_add_u32_e32 v85, 0x76cf5d0a, v63
	v_add_u32_e32 v86, 0xdaa66d2b, v62
	;; [unrolled: 1-line block ×13, first 2 shown]
	s_mov_b64 s[4:5], 0
                                        ; implicit-def: $vgpr73
                                        ; implicit-def: $vgpr70_vgpr71
	s_branch .LBB119_33
.LBB119_32:                             ;   in Loop: Header=BB119_33 Depth=2
	s_or_b64 exec, exec, s[0:1]
	s_xor_b64 s[0:1], s[86:87], -1
	s_and_b64 s[0:1], exec, s[0:1]
	s_or_b64 s[4:5], s[0:1], s[4:5]
	s_andn2_b64 exec, exec, s[4:5]
	s_cbranch_execz .LBB119_2
.LBB119_33:                             ;   Parent Loop BB119_4 Depth=1
                                        ; =>  This Loop Header: Depth=2
                                        ;       Child Loop BB119_36 Depth 3
	v_pk_mov_b32 v[10:11], v[6:7], v[6:7] op_sel:[0,1]
	s_mov_b64 s[86:87], 0
	v_mov_b32_e32 v19, v72
	v_pk_mov_b32 v[8:9], v[4:5], v[4:5] op_sel:[0,1]
	s_branch .LBB119_36
.LBB119_34:                             ;   in Loop: Header=BB119_36 Depth=3
	s_or_b64 exec, exec, s[0:1]
	v_cmp_eq_u32_e32 vcc, 1, v19
	v_cndmask_b32_e32 v8, v8, v9, vcc
	v_cmp_eq_u32_e32 vcc, 2, v19
	v_cndmask_b32_e32 v8, v8, v10, vcc
	;; [unrolled: 2-line block ×4, first 2 shown]
	v_cvt_f32_u32_e32 v5, v8
	v_cmp_eq_u32_e32 vcc, 2, v72
	v_cndmask_b32_e32 v4, v4, v6, vcc
	v_mov_b32_e32 v6, 0x2f800000
	v_fmac_f32_e32 v6, 0x2f800000, v5
	v_cmp_gt_f32_e32 vcc, s66, v6
	v_cndmask_b32_e32 v5, 1.0, v77, vcc
	v_mul_f32_e32 v5, v6, v5
	v_log_f32_e32 v5, v5
	v_cmp_eq_u32_e64 s[0:1], 3, v72
	v_cndmask_b32_e64 v4, v4, v7, s[0:1]
	v_cvt_f32_u32_e32 v4, v4
	v_mul_f32_e32 v6, 0x3f317217, v5
	v_fma_f32 v7, v5, s67, -v6
	v_fmac_f32_e32 v7, 0x3377d1cf, v5
	v_add_f32_e32 v6, v6, v7
	v_cmp_lt_f32_e64 s[0:1], |v5|, s68
	v_cndmask_b32_e64 v5, v5, v6, s[0:1]
	v_cndmask_b32_e32 v6, 0, v78, vcc
	v_sub_f32_e32 v5, v5, v6
	v_mul_f32_e32 v5, -2.0, v5
	v_mul_f32_e32 v6, 0x4f800000, v5
	v_cmp_gt_f32_e32 vcc, s69, v5
	v_cndmask_b32_e32 v6, v5, v6, vcc
	v_sqrt_f32_e32 v5, v6
	v_mov_b32_e32 v7, 0x30c90fdb
	v_fmac_f32_e32 v7, 0x30c90fdb, v4
	v_mov_b32_e32 v98, 1
	v_add_u32_e32 v4, -1, v5
	v_fma_f32 v8, -v4, v5, v6
	v_cmp_ge_f32_e64 s[0:1], 0, v8
	v_add_u32_e32 v8, 1, v5
	v_cndmask_b32_e64 v4, v5, v4, s[0:1]
	v_fma_f32 v5, -v8, v5, v6
	v_cmp_lt_f32_e64 s[0:1], 0, v5
	v_mul_f32_e32 v5, 0.15915494, v7
	v_cndmask_b32_e64 v8, v4, v8, s[0:1]
	v_sin_f32_e32 v4, v5
	v_cos_f32_e32 v5, v5
	v_mul_f32_e32 v9, 0x37800000, v8
	v_cndmask_b32_e32 v7, v8, v9, vcc
	v_cmp_class_f32_e32 vcc, v6, v21
	v_cndmask_b32_e32 v6, v7, v6, vcc
	v_pk_mov_b32 v[8:9], v[12:13], v[12:13] op_sel:[0,1]
	v_pk_mul_f32 v[72:73], v[6:7], v[4:5] op_sel_hi:[0,1]
	v_pk_mov_b32 v[10:11], v[14:15], v[14:15] op_sel:[0,1]
	v_mov_b32_e32 v19, v99
.LBB119_35:                             ;   in Loop: Header=BB119_36 Depth=3
	s_or_b64 exec, exec, s[88:89]
	v_cvt_f64_f32_e32 v[12:13], v72
	v_fma_f64 v[14:15], v[66:67], v[12:13], 1.0
	v_cmp_nge_f64_e32 vcc, 0, v[14:15]
	s_or_b64 s[86:87], vcc, s[86:87]
	s_andn2_b64 exec, exec, s[86:87]
	s_cbranch_execz .LBB119_41
.LBB119_36:                             ;   Parent Loop BB119_4 Depth=1
                                        ;     Parent Loop BB119_33 Depth=2
                                        ; =>    This Inner Loop Header: Depth=3
	v_cmp_eq_u32_e32 vcc, 0, v98
	v_mov_b32_e32 v98, 0
	v_mov_b32_e32 v72, v73
	s_and_saveexec_b64 s[88:89], vcc
	s_cbranch_execz .LBB119_35
; %bb.37:                               ;   in Loop: Header=BB119_36 Depth=3
	v_add_u32_e32 v72, 1, v19
	v_pk_mov_b32 v[4:5], v[8:9], v[8:9] op_sel:[0,1]
	v_cmp_eq_u32_e32 vcc, 4, v72
	v_pk_mov_b32 v[6:7], v[10:11], v[10:11] op_sel:[0,1]
	s_and_saveexec_b64 s[0:1], vcc
	s_cbranch_execz .LBB119_39
; %bb.38:                               ;   in Loop: Header=BB119_36 Depth=3
	v_add_co_u32_e32 v0, vcc, 1, v0
	v_cndmask_b32_e64 v4, 0, 1, vcc
	v_addc_co_u32_e32 v1, vcc, 0, v1, vcc
	v_cmp_eq_u32_e32 vcc, 0, v1
	v_cndmask_b32_e32 v4, 0, v4, vcc
	v_add_u32_e32 v2, v4, v2
	v_cmp_eq_u32_e32 vcc, 0, v2
	v_cndmask_b32_e32 v4, 0, v4, vcc
	v_add_u32_e32 v3, v4, v3
	v_mad_u64_u32 v[4:5], s[90:91], v0, s50, 0
	v_mad_u64_u32 v[6:7], s[90:91], v2, s33, 0
	v_xor_b32_e32 v7, v7, v62
	v_xor_b32_e32 v5, v5, v63
	v_xor_b32_e32 v7, v1, v7
	v_xor_b32_e32 v5, v3, v5
	v_mad_u64_u32 v[12:13], s[90:91], v7, s50, 0
	v_mad_u64_u32 v[14:15], s[90:91], v5, s33, 0
	v_xor_b32_e32 v5, v15, v6
	v_xor_b32_e32 v4, v13, v4
	v_xor_b32_e32 v5, v82, v5
	v_xor_b32_e32 v6, v83, v4
	;; [unrolled: 6-line block ×9, first 2 shown]
	v_mad_u64_u32 v[12:13], s[90:91], v5, s50, 0
	v_mad_u64_u32 v[14:15], s[90:91], v7, s33, 0
	v_xor_b32_e32 v4, v15, v4
	v_xor_b32_e32 v5, v13, v6
	v_mov_b32_e32 v72, 0
	v_xor_b32_e32 v4, v17, v4
	v_xor_b32_e32 v6, v81, v5
	v_mov_b32_e32 v5, v14
	v_mov_b32_e32 v7, v12
.LBB119_39:                             ;   in Loop: Header=BB119_36 Depth=3
	s_or_b64 exec, exec, s[0:1]
	v_add_u32_e32 v99, 1, v72
	v_pk_mov_b32 v[14:15], v[6:7], v[6:7] op_sel:[0,1]
	v_cmp_eq_u32_e32 vcc, 4, v99
	v_pk_mov_b32 v[12:13], v[4:5], v[4:5] op_sel:[0,1]
	s_and_saveexec_b64 s[0:1], vcc
	s_cbranch_execz .LBB119_34
; %bb.40:                               ;   in Loop: Header=BB119_36 Depth=3
	v_add_co_u32_e32 v0, vcc, 1, v0
	v_cndmask_b32_e64 v12, 0, 1, vcc
	v_addc_co_u32_e32 v1, vcc, 0, v1, vcc
	v_cmp_eq_u32_e32 vcc, 0, v1
	v_cndmask_b32_e32 v12, 0, v12, vcc
	v_add_u32_e32 v2, v12, v2
	v_cmp_eq_u32_e32 vcc, 0, v2
	v_cndmask_b32_e32 v12, 0, v12, vcc
	v_add_u32_e32 v3, v12, v3
	v_mad_u64_u32 v[12:13], s[90:91], v0, s50, 0
	v_mad_u64_u32 v[14:15], s[90:91], v2, s33, 0
	v_xor_b32_e32 v15, v15, v62
	v_xor_b32_e32 v13, v13, v63
	v_xor_b32_e32 v15, v1, v15
	v_xor_b32_e32 v13, v3, v13
	v_mad_u64_u32 v[100:101], s[90:91], v15, s50, 0
	v_mad_u64_u32 v[102:103], s[90:91], v13, s33, 0
	v_xor_b32_e32 v13, v103, v14
	v_xor_b32_e32 v12, v101, v12
	v_xor_b32_e32 v13, v82, v13
	v_xor_b32_e32 v14, v83, v12
	;; [unrolled: 6-line block ×9, first 2 shown]
	v_mad_u64_u32 v[100:101], s[90:91], v13, s50, 0
	v_mad_u64_u32 v[102:103], s[90:91], v15, s33, 0
	v_xor_b32_e32 v12, v103, v12
	v_xor_b32_e32 v13, v101, v14
	v_mov_b32_e32 v99, 0
	v_xor_b32_e32 v12, v17, v12
	v_xor_b32_e32 v14, v81, v13
	v_mov_b32_e32 v13, v102
	v_mov_b32_e32 v15, v100
	s_branch .LBB119_34
.LBB119_41:                             ;   in Loop: Header=BB119_33 Depth=2
	s_or_b64 exec, exec, s[86:87]
	v_add_u32_e32 v72, 1, v19
	v_pk_mov_b32 v[4:5], v[8:9], v[8:9] op_sel:[0,1]
	v_cmp_eq_u32_e32 vcc, 4, v72
	v_pk_mov_b32 v[6:7], v[10:11], v[10:11] op_sel:[0,1]
	s_and_saveexec_b64 s[0:1], vcc
	s_cbranch_execz .LBB119_43
; %bb.42:                               ;   in Loop: Header=BB119_33 Depth=2
	v_add_co_u32_e32 v0, vcc, 1, v0
	v_cndmask_b32_e64 v4, 0, 1, vcc
	v_addc_co_u32_e32 v1, vcc, 0, v1, vcc
	v_cmp_eq_u32_e32 vcc, 0, v1
	v_cndmask_b32_e32 v4, 0, v4, vcc
	v_add_u32_e32 v2, v4, v2
	v_cmp_eq_u32_e32 vcc, 0, v2
	v_cndmask_b32_e32 v4, 0, v4, vcc
	v_add_u32_e32 v3, v4, v3
	v_mad_u64_u32 v[4:5], s[86:87], v0, s50, 0
	v_mad_u64_u32 v[6:7], s[86:87], v2, s33, 0
	v_xor_b32_e32 v7, v7, v62
	v_xor_b32_e32 v5, v5, v63
	v_xor_b32_e32 v7, v1, v7
	v_xor_b32_e32 v5, v3, v5
	v_mad_u64_u32 v[100:101], s[86:87], v7, s50, 0
	v_mad_u64_u32 v[102:103], s[86:87], v5, s33, 0
	v_xor_b32_e32 v5, v103, v6
	v_xor_b32_e32 v4, v101, v4
	v_xor_b32_e32 v5, v82, v5
	v_xor_b32_e32 v6, v83, v4
	;; [unrolled: 6-line block ×9, first 2 shown]
	v_mad_u64_u32 v[100:101], s[86:87], v5, s50, 0
	v_mad_u64_u32 v[102:103], s[86:87], v7, s33, 0
	v_xor_b32_e32 v4, v103, v4
	v_xor_b32_e32 v5, v101, v6
	v_mov_b32_e32 v72, 0
	v_xor_b32_e32 v4, v17, v4
	v_xor_b32_e32 v6, v81, v5
	v_mov_b32_e32 v5, v102
	v_mov_b32_e32 v7, v100
.LBB119_43:                             ;   in Loop: Header=BB119_33 Depth=2
	s_or_b64 exec, exec, s[0:1]
	v_cmp_eq_u32_e32 vcc, 1, v19
	v_cndmask_b32_e32 v8, v8, v9, vcc
	v_cmp_eq_u32_e32 vcc, 2, v19
	v_cndmask_b32_e32 v8, v8, v10, vcc
	;; [unrolled: 2-line block ×3, first 2 shown]
	v_cvt_f32_u32_e32 v10, v8
	v_mov_b32_e32 v11, 0x2f800000
	v_mul_f64 v[8:9], v[14:15], v[14:15]
	v_mul_f64 v[8:9], v[14:15], v[8:9]
	v_fmac_f32_e32 v11, 0x2f800000, v10
	v_cvt_f64_f32_e32 v[10:11], v11
	v_add_f64 v[14:15], -v[10:11], 1.0
	v_mul_f64 v[10:11], v[12:13], v[12:13]
	v_mul_f64 v[12:13], v[10:11], s[72:73]
	v_fma_f64 v[12:13], v[10:11], v[12:13], 1.0
	v_cmp_nlt_f64_e32 vcc, v[14:15], v[12:13]
                                        ; implicit-def: $sgpr86_sgpr87
	s_and_saveexec_b64 s[0:1], vcc
	s_xor_b64 s[0:1], exec, s[0:1]
	s_cbranch_execz .LBB119_47
; %bb.44:                               ;   in Loop: Header=BB119_33 Depth=2
	v_frexp_mant_f64_e32 v[12:13], v[14:15]
	v_cmp_gt_f64_e32 vcc, s[36:37], v[12:13]
	v_cndmask_b32_e64 v19, v23, 2.0, vcc
	v_mul_f64 v[12:13], v[12:13], v[18:19]
	v_add_f64 v[100:101], v[12:13], 1.0
	v_rcp_f64_e32 v[102:103], v[100:101]
	v_add_f64 v[106:107], v[100:101], -1.0
	v_add_f64 v[104:105], v[12:13], -1.0
	v_add_f64 v[12:13], v[12:13], -v[106:107]
	v_fma_f64 v[106:107], -v[100:101], v[102:103], 1.0
	v_fmac_f64_e32 v[102:103], v[106:107], v[102:103]
	v_fma_f64 v[106:107], -v[100:101], v[102:103], 1.0
	v_fmac_f64_e32 v[102:103], v[106:107], v[102:103]
	v_mul_f64 v[106:107], v[104:105], v[102:103]
	v_mul_f64 v[108:109], v[100:101], v[106:107]
	v_fma_f64 v[100:101], v[106:107], v[100:101], -v[108:109]
	v_fmac_f64_e32 v[100:101], v[106:107], v[12:13]
	v_add_f64 v[12:13], v[108:109], v[100:101]
	v_add_f64 v[110:111], v[104:105], -v[12:13]
	v_add_f64 v[108:109], v[12:13], -v[108:109]
	;; [unrolled: 1-line block ×5, first 2 shown]
	v_add_f64 v[12:13], v[100:101], v[12:13]
	v_add_f64 v[12:13], v[110:111], v[12:13]
	v_mul_f64 v[12:13], v[102:103], v[12:13]
	v_add_f64 v[100:101], v[106:107], v[12:13]
	v_add_f64 v[102:103], v[100:101], -v[106:107]
	v_add_f64 v[12:13], v[12:13], -v[102:103]
	v_mul_f64 v[102:103], v[100:101], v[100:101]
	v_pk_mov_b32 v[104:105], s[74:75], s[74:75] op_sel:[0,1]
	v_fma_f64 v[106:107], s[76:77], v[102:103], v[104:105]
	v_fma_f64 v[106:107], v[102:103], v[106:107], s[78:79]
	v_fma_f64 v[106:107], v[102:103], v[106:107], s[80:81]
	v_fma_f64 v[106:107], v[102:103], v[106:107], s[40:41]
	v_fma_f64 v[106:107], v[102:103], v[106:107], s[42:43]
	s_mov_b32 s83, s37
	v_fma_f64 v[106:107], v[102:103], v[106:107], s[82:83]
	v_ldexp_f64 v[108:109], v[100:101], 1
	v_mul_f64 v[100:101], v[100:101], v[102:103]
	v_mul_f64 v[100:101], v[100:101], v[106:107]
	v_add_f64 v[102:103], v[108:109], v[100:101]
	v_add_f64 v[106:107], v[102:103], -v[108:109]
	v_ldexp_f64 v[12:13], v[12:13], 1
	v_add_f64 v[100:101], v[100:101], -v[106:107]
	v_add_f64 v[12:13], v[12:13], v[100:101]
	v_frexp_exp_i32_f64_e32 v99, v[14:15]
	v_add_f64 v[100:101], v[102:103], v[12:13]
	v_subbrev_co_u32_e32 v19, vcc, 0, v99, vcc
	v_add_f64 v[102:103], v[100:101], -v[102:103]
	v_add_f64 v[12:13], v[12:13], -v[102:103]
	v_cvt_f64_i32_e32 v[102:103], v19
	v_mul_f64 v[106:107], v[102:103], s[44:45]
	v_fma_f64 v[108:109], v[102:103], s[44:45], -v[106:107]
	v_fmac_f64_e32 v[108:109], s[46:47], v[102:103]
	v_add_f64 v[102:103], v[106:107], v[108:109]
	v_add_f64 v[106:107], v[102:103], -v[106:107]
	v_add_f64 v[106:107], v[108:109], -v[106:107]
	v_add_f64 v[108:109], v[102:103], v[100:101]
	v_add_f64 v[110:111], v[108:109], -v[102:103]
	v_add_f64 v[112:113], v[108:109], -v[110:111]
	;; [unrolled: 1-line block ×4, first 2 shown]
	v_add_f64 v[100:101], v[100:101], v[102:103]
	v_add_f64 v[102:103], v[106:107], v[12:13]
	v_add_f64 v[110:111], v[102:103], -v[106:107]
	v_add_f64 v[112:113], v[102:103], -v[110:111]
	v_add_f64 v[100:101], v[102:103], v[100:101]
	v_add_f64 v[106:107], v[106:107], -v[112:113]
	v_add_f64 v[12:13], v[12:13], -v[110:111]
	v_add_f64 v[102:103], v[108:109], v[100:101]
	v_add_f64 v[12:13], v[12:13], v[106:107]
	v_add_f64 v[106:107], v[102:103], -v[108:109]
	v_add_f64 v[100:101], v[100:101], -v[106:107]
	v_add_f64 v[12:13], v[12:13], v[100:101]
	v_add_f64 v[12:13], v[102:103], v[12:13]
	v_cmp_class_f64_e64 vcc, v[14:15], s54
	v_cndmask_b32_e32 v12, v12, v14, vcc
	v_cndmask_b32_e32 v13, v13, v15, vcc
	v_cmp_ngt_f64_e32 vcc, 0, v[14:15]
	v_cndmask_b32_e32 v13, v75, v13, vcc
	v_cmp_nge_f64_e32 vcc, 0, v[14:15]
	v_cndmask_b32_e32 v12, 0, v12, vcc
	v_cmp_neq_f64_e32 vcc, 0, v[14:15]
	v_frexp_mant_f64_e32 v[100:101], v[8:9]
	v_cndmask_b32_e32 v13, v79, v13, vcc
	v_cmp_gt_f64_e32 vcc, s[36:37], v[100:101]
	v_cndmask_b32_e64 v19, v23, 2.0, vcc
	v_mul_f64 v[100:101], v[100:101], v[18:19]
	v_add_f64 v[102:103], v[100:101], 1.0
	v_rcp_f64_e32 v[106:107], v[102:103]
	v_add_f64 v[110:111], v[102:103], -1.0
	v_add_f64 v[108:109], v[100:101], -1.0
	v_add_f64 v[100:101], v[100:101], -v[110:111]
	v_fma_f64 v[110:111], -v[102:103], v[106:107], 1.0
	v_fmac_f64_e32 v[106:107], v[110:111], v[106:107]
	v_fma_f64 v[110:111], -v[102:103], v[106:107], 1.0
	v_fmac_f64_e32 v[106:107], v[110:111], v[106:107]
	v_mul_f64 v[110:111], v[108:109], v[106:107]
	v_mul_f64 v[112:113], v[102:103], v[110:111]
	v_fma_f64 v[102:103], v[110:111], v[102:103], -v[112:113]
	v_fmac_f64_e32 v[102:103], v[110:111], v[100:101]
	v_add_f64 v[100:101], v[112:113], v[102:103]
	v_add_f64 v[114:115], v[108:109], -v[100:101]
	v_add_f64 v[112:113], v[100:101], -v[112:113]
	v_add_f64 v[108:109], v[108:109], -v[114:115]
	v_add_f64 v[100:101], v[108:109], -v[100:101]
	v_add_f64 v[102:103], v[112:113], -v[102:103]
	v_add_f64 v[100:101], v[102:103], v[100:101]
	v_add_f64 v[100:101], v[114:115], v[100:101]
	v_mul_f64 v[100:101], v[106:107], v[100:101]
	v_add_f64 v[102:103], v[110:111], v[100:101]
	v_add_f64 v[106:107], v[102:103], -v[110:111]
	v_add_f64 v[100:101], v[100:101], -v[106:107]
	v_mul_f64 v[106:107], v[102:103], v[102:103]
	v_fmac_f64_e32 v[104:105], s[76:77], v[106:107]
	v_fma_f64 v[104:105], v[106:107], v[104:105], s[78:79]
	v_fma_f64 v[104:105], v[106:107], v[104:105], s[80:81]
	;; [unrolled: 1-line block ×5, first 2 shown]
	v_ldexp_f64 v[108:109], v[102:103], 1
	v_mul_f64 v[102:103], v[102:103], v[106:107]
	v_mul_f64 v[102:103], v[102:103], v[104:105]
	v_add_f64 v[104:105], v[108:109], v[102:103]
	v_add_f64 v[106:107], v[104:105], -v[108:109]
	v_ldexp_f64 v[100:101], v[100:101], 1
	v_add_f64 v[102:103], v[102:103], -v[106:107]
	v_add_f64 v[100:101], v[100:101], v[102:103]
	v_frexp_exp_i32_f64_e32 v99, v[8:9]
	v_add_f64 v[102:103], v[104:105], v[100:101]
	v_subbrev_co_u32_e32 v19, vcc, 0, v99, vcc
	v_add_f64 v[104:105], v[102:103], -v[104:105]
	v_add_f64 v[100:101], v[100:101], -v[104:105]
	v_cvt_f64_i32_e32 v[104:105], v19
	v_mul_f64 v[106:107], v[104:105], s[44:45]
	v_fma_f64 v[108:109], v[104:105], s[44:45], -v[106:107]
	v_fmac_f64_e32 v[108:109], s[46:47], v[104:105]
	v_add_f64 v[104:105], v[106:107], v[108:109]
	v_add_f64 v[106:107], v[104:105], -v[106:107]
	v_add_f64 v[106:107], v[108:109], -v[106:107]
	v_add_f64 v[108:109], v[104:105], v[102:103]
	v_add_f64 v[110:111], v[108:109], -v[104:105]
	v_add_f64 v[112:113], v[108:109], -v[110:111]
	;; [unrolled: 1-line block ×4, first 2 shown]
	v_add_f64 v[102:103], v[102:103], v[104:105]
	v_add_f64 v[104:105], v[106:107], v[100:101]
	v_add_f64 v[110:111], v[104:105], -v[106:107]
	v_add_f64 v[112:113], v[104:105], -v[110:111]
	v_add_f64 v[102:103], v[104:105], v[102:103]
	v_add_f64 v[106:107], v[106:107], -v[112:113]
	v_add_f64 v[100:101], v[100:101], -v[110:111]
	v_add_f64 v[104:105], v[108:109], v[102:103]
	v_add_f64 v[100:101], v[100:101], v[106:107]
	v_add_f64 v[106:107], v[104:105], -v[108:109]
	v_add_f64 v[102:103], v[102:103], -v[106:107]
	v_add_f64 v[100:101], v[100:101], v[102:103]
	v_add_f64 v[100:101], v[104:105], v[100:101]
	v_cmp_class_f64_e64 vcc, v[8:9], s54
	v_cndmask_b32_e32 v19, v100, v8, vcc
	v_cndmask_b32_e32 v99, v101, v9, vcc
	v_cmp_ngt_f64_e32 vcc, 0, v[8:9]
	v_cndmask_b32_e32 v99, v75, v99, vcc
	v_cmp_nge_f64_e32 vcc, 0, v[8:9]
	v_cndmask_b32_e32 v100, 0, v19, vcc
	v_cmp_neq_f64_e32 vcc, 0, v[8:9]
	v_add_f64 v[14:15], -v[8:9], 1.0
	v_cndmask_b32_e32 v101, v79, v99, vcc
	v_add_f64 v[14:15], v[14:15], v[100:101]
	v_mul_f64 v[14:15], v[64:65], v[14:15]
	v_fmac_f64_e32 v[14:15], 0.5, v[10:11]
	v_cmp_lt_f64_e32 vcc, v[12:13], v[14:15]
	s_mov_b64 s[86:87], -1
	s_and_saveexec_b64 s[88:89], vcc
; %bb.45:                               ;   in Loop: Header=BB119_33 Depth=2
	v_mul_f64 v[70:71], v[68:69], v[8:9]
	s_xor_b64 s[86:87], exec, -1
; %bb.46:                               ;   in Loop: Header=BB119_33 Depth=2
	s_or_b64 exec, exec, s[88:89]
	s_and_b64 s[86:87], s[86:87], exec
                                        ; implicit-def: $vgpr8_vgpr9
.LBB119_47:                             ;   in Loop: Header=BB119_33 Depth=2
	s_andn2_saveexec_b64 s[0:1], s[0:1]
	s_cbranch_execz .LBB119_32
; %bb.48:                               ;   in Loop: Header=BB119_33 Depth=2
	v_mul_f64 v[70:71], v[68:69], v[8:9]
	s_andn2_b64 s[86:87], s[86:87], exec
	s_branch .LBB119_32
.LBB119_49:
	s_endpgm
	.section	.rodata,"a",@progbits
	.p2align	6, 0x0
	.amdhsa_kernel _ZN2at4cuda12_GLOBAL__N_121kernelPointwiseApply2IZN12_GLOBAL__N_117gamma_cuda_kernelIdEEvRKNS_10TensorBaseES7_NS_15PhiloxCudaStateEEUlRdRKdE_ddmLin1ELin1ELi1ELi256ELi2EEEvNS0_6detail10TensorInfoIT0_T2_EENSE_IT1_SG_EESG_T_
		.amdhsa_group_segment_fixed_size 0
		.amdhsa_private_segment_fixed_size 0
		.amdhsa_kernarg_size 1128
		.amdhsa_user_sgpr_count 6
		.amdhsa_user_sgpr_private_segment_buffer 1
		.amdhsa_user_sgpr_dispatch_ptr 0
		.amdhsa_user_sgpr_queue_ptr 0
		.amdhsa_user_sgpr_kernarg_segment_ptr 1
		.amdhsa_user_sgpr_dispatch_id 0
		.amdhsa_user_sgpr_flat_scratch_init 0
		.amdhsa_user_sgpr_kernarg_preload_length 0
		.amdhsa_user_sgpr_kernarg_preload_offset 0
		.amdhsa_user_sgpr_private_segment_size 0
		.amdhsa_uses_dynamic_stack 0
		.amdhsa_system_sgpr_private_segment_wavefront_offset 0
		.amdhsa_system_sgpr_workgroup_id_x 1
		.amdhsa_system_sgpr_workgroup_id_y 0
		.amdhsa_system_sgpr_workgroup_id_z 0
		.amdhsa_system_sgpr_workgroup_info 0
		.amdhsa_system_vgpr_workitem_id 0
		.amdhsa_next_free_vgpr 117
		.amdhsa_next_free_sgpr 96
		.amdhsa_accum_offset 120
		.amdhsa_reserve_vcc 1
		.amdhsa_reserve_flat_scratch 0
		.amdhsa_float_round_mode_32 0
		.amdhsa_float_round_mode_16_64 0
		.amdhsa_float_denorm_mode_32 3
		.amdhsa_float_denorm_mode_16_64 3
		.amdhsa_dx10_clamp 1
		.amdhsa_ieee_mode 1
		.amdhsa_fp16_overflow 0
		.amdhsa_tg_split 0
		.amdhsa_exception_fp_ieee_invalid_op 0
		.amdhsa_exception_fp_denorm_src 0
		.amdhsa_exception_fp_ieee_div_zero 0
		.amdhsa_exception_fp_ieee_overflow 0
		.amdhsa_exception_fp_ieee_underflow 0
		.amdhsa_exception_fp_ieee_inexact 0
		.amdhsa_exception_int_div_zero 0
	.end_amdhsa_kernel
	.section	.text._ZN2at4cuda12_GLOBAL__N_121kernelPointwiseApply2IZN12_GLOBAL__N_117gamma_cuda_kernelIdEEvRKNS_10TensorBaseES7_NS_15PhiloxCudaStateEEUlRdRKdE_ddmLin1ELin1ELi1ELi256ELi2EEEvNS0_6detail10TensorInfoIT0_T2_EENSE_IT1_SG_EESG_T_,"axG",@progbits,_ZN2at4cuda12_GLOBAL__N_121kernelPointwiseApply2IZN12_GLOBAL__N_117gamma_cuda_kernelIdEEvRKNS_10TensorBaseES7_NS_15PhiloxCudaStateEEUlRdRKdE_ddmLin1ELin1ELi1ELi256ELi2EEEvNS0_6detail10TensorInfoIT0_T2_EENSE_IT1_SG_EESG_T_,comdat
.Lfunc_end119:
	.size	_ZN2at4cuda12_GLOBAL__N_121kernelPointwiseApply2IZN12_GLOBAL__N_117gamma_cuda_kernelIdEEvRKNS_10TensorBaseES7_NS_15PhiloxCudaStateEEUlRdRKdE_ddmLin1ELin1ELi1ELi256ELi2EEEvNS0_6detail10TensorInfoIT0_T2_EENSE_IT1_SG_EESG_T_, .Lfunc_end119-_ZN2at4cuda12_GLOBAL__N_121kernelPointwiseApply2IZN12_GLOBAL__N_117gamma_cuda_kernelIdEEvRKNS_10TensorBaseES7_NS_15PhiloxCudaStateEEUlRdRKdE_ddmLin1ELin1ELi1ELi256ELi2EEEvNS0_6detail10TensorInfoIT0_T2_EENSE_IT1_SG_EESG_T_
                                        ; -- End function
	.section	.AMDGPU.csdata,"",@progbits
; Kernel info:
; codeLenInByte = 9320
; NumSgprs: 100
; NumVgprs: 117
; NumAgprs: 0
; TotalNumVgprs: 117
; ScratchSize: 0
; MemoryBound: 0
; FloatMode: 240
; IeeeMode: 1
; LDSByteSize: 0 bytes/workgroup (compile time only)
; SGPRBlocks: 12
; VGPRBlocks: 14
; NumSGPRsForWavesPerEU: 100
; NumVGPRsForWavesPerEU: 117
; AccumOffset: 120
; Occupancy: 4
; WaveLimiterHint : 1
; COMPUTE_PGM_RSRC2:SCRATCH_EN: 0
; COMPUTE_PGM_RSRC2:USER_SGPR: 6
; COMPUTE_PGM_RSRC2:TRAP_HANDLER: 0
; COMPUTE_PGM_RSRC2:TGID_X_EN: 1
; COMPUTE_PGM_RSRC2:TGID_Y_EN: 0
; COMPUTE_PGM_RSRC2:TGID_Z_EN: 0
; COMPUTE_PGM_RSRC2:TIDIG_COMP_CNT: 0
; COMPUTE_PGM_RSRC3_GFX90A:ACCUM_OFFSET: 29
; COMPUTE_PGM_RSRC3_GFX90A:TG_SPLIT: 0
	.section	.text._ZN2at4cuda12_GLOBAL__N_121kernelPointwiseApply2IZN12_GLOBAL__N_117gamma_cuda_kernelIfEEvRKNS_10TensorBaseES7_NS_15PhiloxCudaStateEEUlRfRKfE_ffjLi1ELi1ELi1ELi256ELi2EEEvNS0_6detail10TensorInfoIT0_T2_EENSE_IT1_SG_EESG_T_,"axG",@progbits,_ZN2at4cuda12_GLOBAL__N_121kernelPointwiseApply2IZN12_GLOBAL__N_117gamma_cuda_kernelIfEEvRKNS_10TensorBaseES7_NS_15PhiloxCudaStateEEUlRfRKfE_ffjLi1ELi1ELi1ELi256ELi2EEEvNS0_6detail10TensorInfoIT0_T2_EENSE_IT1_SG_EESG_T_,comdat
	.globl	_ZN2at4cuda12_GLOBAL__N_121kernelPointwiseApply2IZN12_GLOBAL__N_117gamma_cuda_kernelIfEEvRKNS_10TensorBaseES7_NS_15PhiloxCudaStateEEUlRfRKfE_ffjLi1ELi1ELi1ELi256ELi2EEEvNS0_6detail10TensorInfoIT0_T2_EENSE_IT1_SG_EESG_T_ ; -- Begin function _ZN2at4cuda12_GLOBAL__N_121kernelPointwiseApply2IZN12_GLOBAL__N_117gamma_cuda_kernelIfEEvRKNS_10TensorBaseES7_NS_15PhiloxCudaStateEEUlRfRKfE_ffjLi1ELi1ELi1ELi256ELi2EEEvNS0_6detail10TensorInfoIT0_T2_EENSE_IT1_SG_EESG_T_
	.p2align	8
	.type	_ZN2at4cuda12_GLOBAL__N_121kernelPointwiseApply2IZN12_GLOBAL__N_117gamma_cuda_kernelIfEEvRKNS_10TensorBaseES7_NS_15PhiloxCudaStateEEUlRfRKfE_ffjLi1ELi1ELi1ELi256ELi2EEEvNS0_6detail10TensorInfoIT0_T2_EENSE_IT1_SG_EESG_T_,@function
_ZN2at4cuda12_GLOBAL__N_121kernelPointwiseApply2IZN12_GLOBAL__N_117gamma_cuda_kernelIfEEvRKNS_10TensorBaseES7_NS_15PhiloxCudaStateEEUlRfRKfE_ffjLi1ELi1ELi1ELi256ELi2EEEvNS0_6detail10TensorInfoIT0_T2_EENSE_IT1_SG_EESG_T_: ; @_ZN2at4cuda12_GLOBAL__N_121kernelPointwiseApply2IZN12_GLOBAL__N_117gamma_cuda_kernelIfEEvRKNS_10TensorBaseES7_NS_15PhiloxCudaStateEEUlRfRKfE_ffjLi1ELi1ELi1ELi256ELi2EEEvNS0_6detail10TensorInfoIT0_T2_EENSE_IT1_SG_EESG_T_
; %bb.0:
	s_load_dword s2, s[4:5], 0x1e4
	s_load_dword s28, s[4:5], 0x1b0
	s_add_u32 s0, s4, 0x1d8
	s_addc_u32 s1, s5, 0
	s_waitcnt lgkmcnt(0)
	s_and_b32 s2, s2, 0xffff
	s_mul_i32 s6, s6, s2
	v_add_u32_e32 v2, s6, v0
	v_cmp_gt_u32_e32 vcc, s28, v2
	s_and_saveexec_b64 s[6:7], vcc
	s_cbranch_execz .LBB120_31
; %bb.1:
	s_load_dword s3, s[4:5], 0x1d0
	s_load_dwordx2 s[10:11], s[4:5], 0x0
	s_load_dword s29, s[4:5], 0x6c
	s_load_dwordx2 s[16:17], s[4:5], 0xd8
	;; [unrolled: 2-line block ×3, first 2 shown]
	s_load_dwordx4 s[12:15], s[4:5], 0x1b8
	s_load_dword s33, s[0:1], 0x0
	s_mov_b32 s31, 0xcd9e8d57
	s_waitcnt lgkmcnt(0)
	s_bitcmp1_b32 s3, 0
	v_mad_u64_u32 v[20:21], s[0:1], v2, s31, 0
	s_cselect_b64 s[0:1], -1, 0
	v_cndmask_b32_e64 v0, 0, 1, s[0:1]
	v_mov_b32_e32 v3, 0
	v_mov_b32_e32 v22, v21
	s_mul_i32 s33, s33, s2
	s_mov_b64 s[20:21], 0
	v_mov_b32_e32 v21, s17
	v_cmp_ne_u32_e64 s[0:1], 1, v0
	s_mov_b32 s17, 0xd2511f53
	s_mov_b32 s34, 0x9e3779b9
	;; [unrolled: 1-line block ×11, first 2 shown]
	v_mov_b32_e32 v23, 0x3ecccdef
	s_mov_b32 s44, 0x3f317218
	s_movk_i32 s45, 0x204
	s_mov_b32 s46, 0x7f800000
	s_mov_b32 s47, 0x42b17218
	;; [unrolled: 1-line block ×4, first 2 shown]
	s_brev_b32 s50, -2
	s_mov_b32 s51, 0xf800000
	v_mov_b32_e32 v26, 0x260
	s_mov_b32 s52, 0x646e171e
	s_mov_b32 s53, 0x5384540f
	;; [unrolled: 1-line block ×9, first 2 shown]
	v_mov_b32_e32 v27, 0x37000000
	v_mov_b32_e32 v28, 0x7f800000
	;; [unrolled: 1-line block ×7, first 2 shown]
	s_branch .LBB120_4
.LBB120_2:                              ;   in Loop: Header=BB120_4 Depth=1
	s_or_b64 exec, exec, s[8:9]
.LBB120_3:                              ;   in Loop: Header=BB120_4 Depth=1
	s_or_b64 exec, exec, s[6:7]
	v_mul_lo_u32 v0, v33, s29
	v_cndmask_b32_e64 v0, 0, v0, s[2:3]
	v_mov_b32_e32 v1, v3
	v_lshlrev_b64 v[0:1], 2, v[0:1]
	v_mov_b32_e32 v4, s11
	v_add_co_u32_e32 v0, vcc, s10, v0
	v_addc_co_u32_e32 v1, vcc, v4, v1, vcc
	v_cmp_ngt_f32_e32 vcc, s55, v38
	v_add_u32_e32 v33, s33, v33
	v_cndmask_b32_e32 v4, v32, v38, vcc
	v_cmp_le_u32_e32 vcc, s28, v33
	s_or_b64 s[20:21], vcc, s[20:21]
	global_store_dword v[0:1], v4, off
	s_andn2_b64 exec, exec, s[20:21]
	s_cbranch_execz .LBB120_31
.LBB120_4:                              ; =>This Loop Header: Depth=1
                                        ;     Child Loop BB120_15 Depth 2
                                        ;       Child Loop BB120_18 Depth 3
	v_sub_u32_e32 v0, s28, v33
	v_mul_lo_u32 v1, v33, s30
	v_cmp_lt_i32_e64 s[2:3], 0, v0
	v_cndmask_b32_e64 v0, 0, v1, s[2:3]
	v_mov_b32_e32 v1, v3
	v_lshlrev_b64 v[0:1], 2, v[0:1]
	v_add_co_u32_e32 v0, vcc, s16, v0
	v_addc_co_u32_e32 v1, vcc, v21, v1, vcc
	global_load_dword v36, v[0:1], off
	s_and_b64 vcc, exec, s[0:1]
	v_pk_mov_b32 v[0:1], s[14:15], s[14:15] op_sel:[0,1]
	v_pk_mov_b32 v[24:25], s[12:13], s[12:13] op_sel:[0,1]
	s_cbranch_vccnz .LBB120_6
; %bb.5:                                ;   in Loop: Header=BB120_4 Depth=1
	v_pk_mov_b32 v[0:1], s[14:15], s[14:15] op_sel:[0,1]
	flat_load_dwordx2 v[0:1], v[0:1]
	v_pk_mov_b32 v[4:5], s[12:13], s[12:13] op_sel:[0,1]
	flat_load_dwordx2 v[24:25], v[4:5]
	v_mov_b32_e32 v4, s19
	s_waitcnt vmcnt(0) lgkmcnt(0)
	v_add_co_u32_e32 v0, vcc, s18, v0
	v_addc_co_u32_e32 v1, vcc, v1, v4, vcc
.LBB120_6:                              ;   in Loop: Header=BB120_4 Depth=1
	v_and_b32_e32 v56, 3, v0
	v_alignbit_b32 v0, v1, v0, 2
	v_mad_u64_u32 v[6:7], s[4:5], v0, s17, 0
	v_lshrrev_b32_e32 v1, 2, v1
	v_xor_b32_e32 v5, v7, v25
	v_xor_b32_e32 v7, v22, v24
	v_mov_b32_e32 v4, v25
	v_xor_b32_e32 v7, v7, v1
	v_add_co_u32_e32 v37, vcc, s35, v4
	v_mad_u64_u32 v[8:9], s[4:5], v7, s17, 0
	v_mad_u64_u32 v[10:11], s[4:5], v5, s31, 0
	v_add_co_u32_e32 v38, vcc, s34, v24
	v_xor_b32_e32 v5, v20, v11
	v_xor_b32_e32 v7, v37, v9
	v_xor_b32_e32 v5, v5, v38
	v_xor_b32_e32 v9, v7, v6
	v_add_co_u32_e32 v40, vcc, s36, v24
	v_add_co_u32_e32 v39, vcc, s37, v4
	v_mad_u64_u32 v[6:7], s[4:5], v5, s17, 0
	v_mad_u64_u32 v[12:13], s[4:5], v9, s31, 0
	v_xor_b32_e32 v5, v40, v13
	v_xor_b32_e32 v7, v39, v7
	v_xor_b32_e32 v5, v5, v10
	v_xor_b32_e32 v7, v7, v8
	v_add_co_u32_e32 v42, vcc, s38, v24
	v_add_co_u32_e32 v41, vcc, s39, v4
	v_mad_u64_u32 v[8:9], s[4:5], v5, s17, 0
	v_mad_u64_u32 v[10:11], s[4:5], v7, s31, 0
	;; [unrolled: 8-line block ×7, first 2 shown]
	v_xor_b32_e32 v7, v52, v7
	v_xor_b32_e32 v5, v51, v5
	;; [unrolled: 1-line block ×4, first 2 shown]
	v_mad_u64_u32 v[16:17], s[4:5], v7, s17, 0
	v_mad_u64_u32 v[18:19], s[4:5], v5, s31, 0
	v_add_u32_e32 v34, 0x8ff34781, v24
	v_add_u32_e32 v35, 0x96a522ad, v25
	v_xor_b32_e32 v5, v19, v6
	v_xor_b32_e32 v4, v17, v4
	;; [unrolled: 1-line block ×4, first 2 shown]
	v_pk_mov_b32 v[6:7], v[2:3], v[2:3] op_sel:[0,1]
	v_mov_b32_e32 v9, v18
	v_mov_b32_e32 v11, v16
	s_waitcnt vmcnt(0)
	v_cmp_gt_f32_e32 vcc, 1.0, v36
	s_mov_b64 s[4:5], -1
	v_mov_b32_e32 v19, 1.0
	v_pk_mov_b32 v[4:5], v[0:1], v[0:1] op_sel:[0,1]
                                        ; implicit-def: $sgpr6
	s_and_saveexec_b64 s[22:23], vcc
	s_cbranch_execz .LBB120_12
; %bb.7:                                ;   in Loop: Header=BB120_4 Depth=1
	v_cmp_neq_f32_e32 vcc, 0, v36
	s_mov_b64 s[26:27], 0
	v_mov_b32_e32 v19, 1.0
                                        ; implicit-def: $vgpr4_vgpr5_vgpr6_vgpr7
	s_and_saveexec_b64 s[24:25], vcc
	s_cbranch_execz .LBB120_11
; %bb.8:                                ;   in Loop: Header=BB120_4 Depth=1
	v_add_u32_e32 v17, 1, v56
	v_pk_mov_b32 v[14:15], v[10:11], v[10:11] op_sel:[0,1]
	v_pk_mov_b32 v[6:7], v[2:3], v[2:3] op_sel:[0,1]
	v_cmp_eq_u32_e32 vcc, 4, v17
	v_pk_mov_b32 v[12:13], v[8:9], v[8:9] op_sel:[0,1]
	v_pk_mov_b32 v[4:5], v[0:1], v[0:1] op_sel:[0,1]
	s_and_saveexec_b64 s[4:5], vcc
	s_cbranch_execz .LBB120_10
; %bb.9:                                ;   in Loop: Header=BB120_4 Depth=1
	v_add_co_u32_e32 v4, vcc, 1, v0
	v_cndmask_b32_e64 v0, 0, 1, vcc
	v_addc_co_u32_e32 v5, vcc, 0, v1, vcc
	v_cmp_eq_u32_e32 vcc, 0, v5
	v_cndmask_b32_e32 v0, 0, v0, vcc
	v_add_u32_e32 v6, v0, v2
	v_cmp_eq_u32_e32 vcc, 0, v6
	v_cndmask_b32_e32 v7, 0, v0, vcc
	v_mad_u64_u32 v[0:1], s[6:7], v4, s17, 0
	v_mad_u64_u32 v[12:13], s[6:7], v6, s31, 0
	v_xor_b32_e32 v9, v13, v24
	v_xor_b32_e32 v1, v1, v25
	v_xor_b32_e32 v9, v5, v9
	v_xor_b32_e32 v1, v7, v1
	v_mad_u64_u32 v[14:15], s[6:7], v9, s17, 0
	v_mad_u64_u32 v[54:55], s[6:7], v1, s31, 0
	v_xor_b32_e32 v1, v38, v55
	v_xor_b32_e32 v9, v37, v15
	v_xor_b32_e32 v1, v1, v12
	v_xor_b32_e32 v9, v9, v0
	;; [unrolled: 6-line block ×9, first 2 shown]
	v_mad_u64_u32 v[38:39], s[6:7], v9, s17, 0
	v_mad_u64_u32 v[40:41], s[6:7], v1, s31, 0
	v_xor_b32_e32 v1, v41, v12
	v_xor_b32_e32 v0, v39, v0
	v_mov_b32_e32 v17, 0
	v_xor_b32_e32 v12, v34, v1
	v_xor_b32_e32 v14, v35, v0
	v_mov_b32_e32 v13, v40
	v_mov_b32_e32 v15, v38
.LBB120_10:                             ;   in Loop: Header=BB120_4 Depth=1
	s_or_b64 exec, exec, s[4:5]
	v_cmp_eq_u32_e32 vcc, 1, v56
	v_cndmask_b32_e32 v0, v8, v18, vcc
	v_cmp_eq_u32_e32 vcc, 2, v56
	v_cndmask_b32_e32 v0, v0, v10, vcc
	;; [unrolled: 2-line block ×3, first 2 shown]
	v_div_scale_f32 v1, s[4:5], v36, v36, 1.0
	v_cvt_f32_u32_e32 v0, v0
	v_rcp_f32_e32 v8, v1
	v_mov_b32_e32 v9, 0x2f800000
	s_mov_b64 s[26:27], exec
	v_fmac_f32_e32 v9, 0x2f800000, v0
	v_fma_f32 v0, -v1, v8, 1.0
	v_fmac_f32_e32 v8, v0, v8
	v_div_scale_f32 v0, vcc, 1.0, v36, 1.0
	v_sub_f32_e32 v46, 1.0, v9
	v_mul_f32_e32 v9, v0, v8
	v_fma_f32 v10, -v1, v9, v0
	v_fmac_f32_e32 v9, v10, v8
	v_fma_f32 v0, -v1, v9, v0
	v_div_fmas_f32 v0, v0, v8, v9
	v_div_fixup_f32 v47, v0, v36, 1.0
	v_cmp_eq_f32_e32 vcc, 1.0, v46
	v_cndmask_b32_e64 v48, v47, 1.0, vcc
	v_cmp_eq_f32_e64 s[4:5], 0, v48
	v_cndmask_b32_e64 v49, |v46|, 1.0, s[4:5]
	v_frexp_mant_f32_e32 v0, v49
	v_cmp_gt_f32_e64 s[6:7], s43, v0
	v_cndmask_b32_e64 v1, 1.0, 2.0, s[6:7]
	v_mul_f32_e32 v0, v0, v1
	v_add_f32_e32 v9, 1.0, v0
	v_rcp_f32_e32 v16, v9
	v_add_f32_e32 v1, -1.0, v9
	v_sub_f32_e32 v11, v0, v1
	v_add_f32_e32 v1, -1.0, v0
	v_mul_f32_e32 v37, v1, v16
	v_mul_f32_e32 v8, v9, v37
	v_fma_f32 v10, v37, v9, -v8
	v_fmac_f32_e32 v10, v37, v11
	v_add_f32_e32 v0, v8, v10
	v_sub_f32_e32 v9, v1, v0
	v_pk_add_f32 v[18:19], v[0:1], v[8:9] neg_lo:[0,1] neg_hi:[0,1]
	v_mov_b32_e32 v11, v0
	v_pk_add_f32 v[0:1], v[18:19], v[10:11] neg_lo:[0,1] neg_hi:[0,1]
	v_add_f32_e32 v0, v0, v1
	v_add_f32_e32 v0, v9, v0
	v_mul_f32_e32 v1, v16, v0
	v_add_f32_e32 v0, v37, v1
	v_sub_f32_e32 v8, v0, v37
	v_sub_f32_e32 v16, v1, v8
	v_mul_f32_e32 v1, v0, v0
	v_fma_f32 v9, v0, v0, -v1
	v_add_f32_e32 v8, v16, v16
	v_fmac_f32_e32 v9, v0, v8
	v_add_f32_e32 v8, v1, v9
	v_mov_b32_e32 v10, 0x3e91f4c4
	v_fmac_f32_e32 v10, 0x3e76c4e1, v8
	v_fma_f32 v10, v8, v10, v23
	v_sub_f32_e32 v1, v8, v1
	v_sub_f32_e32 v37, v9, v1
	v_mul_f32_e32 v1, v8, v10
	v_fma_f32 v9, v8, v10, -v1
	v_fmac_f32_e32 v9, v37, v10
	v_add_f32_e32 v10, v1, v9
	v_add_f32_e32 v11, 0x3f2aaaaa, v10
	v_sub_f32_e32 v1, v10, v1
	v_sub_f32_e32 v1, v9, v1
	v_add_f32_e32 v9, 0xbf2aaaaa, v11
	v_add_f32_e32 v1, 0x31739010, v1
	v_sub_f32_e32 v9, v10, v9
	v_pk_mul_f32 v[18:19], v[0:1], v[8:9]
	v_fma_f32 v10, v8, v0, -v18
	v_pk_add_f32 v[38:39], v[0:1], v[8:9]
	v_fmac_f32_e32 v10, v8, v16
	v_mov_b32_e32 v19, v39
	v_fmac_f32_e32 v10, v37, v0
	v_pk_add_f32 v[8:9], v[18:19], v[10:11]
	v_sub_f32_e32 v1, v8, v18
	v_sub_f32_e32 v1, v10, v1
	;; [unrolled: 1-line block ×3, first 2 shown]
	v_add_f32_e32 v37, v39, v10
	v_mov_b32_e32 v10, v9
	v_pk_mul_f32 v[10:11], v[8:9], v[10:11]
	v_cvt_f64_f32_e32 v[18:19], v49
	v_frexp_exp_i32_f64_e32 v11, v[18:19]
	v_subbrev_co_u32_e64 v11, s[6:7], 0, v11, s[6:7]
	v_cvt_f32_i32_e32 v11, v11
	v_fma_f32 v18, v8, v9, -v10
	v_fmac_f32_e32 v18, v8, v37
	v_fmac_f32_e32 v18, v1, v9
	v_mul_f32_e32 v8, 0x3f317218, v11
	v_fma_f32 v38, v11, s44, -v8
	v_fmac_f32_e32 v38, 0xb102e308, v11
	v_ldexp_f32 v39, v0, 1
	v_add_f32_e32 v9, v10, v18
	v_pk_add_f32 v[0:1], v[8:9], v[38:39]
	v_mov_b32_e32 v40, v9
	v_mov_b32_e32 v41, v1
	;; [unrolled: 1-line block ×3, first 2 shown]
	v_pk_add_f32 v[10:11], v[40:41], v[10:11] neg_lo:[0,1] neg_hi:[0,1]
	v_mov_b32_e32 v19, v9
	v_ldexp_f32 v16, v16, 1
	v_pk_add_f32 v[10:11], v[18:19], v[10:11] neg_lo:[0,1] neg_hi:[0,1]
	v_add_f32_e32 v9, v16, v10
	v_add_f32_e32 v9, v9, v11
	v_pk_add_f32 v[10:11], v[0:1], v[8:9] neg_lo:[0,1] neg_hi:[0,1]
	v_pk_add_f32 v[18:19], v[0:1], v[8:9]
	v_mov_b32_e32 v40, v10
	v_mov_b32_e32 v41, v19
	;; [unrolled: 1-line block ×3, first 2 shown]
	v_pk_add_f32 v[40:41], v[38:39], v[40:41]
	v_mov_b32_e32 v8, v41
	v_pk_add_f32 v[42:43], v[8:9], v[0:1] neg_lo:[0,1] neg_hi:[0,1]
	v_mov_b32_e32 v37, v42
	v_mov_b32_e32 v40, v19
	;; [unrolled: 1-line block ×4, first 2 shown]
	v_pk_add_f32 v[10:11], v[38:39], v[10:11] neg_lo:[0,1] neg_hi:[0,1]
	v_pk_add_f32 v[44:45], v[18:19], v[36:37] neg_lo:[0,1] neg_hi:[0,1]
	v_pk_add_f32 v[0:1], v[40:41], v[0:1] neg_lo:[0,1] neg_hi:[0,1]
	v_mov_b32_e32 v38, v9
	v_pk_add_f32 v[0:1], v[38:39], v[0:1] neg_lo:[0,1] neg_hi:[0,1]
	v_mov_b32_e32 v44, v10
	v_pk_add_f32 v[18:19], v[44:45], v[0:1]
	v_mov_b32_e32 v16, v19
	v_pk_add_f32 v[38:39], v[18:19], v[16:17]
	v_pk_add_f32 v[8:9], v[8:9], v[38:39]
	v_mov_b32_e32 v11, v41
	v_mov_b32_e32 v19, v8
	v_pk_add_f32 v[40:41], v[18:19], v[10:11] neg_lo:[0,1] neg_hi:[0,1]
	v_mov_b32_e32 v1, v38
	v_sub_f32_e32 v9, v18, v40
	v_pk_add_f32 v[0:1], v[0:1], v[40:41] neg_lo:[0,1] neg_hi:[0,1]
	v_sub_f32_e32 v9, v10, v9
	v_add_f32_e32 v0, v0, v9
	v_add_f32_e32 v0, v0, v1
	;; [unrolled: 1-line block ×3, first 2 shown]
	v_sub_f32_e32 v8, v1, v8
	v_sub_f32_e32 v0, v0, v8
	v_mul_f32_e32 v8, v48, v1
	v_fma_f32 v1, v48, v1, -v8
	v_fmac_f32_e32 v1, v48, v0
	v_add_f32_e32 v0, v8, v1
	v_cmp_class_f32_e64 s[6:7], v8, s45
	v_sub_f32_e32 v9, v0, v8
	v_cndmask_b32_e64 v0, v0, v8, s[6:7]
	v_cmp_eq_f32_e64 s[6:7], s47, v0
	v_cndmask_b32_e64 v8, 0, v27, s[6:7]
	v_sub_f32_e32 v1, v1, v9
	v_sub_f32_e32 v9, v0, v8
	v_mul_f32_e32 v10, 0x3fb8aa3b, v9
	v_fma_f32 v11, v9, s48, -v10
	v_rndne_f32_e32 v16, v10
	v_fmac_f32_e32 v11, 0x32a5705f, v9
	v_sub_f32_e32 v10, v10, v16
	v_add_f32_e32 v10, v10, v11
	v_exp_f32_e32 v10, v10
	v_cvt_i32_f32_e32 v11, v16
	v_cmp_neq_f32_e64 s[6:7], |v0|, s46
	v_cndmask_b32_e64 v0, 0, v1, s[6:7]
	v_cmp_ngt_f32_e64 s[6:7], s49, v9
	v_ldexp_f32 v1, v10, v11
	v_cndmask_b32_e64 v1, 0, v1, s[6:7]
	v_cmp_nlt_f32_e64 s[6:7], s47, v9
	v_add_f32_e32 v0, v8, v0
	v_cndmask_b32_e64 v1, v28, v1, s[6:7]
	v_fma_f32 v0, v1, v0, v1
	v_cmp_class_f32_e64 s[6:7], v1, s45
	v_trunc_f32_e32 v8, v48
	v_cndmask_b32_e64 v0, v0, v1, s[6:7]
	v_cndmask_b32_e64 v1, v46, 1.0, s[4:5]
	v_cmp_eq_f32_e64 s[4:5], v8, v48
	v_mul_f32_e32 v8, 0.5, v48
	v_trunc_f32_e32 v9, v8
	v_cmp_neq_f32_e64 s[6:7], v9, v8
	s_and_b64 s[6:7], s[4:5], s[6:7]
	v_cndmask_b32_e64 v8, 1.0, v1, s[6:7]
	v_bfi_b32 v0, s50, v0, v8
	v_cndmask_b32_e64 v8, v29, v0, s[4:5]
	v_cmp_gt_f32_e64 s[4:5], 0, v1
	v_cndmask_b32_e64 v0, v0, v8, s[4:5]
	v_cndmask_b32_e64 v8, |v47|, 1.0, vcc
	v_cmp_neq_f32_e32 vcc, v48, v8
	v_cmp_gt_f32_e64 s[4:5], 1.0, v49
	s_xor_b64 s[4:5], vcc, s[4:5]
	v_cndmask_b32_e64 v9, v8, 0, s[4:5]
	v_cmp_eq_f32_e32 vcc, 1.0, v49
	v_cmp_eq_f32_e64 s[4:5], 0, v1
	v_cmp_gt_f32_e64 s[8:9], 0, v48
	v_cndmask_b32_e32 v9, v9, v49, vcc
	v_cmp_eq_f32_e32 vcc, s46, v8
	s_xor_b64 s[8:9], s[8:9], s[4:5]
	v_cndmask_b32_e32 v0, v0, v9, vcc
	v_cmp_eq_f32_e32 vcc, s46, v49
	v_cndmask_b32_e64 v8, v28, 0, s[8:9]
	v_cndmask_b32_e64 v1, 0, v1, s[6:7]
	v_bfi_b32 v1, s50, v8, v1
	s_or_b64 vcc, vcc, s[4:5]
	v_pk_mov_b32 v[8:9], v[12:13], v[12:13] op_sel:[0,1]
	v_cndmask_b32_e32 v19, v0, v1, vcc
	v_add_f32_e32 v36, 1.0, v36
	v_pk_mov_b32 v[10:11], v[14:15], v[14:15] op_sel:[0,1]
	v_mov_b32_e32 v56, v17
.LBB120_11:                             ;   in Loop: Header=BB120_4 Depth=1
	s_or_b64 exec, exec, s[24:25]
	s_mov_b32 s6, 0
	s_orn2_b64 s[4:5], s[26:27], exec
.LBB120_12:                             ;   in Loop: Header=BB120_4 Depth=1
	s_or_b64 exec, exec, s[22:23]
	v_mov_b32_e32 v38, s6
	s_and_saveexec_b64 s[6:7], s[4:5]
	s_cbranch_execz .LBB120_3
; %bb.13:                               ;   in Loop: Header=BB120_4 Depth=1
	v_add_f32_e32 v36, 0xbeaaaaab, v36
	v_mul_f32_e32 v0, 0x41100000, v36
	v_mul_f32_e32 v1, 0x4f800000, v0
	v_cmp_gt_f32_e32 vcc, s51, v0
	v_cndmask_b32_e32 v0, v0, v1, vcc
	v_sqrt_f32_e32 v1, v0
	v_mul_f32_e32 v39, v19, v36
	v_add_u32_e32 v40, 0x9e3779b9, v24
	v_add_u32_e32 v41, 0xbb67ae85, v25
	v_add_u32_e32 v12, -1, v1
	v_fma_f32 v14, -v12, v1, v0
	v_add_u32_e32 v13, 1, v1
	v_cmp_ge_f32_e64 s[4:5], 0, v14
	v_cndmask_b32_e64 v12, v1, v12, s[4:5]
	v_fma_f32 v1, -v13, v1, v0
	v_cmp_lt_f32_e64 s[4:5], 0, v1
	v_cndmask_b32_e64 v1, v12, v13, s[4:5]
	v_mul_f32_e32 v12, 0x37800000, v1
	v_cndmask_b32_e32 v1, v1, v12, vcc
	v_cmp_class_f32_e32 vcc, v0, v26
	v_cndmask_b32_e32 v0, v1, v0, vcc
	v_div_scale_f32 v1, s[4:5], v0, v0, 1.0
	v_rcp_f32_e32 v12, v1
	v_add_u32_e32 v42, 0x3c6ef372, v24
	v_add_u32_e32 v43, 0x76cf5d0a, v25
	;; [unrolled: 1-line block ×3, first 2 shown]
	v_fma_f32 v13, -v1, v12, 1.0
	v_fmac_f32_e32 v12, v13, v12
	v_div_scale_f32 v13, vcc, 1.0, v0, 1.0
	v_mul_f32_e32 v14, v13, v12
	v_fma_f32 v15, -v1, v14, v13
	v_fmac_f32_e32 v14, v15, v12
	v_fma_f32 v1, -v1, v14, v13
	v_div_fmas_f32 v1, v1, v12, v14
	v_div_fixup_f32 v37, v1, v0, 1.0
	v_add_u32_e32 v45, 0x32370b8f, v25
	v_add_u32_e32 v46, 0x78dde6e4, v24
	;; [unrolled: 1-line block ×11, first 2 shown]
	s_mov_b64 s[8:9], 0
	v_mov_b32_e32 v58, 0
                                        ; implicit-def: $vgpr0
                                        ; implicit-def: $vgpr38
	s_branch .LBB120_15
.LBB120_14:                             ;   in Loop: Header=BB120_15 Depth=2
	s_or_b64 exec, exec, s[22:23]
	s_xor_b64 s[4:5], s[4:5], -1
	s_and_b64 s[4:5], exec, s[4:5]
	s_or_b64 s[8:9], s[4:5], s[8:9]
	s_andn2_b64 exec, exec, s[8:9]
	s_cbranch_execz .LBB120_2
.LBB120_15:                             ;   Parent Loop BB120_4 Depth=1
                                        ; =>  This Loop Header: Depth=2
                                        ;       Child Loop BB120_18 Depth 3
	v_pk_mov_b32 v[14:15], v[10:11], v[10:11] op_sel:[0,1]
	s_mov_b64 s[22:23], 0
	v_mov_b32_e32 v57, v56
	v_pk_mov_b32 v[12:13], v[8:9], v[8:9] op_sel:[0,1]
	s_branch .LBB120_18
.LBB120_16:                             ;   in Loop: Header=BB120_18 Depth=3
	s_or_b64 exec, exec, s[4:5]
	v_cmp_eq_u32_e32 vcc, 1, v57
	v_cndmask_b32_e32 v1, v12, v13, vcc
	v_cmp_eq_u32_e32 vcc, 2, v57
	v_cndmask_b32_e32 v1, v1, v14, vcc
	;; [unrolled: 2-line block ×3, first 2 shown]
	v_cvt_f32_u32_e32 v1, v1
	v_cmp_eq_u32_e32 vcc, 1, v0
	v_cndmask_b32_e32 v8, v8, v9, vcc
	v_mov_b32_e32 v9, 0x2f800000
	v_cmp_eq_u32_e32 vcc, 2, v0
	v_fmac_f32_e32 v9, 0x2f800000, v1
	v_cndmask_b32_e32 v8, v8, v10, vcc
	v_cmp_gt_f32_e32 vcc, s55, v9
	v_cndmask_b32_e32 v1, 1.0, v30, vcc
	v_mul_f32_e32 v1, v9, v1
	v_log_f32_e32 v1, v1
	v_cmp_eq_u32_e64 s[4:5], 3, v0
	v_cndmask_b32_e64 v0, v8, v11, s[4:5]
	v_cvt_f32_u32_e32 v0, v0
	v_mul_f32_e32 v8, 0x3f317217, v1
	v_fma_f32 v9, v1, s56, -v8
	v_fmac_f32_e32 v9, 0x3377d1cf, v1
	v_add_f32_e32 v8, v8, v9
	v_cmp_lt_f32_e64 s[4:5], |v1|, s46
	v_cndmask_b32_e64 v1, v1, v8, s[4:5]
	v_cndmask_b32_e32 v8, 0, v31, vcc
	v_sub_f32_e32 v1, v1, v8
	v_mul_f32_e32 v1, -2.0, v1
	v_mul_f32_e32 v8, 0x4f800000, v1
	v_cmp_gt_f32_e32 vcc, s51, v1
	v_cndmask_b32_e32 v8, v1, v8, vcc
	v_sqrt_f32_e32 v1, v8
	v_mov_b32_e32 v9, 0x30c90fdb
	v_fmac_f32_e32 v9, 0x30c90fdb, v0
	v_pk_mov_b32 v[12:13], v[16:17], v[16:17] op_sel:[0,1]
	v_add_u32_e32 v0, -1, v1
	v_fma_f32 v10, -v0, v1, v8
	v_cmp_ge_f32_e64 s[4:5], 0, v10
	v_add_u32_e32 v10, 1, v1
	v_cndmask_b32_e64 v0, v1, v0, s[4:5]
	v_fma_f32 v1, -v10, v1, v8
	v_cmp_lt_f32_e64 s[4:5], 0, v1
	v_cndmask_b32_e64 v10, v0, v10, s[4:5]
	v_mul_f32_e32 v0, 0.15915494, v9
	v_sin_f32_e32 v1, v0
	v_cos_f32_e32 v0, v0
	v_mul_f32_e32 v11, 0x37800000, v10
	v_cndmask_b32_e32 v9, v10, v11, vcc
	v_cmp_class_f32_e32 vcc, v8, v26
	v_cndmask_b32_e32 v8, v9, v8, vcc
	v_pk_mul_f32 v[0:1], v[8:9], v[0:1] op_sel_hi:[0,1]
	v_mov_b32_e32 v58, 1
	v_pk_mov_b32 v[14:15], v[18:19], v[18:19] op_sel:[0,1]
	v_mov_b32_e32 v57, v56
.LBB120_17:                             ;   in Loop: Header=BB120_18 Depth=3
	s_or_b64 exec, exec, s[24:25]
	v_fma_f32 v16, v37, v1, 1.0
	v_cmp_nge_f32_e32 vcc, 0, v16
	s_or_b64 s[22:23], vcc, s[22:23]
	s_andn2_b64 exec, exec, s[22:23]
	s_cbranch_execz .LBB120_23
.LBB120_18:                             ;   Parent Loop BB120_4 Depth=1
                                        ;     Parent Loop BB120_15 Depth=2
                                        ; =>    This Inner Loop Header: Depth=3
	v_cmp_eq_u32_e32 vcc, 0, v58
	v_mov_b32_e32 v58, 0
	v_mov_b32_e32 v1, v0
	s_and_saveexec_b64 s[24:25], vcc
	s_cbranch_execz .LBB120_17
; %bb.19:                               ;   in Loop: Header=BB120_18 Depth=3
	v_add_u32_e32 v0, 1, v57
	v_pk_mov_b32 v[8:9], v[12:13], v[12:13] op_sel:[0,1]
	v_cmp_eq_u32_e32 vcc, 4, v0
	v_pk_mov_b32 v[10:11], v[14:15], v[14:15] op_sel:[0,1]
	s_and_saveexec_b64 s[4:5], vcc
	s_cbranch_execz .LBB120_21
; %bb.20:                               ;   in Loop: Header=BB120_18 Depth=3
	v_add_co_u32_e32 v4, vcc, 1, v4
	v_cndmask_b32_e64 v1, 0, 1, vcc
	v_addc_co_u32_e32 v5, vcc, 0, v5, vcc
	v_cmp_eq_u32_e32 vcc, 0, v5
	v_cndmask_b32_e32 v1, 0, v1, vcc
	v_add_u32_e32 v6, v1, v6
	v_cmp_eq_u32_e32 vcc, 0, v6
	v_cndmask_b32_e32 v1, 0, v1, vcc
	v_mad_u64_u32 v[8:9], s[26:27], v4, s17, 0
	v_mad_u64_u32 v[10:11], s[26:27], v6, s31, 0
	v_add_u32_e32 v7, v1, v7
	v_xor_b32_e32 v1, v11, v24
	v_xor_b32_e32 v9, v9, v25
	v_xor_b32_e32 v1, v5, v1
	v_xor_b32_e32 v9, v7, v9
	v_mad_u64_u32 v[16:17], s[26:27], v1, s17, 0
	v_mad_u64_u32 v[18:19], s[26:27], v9, s31, 0
	v_xor_b32_e32 v1, v19, v10
	v_xor_b32_e32 v8, v17, v8
	v_xor_b32_e32 v1, v40, v1
	v_xor_b32_e32 v10, v41, v8
	v_mad_u64_u32 v[8:9], s[26:27], v1, s17, 0
	v_mad_u64_u32 v[10:11], s[26:27], v10, s31, 0
	;; [unrolled: 6-line block ×9, first 2 shown]
	v_xor_b32_e32 v1, v19, v8
	v_xor_b32_e32 v8, v34, v1
	;; [unrolled: 1-line block ×3, first 2 shown]
	v_mov_b32_e32 v0, 0
	v_xor_b32_e32 v10, v35, v1
	v_mov_b32_e32 v9, v18
	v_mov_b32_e32 v11, v16
.LBB120_21:                             ;   in Loop: Header=BB120_18 Depth=3
	s_or_b64 exec, exec, s[4:5]
	v_add_u32_e32 v56, 1, v0
	v_pk_mov_b32 v[18:19], v[10:11], v[10:11] op_sel:[0,1]
	v_cmp_eq_u32_e32 vcc, 4, v56
	v_pk_mov_b32 v[16:17], v[8:9], v[8:9] op_sel:[0,1]
	s_and_saveexec_b64 s[4:5], vcc
	s_cbranch_execz .LBB120_16
; %bb.22:                               ;   in Loop: Header=BB120_18 Depth=3
	v_add_co_u32_e32 v4, vcc, 1, v4
	v_cndmask_b32_e64 v1, 0, 1, vcc
	v_addc_co_u32_e32 v5, vcc, 0, v5, vcc
	v_cmp_eq_u32_e32 vcc, 0, v5
	v_cndmask_b32_e32 v1, 0, v1, vcc
	v_add_u32_e32 v6, v1, v6
	v_cmp_eq_u32_e32 vcc, 0, v6
	v_cndmask_b32_e32 v1, 0, v1, vcc
	v_mad_u64_u32 v[16:17], s[26:27], v4, s17, 0
	v_mad_u64_u32 v[18:19], s[26:27], v6, s31, 0
	v_add_u32_e32 v7, v1, v7
	v_xor_b32_e32 v1, v19, v24
	v_xor_b32_e32 v17, v17, v25
	v_xor_b32_e32 v1, v5, v1
	v_xor_b32_e32 v17, v7, v17
	v_mad_u64_u32 v[58:59], s[26:27], v1, s17, 0
	v_mad_u64_u32 v[60:61], s[26:27], v17, s31, 0
	v_xor_b32_e32 v1, v61, v18
	v_xor_b32_e32 v16, v59, v16
	v_xor_b32_e32 v1, v40, v1
	v_xor_b32_e32 v18, v41, v16
	v_mad_u64_u32 v[16:17], s[26:27], v1, s17, 0
	v_mad_u64_u32 v[18:19], s[26:27], v18, s31, 0
	;; [unrolled: 6-line block ×9, first 2 shown]
	v_xor_b32_e32 v1, v61, v16
	v_xor_b32_e32 v16, v34, v1
	;; [unrolled: 1-line block ×3, first 2 shown]
	v_mov_b32_e32 v56, 0
	v_xor_b32_e32 v18, v35, v1
	v_mov_b32_e32 v17, v60
	v_mov_b32_e32 v19, v58
	s_branch .LBB120_16
.LBB120_23:                             ;   in Loop: Header=BB120_15 Depth=2
	s_or_b64 exec, exec, s[22:23]
	v_add_u32_e32 v56, 1, v57
	v_pk_mov_b32 v[8:9], v[12:13], v[12:13] op_sel:[0,1]
	v_cmp_eq_u32_e32 vcc, 4, v56
	v_pk_mov_b32 v[10:11], v[14:15], v[14:15] op_sel:[0,1]
	s_and_saveexec_b64 s[4:5], vcc
	s_cbranch_execz .LBB120_25
; %bb.24:                               ;   in Loop: Header=BB120_15 Depth=2
	v_add_co_u32_e32 v4, vcc, 1, v4
	v_cndmask_b32_e64 v8, 0, 1, vcc
	v_addc_co_u32_e32 v5, vcc, 0, v5, vcc
	v_cmp_eq_u32_e32 vcc, 0, v5
	v_cndmask_b32_e32 v8, 0, v8, vcc
	v_add_u32_e32 v6, v8, v6
	v_cmp_eq_u32_e32 vcc, 0, v6
	v_cndmask_b32_e32 v8, 0, v8, vcc
	v_add_u32_e32 v7, v8, v7
	v_mad_u64_u32 v[8:9], s[22:23], v4, s17, 0
	v_mad_u64_u32 v[10:11], s[22:23], v6, s31, 0
	v_xor_b32_e32 v11, v11, v24
	v_xor_b32_e32 v9, v9, v25
	v_xor_b32_e32 v11, v5, v11
	v_xor_b32_e32 v9, v7, v9
	v_mad_u64_u32 v[18:19], s[22:23], v11, s17, 0
	v_mad_u64_u32 v[60:61], s[22:23], v9, s31, 0
	v_xor_b32_e32 v9, v61, v10
	v_xor_b32_e32 v8, v19, v8
	v_xor_b32_e32 v9, v40, v9
	v_xor_b32_e32 v10, v41, v8
	;; [unrolled: 6-line block ×9, first 2 shown]
	v_mad_u64_u32 v[18:19], s[22:23], v9, s17, 0
	v_mad_u64_u32 v[60:61], s[22:23], v11, s31, 0
	v_xor_b32_e32 v8, v61, v8
	v_xor_b32_e32 v9, v19, v10
	v_mov_b32_e32 v56, 0
	v_xor_b32_e32 v8, v34, v8
	v_xor_b32_e32 v10, v35, v9
	v_mov_b32_e32 v9, v60
	v_mov_b32_e32 v11, v18
.LBB120_25:                             ;   in Loop: Header=BB120_15 Depth=2
	s_or_b64 exec, exec, s[4:5]
	v_cmp_eq_u32_e32 vcc, 1, v57
	v_cndmask_b32_e32 v12, v12, v13, vcc
	v_cmp_eq_u32_e32 vcc, 2, v57
	v_cndmask_b32_e32 v12, v12, v14, vcc
	;; [unrolled: 2-line block ×3, first 2 shown]
	v_cvt_f32_u32_e32 v13, v12
	v_mov_b32_e32 v14, 0x2f800000
	v_mul_f32_e32 v1, v1, v1
	v_mul_f32_e32 v12, v16, v16
	v_fmac_f32_e32 v14, 0x2f800000, v13
	v_sub_f32_e32 v13, 1.0, v14
	v_mul_f32_e32 v14, 0xbd0793de, v1
	v_fma_f32 v14, v1, v14, 1.0
	v_mul_f32_e32 v12, v16, v12
	v_cmp_nlt_f32_e32 vcc, v13, v14
                                        ; implicit-def: $sgpr4_sgpr5
	s_and_saveexec_b64 s[22:23], vcc
	s_xor_b64 s[22:23], exec, s[22:23]
	s_cbranch_execz .LBB120_29
; %bb.26:                               ;   in Loop: Header=BB120_15 Depth=2
	v_cmp_gt_f32_e32 vcc, s55, v13
	v_cndmask_b32_e32 v14, 1.0, v30, vcc
	v_mul_f32_e32 v13, v13, v14
	v_log_f32_e32 v13, v13
	v_mul_f32_e32 v14, 0x3f317217, v13
	v_fma_f32 v15, v13, s56, -v14
	v_fmac_f32_e32 v15, 0x3377d1cf, v13
	v_add_f32_e32 v14, v14, v15
	v_cmp_lt_f32_e64 s[4:5], |v13|, s46
	v_cndmask_b32_e64 v13, v13, v14, s[4:5]
	v_cmp_gt_f32_e64 s[4:5], s55, v12
	v_cndmask_b32_e64 v14, 1.0, v30, s[4:5]
	v_mul_f32_e32 v14, v12, v14
	v_log_f32_e32 v14, v14
	v_cndmask_b32_e32 v15, 0, v31, vcc
	v_sub_f32_e32 v13, v13, v15
	v_sub_f32_e32 v15, 1.0, v12
	v_mul_f32_e32 v16, 0x3f317217, v14
	v_fma_f32 v17, v14, s56, -v16
	v_fmac_f32_e32 v17, 0x3377d1cf, v14
	v_add_f32_e32 v16, v16, v17
	v_cmp_lt_f32_e64 vcc, |v14|, s46
	v_cndmask_b32_e32 v14, v14, v16, vcc
	v_cndmask_b32_e64 v16, 0, v31, s[4:5]
	v_sub_f32_e32 v14, v14, v16
	v_add_f32_e32 v14, v15, v14
	v_mul_f32_e32 v14, v36, v14
	v_fmac_f32_e32 v14, 0.5, v1
	v_cmp_lt_f32_e32 vcc, v13, v14
	s_mov_b64 s[4:5], -1
	s_and_saveexec_b64 s[24:25], vcc
; %bb.27:                               ;   in Loop: Header=BB120_15 Depth=2
	v_mul_f32_e32 v38, v39, v12
	s_xor_b64 s[4:5], exec, -1
; %bb.28:                               ;   in Loop: Header=BB120_15 Depth=2
	s_or_b64 exec, exec, s[24:25]
	s_and_b64 s[4:5], s[4:5], exec
                                        ; implicit-def: $vgpr12
.LBB120_29:                             ;   in Loop: Header=BB120_15 Depth=2
	s_andn2_saveexec_b64 s[22:23], s[22:23]
	s_cbranch_execz .LBB120_14
; %bb.30:                               ;   in Loop: Header=BB120_15 Depth=2
	v_mul_f32_e32 v38, v39, v12
	s_andn2_b64 s[4:5], s[4:5], exec
	s_branch .LBB120_14
.LBB120_31:
	s_endpgm
	.section	.rodata,"a",@progbits
	.p2align	6, 0x0
	.amdhsa_kernel _ZN2at4cuda12_GLOBAL__N_121kernelPointwiseApply2IZN12_GLOBAL__N_117gamma_cuda_kernelIfEEvRKNS_10TensorBaseES7_NS_15PhiloxCudaStateEEUlRfRKfE_ffjLi1ELi1ELi1ELi256ELi2EEEvNS0_6detail10TensorInfoIT0_T2_EENSE_IT1_SG_EESG_T_
		.amdhsa_group_segment_fixed_size 0
		.amdhsa_private_segment_fixed_size 0
		.amdhsa_kernarg_size 728
		.amdhsa_user_sgpr_count 6
		.amdhsa_user_sgpr_private_segment_buffer 1
		.amdhsa_user_sgpr_dispatch_ptr 0
		.amdhsa_user_sgpr_queue_ptr 0
		.amdhsa_user_sgpr_kernarg_segment_ptr 1
		.amdhsa_user_sgpr_dispatch_id 0
		.amdhsa_user_sgpr_flat_scratch_init 0
		.amdhsa_user_sgpr_kernarg_preload_length 0
		.amdhsa_user_sgpr_kernarg_preload_offset 0
		.amdhsa_user_sgpr_private_segment_size 0
		.amdhsa_uses_dynamic_stack 0
		.amdhsa_system_sgpr_private_segment_wavefront_offset 0
		.amdhsa_system_sgpr_workgroup_id_x 1
		.amdhsa_system_sgpr_workgroup_id_y 0
		.amdhsa_system_sgpr_workgroup_id_z 0
		.amdhsa_system_sgpr_workgroup_info 0
		.amdhsa_system_vgpr_workitem_id 0
		.amdhsa_next_free_vgpr 62
		.amdhsa_next_free_sgpr 61
		.amdhsa_accum_offset 64
		.amdhsa_reserve_vcc 1
		.amdhsa_reserve_flat_scratch 0
		.amdhsa_float_round_mode_32 0
		.amdhsa_float_round_mode_16_64 0
		.amdhsa_float_denorm_mode_32 3
		.amdhsa_float_denorm_mode_16_64 3
		.amdhsa_dx10_clamp 1
		.amdhsa_ieee_mode 1
		.amdhsa_fp16_overflow 0
		.amdhsa_tg_split 0
		.amdhsa_exception_fp_ieee_invalid_op 0
		.amdhsa_exception_fp_denorm_src 0
		.amdhsa_exception_fp_ieee_div_zero 0
		.amdhsa_exception_fp_ieee_overflow 0
		.amdhsa_exception_fp_ieee_underflow 0
		.amdhsa_exception_fp_ieee_inexact 0
		.amdhsa_exception_int_div_zero 0
	.end_amdhsa_kernel
	.section	.text._ZN2at4cuda12_GLOBAL__N_121kernelPointwiseApply2IZN12_GLOBAL__N_117gamma_cuda_kernelIfEEvRKNS_10TensorBaseES7_NS_15PhiloxCudaStateEEUlRfRKfE_ffjLi1ELi1ELi1ELi256ELi2EEEvNS0_6detail10TensorInfoIT0_T2_EENSE_IT1_SG_EESG_T_,"axG",@progbits,_ZN2at4cuda12_GLOBAL__N_121kernelPointwiseApply2IZN12_GLOBAL__N_117gamma_cuda_kernelIfEEvRKNS_10TensorBaseES7_NS_15PhiloxCudaStateEEUlRfRKfE_ffjLi1ELi1ELi1ELi256ELi2EEEvNS0_6detail10TensorInfoIT0_T2_EENSE_IT1_SG_EESG_T_,comdat
.Lfunc_end120:
	.size	_ZN2at4cuda12_GLOBAL__N_121kernelPointwiseApply2IZN12_GLOBAL__N_117gamma_cuda_kernelIfEEvRKNS_10TensorBaseES7_NS_15PhiloxCudaStateEEUlRfRKfE_ffjLi1ELi1ELi1ELi256ELi2EEEvNS0_6detail10TensorInfoIT0_T2_EENSE_IT1_SG_EESG_T_, .Lfunc_end120-_ZN2at4cuda12_GLOBAL__N_121kernelPointwiseApply2IZN12_GLOBAL__N_117gamma_cuda_kernelIfEEvRKNS_10TensorBaseES7_NS_15PhiloxCudaStateEEUlRfRKfE_ffjLi1ELi1ELi1ELi256ELi2EEEvNS0_6detail10TensorInfoIT0_T2_EENSE_IT1_SG_EESG_T_
                                        ; -- End function
	.section	.AMDGPU.csdata,"",@progbits
; Kernel info:
; codeLenInByte = 5052
; NumSgprs: 65
; NumVgprs: 62
; NumAgprs: 0
; TotalNumVgprs: 62
; ScratchSize: 0
; MemoryBound: 0
; FloatMode: 240
; IeeeMode: 1
; LDSByteSize: 0 bytes/workgroup (compile time only)
; SGPRBlocks: 8
; VGPRBlocks: 7
; NumSGPRsForWavesPerEU: 65
; NumVGPRsForWavesPerEU: 62
; AccumOffset: 64
; Occupancy: 8
; WaveLimiterHint : 1
; COMPUTE_PGM_RSRC2:SCRATCH_EN: 0
; COMPUTE_PGM_RSRC2:USER_SGPR: 6
; COMPUTE_PGM_RSRC2:TRAP_HANDLER: 0
; COMPUTE_PGM_RSRC2:TGID_X_EN: 1
; COMPUTE_PGM_RSRC2:TGID_Y_EN: 0
; COMPUTE_PGM_RSRC2:TGID_Z_EN: 0
; COMPUTE_PGM_RSRC2:TIDIG_COMP_CNT: 0
; COMPUTE_PGM_RSRC3_GFX90A:ACCUM_OFFSET: 15
; COMPUTE_PGM_RSRC3_GFX90A:TG_SPLIT: 0
	.section	.text._ZN2at4cuda12_GLOBAL__N_121kernelPointwiseApply2IZN12_GLOBAL__N_117gamma_cuda_kernelIfEEvRKNS_10TensorBaseES7_NS_15PhiloxCudaStateEEUlRfRKfE_ffjLi1ELi2ELi1ELi256ELi2EEEvNS0_6detail10TensorInfoIT0_T2_EENSE_IT1_SG_EESG_T_,"axG",@progbits,_ZN2at4cuda12_GLOBAL__N_121kernelPointwiseApply2IZN12_GLOBAL__N_117gamma_cuda_kernelIfEEvRKNS_10TensorBaseES7_NS_15PhiloxCudaStateEEUlRfRKfE_ffjLi1ELi2ELi1ELi256ELi2EEEvNS0_6detail10TensorInfoIT0_T2_EENSE_IT1_SG_EESG_T_,comdat
	.globl	_ZN2at4cuda12_GLOBAL__N_121kernelPointwiseApply2IZN12_GLOBAL__N_117gamma_cuda_kernelIfEEvRKNS_10TensorBaseES7_NS_15PhiloxCudaStateEEUlRfRKfE_ffjLi1ELi2ELi1ELi256ELi2EEEvNS0_6detail10TensorInfoIT0_T2_EENSE_IT1_SG_EESG_T_ ; -- Begin function _ZN2at4cuda12_GLOBAL__N_121kernelPointwiseApply2IZN12_GLOBAL__N_117gamma_cuda_kernelIfEEvRKNS_10TensorBaseES7_NS_15PhiloxCudaStateEEUlRfRKfE_ffjLi1ELi2ELi1ELi256ELi2EEEvNS0_6detail10TensorInfoIT0_T2_EENSE_IT1_SG_EESG_T_
	.p2align	8
	.type	_ZN2at4cuda12_GLOBAL__N_121kernelPointwiseApply2IZN12_GLOBAL__N_117gamma_cuda_kernelIfEEvRKNS_10TensorBaseES7_NS_15PhiloxCudaStateEEUlRfRKfE_ffjLi1ELi2ELi1ELi256ELi2EEEvNS0_6detail10TensorInfoIT0_T2_EENSE_IT1_SG_EESG_T_,@function
_ZN2at4cuda12_GLOBAL__N_121kernelPointwiseApply2IZN12_GLOBAL__N_117gamma_cuda_kernelIfEEvRKNS_10TensorBaseES7_NS_15PhiloxCudaStateEEUlRfRKfE_ffjLi1ELi2ELi1ELi256ELi2EEEvNS0_6detail10TensorInfoIT0_T2_EENSE_IT1_SG_EESG_T_: ; @_ZN2at4cuda12_GLOBAL__N_121kernelPointwiseApply2IZN12_GLOBAL__N_117gamma_cuda_kernelIfEEvRKNS_10TensorBaseES7_NS_15PhiloxCudaStateEEUlRfRKfE_ffjLi1ELi2ELi1ELi256ELi2EEEvNS0_6detail10TensorInfoIT0_T2_EENSE_IT1_SG_EESG_T_
; %bb.0:
	s_load_dword s2, s[4:5], 0x1e4
	s_load_dword s28, s[4:5], 0x1b0
	s_add_u32 s0, s4, 0x1d8
	s_addc_u32 s1, s5, 0
	s_waitcnt lgkmcnt(0)
	s_and_b32 s2, s2, 0xffff
	s_mul_i32 s6, s6, s2
	v_add_u32_e32 v2, s6, v0
	v_cmp_gt_u32_e32 vcc, s28, v2
	s_and_saveexec_b64 s[6:7], vcc
	s_cbranch_execz .LBB121_33
; %bb.1:
	s_load_dwordx2 s[12:13], s[4:5], 0x0
	s_load_dword s29, s[4:5], 0x6c
	s_load_dwordx2 s[14:15], s[4:5], 0xd8
	s_load_dword s30, s[4:5], 0xe4
	;; [unrolled: 2-line block ×3, first 2 shown]
	s_load_dwordx2 s[18:19], s[4:5], 0x144
	s_load_dwordx4 s[8:11], s[4:5], 0x1b8
	s_waitcnt lgkmcnt(0)
	v_cvt_f32_u32_e32 v0, s30
	s_load_dword s33, s[0:1], 0x0
	s_mov_b32 s31, 0xcd9e8d57
	s_bitcmp1_b32 s3, 0
	v_rcp_iflag_f32_e32 v0, v0
	v_mad_u64_u32 v[20:21], s[0:1], v2, s31, 0
	s_waitcnt lgkmcnt(0)
	s_mul_i32 s33, s33, s2
	v_mul_f32_e32 v0, 0x4f7ffffe, v0
	v_cvt_u32_f32_e32 v0, v0
	s_cselect_b64 s[0:1], -1, 0
	s_sub_i32 s2, 0, s30
	v_mov_b32_e32 v22, v21
	v_mul_lo_u32 v1, s2, v0
	v_mul_hi_u32 v1, v0, v1
	v_add_u32_e32 v21, v0, v1
	v_cndmask_b32_e64 v0, 0, 1, s[0:1]
	v_mov_b32_e32 v3, 0
	s_mov_b64 s[20:21], 0
	v_mov_b32_e32 v23, s15
	v_cmp_ne_u32_e64 s[0:1], 1, v0
	s_mov_b32 s15, 0xd2511f53
	s_mov_b32 s34, 0x9e3779b9
	;; [unrolled: 1-line block ×9, first 2 shown]
	v_mov_b32_e32 v28, 0x3ecccdef
	s_mov_b32 s42, 0x3f317218
	s_movk_i32 s43, 0x204
	s_mov_b32 s44, 0x7f800000
	s_mov_b32 s45, 0x42b17218
	s_mov_b32 s46, 0x3fb8aa3b
	s_mov_b32 s47, 0xc2ce8ed0
	s_brev_b32 s48, -2
	s_mov_b32 s49, 0xf800000
	v_mov_b32_e32 v29, 0x260
	s_mov_b32 s50, 0x1715609d
	s_mov_b32 s51, 0x646e171e
	;; [unrolled: 1-line block ×11, first 2 shown]
	v_mov_b32_e32 v30, 0x37000000
	v_mov_b32_e32 v31, 0x7f800000
	;; [unrolled: 1-line block ×7, first 2 shown]
	s_branch .LBB121_4
.LBB121_2:                              ;   in Loop: Header=BB121_4 Depth=1
	s_or_b64 exec, exec, s[6:7]
.LBB121_3:                              ;   in Loop: Header=BB121_4 Depth=1
	s_or_b64 exec, exec, s[4:5]
	v_lshlrev_b64 v[0:1], 2, v[24:25]
	v_mov_b32_e32 v4, s13
	v_add_co_u32_e32 v0, vcc, s12, v0
	v_addc_co_u32_e32 v1, vcc, v4, v1, vcc
	v_cmp_ngt_f32_e32 vcc, s54, v45
	v_add_u32_e32 v36, s33, v36
	v_cndmask_b32_e32 v4, v35, v45, vcc
	v_cmp_le_u32_e32 vcc, s28, v36
	s_or_b64 s[20:21], vcc, s[20:21]
	global_store_dword v[0:1], v4, off
	s_andn2_b64 exec, exec, s[20:21]
	s_cbranch_execz .LBB121_33
.LBB121_4:                              ; =>This Loop Header: Depth=1
                                        ;     Child Loop BB121_17 Depth 2
                                        ;       Child Loop BB121_20 Depth 3
	v_sub_u32_e32 v0, s28, v36
	v_pk_mov_b32 v[24:25], 0, 0
	v_cmp_lt_i32_e32 vcc, 0, v0
	v_pk_mov_b32 v[0:1], v[24:25], v[24:25] op_sel:[0,1]
	s_and_saveexec_b64 s[2:3], vcc
	s_cbranch_execz .LBB121_6
; %bb.5:                                ;   in Loop: Header=BB121_4 Depth=1
	v_mul_hi_u32 v0, v36, v21
	v_mul_lo_u32 v1, v0, s30
	v_sub_u32_e32 v1, v36, v1
	v_add_u32_e32 v4, 1, v0
	v_cmp_le_u32_e32 vcc, s30, v1
	v_cndmask_b32_e32 v0, v0, v4, vcc
	v_subrev_u32_e32 v4, s30, v1
	v_cndmask_b32_e32 v1, v1, v4, vcc
	v_add_u32_e32 v4, 1, v0
	v_cmp_le_u32_e32 vcc, s30, v1
	v_cndmask_b32_e32 v1, v0, v4, vcc
	v_mul_lo_u32 v0, v1, s30
	v_sub_u32_e32 v0, v36, v0
	v_mul_lo_u32 v0, v0, s19
	v_mad_u64_u32 v[0:1], s[4:5], v1, s18, v[0:1]
	v_mul_lo_u32 v24, v36, s29
	v_mov_b32_e32 v25, v3
	v_mov_b32_e32 v1, v3
.LBB121_6:                              ;   in Loop: Header=BB121_4 Depth=1
	s_or_b64 exec, exec, s[2:3]
	v_lshlrev_b64 v[0:1], 2, v[0:1]
	v_add_co_u32_e32 v0, vcc, s14, v0
	v_addc_co_u32_e32 v1, vcc, v23, v1, vcc
	global_load_dword v39, v[0:1], off
	s_and_b64 vcc, exec, s[0:1]
	v_pk_mov_b32 v[0:1], s[10:11], s[10:11] op_sel:[0,1]
	v_pk_mov_b32 v[26:27], s[8:9], s[8:9] op_sel:[0,1]
	s_cbranch_vccnz .LBB121_8
; %bb.7:                                ;   in Loop: Header=BB121_4 Depth=1
	v_pk_mov_b32 v[0:1], s[10:11], s[10:11] op_sel:[0,1]
	flat_load_dwordx2 v[0:1], v[0:1]
	v_pk_mov_b32 v[4:5], s[8:9], s[8:9] op_sel:[0,1]
	flat_load_dwordx2 v[26:27], v[4:5]
	v_mov_b32_e32 v4, s17
	s_waitcnt vmcnt(0) lgkmcnt(0)
	v_add_co_u32_e32 v0, vcc, s16, v0
	v_addc_co_u32_e32 v1, vcc, v1, v4, vcc
.LBB121_8:                              ;   in Loop: Header=BB121_4 Depth=1
	v_and_b32_e32 v59, 3, v0
	v_alignbit_b32 v0, v1, v0, 2
	v_mad_u64_u32 v[6:7], s[2:3], v0, s15, 0
	v_lshrrev_b32_e32 v1, 2, v1
	v_xor_b32_e32 v5, v7, v27
	v_xor_b32_e32 v7, v22, v26
	v_mov_b32_e32 v4, v27
	v_xor_b32_e32 v7, v7, v1
	v_add_co_u32_e32 v40, vcc, s35, v4
	v_mad_u64_u32 v[8:9], s[2:3], v7, s15, 0
	v_mad_u64_u32 v[10:11], s[2:3], v5, s31, 0
	v_add_co_u32_e32 v41, vcc, s34, v26
	v_xor_b32_e32 v5, v20, v11
	v_xor_b32_e32 v7, v40, v9
	v_xor_b32_e32 v5, v5, v41
	v_xor_b32_e32 v9, v7, v6
	v_add_co_u32_e32 v43, vcc, s36, v26
	v_add_co_u32_e32 v42, vcc, s37, v4
	v_mad_u64_u32 v[6:7], s[2:3], v5, s15, 0
	v_mad_u64_u32 v[12:13], s[2:3], v9, s31, 0
	v_xor_b32_e32 v5, v43, v13
	v_xor_b32_e32 v7, v42, v7
	v_xor_b32_e32 v5, v5, v10
	v_xor_b32_e32 v7, v7, v8
	v_add_co_u32_e32 v45, vcc, s38, v26
	v_add_co_u32_e32 v44, vcc, s39, v4
	v_mad_u64_u32 v[8:9], s[2:3], v5, s15, 0
	v_mad_u64_u32 v[10:11], s[2:3], v7, s31, 0
	;; [unrolled: 8-line block ×7, first 2 shown]
	v_xor_b32_e32 v7, v55, v7
	v_xor_b32_e32 v5, v54, v5
	;; [unrolled: 1-line block ×4, first 2 shown]
	v_mad_u64_u32 v[16:17], s[2:3], v7, s15, 0
	v_mad_u64_u32 v[18:19], s[2:3], v5, s31, 0
	v_add_u32_e32 v37, 0x8ff34781, v26
	v_add_u32_e32 v38, 0x96a522ad, v27
	v_xor_b32_e32 v5, v19, v6
	v_xor_b32_e32 v4, v17, v4
	;; [unrolled: 1-line block ×4, first 2 shown]
	v_pk_mov_b32 v[6:7], v[2:3], v[2:3] op_sel:[0,1]
	v_mov_b32_e32 v9, v18
	v_mov_b32_e32 v11, v16
	s_waitcnt vmcnt(0)
	v_cmp_gt_f32_e32 vcc, 1.0, v39
	s_mov_b64 s[2:3], -1
	v_mov_b32_e32 v19, 1.0
	v_pk_mov_b32 v[4:5], v[0:1], v[0:1] op_sel:[0,1]
                                        ; implicit-def: $sgpr4
	s_and_saveexec_b64 s[22:23], vcc
	s_cbranch_execz .LBB121_14
; %bb.9:                                ;   in Loop: Header=BB121_4 Depth=1
	v_cmp_neq_f32_e32 vcc, 0, v39
	s_mov_b64 s[26:27], 0
	v_mov_b32_e32 v19, 1.0
                                        ; implicit-def: $vgpr4_vgpr5_vgpr6_vgpr7
	s_and_saveexec_b64 s[24:25], vcc
	s_cbranch_execz .LBB121_13
; %bb.10:                               ;   in Loop: Header=BB121_4 Depth=1
	v_add_u32_e32 v17, 1, v59
	v_pk_mov_b32 v[14:15], v[10:11], v[10:11] op_sel:[0,1]
	v_pk_mov_b32 v[6:7], v[2:3], v[2:3] op_sel:[0,1]
	v_cmp_eq_u32_e32 vcc, 4, v17
	v_pk_mov_b32 v[12:13], v[8:9], v[8:9] op_sel:[0,1]
	v_pk_mov_b32 v[4:5], v[0:1], v[0:1] op_sel:[0,1]
	s_and_saveexec_b64 s[2:3], vcc
	s_cbranch_execz .LBB121_12
; %bb.11:                               ;   in Loop: Header=BB121_4 Depth=1
	v_add_co_u32_e32 v4, vcc, 1, v0
	v_cndmask_b32_e64 v0, 0, 1, vcc
	v_addc_co_u32_e32 v5, vcc, 0, v1, vcc
	v_cmp_eq_u32_e32 vcc, 0, v5
	v_cndmask_b32_e32 v0, 0, v0, vcc
	v_add_u32_e32 v6, v0, v2
	v_cmp_eq_u32_e32 vcc, 0, v6
	v_cndmask_b32_e32 v7, 0, v0, vcc
	v_mad_u64_u32 v[0:1], s[4:5], v4, s15, 0
	v_mad_u64_u32 v[12:13], s[4:5], v6, s31, 0
	v_xor_b32_e32 v9, v13, v26
	v_xor_b32_e32 v1, v1, v27
	v_xor_b32_e32 v9, v5, v9
	v_xor_b32_e32 v1, v7, v1
	v_mad_u64_u32 v[14:15], s[4:5], v9, s15, 0
	v_mad_u64_u32 v[56:57], s[4:5], v1, s31, 0
	v_xor_b32_e32 v1, v41, v57
	v_xor_b32_e32 v9, v40, v15
	v_xor_b32_e32 v1, v1, v12
	v_xor_b32_e32 v9, v9, v0
	;; [unrolled: 6-line block ×9, first 2 shown]
	v_mad_u64_u32 v[40:41], s[4:5], v9, s15, 0
	v_mad_u64_u32 v[42:43], s[4:5], v1, s31, 0
	v_xor_b32_e32 v1, v43, v12
	v_xor_b32_e32 v0, v41, v0
	v_mov_b32_e32 v17, 0
	v_xor_b32_e32 v12, v37, v1
	v_xor_b32_e32 v14, v38, v0
	v_mov_b32_e32 v13, v42
	v_mov_b32_e32 v15, v40
.LBB121_12:                             ;   in Loop: Header=BB121_4 Depth=1
	s_or_b64 exec, exec, s[2:3]
	v_cmp_eq_u32_e32 vcc, 1, v59
	v_cndmask_b32_e32 v0, v8, v18, vcc
	v_cmp_eq_u32_e32 vcc, 2, v59
	v_cndmask_b32_e32 v0, v0, v10, vcc
	;; [unrolled: 2-line block ×3, first 2 shown]
	v_div_scale_f32 v1, s[2:3], v39, v39, 1.0
	v_cvt_f32_u32_e32 v0, v0
	v_rcp_f32_e32 v8, v1
	v_mov_b32_e32 v9, 0x2f800000
	s_mov_b64 s[26:27], exec
	v_fmac_f32_e32 v9, 0x2f800000, v0
	v_fma_f32 v0, -v1, v8, 1.0
	v_fmac_f32_e32 v8, v0, v8
	v_div_scale_f32 v0, vcc, 1.0, v39, 1.0
	v_sub_f32_e32 v48, 1.0, v9
	v_mul_f32_e32 v9, v0, v8
	v_fma_f32 v10, -v1, v9, v0
	v_fmac_f32_e32 v9, v10, v8
	v_fma_f32 v0, -v1, v9, v0
	v_div_fmas_f32 v0, v0, v8, v9
	v_div_fixup_f32 v49, v0, v39, 1.0
	v_cmp_eq_f32_e32 vcc, 1.0, v48
	v_cndmask_b32_e64 v50, v49, 1.0, vcc
	v_cmp_eq_f32_e64 s[2:3], 0, v50
	v_cndmask_b32_e64 v51, |v48|, 1.0, s[2:3]
	v_frexp_mant_f32_e32 v0, v51
	v_cmp_gt_f32_e64 s[4:5], s41, v0
	v_cndmask_b32_e64 v1, 1.0, 2.0, s[4:5]
	v_mul_f32_e32 v0, v0, v1
	v_add_f32_e32 v9, 1.0, v0
	v_rcp_f32_e32 v16, v9
	v_add_f32_e32 v1, -1.0, v9
	v_sub_f32_e32 v11, v0, v1
	v_add_f32_e32 v1, -1.0, v0
	v_mul_f32_e32 v40, v1, v16
	v_mul_f32_e32 v8, v9, v40
	v_fma_f32 v10, v40, v9, -v8
	v_fmac_f32_e32 v10, v40, v11
	v_add_f32_e32 v0, v8, v10
	v_sub_f32_e32 v9, v1, v0
	v_pk_add_f32 v[18:19], v[0:1], v[8:9] neg_lo:[0,1] neg_hi:[0,1]
	v_mov_b32_e32 v11, v0
	v_pk_add_f32 v[0:1], v[18:19], v[10:11] neg_lo:[0,1] neg_hi:[0,1]
	v_add_f32_e32 v0, v0, v1
	v_add_f32_e32 v0, v9, v0
	v_mul_f32_e32 v1, v16, v0
	v_add_f32_e32 v0, v40, v1
	v_sub_f32_e32 v8, v0, v40
	v_sub_f32_e32 v16, v1, v8
	v_mul_f32_e32 v1, v0, v0
	v_fma_f32 v9, v0, v0, -v1
	v_add_f32_e32 v8, v16, v16
	v_fmac_f32_e32 v9, v0, v8
	v_add_f32_e32 v8, v1, v9
	v_mov_b32_e32 v10, 0x3e91f4c4
	v_fmac_f32_e32 v10, 0x3e76c4e1, v8
	v_fma_f32 v10, v8, v10, v28
	v_sub_f32_e32 v1, v8, v1
	v_sub_f32_e32 v42, v9, v1
	v_mul_f32_e32 v1, v8, v10
	v_fma_f32 v9, v8, v10, -v1
	v_fmac_f32_e32 v9, v42, v10
	v_add_f32_e32 v10, v1, v9
	v_add_f32_e32 v11, 0x3f2aaaaa, v10
	v_sub_f32_e32 v1, v10, v1
	v_sub_f32_e32 v1, v9, v1
	v_add_f32_e32 v9, 0xbf2aaaaa, v11
	v_add_f32_e32 v1, 0x31739010, v1
	v_sub_f32_e32 v9, v10, v9
	v_pk_mul_f32 v[18:19], v[0:1], v[8:9]
	v_fma_f32 v10, v8, v0, -v18
	v_pk_add_f32 v[40:41], v[0:1], v[8:9]
	v_fmac_f32_e32 v10, v8, v16
	v_mov_b32_e32 v19, v41
	v_fmac_f32_e32 v10, v42, v0
	v_pk_add_f32 v[8:9], v[18:19], v[10:11]
	v_sub_f32_e32 v1, v8, v18
	v_sub_f32_e32 v1, v10, v1
	;; [unrolled: 1-line block ×3, first 2 shown]
	v_add_f32_e32 v40, v41, v10
	v_mov_b32_e32 v10, v9
	v_pk_mul_f32 v[10:11], v[8:9], v[10:11]
	v_cvt_f64_f32_e32 v[18:19], v51
	v_frexp_exp_i32_f64_e32 v11, v[18:19]
	v_subbrev_co_u32_e64 v11, s[4:5], 0, v11, s[4:5]
	v_cvt_f32_i32_e32 v11, v11
	v_fma_f32 v18, v8, v9, -v10
	v_fmac_f32_e32 v18, v8, v40
	v_fmac_f32_e32 v18, v1, v9
	v_mul_f32_e32 v8, 0x3f317218, v11
	v_fma_f32 v40, v11, s42, -v8
	v_fmac_f32_e32 v40, 0xb102e308, v11
	v_ldexp_f32 v41, v0, 1
	v_add_f32_e32 v9, v10, v18
	v_pk_add_f32 v[0:1], v[8:9], v[40:41]
	v_mov_b32_e32 v42, v9
	v_mov_b32_e32 v43, v1
	;; [unrolled: 1-line block ×3, first 2 shown]
	v_pk_add_f32 v[10:11], v[42:43], v[10:11] neg_lo:[0,1] neg_hi:[0,1]
	v_mov_b32_e32 v19, v9
	v_ldexp_f32 v16, v16, 1
	v_pk_add_f32 v[10:11], v[18:19], v[10:11] neg_lo:[0,1] neg_hi:[0,1]
	v_add_f32_e32 v9, v16, v10
	v_add_f32_e32 v9, v9, v11
	v_pk_add_f32 v[10:11], v[0:1], v[8:9] neg_lo:[0,1] neg_hi:[0,1]
	v_pk_add_f32 v[18:19], v[0:1], v[8:9]
	v_mov_b32_e32 v42, v10
	v_mov_b32_e32 v43, v19
	;; [unrolled: 1-line block ×3, first 2 shown]
	v_pk_add_f32 v[42:43], v[40:41], v[42:43]
	v_mov_b32_e32 v8, v43
	v_pk_add_f32 v[44:45], v[8:9], v[0:1] neg_lo:[0,1] neg_hi:[0,1]
	v_mov_b32_e32 v45, v44
	v_mov_b32_e32 v42, v19
	;; [unrolled: 1-line block ×4, first 2 shown]
	v_pk_add_f32 v[10:11], v[40:41], v[10:11] neg_lo:[0,1] neg_hi:[0,1]
	v_pk_add_f32 v[46:47], v[18:19], v[44:45] neg_lo:[0,1] neg_hi:[0,1]
	;; [unrolled: 1-line block ×3, first 2 shown]
	v_mov_b32_e32 v40, v9
	v_pk_add_f32 v[0:1], v[40:41], v[0:1] neg_lo:[0,1] neg_hi:[0,1]
	v_mov_b32_e32 v46, v10
	v_pk_add_f32 v[18:19], v[46:47], v[0:1]
	v_mov_b32_e32 v16, v19
	v_pk_add_f32 v[40:41], v[18:19], v[16:17]
	v_pk_add_f32 v[8:9], v[8:9], v[40:41]
	v_mov_b32_e32 v11, v43
	v_mov_b32_e32 v19, v8
	v_pk_add_f32 v[42:43], v[18:19], v[10:11] neg_lo:[0,1] neg_hi:[0,1]
	v_mov_b32_e32 v1, v40
	v_sub_f32_e32 v9, v18, v42
	v_pk_add_f32 v[0:1], v[0:1], v[42:43] neg_lo:[0,1] neg_hi:[0,1]
	v_sub_f32_e32 v9, v10, v9
	v_add_f32_e32 v0, v0, v9
	v_add_f32_e32 v0, v0, v1
	v_add_f32_e32 v1, v8, v0
	v_sub_f32_e32 v8, v1, v8
	v_sub_f32_e32 v0, v0, v8
	v_mul_f32_e32 v8, v50, v1
	v_fma_f32 v1, v50, v1, -v8
	v_fmac_f32_e32 v1, v50, v0
	v_add_f32_e32 v0, v8, v1
	v_cmp_class_f32_e64 s[4:5], v8, s43
	v_sub_f32_e32 v9, v0, v8
	v_cndmask_b32_e64 v0, v0, v8, s[4:5]
	v_cmp_eq_f32_e64 s[4:5], s45, v0
	v_cndmask_b32_e64 v8, 0, v30, s[4:5]
	v_sub_f32_e32 v1, v1, v9
	v_sub_f32_e32 v9, v0, v8
	v_mul_f32_e32 v10, 0x3fb8aa3b, v9
	v_fma_f32 v11, v9, s46, -v10
	v_rndne_f32_e32 v16, v10
	v_fmac_f32_e32 v11, 0x32a5705f, v9
	v_sub_f32_e32 v10, v10, v16
	v_add_f32_e32 v10, v10, v11
	v_exp_f32_e32 v10, v10
	v_cvt_i32_f32_e32 v11, v16
	v_cmp_neq_f32_e64 s[4:5], |v0|, s44
	v_cndmask_b32_e64 v0, 0, v1, s[4:5]
	v_cmp_ngt_f32_e64 s[4:5], s47, v9
	v_ldexp_f32 v1, v10, v11
	v_cndmask_b32_e64 v1, 0, v1, s[4:5]
	v_cmp_nlt_f32_e64 s[4:5], s45, v9
	v_add_f32_e32 v0, v8, v0
	v_cndmask_b32_e64 v1, v31, v1, s[4:5]
	v_fma_f32 v0, v1, v0, v1
	v_cmp_class_f32_e64 s[4:5], v1, s43
	v_trunc_f32_e32 v8, v50
	v_cndmask_b32_e64 v0, v0, v1, s[4:5]
	v_cndmask_b32_e64 v1, v48, 1.0, s[2:3]
	v_cmp_eq_f32_e64 s[2:3], v8, v50
	v_mul_f32_e32 v8, 0.5, v50
	v_trunc_f32_e32 v9, v8
	v_cmp_neq_f32_e64 s[4:5], v9, v8
	s_and_b64 s[4:5], s[2:3], s[4:5]
	v_cndmask_b32_e64 v8, 1.0, v1, s[4:5]
	v_bfi_b32 v0, s48, v0, v8
	v_cndmask_b32_e64 v8, v32, v0, s[2:3]
	v_cmp_gt_f32_e64 s[2:3], 0, v1
	v_cndmask_b32_e64 v0, v0, v8, s[2:3]
	v_cndmask_b32_e64 v8, |v49|, 1.0, vcc
	v_cmp_neq_f32_e32 vcc, v50, v8
	v_cmp_gt_f32_e64 s[2:3], 1.0, v51
	s_xor_b64 s[2:3], vcc, s[2:3]
	v_cndmask_b32_e64 v9, v8, 0, s[2:3]
	v_cmp_eq_f32_e32 vcc, 1.0, v51
	v_cmp_eq_f32_e64 s[2:3], 0, v1
	v_cmp_gt_f32_e64 s[6:7], 0, v50
	v_cndmask_b32_e32 v9, v9, v51, vcc
	v_cmp_eq_f32_e32 vcc, s44, v8
	s_xor_b64 s[6:7], s[6:7], s[2:3]
	v_cndmask_b32_e32 v0, v0, v9, vcc
	v_cmp_eq_f32_e32 vcc, s44, v51
	v_cndmask_b32_e64 v8, v31, 0, s[6:7]
	v_cndmask_b32_e64 v1, 0, v1, s[4:5]
	v_bfi_b32 v1, s48, v8, v1
	s_or_b64 vcc, vcc, s[2:3]
	v_pk_mov_b32 v[8:9], v[12:13], v[12:13] op_sel:[0,1]
	v_cndmask_b32_e32 v19, v0, v1, vcc
	v_add_f32_e32 v39, 1.0, v39
	v_pk_mov_b32 v[10:11], v[14:15], v[14:15] op_sel:[0,1]
	v_mov_b32_e32 v59, v17
.LBB121_13:                             ;   in Loop: Header=BB121_4 Depth=1
	s_or_b64 exec, exec, s[24:25]
	s_mov_b32 s4, 0
	s_orn2_b64 s[2:3], s[26:27], exec
.LBB121_14:                             ;   in Loop: Header=BB121_4 Depth=1
	s_or_b64 exec, exec, s[22:23]
	v_mov_b32_e32 v45, s4
	s_and_saveexec_b64 s[4:5], s[2:3]
	s_cbranch_execz .LBB121_3
; %bb.15:                               ;   in Loop: Header=BB121_4 Depth=1
	v_add_f32_e32 v39, 0xbeaaaaab, v39
	v_mul_f32_e32 v0, 0x41100000, v39
	v_mul_f32_e32 v1, 0x4f800000, v0
	v_cmp_gt_f32_e32 vcc, s49, v0
	v_cndmask_b32_e32 v0, v0, v1, vcc
	v_sqrt_f32_e32 v1, v0
	v_mul_f32_e32 v41, v19, v39
	v_add_u32_e32 v42, 0x9e3779b9, v26
	v_add_u32_e32 v43, 0xbb67ae85, v27
	v_add_u32_e32 v12, -1, v1
	v_fma_f32 v14, -v12, v1, v0
	v_add_u32_e32 v13, 1, v1
	v_cmp_ge_f32_e64 s[2:3], 0, v14
	v_cndmask_b32_e64 v12, v1, v12, s[2:3]
	v_fma_f32 v1, -v13, v1, v0
	v_cmp_lt_f32_e64 s[2:3], 0, v1
	v_cndmask_b32_e64 v1, v12, v13, s[2:3]
	v_mul_f32_e32 v12, 0x37800000, v1
	v_cndmask_b32_e32 v1, v1, v12, vcc
	v_cmp_class_f32_e32 vcc, v0, v29
	v_cndmask_b32_e32 v0, v1, v0, vcc
	v_div_scale_f32 v1, s[2:3], v0, v0, 1.0
	v_rcp_f32_e32 v12, v1
	v_add_u32_e32 v44, 0x3c6ef372, v26
	v_add_u32_e32 v46, 0x76cf5d0a, v27
	;; [unrolled: 1-line block ×3, first 2 shown]
	v_fma_f32 v13, -v1, v12, 1.0
	v_fmac_f32_e32 v12, v13, v12
	v_div_scale_f32 v13, vcc, 1.0, v0, 1.0
	v_mul_f32_e32 v14, v13, v12
	v_fma_f32 v15, -v1, v14, v13
	v_fmac_f32_e32 v14, v15, v12
	v_fma_f32 v1, -v1, v14, v13
	v_div_fmas_f32 v1, v1, v12, v14
	v_div_fixup_f32 v40, v1, v0, 1.0
	v_add_u32_e32 v48, 0x32370b8f, v27
	v_add_u32_e32 v49, 0x78dde6e4, v26
	;; [unrolled: 1-line block ×11, first 2 shown]
	s_mov_b64 s[6:7], 0
	v_mov_b32_e32 v61, 0
                                        ; implicit-def: $vgpr0
                                        ; implicit-def: $vgpr45
	s_branch .LBB121_17
.LBB121_16:                             ;   in Loop: Header=BB121_17 Depth=2
	s_or_b64 exec, exec, s[22:23]
	s_xor_b64 s[2:3], s[2:3], -1
	s_and_b64 s[2:3], exec, s[2:3]
	s_or_b64 s[6:7], s[2:3], s[6:7]
	s_andn2_b64 exec, exec, s[6:7]
	s_cbranch_execz .LBB121_2
.LBB121_17:                             ;   Parent Loop BB121_4 Depth=1
                                        ; =>  This Loop Header: Depth=2
                                        ;       Child Loop BB121_20 Depth 3
	v_pk_mov_b32 v[14:15], v[10:11], v[10:11] op_sel:[0,1]
	s_mov_b64 s[22:23], 0
	v_mov_b32_e32 v60, v59
	v_pk_mov_b32 v[12:13], v[8:9], v[8:9] op_sel:[0,1]
	s_branch .LBB121_20
.LBB121_18:                             ;   in Loop: Header=BB121_20 Depth=3
	s_or_b64 exec, exec, s[2:3]
	v_cmp_eq_u32_e32 vcc, 1, v60
	v_cndmask_b32_e32 v1, v12, v13, vcc
	v_cmp_eq_u32_e32 vcc, 2, v60
	v_cndmask_b32_e32 v1, v1, v14, vcc
	;; [unrolled: 2-line block ×3, first 2 shown]
	v_cvt_f32_u32_e32 v1, v1
	v_cmp_eq_u32_e32 vcc, 1, v0
	v_cndmask_b32_e32 v8, v8, v9, vcc
	v_mov_b32_e32 v9, 0x2f800000
	v_cmp_eq_u32_e32 vcc, 2, v0
	v_fmac_f32_e32 v9, 0x2f800000, v1
	v_cndmask_b32_e32 v8, v8, v10, vcc
	v_cmp_gt_f32_e32 vcc, s54, v9
	v_cndmask_b32_e32 v1, 1.0, v33, vcc
	v_mul_f32_e32 v1, v9, v1
	v_log_f32_e32 v1, v1
	v_cmp_eq_u32_e64 s[2:3], 3, v0
	v_cndmask_b32_e64 v0, v8, v11, s[2:3]
	v_cvt_f32_u32_e32 v0, v0
	v_mul_f32_e32 v8, 0x3f317217, v1
	v_fma_f32 v9, v1, s55, -v8
	v_fmac_f32_e32 v9, 0x3377d1cf, v1
	v_add_f32_e32 v8, v8, v9
	v_cmp_lt_f32_e64 s[2:3], |v1|, s44
	v_cndmask_b32_e64 v1, v1, v8, s[2:3]
	v_cndmask_b32_e32 v8, 0, v34, vcc
	v_sub_f32_e32 v1, v1, v8
	v_mul_f32_e32 v1, -2.0, v1
	v_mul_f32_e32 v8, 0x4f800000, v1
	v_cmp_gt_f32_e32 vcc, s49, v1
	v_cndmask_b32_e32 v8, v1, v8, vcc
	v_sqrt_f32_e32 v1, v8
	v_mov_b32_e32 v9, 0x30c90fdb
	v_fmac_f32_e32 v9, 0x30c90fdb, v0
	v_pk_mov_b32 v[12:13], v[16:17], v[16:17] op_sel:[0,1]
	v_add_u32_e32 v0, -1, v1
	v_fma_f32 v10, -v0, v1, v8
	v_cmp_ge_f32_e64 s[2:3], 0, v10
	v_add_u32_e32 v10, 1, v1
	v_cndmask_b32_e64 v0, v1, v0, s[2:3]
	v_fma_f32 v1, -v10, v1, v8
	v_cmp_lt_f32_e64 s[2:3], 0, v1
	v_cndmask_b32_e64 v10, v0, v10, s[2:3]
	v_mul_f32_e32 v0, 0.15915494, v9
	v_sin_f32_e32 v1, v0
	v_cos_f32_e32 v0, v0
	v_mul_f32_e32 v11, 0x37800000, v10
	v_cndmask_b32_e32 v9, v10, v11, vcc
	v_cmp_class_f32_e32 vcc, v8, v29
	v_cndmask_b32_e32 v8, v9, v8, vcc
	v_pk_mul_f32 v[0:1], v[8:9], v[0:1] op_sel_hi:[0,1]
	v_mov_b32_e32 v61, 1
	v_pk_mov_b32 v[14:15], v[18:19], v[18:19] op_sel:[0,1]
	v_mov_b32_e32 v60, v59
.LBB121_19:                             ;   in Loop: Header=BB121_20 Depth=3
	s_or_b64 exec, exec, s[24:25]
	v_fma_f32 v16, v40, v1, 1.0
	v_cmp_nge_f32_e32 vcc, 0, v16
	s_or_b64 s[22:23], vcc, s[22:23]
	s_andn2_b64 exec, exec, s[22:23]
	s_cbranch_execz .LBB121_25
.LBB121_20:                             ;   Parent Loop BB121_4 Depth=1
                                        ;     Parent Loop BB121_17 Depth=2
                                        ; =>    This Inner Loop Header: Depth=3
	v_cmp_eq_u32_e32 vcc, 0, v61
	v_mov_b32_e32 v61, 0
	v_mov_b32_e32 v1, v0
	s_and_saveexec_b64 s[24:25], vcc
	s_cbranch_execz .LBB121_19
; %bb.21:                               ;   in Loop: Header=BB121_20 Depth=3
	v_add_u32_e32 v0, 1, v60
	v_pk_mov_b32 v[8:9], v[12:13], v[12:13] op_sel:[0,1]
	v_cmp_eq_u32_e32 vcc, 4, v0
	v_pk_mov_b32 v[10:11], v[14:15], v[14:15] op_sel:[0,1]
	s_and_saveexec_b64 s[2:3], vcc
	s_cbranch_execz .LBB121_23
; %bb.22:                               ;   in Loop: Header=BB121_20 Depth=3
	v_add_co_u32_e32 v4, vcc, 1, v4
	v_cndmask_b32_e64 v1, 0, 1, vcc
	v_addc_co_u32_e32 v5, vcc, 0, v5, vcc
	v_cmp_eq_u32_e32 vcc, 0, v5
	v_cndmask_b32_e32 v1, 0, v1, vcc
	v_add_u32_e32 v6, v1, v6
	v_cmp_eq_u32_e32 vcc, 0, v6
	v_cndmask_b32_e32 v1, 0, v1, vcc
	v_mad_u64_u32 v[8:9], s[26:27], v4, s15, 0
	v_mad_u64_u32 v[10:11], s[26:27], v6, s31, 0
	v_add_u32_e32 v7, v1, v7
	v_xor_b32_e32 v1, v11, v26
	v_xor_b32_e32 v9, v9, v27
	v_xor_b32_e32 v1, v5, v1
	v_xor_b32_e32 v9, v7, v9
	v_mad_u64_u32 v[16:17], s[26:27], v1, s15, 0
	v_mad_u64_u32 v[18:19], s[26:27], v9, s31, 0
	v_xor_b32_e32 v1, v19, v10
	v_xor_b32_e32 v8, v17, v8
	v_xor_b32_e32 v1, v42, v1
	v_xor_b32_e32 v10, v43, v8
	v_mad_u64_u32 v[8:9], s[26:27], v1, s15, 0
	v_mad_u64_u32 v[10:11], s[26:27], v10, s31, 0
	;; [unrolled: 6-line block ×9, first 2 shown]
	v_xor_b32_e32 v1, v19, v8
	v_xor_b32_e32 v8, v37, v1
	;; [unrolled: 1-line block ×3, first 2 shown]
	v_mov_b32_e32 v0, 0
	v_xor_b32_e32 v10, v38, v1
	v_mov_b32_e32 v9, v18
	v_mov_b32_e32 v11, v16
.LBB121_23:                             ;   in Loop: Header=BB121_20 Depth=3
	s_or_b64 exec, exec, s[2:3]
	v_add_u32_e32 v59, 1, v0
	v_pk_mov_b32 v[18:19], v[10:11], v[10:11] op_sel:[0,1]
	v_cmp_eq_u32_e32 vcc, 4, v59
	v_pk_mov_b32 v[16:17], v[8:9], v[8:9] op_sel:[0,1]
	s_and_saveexec_b64 s[2:3], vcc
	s_cbranch_execz .LBB121_18
; %bb.24:                               ;   in Loop: Header=BB121_20 Depth=3
	v_add_co_u32_e32 v4, vcc, 1, v4
	v_cndmask_b32_e64 v1, 0, 1, vcc
	v_addc_co_u32_e32 v5, vcc, 0, v5, vcc
	v_cmp_eq_u32_e32 vcc, 0, v5
	v_cndmask_b32_e32 v1, 0, v1, vcc
	v_add_u32_e32 v6, v1, v6
	v_cmp_eq_u32_e32 vcc, 0, v6
	v_cndmask_b32_e32 v1, 0, v1, vcc
	v_mad_u64_u32 v[16:17], s[26:27], v4, s15, 0
	v_mad_u64_u32 v[18:19], s[26:27], v6, s31, 0
	v_add_u32_e32 v7, v1, v7
	v_xor_b32_e32 v1, v19, v26
	v_xor_b32_e32 v17, v17, v27
	v_xor_b32_e32 v1, v5, v1
	v_xor_b32_e32 v17, v7, v17
	v_mad_u64_u32 v[62:63], s[26:27], v1, s15, 0
	v_mad_u64_u32 v[64:65], s[26:27], v17, s31, 0
	v_xor_b32_e32 v1, v65, v18
	v_xor_b32_e32 v16, v63, v16
	v_xor_b32_e32 v1, v42, v1
	v_xor_b32_e32 v18, v43, v16
	v_mad_u64_u32 v[16:17], s[26:27], v1, s15, 0
	v_mad_u64_u32 v[18:19], s[26:27], v18, s31, 0
	;; [unrolled: 6-line block ×9, first 2 shown]
	v_xor_b32_e32 v1, v65, v16
	v_xor_b32_e32 v16, v37, v1
	;; [unrolled: 1-line block ×3, first 2 shown]
	v_mov_b32_e32 v59, 0
	v_xor_b32_e32 v18, v38, v1
	v_mov_b32_e32 v17, v64
	v_mov_b32_e32 v19, v62
	s_branch .LBB121_18
.LBB121_25:                             ;   in Loop: Header=BB121_17 Depth=2
	s_or_b64 exec, exec, s[22:23]
	v_add_u32_e32 v59, 1, v60
	v_pk_mov_b32 v[8:9], v[12:13], v[12:13] op_sel:[0,1]
	v_cmp_eq_u32_e32 vcc, 4, v59
	v_pk_mov_b32 v[10:11], v[14:15], v[14:15] op_sel:[0,1]
	s_and_saveexec_b64 s[2:3], vcc
	s_cbranch_execz .LBB121_27
; %bb.26:                               ;   in Loop: Header=BB121_17 Depth=2
	v_add_co_u32_e32 v4, vcc, 1, v4
	v_cndmask_b32_e64 v8, 0, 1, vcc
	v_addc_co_u32_e32 v5, vcc, 0, v5, vcc
	v_cmp_eq_u32_e32 vcc, 0, v5
	v_cndmask_b32_e32 v8, 0, v8, vcc
	v_add_u32_e32 v6, v8, v6
	v_cmp_eq_u32_e32 vcc, 0, v6
	v_cndmask_b32_e32 v8, 0, v8, vcc
	v_add_u32_e32 v7, v8, v7
	v_mad_u64_u32 v[8:9], s[22:23], v4, s15, 0
	v_mad_u64_u32 v[10:11], s[22:23], v6, s31, 0
	v_xor_b32_e32 v11, v11, v26
	v_xor_b32_e32 v9, v9, v27
	v_xor_b32_e32 v11, v5, v11
	v_xor_b32_e32 v9, v7, v9
	v_mad_u64_u32 v[18:19], s[22:23], v11, s15, 0
	v_mad_u64_u32 v[62:63], s[22:23], v9, s31, 0
	v_xor_b32_e32 v9, v63, v10
	v_xor_b32_e32 v8, v19, v8
	v_xor_b32_e32 v9, v42, v9
	v_xor_b32_e32 v10, v43, v8
	;; [unrolled: 6-line block ×9, first 2 shown]
	v_mad_u64_u32 v[18:19], s[22:23], v9, s15, 0
	v_mad_u64_u32 v[62:63], s[22:23], v11, s31, 0
	v_xor_b32_e32 v8, v63, v8
	v_xor_b32_e32 v9, v19, v10
	v_mov_b32_e32 v59, 0
	v_xor_b32_e32 v8, v37, v8
	v_xor_b32_e32 v10, v38, v9
	v_mov_b32_e32 v9, v62
	v_mov_b32_e32 v11, v18
.LBB121_27:                             ;   in Loop: Header=BB121_17 Depth=2
	s_or_b64 exec, exec, s[2:3]
	v_cmp_eq_u32_e32 vcc, 1, v60
	v_cndmask_b32_e32 v12, v12, v13, vcc
	v_cmp_eq_u32_e32 vcc, 2, v60
	v_cndmask_b32_e32 v12, v12, v14, vcc
	;; [unrolled: 2-line block ×3, first 2 shown]
	v_cvt_f32_u32_e32 v13, v12
	v_mov_b32_e32 v14, 0x2f800000
	v_mul_f32_e32 v1, v1, v1
	v_mul_f32_e32 v12, v16, v16
	v_fmac_f32_e32 v14, 0x2f800000, v13
	v_sub_f32_e32 v13, 1.0, v14
	v_mul_f32_e32 v14, 0xbd0793de, v1
	v_fma_f32 v14, v1, v14, 1.0
	v_mul_f32_e32 v12, v16, v12
	v_cmp_nlt_f32_e32 vcc, v13, v14
                                        ; implicit-def: $sgpr2_sgpr3
	s_and_saveexec_b64 s[22:23], vcc
	s_xor_b64 s[22:23], exec, s[22:23]
	s_cbranch_execz .LBB121_31
; %bb.28:                               ;   in Loop: Header=BB121_17 Depth=2
	v_cmp_gt_f32_e32 vcc, s54, v13
	v_cndmask_b32_e32 v14, 1.0, v33, vcc
	v_mul_f32_e32 v13, v13, v14
	v_log_f32_e32 v13, v13
	v_mul_f32_e32 v14, 0x3f317217, v13
	v_fma_f32 v15, v13, s55, -v14
	v_fmac_f32_e32 v15, 0x3377d1cf, v13
	v_add_f32_e32 v14, v14, v15
	v_cmp_lt_f32_e64 s[2:3], |v13|, s44
	v_cndmask_b32_e64 v13, v13, v14, s[2:3]
	v_cmp_gt_f32_e64 s[2:3], s54, v12
	v_cndmask_b32_e64 v14, 1.0, v33, s[2:3]
	v_mul_f32_e32 v14, v12, v14
	v_log_f32_e32 v14, v14
	v_cndmask_b32_e32 v15, 0, v34, vcc
	v_sub_f32_e32 v13, v13, v15
	v_sub_f32_e32 v15, 1.0, v12
	v_mul_f32_e32 v16, 0x3f317217, v14
	v_fma_f32 v17, v14, s55, -v16
	v_fmac_f32_e32 v17, 0x3377d1cf, v14
	v_add_f32_e32 v16, v16, v17
	v_cmp_lt_f32_e64 vcc, |v14|, s44
	v_cndmask_b32_e32 v14, v14, v16, vcc
	v_cndmask_b32_e64 v16, 0, v34, s[2:3]
	v_sub_f32_e32 v14, v14, v16
	v_add_f32_e32 v14, v15, v14
	v_mul_f32_e32 v14, v39, v14
	v_fmac_f32_e32 v14, 0.5, v1
	v_cmp_lt_f32_e32 vcc, v13, v14
	s_mov_b64 s[2:3], -1
	s_and_saveexec_b64 s[24:25], vcc
; %bb.29:                               ;   in Loop: Header=BB121_17 Depth=2
	v_mul_f32_e32 v45, v41, v12
	s_xor_b64 s[2:3], exec, -1
; %bb.30:                               ;   in Loop: Header=BB121_17 Depth=2
	s_or_b64 exec, exec, s[24:25]
	s_and_b64 s[2:3], s[2:3], exec
                                        ; implicit-def: $vgpr12
.LBB121_31:                             ;   in Loop: Header=BB121_17 Depth=2
	s_andn2_saveexec_b64 s[22:23], s[22:23]
	s_cbranch_execz .LBB121_16
; %bb.32:                               ;   in Loop: Header=BB121_17 Depth=2
	v_mul_f32_e32 v45, v41, v12
	s_andn2_b64 s[2:3], s[2:3], exec
	s_branch .LBB121_16
.LBB121_33:
	s_endpgm
	.section	.rodata,"a",@progbits
	.p2align	6, 0x0
	.amdhsa_kernel _ZN2at4cuda12_GLOBAL__N_121kernelPointwiseApply2IZN12_GLOBAL__N_117gamma_cuda_kernelIfEEvRKNS_10TensorBaseES7_NS_15PhiloxCudaStateEEUlRfRKfE_ffjLi1ELi2ELi1ELi256ELi2EEEvNS0_6detail10TensorInfoIT0_T2_EENSE_IT1_SG_EESG_T_
		.amdhsa_group_segment_fixed_size 0
		.amdhsa_private_segment_fixed_size 0
		.amdhsa_kernarg_size 728
		.amdhsa_user_sgpr_count 6
		.amdhsa_user_sgpr_private_segment_buffer 1
		.amdhsa_user_sgpr_dispatch_ptr 0
		.amdhsa_user_sgpr_queue_ptr 0
		.amdhsa_user_sgpr_kernarg_segment_ptr 1
		.amdhsa_user_sgpr_dispatch_id 0
		.amdhsa_user_sgpr_flat_scratch_init 0
		.amdhsa_user_sgpr_kernarg_preload_length 0
		.amdhsa_user_sgpr_kernarg_preload_offset 0
		.amdhsa_user_sgpr_private_segment_size 0
		.amdhsa_uses_dynamic_stack 0
		.amdhsa_system_sgpr_private_segment_wavefront_offset 0
		.amdhsa_system_sgpr_workgroup_id_x 1
		.amdhsa_system_sgpr_workgroup_id_y 0
		.amdhsa_system_sgpr_workgroup_id_z 0
		.amdhsa_system_sgpr_workgroup_info 0
		.amdhsa_system_vgpr_workitem_id 0
		.amdhsa_next_free_vgpr 66
		.amdhsa_next_free_sgpr 61
		.amdhsa_accum_offset 68
		.amdhsa_reserve_vcc 1
		.amdhsa_reserve_flat_scratch 0
		.amdhsa_float_round_mode_32 0
		.amdhsa_float_round_mode_16_64 0
		.amdhsa_float_denorm_mode_32 3
		.amdhsa_float_denorm_mode_16_64 3
		.amdhsa_dx10_clamp 1
		.amdhsa_ieee_mode 1
		.amdhsa_fp16_overflow 0
		.amdhsa_tg_split 0
		.amdhsa_exception_fp_ieee_invalid_op 0
		.amdhsa_exception_fp_denorm_src 0
		.amdhsa_exception_fp_ieee_div_zero 0
		.amdhsa_exception_fp_ieee_overflow 0
		.amdhsa_exception_fp_ieee_underflow 0
		.amdhsa_exception_fp_ieee_inexact 0
		.amdhsa_exception_int_div_zero 0
	.end_amdhsa_kernel
	.section	.text._ZN2at4cuda12_GLOBAL__N_121kernelPointwiseApply2IZN12_GLOBAL__N_117gamma_cuda_kernelIfEEvRKNS_10TensorBaseES7_NS_15PhiloxCudaStateEEUlRfRKfE_ffjLi1ELi2ELi1ELi256ELi2EEEvNS0_6detail10TensorInfoIT0_T2_EENSE_IT1_SG_EESG_T_,"axG",@progbits,_ZN2at4cuda12_GLOBAL__N_121kernelPointwiseApply2IZN12_GLOBAL__N_117gamma_cuda_kernelIfEEvRKNS_10TensorBaseES7_NS_15PhiloxCudaStateEEUlRfRKfE_ffjLi1ELi2ELi1ELi256ELi2EEEvNS0_6detail10TensorInfoIT0_T2_EENSE_IT1_SG_EESG_T_,comdat
.Lfunc_end121:
	.size	_ZN2at4cuda12_GLOBAL__N_121kernelPointwiseApply2IZN12_GLOBAL__N_117gamma_cuda_kernelIfEEvRKNS_10TensorBaseES7_NS_15PhiloxCudaStateEEUlRfRKfE_ffjLi1ELi2ELi1ELi256ELi2EEEvNS0_6detail10TensorInfoIT0_T2_EENSE_IT1_SG_EESG_T_, .Lfunc_end121-_ZN2at4cuda12_GLOBAL__N_121kernelPointwiseApply2IZN12_GLOBAL__N_117gamma_cuda_kernelIfEEvRKNS_10TensorBaseES7_NS_15PhiloxCudaStateEEUlRfRKfE_ffjLi1ELi2ELi1ELi256ELi2EEEvNS0_6detail10TensorInfoIT0_T2_EENSE_IT1_SG_EESG_T_
                                        ; -- End function
	.section	.AMDGPU.csdata,"",@progbits
; Kernel info:
; codeLenInByte = 5188
; NumSgprs: 65
; NumVgprs: 66
; NumAgprs: 0
; TotalNumVgprs: 66
; ScratchSize: 0
; MemoryBound: 0
; FloatMode: 240
; IeeeMode: 1
; LDSByteSize: 0 bytes/workgroup (compile time only)
; SGPRBlocks: 8
; VGPRBlocks: 8
; NumSGPRsForWavesPerEU: 65
; NumVGPRsForWavesPerEU: 66
; AccumOffset: 68
; Occupancy: 7
; WaveLimiterHint : 1
; COMPUTE_PGM_RSRC2:SCRATCH_EN: 0
; COMPUTE_PGM_RSRC2:USER_SGPR: 6
; COMPUTE_PGM_RSRC2:TRAP_HANDLER: 0
; COMPUTE_PGM_RSRC2:TGID_X_EN: 1
; COMPUTE_PGM_RSRC2:TGID_Y_EN: 0
; COMPUTE_PGM_RSRC2:TGID_Z_EN: 0
; COMPUTE_PGM_RSRC2:TIDIG_COMP_CNT: 0
; COMPUTE_PGM_RSRC3_GFX90A:ACCUM_OFFSET: 16
; COMPUTE_PGM_RSRC3_GFX90A:TG_SPLIT: 0
	.section	.text._ZN2at4cuda12_GLOBAL__N_121kernelPointwiseApply2IZN12_GLOBAL__N_117gamma_cuda_kernelIfEEvRKNS_10TensorBaseES7_NS_15PhiloxCudaStateEEUlRfRKfE_ffjLi1ELin1ELi1ELi256ELi2EEEvNS0_6detail10TensorInfoIT0_T2_EENSE_IT1_SG_EESG_T_,"axG",@progbits,_ZN2at4cuda12_GLOBAL__N_121kernelPointwiseApply2IZN12_GLOBAL__N_117gamma_cuda_kernelIfEEvRKNS_10TensorBaseES7_NS_15PhiloxCudaStateEEUlRfRKfE_ffjLi1ELin1ELi1ELi256ELi2EEEvNS0_6detail10TensorInfoIT0_T2_EENSE_IT1_SG_EESG_T_,comdat
	.globl	_ZN2at4cuda12_GLOBAL__N_121kernelPointwiseApply2IZN12_GLOBAL__N_117gamma_cuda_kernelIfEEvRKNS_10TensorBaseES7_NS_15PhiloxCudaStateEEUlRfRKfE_ffjLi1ELin1ELi1ELi256ELi2EEEvNS0_6detail10TensorInfoIT0_T2_EENSE_IT1_SG_EESG_T_ ; -- Begin function _ZN2at4cuda12_GLOBAL__N_121kernelPointwiseApply2IZN12_GLOBAL__N_117gamma_cuda_kernelIfEEvRKNS_10TensorBaseES7_NS_15PhiloxCudaStateEEUlRfRKfE_ffjLi1ELin1ELi1ELi256ELi2EEEvNS0_6detail10TensorInfoIT0_T2_EENSE_IT1_SG_EESG_T_
	.p2align	8
	.type	_ZN2at4cuda12_GLOBAL__N_121kernelPointwiseApply2IZN12_GLOBAL__N_117gamma_cuda_kernelIfEEvRKNS_10TensorBaseES7_NS_15PhiloxCudaStateEEUlRfRKfE_ffjLi1ELin1ELi1ELi256ELi2EEEvNS0_6detail10TensorInfoIT0_T2_EENSE_IT1_SG_EESG_T_,@function
_ZN2at4cuda12_GLOBAL__N_121kernelPointwiseApply2IZN12_GLOBAL__N_117gamma_cuda_kernelIfEEvRKNS_10TensorBaseES7_NS_15PhiloxCudaStateEEUlRfRKfE_ffjLi1ELin1ELi1ELi256ELi2EEEvNS0_6detail10TensorInfoIT0_T2_EENSE_IT1_SG_EESG_T_: ; @_ZN2at4cuda12_GLOBAL__N_121kernelPointwiseApply2IZN12_GLOBAL__N_117gamma_cuda_kernelIfEEvRKNS_10TensorBaseES7_NS_15PhiloxCudaStateEEUlRfRKfE_ffjLi1ELin1ELi1ELi256ELi2EEEvNS0_6detail10TensorInfoIT0_T2_EENSE_IT1_SG_EESG_T_
; %bb.0:
	s_load_dword s2, s[4:5], 0x1e4
	s_load_dword s30, s[4:5], 0x1b0
	s_add_u32 s0, s4, 0x1d8
	s_addc_u32 s1, s5, 0
	s_waitcnt lgkmcnt(0)
	s_and_b32 s2, s2, 0xffff
	s_mul_i32 s6, s6, s2
	v_add_u32_e32 v2, s6, v0
	v_cmp_gt_u32_e32 vcc, s30, v2
	s_and_saveexec_b64 s[6:7], vcc
	s_cbranch_execz .LBB122_36
; %bb.1:
	s_load_dwordx4 s[12:15], s[4:5], 0x1b8
	s_load_dword s3, s[4:5], 0x1a8
	s_load_dwordx2 s[10:11], s[4:5], 0x0
	s_load_dword s31, s[4:5], 0x6c
	s_load_dword s35, s[0:1], 0x0
	s_load_dwordx2 s[16:17], s[4:5], 0x1c8
	s_load_dword s6, s[4:5], 0x1d0
	s_add_u32 s8, s4, 0xd8
	s_addc_u32 s9, s5, 0
	s_waitcnt lgkmcnt(0)
	s_cmp_gt_i32 s3, 1
	s_cselect_b64 s[0:1], -1, 0
	s_bitcmp1_b32 s6, 0
	s_load_dword s33, s[4:5], 0x144
	s_load_dwordx2 s[18:19], s[4:5], 0xd8
	s_cselect_b64 s[4:5], -1, 0
	s_mul_i32 s35, s35, s2
	s_add_i32 s36, s3, 1
	s_add_i32 s2, s3, -1
	s_mov_b32 s3, 0
	s_lshl_b64 s[2:3], s[2:3], 2
	s_add_u32 s2, s2, s8
	s_mov_b32 s34, 0xcd9e8d57
	s_addc_u32 s3, s3, s9
	v_cndmask_b32_e64 v0, 0, 1, s[0:1]
	v_mad_u64_u32 v[20:21], s[6:7], v2, s34, 0
	s_add_u32 s20, s2, 8
	v_cmp_ne_u32_e64 s[0:1], 1, v0
	v_cndmask_b32_e64 v0, 0, 1, s[4:5]
	v_mov_b32_e32 v3, 0
	v_mov_b32_e32 v22, v21
	s_addc_u32 s21, s3, 0
	s_mov_b64 s[22:23], 0
	s_waitcnt lgkmcnt(0)
	v_mov_b32_e32 v21, s19
	v_cmp_ne_u32_e64 s[2:3], 1, v0
	s_mov_b32 s19, 0xd2511f53
	s_mov_b32 s37, 0x3f2aaaab
	v_mov_b32_e32 v23, 0x3ecccdef
	s_mov_b32 s38, 0x3f317218
	s_movk_i32 s39, 0x204
	s_mov_b32 s40, 0x7f800000
	s_mov_b32 s41, 0x42b17218
	;; [unrolled: 1-line block ×4, first 2 shown]
	s_brev_b32 s44, -2
	s_mov_b32 s45, 0xf800000
	v_mov_b32_e32 v28, 0x260
	s_mov_b32 s46, 0x3c6ef372
	s_mov_b32 s47, 0x76cf5d0a
	;; [unrolled: 1-line block ×17, first 2 shown]
	v_mov_b32_e32 v29, 0x37000000
	v_mov_b32_e32 v30, 0x7f800000
	;; [unrolled: 1-line block ×7, first 2 shown]
	s_branch .LBB122_4
.LBB122_2:                              ;   in Loop: Header=BB122_4 Depth=1
	s_or_b64 exec, exec, s[8:9]
.LBB122_3:                              ;   in Loop: Header=BB122_4 Depth=1
	s_or_b64 exec, exec, s[6:7]
	v_lshlrev_b64 v[0:1], 2, v[24:25]
	v_mov_b32_e32 v4, s11
	v_add_co_u32_e32 v0, vcc, s10, v0
	v_addc_co_u32_e32 v1, vcc, v4, v1, vcc
	v_cmp_ngt_f32_e32 vcc, s54, v44
	v_add_u32_e32 v35, s35, v35
	v_cndmask_b32_e32 v4, v34, v44, vcc
	v_cmp_le_u32_e32 vcc, s30, v35
	s_or_b64 s[22:23], vcc, s[22:23]
	global_store_dword v[0:1], v4, off
	s_andn2_b64 exec, exec, s[22:23]
	s_cbranch_execz .LBB122_36
.LBB122_4:                              ; =>This Loop Header: Depth=1
                                        ;     Child Loop BB122_7 Depth 2
                                        ;     Child Loop BB122_20 Depth 2
                                        ;       Child Loop BB122_23 Depth 3
	v_sub_u32_e32 v0, s30, v35
	v_cmp_lt_i32_e32 vcc, 0, v0
	v_pk_mov_b32 v[0:1], 0, 0
	v_pk_mov_b32 v[24:25], v[0:1], v[0:1] op_sel:[0,1]
	s_and_saveexec_b64 s[4:5], vcc
	s_cbranch_execz .LBB122_9
; %bb.5:                                ;   in Loop: Header=BB122_4 Depth=1
	s_and_b64 vcc, exec, s[0:1]
	v_mov_b32_e32 v0, 0
	v_mov_b32_e32 v4, v35
	s_cbranch_vccnz .LBB122_8
; %bb.6:                                ;   in Loop: Header=BB122_4 Depth=1
	v_mov_b32_e32 v0, 0
	s_mov_b64 s[6:7], s[20:21]
	s_mov_b32 s8, s36
	v_mov_b32_e32 v4, v35
.LBB122_7:                              ;   Parent Loop BB122_4 Depth=1
                                        ; =>  This Inner Loop Header: Depth=2
	s_load_dword s9, s[6:7], 0x0
	s_load_dword s24, s[6:7], 0x64
	v_mov_b32_e32 v1, v4
	s_add_i32 s8, s8, -1
	s_waitcnt lgkmcnt(0)
	v_cvt_f32_u32_e32 v4, s9
	s_sub_i32 s25, 0, s9
	s_add_u32 s6, s6, -4
	s_addc_u32 s7, s7, -1
	v_rcp_iflag_f32_e32 v4, v4
	s_cmp_gt_u32 s8, 2
	v_mul_f32_e32 v4, 0x4f7ffffe, v4
	v_cvt_u32_f32_e32 v4, v4
	v_mul_lo_u32 v5, s25, v4
	v_mul_hi_u32 v5, v4, v5
	v_add_u32_e32 v4, v4, v5
	v_mul_hi_u32 v4, v1, v4
	v_mul_lo_u32 v5, v4, s9
	v_sub_u32_e32 v5, v1, v5
	v_add_u32_e32 v6, 1, v4
	v_cmp_le_u32_e32 vcc, s9, v5
	v_cndmask_b32_e32 v4, v4, v6, vcc
	v_subrev_u32_e32 v6, s9, v5
	v_cndmask_b32_e32 v5, v5, v6, vcc
	v_add_u32_e32 v6, 1, v4
	v_cmp_le_u32_e32 vcc, s9, v5
	v_cndmask_b32_e32 v4, v4, v6, vcc
	v_mul_lo_u32 v5, v4, s9
	v_sub_u32_e32 v1, v1, v5
	v_mad_u64_u32 v[0:1], s[24:25], s24, v1, v[0:1]
	s_cbranch_scc1 .LBB122_7
.LBB122_8:                              ;   in Loop: Header=BB122_4 Depth=1
	v_mad_u64_u32 v[0:1], s[6:7], s33, v4, v[0:1]
	v_mul_lo_u32 v24, v35, s31
	v_mov_b32_e32 v25, v3
	v_mov_b32_e32 v1, v3
.LBB122_9:                              ;   in Loop: Header=BB122_4 Depth=1
	s_or_b64 exec, exec, s[4:5]
	v_lshlrev_b64 v[0:1], 2, v[0:1]
	v_add_co_u32_e32 v0, vcc, s18, v0
	v_addc_co_u32_e32 v1, vcc, v21, v1, vcc
	global_load_dword v38, v[0:1], off
	s_and_b64 vcc, exec, s[2:3]
	v_pk_mov_b32 v[0:1], s[14:15], s[14:15] op_sel:[0,1]
	v_pk_mov_b32 v[26:27], s[12:13], s[12:13] op_sel:[0,1]
	s_cbranch_vccnz .LBB122_11
; %bb.10:                               ;   in Loop: Header=BB122_4 Depth=1
	v_pk_mov_b32 v[0:1], s[14:15], s[14:15] op_sel:[0,1]
	flat_load_dwordx2 v[0:1], v[0:1]
	v_pk_mov_b32 v[4:5], s[12:13], s[12:13] op_sel:[0,1]
	flat_load_dwordx2 v[26:27], v[4:5]
	v_mov_b32_e32 v4, s17
	s_waitcnt vmcnt(0) lgkmcnt(0)
	v_add_co_u32_e32 v0, vcc, s16, v0
	v_addc_co_u32_e32 v1, vcc, v1, v4, vcc
.LBB122_11:                             ;   in Loop: Header=BB122_4 Depth=1
	v_and_b32_e32 v58, 3, v0
	v_alignbit_b32 v0, v1, v0, 2
	v_mad_u64_u32 v[6:7], s[4:5], v0, s19, 0
	v_lshrrev_b32_e32 v1, 2, v1
	v_xor_b32_e32 v5, v7, v27
	v_xor_b32_e32 v7, v22, v26
	v_mov_b32_e32 v4, v27
	v_xor_b32_e32 v7, v7, v1
	v_add_co_u32_e32 v39, vcc, s56, v4
	v_mad_u64_u32 v[8:9], s[4:5], v7, s19, 0
	v_mad_u64_u32 v[10:11], s[4:5], v5, s34, 0
	v_add_co_u32_e32 v40, vcc, 0x9e3779b9, v26
	v_xor_b32_e32 v5, v20, v11
	v_xor_b32_e32 v7, v39, v9
	v_xor_b32_e32 v5, v5, v40
	v_xor_b32_e32 v9, v7, v6
	v_add_co_u32_e32 v42, vcc, s46, v26
	v_add_co_u32_e32 v41, vcc, s47, v4
	v_mad_u64_u32 v[6:7], s[4:5], v5, s19, 0
	v_mad_u64_u32 v[12:13], s[4:5], v9, s34, 0
	v_xor_b32_e32 v5, v42, v13
	v_xor_b32_e32 v7, v41, v7
	v_xor_b32_e32 v5, v5, v10
	v_xor_b32_e32 v7, v7, v8
	v_add_co_u32_e32 v44, vcc, s57, v26
	v_add_co_u32_e32 v43, vcc, s48, v4
	v_mad_u64_u32 v[8:9], s[4:5], v5, s19, 0
	v_mad_u64_u32 v[10:11], s[4:5], v7, s34, 0
	;; [unrolled: 8-line block ×7, first 2 shown]
	v_xor_b32_e32 v7, v54, v7
	v_xor_b32_e32 v5, v53, v5
	;; [unrolled: 1-line block ×4, first 2 shown]
	v_mad_u64_u32 v[16:17], s[4:5], v7, s19, 0
	v_mad_u64_u32 v[18:19], s[4:5], v5, s34, 0
	v_add_u32_e32 v36, 0x8ff34781, v26
	v_add_u32_e32 v37, 0x96a522ad, v27
	v_xor_b32_e32 v5, v19, v6
	v_xor_b32_e32 v4, v17, v4
	;; [unrolled: 1-line block ×4, first 2 shown]
	v_pk_mov_b32 v[6:7], v[2:3], v[2:3] op_sel:[0,1]
	v_mov_b32_e32 v9, v18
	v_mov_b32_e32 v11, v16
	s_waitcnt vmcnt(0)
	v_cmp_gt_f32_e32 vcc, 1.0, v38
	s_mov_b64 s[4:5], -1
	v_mov_b32_e32 v19, 1.0
	v_pk_mov_b32 v[4:5], v[0:1], v[0:1] op_sel:[0,1]
                                        ; implicit-def: $sgpr6
	s_and_saveexec_b64 s[24:25], vcc
	s_cbranch_execz .LBB122_17
; %bb.12:                               ;   in Loop: Header=BB122_4 Depth=1
	v_cmp_neq_f32_e32 vcc, 0, v38
	s_mov_b64 s[28:29], 0
	v_mov_b32_e32 v19, 1.0
                                        ; implicit-def: $vgpr4_vgpr5_vgpr6_vgpr7
	s_and_saveexec_b64 s[26:27], vcc
	s_cbranch_execz .LBB122_16
; %bb.13:                               ;   in Loop: Header=BB122_4 Depth=1
	v_add_u32_e32 v17, 1, v58
	v_pk_mov_b32 v[14:15], v[10:11], v[10:11] op_sel:[0,1]
	v_pk_mov_b32 v[6:7], v[2:3], v[2:3] op_sel:[0,1]
	v_cmp_eq_u32_e32 vcc, 4, v17
	v_pk_mov_b32 v[12:13], v[8:9], v[8:9] op_sel:[0,1]
	v_pk_mov_b32 v[4:5], v[0:1], v[0:1] op_sel:[0,1]
	s_and_saveexec_b64 s[4:5], vcc
	s_cbranch_execz .LBB122_15
; %bb.14:                               ;   in Loop: Header=BB122_4 Depth=1
	v_add_co_u32_e32 v4, vcc, 1, v0
	v_cndmask_b32_e64 v0, 0, 1, vcc
	v_addc_co_u32_e32 v5, vcc, 0, v1, vcc
	v_cmp_eq_u32_e32 vcc, 0, v5
	v_cndmask_b32_e32 v0, 0, v0, vcc
	v_add_u32_e32 v6, v0, v2
	v_cmp_eq_u32_e32 vcc, 0, v6
	v_cndmask_b32_e32 v7, 0, v0, vcc
	v_mad_u64_u32 v[0:1], s[6:7], v4, s19, 0
	v_mad_u64_u32 v[12:13], s[6:7], v6, s34, 0
	v_xor_b32_e32 v9, v13, v26
	v_xor_b32_e32 v1, v1, v27
	v_xor_b32_e32 v9, v5, v9
	v_xor_b32_e32 v1, v7, v1
	v_mad_u64_u32 v[14:15], s[6:7], v9, s19, 0
	v_mad_u64_u32 v[56:57], s[6:7], v1, s34, 0
	v_xor_b32_e32 v1, v40, v57
	v_xor_b32_e32 v9, v39, v15
	v_xor_b32_e32 v1, v1, v12
	v_xor_b32_e32 v9, v9, v0
	;; [unrolled: 6-line block ×9, first 2 shown]
	v_mad_u64_u32 v[40:41], s[6:7], v9, s19, 0
	v_mad_u64_u32 v[42:43], s[6:7], v1, s34, 0
	v_xor_b32_e32 v1, v43, v12
	v_xor_b32_e32 v0, v41, v0
	v_mov_b32_e32 v17, 0
	v_xor_b32_e32 v12, v36, v1
	v_xor_b32_e32 v14, v37, v0
	v_mov_b32_e32 v13, v42
	v_mov_b32_e32 v15, v40
.LBB122_15:                             ;   in Loop: Header=BB122_4 Depth=1
	s_or_b64 exec, exec, s[4:5]
	v_cmp_eq_u32_e32 vcc, 1, v58
	v_cndmask_b32_e32 v0, v8, v18, vcc
	v_cmp_eq_u32_e32 vcc, 2, v58
	v_cndmask_b32_e32 v0, v0, v10, vcc
	;; [unrolled: 2-line block ×3, first 2 shown]
	v_div_scale_f32 v1, s[4:5], v38, v38, 1.0
	v_cvt_f32_u32_e32 v0, v0
	v_rcp_f32_e32 v8, v1
	v_mov_b32_e32 v9, 0x2f800000
	s_mov_b64 s[28:29], exec
	v_fmac_f32_e32 v9, 0x2f800000, v0
	v_fma_f32 v0, -v1, v8, 1.0
	v_fmac_f32_e32 v8, v0, v8
	v_div_scale_f32 v0, vcc, 1.0, v38, 1.0
	v_sub_f32_e32 v48, 1.0, v9
	v_mul_f32_e32 v9, v0, v8
	v_fma_f32 v10, -v1, v9, v0
	v_fmac_f32_e32 v9, v10, v8
	v_fma_f32 v0, -v1, v9, v0
	v_div_fmas_f32 v0, v0, v8, v9
	v_div_fixup_f32 v49, v0, v38, 1.0
	v_cmp_eq_f32_e32 vcc, 1.0, v48
	v_cndmask_b32_e64 v50, v49, 1.0, vcc
	v_cmp_eq_f32_e64 s[4:5], 0, v50
	v_cndmask_b32_e64 v51, |v48|, 1.0, s[4:5]
	v_frexp_mant_f32_e32 v0, v51
	v_cmp_gt_f32_e64 s[6:7], s37, v0
	v_cndmask_b32_e64 v1, 1.0, 2.0, s[6:7]
	v_mul_f32_e32 v0, v0, v1
	v_add_f32_e32 v9, 1.0, v0
	v_rcp_f32_e32 v16, v9
	v_add_f32_e32 v1, -1.0, v9
	v_sub_f32_e32 v11, v0, v1
	v_add_f32_e32 v1, -1.0, v0
	v_mul_f32_e32 v39, v1, v16
	v_mul_f32_e32 v8, v9, v39
	v_fma_f32 v10, v39, v9, -v8
	v_fmac_f32_e32 v10, v39, v11
	v_add_f32_e32 v0, v8, v10
	v_sub_f32_e32 v9, v1, v0
	v_pk_add_f32 v[18:19], v[0:1], v[8:9] neg_lo:[0,1] neg_hi:[0,1]
	v_mov_b32_e32 v11, v0
	v_pk_add_f32 v[0:1], v[18:19], v[10:11] neg_lo:[0,1] neg_hi:[0,1]
	v_add_f32_e32 v0, v0, v1
	v_add_f32_e32 v0, v9, v0
	v_mul_f32_e32 v1, v16, v0
	v_add_f32_e32 v0, v39, v1
	v_sub_f32_e32 v8, v0, v39
	v_sub_f32_e32 v16, v1, v8
	v_mul_f32_e32 v1, v0, v0
	v_fma_f32 v9, v0, v0, -v1
	v_add_f32_e32 v8, v16, v16
	v_fmac_f32_e32 v9, v0, v8
	v_add_f32_e32 v8, v1, v9
	v_mov_b32_e32 v10, 0x3e91f4c4
	v_fmac_f32_e32 v10, 0x3e76c4e1, v8
	v_fma_f32 v10, v8, v10, v23
	v_sub_f32_e32 v1, v8, v1
	v_sub_f32_e32 v39, v9, v1
	v_mul_f32_e32 v1, v8, v10
	v_fma_f32 v9, v8, v10, -v1
	v_fmac_f32_e32 v9, v39, v10
	v_add_f32_e32 v10, v1, v9
	v_add_f32_e32 v11, 0x3f2aaaaa, v10
	v_sub_f32_e32 v1, v10, v1
	v_sub_f32_e32 v1, v9, v1
	v_add_f32_e32 v9, 0xbf2aaaaa, v11
	v_add_f32_e32 v1, 0x31739010, v1
	v_sub_f32_e32 v9, v10, v9
	v_pk_mul_f32 v[18:19], v[0:1], v[8:9]
	v_fma_f32 v10, v8, v0, -v18
	v_pk_add_f32 v[40:41], v[0:1], v[8:9]
	v_fmac_f32_e32 v10, v8, v16
	v_mov_b32_e32 v19, v41
	v_fmac_f32_e32 v10, v39, v0
	v_pk_add_f32 v[8:9], v[18:19], v[10:11]
	v_sub_f32_e32 v1, v8, v18
	v_sub_f32_e32 v1, v10, v1
	;; [unrolled: 1-line block ×3, first 2 shown]
	v_add_f32_e32 v39, v41, v10
	v_mov_b32_e32 v10, v9
	v_pk_mul_f32 v[10:11], v[8:9], v[10:11]
	v_cvt_f64_f32_e32 v[18:19], v51
	v_frexp_exp_i32_f64_e32 v11, v[18:19]
	v_subbrev_co_u32_e64 v11, s[6:7], 0, v11, s[6:7]
	v_cvt_f32_i32_e32 v11, v11
	v_fma_f32 v18, v8, v9, -v10
	v_fmac_f32_e32 v18, v8, v39
	v_fmac_f32_e32 v18, v1, v9
	v_mul_f32_e32 v8, 0x3f317218, v11
	v_fma_f32 v40, v11, s38, -v8
	v_fmac_f32_e32 v40, 0xb102e308, v11
	v_ldexp_f32 v41, v0, 1
	v_add_f32_e32 v9, v10, v18
	v_pk_add_f32 v[0:1], v[8:9], v[40:41]
	v_mov_b32_e32 v42, v9
	v_mov_b32_e32 v43, v1
	;; [unrolled: 1-line block ×3, first 2 shown]
	v_pk_add_f32 v[10:11], v[42:43], v[10:11] neg_lo:[0,1] neg_hi:[0,1]
	v_mov_b32_e32 v19, v9
	v_ldexp_f32 v16, v16, 1
	v_pk_add_f32 v[10:11], v[18:19], v[10:11] neg_lo:[0,1] neg_hi:[0,1]
	v_add_f32_e32 v9, v16, v10
	v_add_f32_e32 v9, v9, v11
	v_pk_add_f32 v[10:11], v[0:1], v[8:9] neg_lo:[0,1] neg_hi:[0,1]
	v_pk_add_f32 v[18:19], v[0:1], v[8:9]
	v_mov_b32_e32 v42, v10
	v_mov_b32_e32 v43, v19
	;; [unrolled: 1-line block ×3, first 2 shown]
	v_pk_add_f32 v[42:43], v[40:41], v[42:43]
	v_mov_b32_e32 v8, v43
	v_pk_add_f32 v[44:45], v[8:9], v[0:1] neg_lo:[0,1] neg_hi:[0,1]
	v_mov_b32_e32 v39, v44
	v_mov_b32_e32 v42, v19
	;; [unrolled: 1-line block ×4, first 2 shown]
	v_pk_add_f32 v[10:11], v[40:41], v[10:11] neg_lo:[0,1] neg_hi:[0,1]
	v_pk_add_f32 v[46:47], v[18:19], v[38:39] neg_lo:[0,1] neg_hi:[0,1]
	;; [unrolled: 1-line block ×3, first 2 shown]
	v_mov_b32_e32 v40, v9
	v_pk_add_f32 v[0:1], v[40:41], v[0:1] neg_lo:[0,1] neg_hi:[0,1]
	v_mov_b32_e32 v46, v10
	v_pk_add_f32 v[18:19], v[46:47], v[0:1]
	v_mov_b32_e32 v16, v19
	v_pk_add_f32 v[40:41], v[18:19], v[16:17]
	v_pk_add_f32 v[8:9], v[8:9], v[40:41]
	v_mov_b32_e32 v11, v43
	v_mov_b32_e32 v19, v8
	v_pk_add_f32 v[42:43], v[18:19], v[10:11] neg_lo:[0,1] neg_hi:[0,1]
	v_mov_b32_e32 v1, v40
	v_sub_f32_e32 v9, v18, v42
	v_pk_add_f32 v[0:1], v[0:1], v[42:43] neg_lo:[0,1] neg_hi:[0,1]
	v_sub_f32_e32 v9, v10, v9
	v_add_f32_e32 v0, v0, v9
	v_add_f32_e32 v0, v0, v1
	v_add_f32_e32 v1, v8, v0
	v_sub_f32_e32 v8, v1, v8
	v_sub_f32_e32 v0, v0, v8
	v_mul_f32_e32 v8, v50, v1
	v_fma_f32 v1, v50, v1, -v8
	v_fmac_f32_e32 v1, v50, v0
	v_add_f32_e32 v0, v8, v1
	v_cmp_class_f32_e64 s[6:7], v8, s39
	v_sub_f32_e32 v9, v0, v8
	v_cndmask_b32_e64 v0, v0, v8, s[6:7]
	v_cmp_eq_f32_e64 s[6:7], s41, v0
	v_cndmask_b32_e64 v8, 0, v29, s[6:7]
	v_sub_f32_e32 v1, v1, v9
	v_sub_f32_e32 v9, v0, v8
	v_mul_f32_e32 v10, 0x3fb8aa3b, v9
	v_fma_f32 v11, v9, s42, -v10
	v_rndne_f32_e32 v16, v10
	v_fmac_f32_e32 v11, 0x32a5705f, v9
	v_sub_f32_e32 v10, v10, v16
	v_add_f32_e32 v10, v10, v11
	v_exp_f32_e32 v10, v10
	v_cvt_i32_f32_e32 v11, v16
	v_cmp_neq_f32_e64 s[6:7], |v0|, s40
	v_cndmask_b32_e64 v0, 0, v1, s[6:7]
	v_cmp_ngt_f32_e64 s[6:7], s43, v9
	v_ldexp_f32 v1, v10, v11
	v_cndmask_b32_e64 v1, 0, v1, s[6:7]
	v_cmp_nlt_f32_e64 s[6:7], s41, v9
	v_add_f32_e32 v0, v8, v0
	v_cndmask_b32_e64 v1, v30, v1, s[6:7]
	v_fma_f32 v0, v1, v0, v1
	v_cmp_class_f32_e64 s[6:7], v1, s39
	v_trunc_f32_e32 v8, v50
	v_cndmask_b32_e64 v0, v0, v1, s[6:7]
	v_cndmask_b32_e64 v1, v48, 1.0, s[4:5]
	v_cmp_eq_f32_e64 s[4:5], v8, v50
	v_mul_f32_e32 v8, 0.5, v50
	v_trunc_f32_e32 v9, v8
	v_cmp_neq_f32_e64 s[6:7], v9, v8
	s_and_b64 s[6:7], s[4:5], s[6:7]
	v_cndmask_b32_e64 v8, 1.0, v1, s[6:7]
	v_bfi_b32 v0, s44, v0, v8
	v_cndmask_b32_e64 v8, v31, v0, s[4:5]
	v_cmp_gt_f32_e64 s[4:5], 0, v1
	v_cndmask_b32_e64 v0, v0, v8, s[4:5]
	v_cndmask_b32_e64 v8, |v49|, 1.0, vcc
	v_cmp_neq_f32_e32 vcc, v50, v8
	v_cmp_gt_f32_e64 s[4:5], 1.0, v51
	s_xor_b64 s[4:5], vcc, s[4:5]
	v_cndmask_b32_e64 v9, v8, 0, s[4:5]
	v_cmp_eq_f32_e32 vcc, 1.0, v51
	v_cmp_eq_f32_e64 s[4:5], 0, v1
	v_cmp_gt_f32_e64 s[8:9], 0, v50
	v_cndmask_b32_e32 v9, v9, v51, vcc
	v_cmp_eq_f32_e32 vcc, s40, v8
	s_xor_b64 s[8:9], s[8:9], s[4:5]
	v_cndmask_b32_e32 v0, v0, v9, vcc
	v_cmp_eq_f32_e32 vcc, s40, v51
	v_cndmask_b32_e64 v8, v30, 0, s[8:9]
	v_cndmask_b32_e64 v1, 0, v1, s[6:7]
	v_bfi_b32 v1, s44, v8, v1
	s_or_b64 vcc, vcc, s[4:5]
	v_pk_mov_b32 v[8:9], v[12:13], v[12:13] op_sel:[0,1]
	v_cndmask_b32_e32 v19, v0, v1, vcc
	v_add_f32_e32 v38, 1.0, v38
	v_pk_mov_b32 v[10:11], v[14:15], v[14:15] op_sel:[0,1]
	v_mov_b32_e32 v58, v17
.LBB122_16:                             ;   in Loop: Header=BB122_4 Depth=1
	s_or_b64 exec, exec, s[26:27]
	s_mov_b32 s6, 0
	s_orn2_b64 s[4:5], s[28:29], exec
.LBB122_17:                             ;   in Loop: Header=BB122_4 Depth=1
	s_or_b64 exec, exec, s[24:25]
	v_mov_b32_e32 v44, s6
	s_and_saveexec_b64 s[6:7], s[4:5]
	s_cbranch_execz .LBB122_3
; %bb.18:                               ;   in Loop: Header=BB122_4 Depth=1
	v_add_f32_e32 v38, 0xbeaaaaab, v38
	v_mul_f32_e32 v0, 0x41100000, v38
	v_mul_f32_e32 v1, 0x4f800000, v0
	v_cmp_gt_f32_e32 vcc, s45, v0
	v_cndmask_b32_e32 v0, v0, v1, vcc
	v_sqrt_f32_e32 v1, v0
	v_mul_f32_e32 v40, v19, v38
	v_add_u32_e32 v41, 0x9e3779b9, v26
	v_add_u32_e32 v42, 0xbb67ae85, v27
	v_add_u32_e32 v12, -1, v1
	v_fma_f32 v14, -v12, v1, v0
	v_add_u32_e32 v13, 1, v1
	v_cmp_ge_f32_e64 s[4:5], 0, v14
	v_cndmask_b32_e64 v12, v1, v12, s[4:5]
	v_fma_f32 v1, -v13, v1, v0
	v_cmp_lt_f32_e64 s[4:5], 0, v1
	v_cndmask_b32_e64 v1, v12, v13, s[4:5]
	v_mul_f32_e32 v12, 0x37800000, v1
	v_cndmask_b32_e32 v1, v1, v12, vcc
	v_cmp_class_f32_e32 vcc, v0, v28
	v_cndmask_b32_e32 v0, v1, v0, vcc
	v_div_scale_f32 v1, s[4:5], v0, v0, 1.0
	v_rcp_f32_e32 v12, v1
	v_add_u32_e32 v43, 0x3c6ef372, v26
	v_add_u32_e32 v45, 0x76cf5d0a, v27
	;; [unrolled: 1-line block ×3, first 2 shown]
	v_fma_f32 v13, -v1, v12, 1.0
	v_fmac_f32_e32 v12, v13, v12
	v_div_scale_f32 v13, vcc, 1.0, v0, 1.0
	v_mul_f32_e32 v14, v13, v12
	v_fma_f32 v15, -v1, v14, v13
	v_fmac_f32_e32 v14, v15, v12
	v_fma_f32 v1, -v1, v14, v13
	v_div_fmas_f32 v1, v1, v12, v14
	v_div_fixup_f32 v39, v1, v0, 1.0
	v_add_u32_e32 v47, 0x32370b8f, v27
	v_add_u32_e32 v48, 0x78dde6e4, v26
	;; [unrolled: 1-line block ×11, first 2 shown]
	s_mov_b64 s[8:9], 0
	v_mov_b32_e32 v60, 0
                                        ; implicit-def: $vgpr0
                                        ; implicit-def: $vgpr44
	s_branch .LBB122_20
.LBB122_19:                             ;   in Loop: Header=BB122_20 Depth=2
	s_or_b64 exec, exec, s[24:25]
	s_xor_b64 s[4:5], s[4:5], -1
	s_and_b64 s[4:5], exec, s[4:5]
	s_or_b64 s[8:9], s[4:5], s[8:9]
	s_andn2_b64 exec, exec, s[8:9]
	s_cbranch_execz .LBB122_2
.LBB122_20:                             ;   Parent Loop BB122_4 Depth=1
                                        ; =>  This Loop Header: Depth=2
                                        ;       Child Loop BB122_23 Depth 3
	v_pk_mov_b32 v[14:15], v[10:11], v[10:11] op_sel:[0,1]
	s_mov_b64 s[24:25], 0
	v_mov_b32_e32 v59, v58
	v_pk_mov_b32 v[12:13], v[8:9], v[8:9] op_sel:[0,1]
	s_branch .LBB122_23
.LBB122_21:                             ;   in Loop: Header=BB122_23 Depth=3
	s_or_b64 exec, exec, s[4:5]
	v_cmp_eq_u32_e32 vcc, 1, v59
	v_cndmask_b32_e32 v1, v12, v13, vcc
	v_cmp_eq_u32_e32 vcc, 2, v59
	v_cndmask_b32_e32 v1, v1, v14, vcc
	;; [unrolled: 2-line block ×3, first 2 shown]
	v_cvt_f32_u32_e32 v1, v1
	v_cmp_eq_u32_e32 vcc, 1, v0
	v_cndmask_b32_e32 v8, v8, v9, vcc
	v_mov_b32_e32 v9, 0x2f800000
	v_cmp_eq_u32_e32 vcc, 2, v0
	v_fmac_f32_e32 v9, 0x2f800000, v1
	v_cndmask_b32_e32 v8, v8, v10, vcc
	v_cmp_gt_f32_e32 vcc, s54, v9
	v_cndmask_b32_e32 v1, 1.0, v32, vcc
	v_mul_f32_e32 v1, v9, v1
	v_log_f32_e32 v1, v1
	v_cmp_eq_u32_e64 s[4:5], 3, v0
	v_cndmask_b32_e64 v0, v8, v11, s[4:5]
	v_cvt_f32_u32_e32 v0, v0
	v_mul_f32_e32 v8, 0x3f317217, v1
	v_fma_f32 v9, v1, s55, -v8
	v_fmac_f32_e32 v9, 0x3377d1cf, v1
	v_add_f32_e32 v8, v8, v9
	v_cmp_lt_f32_e64 s[4:5], |v1|, s40
	v_cndmask_b32_e64 v1, v1, v8, s[4:5]
	v_cndmask_b32_e32 v8, 0, v33, vcc
	v_sub_f32_e32 v1, v1, v8
	v_mul_f32_e32 v1, -2.0, v1
	v_mul_f32_e32 v8, 0x4f800000, v1
	v_cmp_gt_f32_e32 vcc, s45, v1
	v_cndmask_b32_e32 v8, v1, v8, vcc
	v_sqrt_f32_e32 v1, v8
	v_mov_b32_e32 v9, 0x30c90fdb
	v_fmac_f32_e32 v9, 0x30c90fdb, v0
	v_pk_mov_b32 v[12:13], v[16:17], v[16:17] op_sel:[0,1]
	v_add_u32_e32 v0, -1, v1
	v_fma_f32 v10, -v0, v1, v8
	v_cmp_ge_f32_e64 s[4:5], 0, v10
	v_add_u32_e32 v10, 1, v1
	v_cndmask_b32_e64 v0, v1, v0, s[4:5]
	v_fma_f32 v1, -v10, v1, v8
	v_cmp_lt_f32_e64 s[4:5], 0, v1
	v_cndmask_b32_e64 v10, v0, v10, s[4:5]
	v_mul_f32_e32 v0, 0.15915494, v9
	v_sin_f32_e32 v1, v0
	v_cos_f32_e32 v0, v0
	v_mul_f32_e32 v11, 0x37800000, v10
	v_cndmask_b32_e32 v9, v10, v11, vcc
	v_cmp_class_f32_e32 vcc, v8, v28
	v_cndmask_b32_e32 v8, v9, v8, vcc
	v_pk_mul_f32 v[0:1], v[8:9], v[0:1] op_sel_hi:[0,1]
	v_mov_b32_e32 v60, 1
	v_pk_mov_b32 v[14:15], v[18:19], v[18:19] op_sel:[0,1]
	v_mov_b32_e32 v59, v58
.LBB122_22:                             ;   in Loop: Header=BB122_23 Depth=3
	s_or_b64 exec, exec, s[26:27]
	v_fma_f32 v16, v39, v1, 1.0
	v_cmp_nge_f32_e32 vcc, 0, v16
	s_or_b64 s[24:25], vcc, s[24:25]
	s_andn2_b64 exec, exec, s[24:25]
	s_cbranch_execz .LBB122_28
.LBB122_23:                             ;   Parent Loop BB122_4 Depth=1
                                        ;     Parent Loop BB122_20 Depth=2
                                        ; =>    This Inner Loop Header: Depth=3
	v_cmp_eq_u32_e32 vcc, 0, v60
	v_mov_b32_e32 v60, 0
	v_mov_b32_e32 v1, v0
	s_and_saveexec_b64 s[26:27], vcc
	s_cbranch_execz .LBB122_22
; %bb.24:                               ;   in Loop: Header=BB122_23 Depth=3
	v_add_u32_e32 v0, 1, v59
	v_pk_mov_b32 v[8:9], v[12:13], v[12:13] op_sel:[0,1]
	v_cmp_eq_u32_e32 vcc, 4, v0
	v_pk_mov_b32 v[10:11], v[14:15], v[14:15] op_sel:[0,1]
	s_and_saveexec_b64 s[4:5], vcc
	s_cbranch_execz .LBB122_26
; %bb.25:                               ;   in Loop: Header=BB122_23 Depth=3
	v_add_co_u32_e32 v4, vcc, 1, v4
	v_cndmask_b32_e64 v1, 0, 1, vcc
	v_addc_co_u32_e32 v5, vcc, 0, v5, vcc
	v_cmp_eq_u32_e32 vcc, 0, v5
	v_cndmask_b32_e32 v1, 0, v1, vcc
	v_add_u32_e32 v6, v1, v6
	v_cmp_eq_u32_e32 vcc, 0, v6
	v_cndmask_b32_e32 v1, 0, v1, vcc
	v_mad_u64_u32 v[8:9], s[28:29], v4, s19, 0
	v_mad_u64_u32 v[10:11], s[28:29], v6, s34, 0
	v_add_u32_e32 v7, v1, v7
	v_xor_b32_e32 v1, v11, v26
	v_xor_b32_e32 v9, v9, v27
	v_xor_b32_e32 v1, v5, v1
	v_xor_b32_e32 v9, v7, v9
	v_mad_u64_u32 v[16:17], s[28:29], v1, s19, 0
	v_mad_u64_u32 v[18:19], s[28:29], v9, s34, 0
	v_xor_b32_e32 v1, v19, v10
	v_xor_b32_e32 v8, v17, v8
	v_xor_b32_e32 v1, v41, v1
	v_xor_b32_e32 v10, v42, v8
	v_mad_u64_u32 v[8:9], s[28:29], v1, s19, 0
	v_mad_u64_u32 v[10:11], s[28:29], v10, s34, 0
	;; [unrolled: 6-line block ×9, first 2 shown]
	v_xor_b32_e32 v1, v19, v8
	v_xor_b32_e32 v8, v36, v1
	;; [unrolled: 1-line block ×3, first 2 shown]
	v_mov_b32_e32 v0, 0
	v_xor_b32_e32 v10, v37, v1
	v_mov_b32_e32 v9, v18
	v_mov_b32_e32 v11, v16
.LBB122_26:                             ;   in Loop: Header=BB122_23 Depth=3
	s_or_b64 exec, exec, s[4:5]
	v_add_u32_e32 v58, 1, v0
	v_pk_mov_b32 v[18:19], v[10:11], v[10:11] op_sel:[0,1]
	v_cmp_eq_u32_e32 vcc, 4, v58
	v_pk_mov_b32 v[16:17], v[8:9], v[8:9] op_sel:[0,1]
	s_and_saveexec_b64 s[4:5], vcc
	s_cbranch_execz .LBB122_21
; %bb.27:                               ;   in Loop: Header=BB122_23 Depth=3
	v_add_co_u32_e32 v4, vcc, 1, v4
	v_cndmask_b32_e64 v1, 0, 1, vcc
	v_addc_co_u32_e32 v5, vcc, 0, v5, vcc
	v_cmp_eq_u32_e32 vcc, 0, v5
	v_cndmask_b32_e32 v1, 0, v1, vcc
	v_add_u32_e32 v6, v1, v6
	v_cmp_eq_u32_e32 vcc, 0, v6
	v_cndmask_b32_e32 v1, 0, v1, vcc
	v_mad_u64_u32 v[16:17], s[28:29], v4, s19, 0
	v_mad_u64_u32 v[18:19], s[28:29], v6, s34, 0
	v_add_u32_e32 v7, v1, v7
	v_xor_b32_e32 v1, v19, v26
	v_xor_b32_e32 v17, v17, v27
	v_xor_b32_e32 v1, v5, v1
	v_xor_b32_e32 v17, v7, v17
	v_mad_u64_u32 v[60:61], s[28:29], v1, s19, 0
	v_mad_u64_u32 v[62:63], s[28:29], v17, s34, 0
	v_xor_b32_e32 v1, v63, v18
	v_xor_b32_e32 v16, v61, v16
	v_xor_b32_e32 v1, v41, v1
	v_xor_b32_e32 v18, v42, v16
	v_mad_u64_u32 v[16:17], s[28:29], v1, s19, 0
	v_mad_u64_u32 v[18:19], s[28:29], v18, s34, 0
	;; [unrolled: 6-line block ×9, first 2 shown]
	v_xor_b32_e32 v1, v63, v16
	v_xor_b32_e32 v16, v36, v1
	;; [unrolled: 1-line block ×3, first 2 shown]
	v_mov_b32_e32 v58, 0
	v_xor_b32_e32 v18, v37, v1
	v_mov_b32_e32 v17, v62
	v_mov_b32_e32 v19, v60
	s_branch .LBB122_21
.LBB122_28:                             ;   in Loop: Header=BB122_20 Depth=2
	s_or_b64 exec, exec, s[24:25]
	v_add_u32_e32 v58, 1, v59
	v_pk_mov_b32 v[8:9], v[12:13], v[12:13] op_sel:[0,1]
	v_cmp_eq_u32_e32 vcc, 4, v58
	v_pk_mov_b32 v[10:11], v[14:15], v[14:15] op_sel:[0,1]
	s_and_saveexec_b64 s[4:5], vcc
	s_cbranch_execz .LBB122_30
; %bb.29:                               ;   in Loop: Header=BB122_20 Depth=2
	v_add_co_u32_e32 v4, vcc, 1, v4
	v_cndmask_b32_e64 v8, 0, 1, vcc
	v_addc_co_u32_e32 v5, vcc, 0, v5, vcc
	v_cmp_eq_u32_e32 vcc, 0, v5
	v_cndmask_b32_e32 v8, 0, v8, vcc
	v_add_u32_e32 v6, v8, v6
	v_cmp_eq_u32_e32 vcc, 0, v6
	v_cndmask_b32_e32 v8, 0, v8, vcc
	v_add_u32_e32 v7, v8, v7
	v_mad_u64_u32 v[8:9], s[24:25], v4, s19, 0
	v_mad_u64_u32 v[10:11], s[24:25], v6, s34, 0
	v_xor_b32_e32 v11, v11, v26
	v_xor_b32_e32 v9, v9, v27
	v_xor_b32_e32 v11, v5, v11
	v_xor_b32_e32 v9, v7, v9
	v_mad_u64_u32 v[18:19], s[24:25], v11, s19, 0
	v_mad_u64_u32 v[62:63], s[24:25], v9, s34, 0
	v_xor_b32_e32 v9, v63, v10
	v_xor_b32_e32 v8, v19, v8
	v_xor_b32_e32 v9, v41, v9
	v_xor_b32_e32 v10, v42, v8
	;; [unrolled: 6-line block ×9, first 2 shown]
	v_mad_u64_u32 v[18:19], s[24:25], v9, s19, 0
	v_mad_u64_u32 v[62:63], s[24:25], v11, s34, 0
	v_xor_b32_e32 v8, v63, v8
	v_xor_b32_e32 v9, v19, v10
	v_mov_b32_e32 v58, 0
	v_xor_b32_e32 v8, v36, v8
	v_xor_b32_e32 v10, v37, v9
	v_mov_b32_e32 v9, v62
	v_mov_b32_e32 v11, v18
.LBB122_30:                             ;   in Loop: Header=BB122_20 Depth=2
	s_or_b64 exec, exec, s[4:5]
	v_cmp_eq_u32_e32 vcc, 1, v59
	v_cndmask_b32_e32 v12, v12, v13, vcc
	v_cmp_eq_u32_e32 vcc, 2, v59
	v_cndmask_b32_e32 v12, v12, v14, vcc
	;; [unrolled: 2-line block ×3, first 2 shown]
	v_cvt_f32_u32_e32 v13, v12
	v_mov_b32_e32 v14, 0x2f800000
	v_mul_f32_e32 v1, v1, v1
	v_mul_f32_e32 v12, v16, v16
	v_fmac_f32_e32 v14, 0x2f800000, v13
	v_sub_f32_e32 v13, 1.0, v14
	v_mul_f32_e32 v14, 0xbd0793de, v1
	v_fma_f32 v14, v1, v14, 1.0
	v_mul_f32_e32 v12, v16, v12
	v_cmp_nlt_f32_e32 vcc, v13, v14
                                        ; implicit-def: $sgpr4_sgpr5
	s_and_saveexec_b64 s[24:25], vcc
	s_xor_b64 s[24:25], exec, s[24:25]
	s_cbranch_execz .LBB122_34
; %bb.31:                               ;   in Loop: Header=BB122_20 Depth=2
	v_cmp_gt_f32_e32 vcc, s54, v13
	v_cndmask_b32_e32 v14, 1.0, v32, vcc
	v_mul_f32_e32 v13, v13, v14
	v_log_f32_e32 v13, v13
	v_mul_f32_e32 v14, 0x3f317217, v13
	v_fma_f32 v15, v13, s55, -v14
	v_fmac_f32_e32 v15, 0x3377d1cf, v13
	v_add_f32_e32 v14, v14, v15
	v_cmp_lt_f32_e64 s[4:5], |v13|, s40
	v_cndmask_b32_e64 v13, v13, v14, s[4:5]
	v_cmp_gt_f32_e64 s[4:5], s54, v12
	v_cndmask_b32_e64 v14, 1.0, v32, s[4:5]
	v_mul_f32_e32 v14, v12, v14
	v_log_f32_e32 v14, v14
	v_cndmask_b32_e32 v15, 0, v33, vcc
	v_sub_f32_e32 v13, v13, v15
	v_sub_f32_e32 v15, 1.0, v12
	v_mul_f32_e32 v16, 0x3f317217, v14
	v_fma_f32 v17, v14, s55, -v16
	v_fmac_f32_e32 v17, 0x3377d1cf, v14
	v_add_f32_e32 v16, v16, v17
	v_cmp_lt_f32_e64 vcc, |v14|, s40
	v_cndmask_b32_e32 v14, v14, v16, vcc
	v_cndmask_b32_e64 v16, 0, v33, s[4:5]
	v_sub_f32_e32 v14, v14, v16
	v_add_f32_e32 v14, v15, v14
	v_mul_f32_e32 v14, v38, v14
	v_fmac_f32_e32 v14, 0.5, v1
	v_cmp_lt_f32_e32 vcc, v13, v14
	s_mov_b64 s[4:5], -1
	s_and_saveexec_b64 s[26:27], vcc
; %bb.32:                               ;   in Loop: Header=BB122_20 Depth=2
	v_mul_f32_e32 v44, v40, v12
	s_xor_b64 s[4:5], exec, -1
; %bb.33:                               ;   in Loop: Header=BB122_20 Depth=2
	s_or_b64 exec, exec, s[26:27]
	s_and_b64 s[4:5], s[4:5], exec
                                        ; implicit-def: $vgpr12
.LBB122_34:                             ;   in Loop: Header=BB122_20 Depth=2
	s_andn2_saveexec_b64 s[24:25], s[24:25]
	s_cbranch_execz .LBB122_19
; %bb.35:                               ;   in Loop: Header=BB122_20 Depth=2
	v_mul_f32_e32 v44, v40, v12
	s_andn2_b64 s[4:5], s[4:5], exec
	s_branch .LBB122_19
.LBB122_36:
	s_endpgm
	.section	.rodata,"a",@progbits
	.p2align	6, 0x0
	.amdhsa_kernel _ZN2at4cuda12_GLOBAL__N_121kernelPointwiseApply2IZN12_GLOBAL__N_117gamma_cuda_kernelIfEEvRKNS_10TensorBaseES7_NS_15PhiloxCudaStateEEUlRfRKfE_ffjLi1ELin1ELi1ELi256ELi2EEEvNS0_6detail10TensorInfoIT0_T2_EENSE_IT1_SG_EESG_T_
		.amdhsa_group_segment_fixed_size 0
		.amdhsa_private_segment_fixed_size 0
		.amdhsa_kernarg_size 728
		.amdhsa_user_sgpr_count 6
		.amdhsa_user_sgpr_private_segment_buffer 1
		.amdhsa_user_sgpr_dispatch_ptr 0
		.amdhsa_user_sgpr_queue_ptr 0
		.amdhsa_user_sgpr_kernarg_segment_ptr 1
		.amdhsa_user_sgpr_dispatch_id 0
		.amdhsa_user_sgpr_flat_scratch_init 0
		.amdhsa_user_sgpr_kernarg_preload_length 0
		.amdhsa_user_sgpr_kernarg_preload_offset 0
		.amdhsa_user_sgpr_private_segment_size 0
		.amdhsa_uses_dynamic_stack 0
		.amdhsa_system_sgpr_private_segment_wavefront_offset 0
		.amdhsa_system_sgpr_workgroup_id_x 1
		.amdhsa_system_sgpr_workgroup_id_y 0
		.amdhsa_system_sgpr_workgroup_id_z 0
		.amdhsa_system_sgpr_workgroup_info 0
		.amdhsa_system_vgpr_workitem_id 0
		.amdhsa_next_free_vgpr 64
		.amdhsa_next_free_sgpr 63
		.amdhsa_accum_offset 64
		.amdhsa_reserve_vcc 1
		.amdhsa_reserve_flat_scratch 0
		.amdhsa_float_round_mode_32 0
		.amdhsa_float_round_mode_16_64 0
		.amdhsa_float_denorm_mode_32 3
		.amdhsa_float_denorm_mode_16_64 3
		.amdhsa_dx10_clamp 1
		.amdhsa_ieee_mode 1
		.amdhsa_fp16_overflow 0
		.amdhsa_tg_split 0
		.amdhsa_exception_fp_ieee_invalid_op 0
		.amdhsa_exception_fp_denorm_src 0
		.amdhsa_exception_fp_ieee_div_zero 0
		.amdhsa_exception_fp_ieee_overflow 0
		.amdhsa_exception_fp_ieee_underflow 0
		.amdhsa_exception_fp_ieee_inexact 0
		.amdhsa_exception_int_div_zero 0
	.end_amdhsa_kernel
	.section	.text._ZN2at4cuda12_GLOBAL__N_121kernelPointwiseApply2IZN12_GLOBAL__N_117gamma_cuda_kernelIfEEvRKNS_10TensorBaseES7_NS_15PhiloxCudaStateEEUlRfRKfE_ffjLi1ELin1ELi1ELi256ELi2EEEvNS0_6detail10TensorInfoIT0_T2_EENSE_IT1_SG_EESG_T_,"axG",@progbits,_ZN2at4cuda12_GLOBAL__N_121kernelPointwiseApply2IZN12_GLOBAL__N_117gamma_cuda_kernelIfEEvRKNS_10TensorBaseES7_NS_15PhiloxCudaStateEEUlRfRKfE_ffjLi1ELin1ELi1ELi256ELi2EEEvNS0_6detail10TensorInfoIT0_T2_EENSE_IT1_SG_EESG_T_,comdat
.Lfunc_end122:
	.size	_ZN2at4cuda12_GLOBAL__N_121kernelPointwiseApply2IZN12_GLOBAL__N_117gamma_cuda_kernelIfEEvRKNS_10TensorBaseES7_NS_15PhiloxCudaStateEEUlRfRKfE_ffjLi1ELin1ELi1ELi256ELi2EEEvNS0_6detail10TensorInfoIT0_T2_EENSE_IT1_SG_EESG_T_, .Lfunc_end122-_ZN2at4cuda12_GLOBAL__N_121kernelPointwiseApply2IZN12_GLOBAL__N_117gamma_cuda_kernelIfEEvRKNS_10TensorBaseES7_NS_15PhiloxCudaStateEEUlRfRKfE_ffjLi1ELin1ELi1ELi256ELi2EEEvNS0_6detail10TensorInfoIT0_T2_EENSE_IT1_SG_EESG_T_
                                        ; -- End function
	.section	.AMDGPU.csdata,"",@progbits
; Kernel info:
; codeLenInByte = 5328
; NumSgprs: 67
; NumVgprs: 64
; NumAgprs: 0
; TotalNumVgprs: 64
; ScratchSize: 0
; MemoryBound: 0
; FloatMode: 240
; IeeeMode: 1
; LDSByteSize: 0 bytes/workgroup (compile time only)
; SGPRBlocks: 8
; VGPRBlocks: 7
; NumSGPRsForWavesPerEU: 67
; NumVGPRsForWavesPerEU: 64
; AccumOffset: 64
; Occupancy: 8
; WaveLimiterHint : 1
; COMPUTE_PGM_RSRC2:SCRATCH_EN: 0
; COMPUTE_PGM_RSRC2:USER_SGPR: 6
; COMPUTE_PGM_RSRC2:TRAP_HANDLER: 0
; COMPUTE_PGM_RSRC2:TGID_X_EN: 1
; COMPUTE_PGM_RSRC2:TGID_Y_EN: 0
; COMPUTE_PGM_RSRC2:TGID_Z_EN: 0
; COMPUTE_PGM_RSRC2:TIDIG_COMP_CNT: 0
; COMPUTE_PGM_RSRC3_GFX90A:ACCUM_OFFSET: 15
; COMPUTE_PGM_RSRC3_GFX90A:TG_SPLIT: 0
	.section	.text._ZN2at4cuda12_GLOBAL__N_121kernelPointwiseApply2IZN12_GLOBAL__N_117gamma_cuda_kernelIfEEvRKNS_10TensorBaseES7_NS_15PhiloxCudaStateEEUlRfRKfE_ffjLi2ELi1ELi1ELi256ELi2EEEvNS0_6detail10TensorInfoIT0_T2_EENSE_IT1_SG_EESG_T_,"axG",@progbits,_ZN2at4cuda12_GLOBAL__N_121kernelPointwiseApply2IZN12_GLOBAL__N_117gamma_cuda_kernelIfEEvRKNS_10TensorBaseES7_NS_15PhiloxCudaStateEEUlRfRKfE_ffjLi2ELi1ELi1ELi256ELi2EEEvNS0_6detail10TensorInfoIT0_T2_EENSE_IT1_SG_EESG_T_,comdat
	.globl	_ZN2at4cuda12_GLOBAL__N_121kernelPointwiseApply2IZN12_GLOBAL__N_117gamma_cuda_kernelIfEEvRKNS_10TensorBaseES7_NS_15PhiloxCudaStateEEUlRfRKfE_ffjLi2ELi1ELi1ELi256ELi2EEEvNS0_6detail10TensorInfoIT0_T2_EENSE_IT1_SG_EESG_T_ ; -- Begin function _ZN2at4cuda12_GLOBAL__N_121kernelPointwiseApply2IZN12_GLOBAL__N_117gamma_cuda_kernelIfEEvRKNS_10TensorBaseES7_NS_15PhiloxCudaStateEEUlRfRKfE_ffjLi2ELi1ELi1ELi256ELi2EEEvNS0_6detail10TensorInfoIT0_T2_EENSE_IT1_SG_EESG_T_
	.p2align	8
	.type	_ZN2at4cuda12_GLOBAL__N_121kernelPointwiseApply2IZN12_GLOBAL__N_117gamma_cuda_kernelIfEEvRKNS_10TensorBaseES7_NS_15PhiloxCudaStateEEUlRfRKfE_ffjLi2ELi1ELi1ELi256ELi2EEEvNS0_6detail10TensorInfoIT0_T2_EENSE_IT1_SG_EESG_T_,@function
_ZN2at4cuda12_GLOBAL__N_121kernelPointwiseApply2IZN12_GLOBAL__N_117gamma_cuda_kernelIfEEvRKNS_10TensorBaseES7_NS_15PhiloxCudaStateEEUlRfRKfE_ffjLi2ELi1ELi1ELi256ELi2EEEvNS0_6detail10TensorInfoIT0_T2_EENSE_IT1_SG_EESG_T_: ; @_ZN2at4cuda12_GLOBAL__N_121kernelPointwiseApply2IZN12_GLOBAL__N_117gamma_cuda_kernelIfEEvRKNS_10TensorBaseES7_NS_15PhiloxCudaStateEEUlRfRKfE_ffjLi2ELi1ELi1ELi256ELi2EEEvNS0_6detail10TensorInfoIT0_T2_EENSE_IT1_SG_EESG_T_
; %bb.0:
	s_load_dword s2, s[4:5], 0x1e4
	s_load_dword s28, s[4:5], 0x1b0
	s_add_u32 s0, s4, 0x1d8
	s_addc_u32 s1, s5, 0
	s_waitcnt lgkmcnt(0)
	s_and_b32 s2, s2, 0xffff
	s_mul_i32 s6, s6, s2
	v_add_u32_e32 v2, s6, v0
	v_cmp_gt_u32_e32 vcc, s28, v2
	s_and_saveexec_b64 s[6:7], vcc
	s_cbranch_execz .LBB123_33
; %bb.1:
	s_load_dwordx2 s[12:13], s[4:5], 0x0
	s_load_dword s29, s[4:5], 0xc
	s_load_dwordx2 s[14:15], s[4:5], 0x6c
	s_load_dwordx2 s[16:17], s[4:5], 0xd8
	;; [unrolled: 1-line block ×3, first 2 shown]
	s_load_dword s3, s[4:5], 0x1d0
	s_load_dword s30, s[4:5], 0x144
	s_load_dwordx4 s[8:11], s[4:5], 0x1b8
	s_waitcnt lgkmcnt(0)
	v_cvt_f32_u32_e32 v0, s29
	s_load_dword s33, s[0:1], 0x0
	s_mov_b32 s31, 0xcd9e8d57
	s_bitcmp1_b32 s3, 0
	v_rcp_iflag_f32_e32 v0, v0
	v_mad_u64_u32 v[20:21], s[0:1], v2, s31, 0
	s_waitcnt lgkmcnt(0)
	s_mul_i32 s33, s33, s2
	v_mul_f32_e32 v0, 0x4f7ffffe, v0
	v_cvt_u32_f32_e32 v0, v0
	s_cselect_b64 s[0:1], -1, 0
	s_sub_i32 s2, 0, s29
	v_mov_b32_e32 v22, v21
	v_mul_lo_u32 v1, s2, v0
	v_mul_hi_u32 v1, v0, v1
	v_add_u32_e32 v21, v0, v1
	v_cndmask_b32_e64 v0, 0, 1, s[0:1]
	v_mov_b32_e32 v3, 0
	s_mov_b64 s[20:21], 0
	v_mov_b32_e32 v23, s17
	v_cmp_ne_u32_e64 s[0:1], 1, v0
	s_mov_b32 s17, 0xd2511f53
	s_mov_b32 s34, 0x9e3779b9
	;; [unrolled: 1-line block ×8, first 2 shown]
	v_mov_b32_e32 v28, 0x3ecccdef
	s_mov_b32 s41, 0x3f317218
	s_movk_i32 s42, 0x204
	s_mov_b32 s43, 0x7f800000
	s_mov_b32 s44, 0x42b17218
	;; [unrolled: 1-line block ×4, first 2 shown]
	s_brev_b32 s47, -2
	s_mov_b32 s48, 0xf800000
	v_mov_b32_e32 v29, 0x260
	s_mov_b32 s49, 0x78dde6e4
	s_mov_b32 s50, 0x1715609d
	;; [unrolled: 1-line block ×12, first 2 shown]
	v_mov_b32_e32 v30, 0x37000000
	v_mov_b32_e32 v31, 0x7f800000
	;; [unrolled: 1-line block ×7, first 2 shown]
	s_branch .LBB123_4
.LBB123_2:                              ;   in Loop: Header=BB123_4 Depth=1
	s_or_b64 exec, exec, s[6:7]
.LBB123_3:                              ;   in Loop: Header=BB123_4 Depth=1
	s_or_b64 exec, exec, s[4:5]
	v_lshlrev_b64 v[0:1], 2, v[24:25]
	v_mov_b32_e32 v4, s13
	v_add_co_u32_e32 v0, vcc, s12, v0
	v_addc_co_u32_e32 v1, vcc, v4, v1, vcc
	v_cmp_ngt_f32_e32 vcc, s54, v45
	v_add_u32_e32 v36, s33, v36
	v_cndmask_b32_e32 v4, v35, v45, vcc
	v_cmp_le_u32_e32 vcc, s28, v36
	s_or_b64 s[20:21], vcc, s[20:21]
	global_store_dword v[0:1], v4, off
	s_andn2_b64 exec, exec, s[20:21]
	s_cbranch_execz .LBB123_33
.LBB123_4:                              ; =>This Loop Header: Depth=1
                                        ;     Child Loop BB123_17 Depth 2
                                        ;       Child Loop BB123_20 Depth 3
	v_sub_u32_e32 v0, s28, v36
	v_cmp_lt_i32_e32 vcc, 0, v0
	v_pk_mov_b32 v[24:25], 0, 0
	s_and_saveexec_b64 s[4:5], vcc
	s_cbranch_execz .LBB123_6
; %bb.5:                                ;   in Loop: Header=BB123_4 Depth=1
	v_mul_hi_u32 v0, v36, v21
	v_mul_lo_u32 v1, v0, s29
	v_sub_u32_e32 v1, v36, v1
	v_add_u32_e32 v4, 1, v0
	v_cmp_le_u32_e64 s[2:3], s29, v1
	v_cndmask_b32_e64 v0, v0, v4, s[2:3]
	v_subrev_u32_e32 v4, s29, v1
	v_cndmask_b32_e64 v1, v1, v4, s[2:3]
	v_add_u32_e32 v4, 1, v0
	v_cmp_le_u32_e64 s[2:3], s29, v1
	v_cndmask_b32_e64 v1, v0, v4, s[2:3]
	v_mul_lo_u32 v0, v1, s29
	v_sub_u32_e32 v0, v36, v0
	v_mul_lo_u32 v0, v0, s15
	v_mad_u64_u32 v[24:25], s[2:3], v1, s14, v[0:1]
	v_mov_b32_e32 v25, v3
.LBB123_6:                              ;   in Loop: Header=BB123_4 Depth=1
	s_or_b64 exec, exec, s[4:5]
	v_mul_lo_u32 v0, v36, s30
	v_cndmask_b32_e32 v0, 0, v0, vcc
	v_mov_b32_e32 v1, v3
	v_lshlrev_b64 v[0:1], 2, v[0:1]
	v_add_co_u32_e32 v0, vcc, s16, v0
	v_addc_co_u32_e32 v1, vcc, v23, v1, vcc
	global_load_dword v39, v[0:1], off
	s_and_b64 vcc, exec, s[0:1]
	v_pk_mov_b32 v[0:1], s[10:11], s[10:11] op_sel:[0,1]
	v_pk_mov_b32 v[26:27], s[8:9], s[8:9] op_sel:[0,1]
	s_cbranch_vccnz .LBB123_8
; %bb.7:                                ;   in Loop: Header=BB123_4 Depth=1
	v_pk_mov_b32 v[0:1], s[10:11], s[10:11] op_sel:[0,1]
	flat_load_dwordx2 v[0:1], v[0:1]
	v_pk_mov_b32 v[4:5], s[8:9], s[8:9] op_sel:[0,1]
	flat_load_dwordx2 v[26:27], v[4:5]
	v_mov_b32_e32 v4, s19
	s_waitcnt vmcnt(0) lgkmcnt(0)
	v_add_co_u32_e32 v0, vcc, s18, v0
	v_addc_co_u32_e32 v1, vcc, v1, v4, vcc
.LBB123_8:                              ;   in Loop: Header=BB123_4 Depth=1
	v_and_b32_e32 v59, 3, v0
	v_alignbit_b32 v0, v1, v0, 2
	v_mad_u64_u32 v[6:7], s[2:3], v0, s17, 0
	v_lshrrev_b32_e32 v1, 2, v1
	v_xor_b32_e32 v5, v7, v27
	v_xor_b32_e32 v7, v22, v26
	v_mov_b32_e32 v4, v27
	v_xor_b32_e32 v7, v7, v1
	v_add_co_u32_e32 v40, vcc, s35, v4
	v_mad_u64_u32 v[8:9], s[2:3], v7, s17, 0
	v_mad_u64_u32 v[10:11], s[2:3], v5, s31, 0
	v_add_co_u32_e32 v41, vcc, s34, v26
	v_xor_b32_e32 v5, v20, v11
	v_xor_b32_e32 v7, v40, v9
	v_xor_b32_e32 v5, v5, v41
	v_xor_b32_e32 v9, v7, v6
	v_add_co_u32_e32 v43, vcc, s36, v26
	v_add_co_u32_e32 v42, vcc, s37, v4
	v_mad_u64_u32 v[6:7], s[2:3], v5, s17, 0
	v_mad_u64_u32 v[12:13], s[2:3], v9, s31, 0
	v_xor_b32_e32 v5, v43, v13
	v_xor_b32_e32 v7, v42, v7
	v_xor_b32_e32 v5, v5, v10
	v_xor_b32_e32 v7, v7, v8
	v_add_co_u32_e32 v45, vcc, s38, v26
	v_add_co_u32_e32 v44, vcc, s39, v4
	v_mad_u64_u32 v[8:9], s[2:3], v5, s17, 0
	v_mad_u64_u32 v[10:11], s[2:3], v7, s31, 0
	;; [unrolled: 8-line block ×7, first 2 shown]
	v_xor_b32_e32 v7, v55, v7
	v_xor_b32_e32 v5, v54, v5
	;; [unrolled: 1-line block ×4, first 2 shown]
	v_mad_u64_u32 v[16:17], s[2:3], v7, s17, 0
	v_mad_u64_u32 v[18:19], s[2:3], v5, s31, 0
	v_add_u32_e32 v37, 0x8ff34781, v26
	v_add_u32_e32 v38, 0x96a522ad, v27
	v_xor_b32_e32 v5, v19, v6
	v_xor_b32_e32 v4, v17, v4
	;; [unrolled: 1-line block ×4, first 2 shown]
	v_pk_mov_b32 v[6:7], v[2:3], v[2:3] op_sel:[0,1]
	v_mov_b32_e32 v9, v18
	v_mov_b32_e32 v11, v16
	s_waitcnt vmcnt(0)
	v_cmp_gt_f32_e32 vcc, 1.0, v39
	s_mov_b64 s[2:3], -1
	v_mov_b32_e32 v19, 1.0
	v_pk_mov_b32 v[4:5], v[0:1], v[0:1] op_sel:[0,1]
                                        ; implicit-def: $sgpr4
	s_and_saveexec_b64 s[22:23], vcc
	s_cbranch_execz .LBB123_14
; %bb.9:                                ;   in Loop: Header=BB123_4 Depth=1
	v_cmp_neq_f32_e32 vcc, 0, v39
	s_mov_b64 s[26:27], 0
	v_mov_b32_e32 v19, 1.0
                                        ; implicit-def: $vgpr4_vgpr5_vgpr6_vgpr7
	s_and_saveexec_b64 s[24:25], vcc
	s_cbranch_execz .LBB123_13
; %bb.10:                               ;   in Loop: Header=BB123_4 Depth=1
	v_add_u32_e32 v17, 1, v59
	v_pk_mov_b32 v[14:15], v[10:11], v[10:11] op_sel:[0,1]
	v_pk_mov_b32 v[6:7], v[2:3], v[2:3] op_sel:[0,1]
	v_cmp_eq_u32_e32 vcc, 4, v17
	v_pk_mov_b32 v[12:13], v[8:9], v[8:9] op_sel:[0,1]
	v_pk_mov_b32 v[4:5], v[0:1], v[0:1] op_sel:[0,1]
	s_and_saveexec_b64 s[2:3], vcc
	s_cbranch_execz .LBB123_12
; %bb.11:                               ;   in Loop: Header=BB123_4 Depth=1
	v_add_co_u32_e32 v4, vcc, 1, v0
	v_cndmask_b32_e64 v0, 0, 1, vcc
	v_addc_co_u32_e32 v5, vcc, 0, v1, vcc
	v_cmp_eq_u32_e32 vcc, 0, v5
	v_cndmask_b32_e32 v0, 0, v0, vcc
	v_add_u32_e32 v6, v0, v2
	v_cmp_eq_u32_e32 vcc, 0, v6
	v_cndmask_b32_e32 v7, 0, v0, vcc
	v_mad_u64_u32 v[0:1], s[4:5], v4, s17, 0
	v_mad_u64_u32 v[12:13], s[4:5], v6, s31, 0
	v_xor_b32_e32 v9, v13, v26
	v_xor_b32_e32 v1, v1, v27
	v_xor_b32_e32 v9, v5, v9
	v_xor_b32_e32 v1, v7, v1
	v_mad_u64_u32 v[14:15], s[4:5], v9, s17, 0
	v_mad_u64_u32 v[56:57], s[4:5], v1, s31, 0
	v_xor_b32_e32 v1, v41, v57
	v_xor_b32_e32 v9, v40, v15
	v_xor_b32_e32 v1, v1, v12
	v_xor_b32_e32 v9, v9, v0
	;; [unrolled: 6-line block ×9, first 2 shown]
	v_mad_u64_u32 v[40:41], s[4:5], v9, s17, 0
	v_mad_u64_u32 v[42:43], s[4:5], v1, s31, 0
	v_xor_b32_e32 v1, v43, v12
	v_xor_b32_e32 v0, v41, v0
	v_mov_b32_e32 v17, 0
	v_xor_b32_e32 v12, v37, v1
	v_xor_b32_e32 v14, v38, v0
	v_mov_b32_e32 v13, v42
	v_mov_b32_e32 v15, v40
.LBB123_12:                             ;   in Loop: Header=BB123_4 Depth=1
	s_or_b64 exec, exec, s[2:3]
	v_cmp_eq_u32_e32 vcc, 1, v59
	v_cndmask_b32_e32 v0, v8, v18, vcc
	v_cmp_eq_u32_e32 vcc, 2, v59
	v_cndmask_b32_e32 v0, v0, v10, vcc
	;; [unrolled: 2-line block ×3, first 2 shown]
	v_div_scale_f32 v1, s[2:3], v39, v39, 1.0
	v_cvt_f32_u32_e32 v0, v0
	v_rcp_f32_e32 v8, v1
	v_mov_b32_e32 v9, 0x2f800000
	s_mov_b64 s[26:27], exec
	v_fmac_f32_e32 v9, 0x2f800000, v0
	v_fma_f32 v0, -v1, v8, 1.0
	v_fmac_f32_e32 v8, v0, v8
	v_div_scale_f32 v0, vcc, 1.0, v39, 1.0
	v_sub_f32_e32 v48, 1.0, v9
	v_mul_f32_e32 v9, v0, v8
	v_fma_f32 v10, -v1, v9, v0
	v_fmac_f32_e32 v9, v10, v8
	v_fma_f32 v0, -v1, v9, v0
	v_div_fmas_f32 v0, v0, v8, v9
	v_div_fixup_f32 v49, v0, v39, 1.0
	v_cmp_eq_f32_e32 vcc, 1.0, v48
	v_cndmask_b32_e64 v50, v49, 1.0, vcc
	v_cmp_eq_f32_e64 s[2:3], 0, v50
	v_cndmask_b32_e64 v51, |v48|, 1.0, s[2:3]
	v_frexp_mant_f32_e32 v0, v51
	v_cmp_gt_f32_e64 s[4:5], s40, v0
	v_cndmask_b32_e64 v1, 1.0, 2.0, s[4:5]
	v_mul_f32_e32 v0, v0, v1
	v_add_f32_e32 v9, 1.0, v0
	v_rcp_f32_e32 v16, v9
	v_add_f32_e32 v1, -1.0, v9
	v_sub_f32_e32 v11, v0, v1
	v_add_f32_e32 v1, -1.0, v0
	v_mul_f32_e32 v40, v1, v16
	v_mul_f32_e32 v8, v9, v40
	v_fma_f32 v10, v40, v9, -v8
	v_fmac_f32_e32 v10, v40, v11
	v_add_f32_e32 v0, v8, v10
	v_sub_f32_e32 v9, v1, v0
	v_pk_add_f32 v[18:19], v[0:1], v[8:9] neg_lo:[0,1] neg_hi:[0,1]
	v_mov_b32_e32 v11, v0
	v_pk_add_f32 v[0:1], v[18:19], v[10:11] neg_lo:[0,1] neg_hi:[0,1]
	v_add_f32_e32 v0, v0, v1
	v_add_f32_e32 v0, v9, v0
	v_mul_f32_e32 v1, v16, v0
	v_add_f32_e32 v0, v40, v1
	v_sub_f32_e32 v8, v0, v40
	v_sub_f32_e32 v16, v1, v8
	v_mul_f32_e32 v1, v0, v0
	v_fma_f32 v9, v0, v0, -v1
	v_add_f32_e32 v8, v16, v16
	v_fmac_f32_e32 v9, v0, v8
	v_add_f32_e32 v8, v1, v9
	v_mov_b32_e32 v10, 0x3e91f4c4
	v_fmac_f32_e32 v10, 0x3e76c4e1, v8
	v_fma_f32 v10, v8, v10, v28
	v_sub_f32_e32 v1, v8, v1
	v_sub_f32_e32 v42, v9, v1
	v_mul_f32_e32 v1, v8, v10
	v_fma_f32 v9, v8, v10, -v1
	v_fmac_f32_e32 v9, v42, v10
	v_add_f32_e32 v10, v1, v9
	v_add_f32_e32 v11, 0x3f2aaaaa, v10
	v_sub_f32_e32 v1, v10, v1
	v_sub_f32_e32 v1, v9, v1
	v_add_f32_e32 v9, 0xbf2aaaaa, v11
	v_add_f32_e32 v1, 0x31739010, v1
	v_sub_f32_e32 v9, v10, v9
	v_pk_mul_f32 v[18:19], v[0:1], v[8:9]
	v_fma_f32 v10, v8, v0, -v18
	v_pk_add_f32 v[40:41], v[0:1], v[8:9]
	v_fmac_f32_e32 v10, v8, v16
	v_mov_b32_e32 v19, v41
	v_fmac_f32_e32 v10, v42, v0
	v_pk_add_f32 v[8:9], v[18:19], v[10:11]
	v_sub_f32_e32 v1, v8, v18
	v_sub_f32_e32 v1, v10, v1
	;; [unrolled: 1-line block ×3, first 2 shown]
	v_add_f32_e32 v40, v41, v10
	v_mov_b32_e32 v10, v9
	v_pk_mul_f32 v[10:11], v[8:9], v[10:11]
	v_cvt_f64_f32_e32 v[18:19], v51
	v_frexp_exp_i32_f64_e32 v11, v[18:19]
	v_subbrev_co_u32_e64 v11, s[4:5], 0, v11, s[4:5]
	v_cvt_f32_i32_e32 v11, v11
	v_fma_f32 v18, v8, v9, -v10
	v_fmac_f32_e32 v18, v8, v40
	v_fmac_f32_e32 v18, v1, v9
	v_mul_f32_e32 v8, 0x3f317218, v11
	v_fma_f32 v40, v11, s41, -v8
	v_fmac_f32_e32 v40, 0xb102e308, v11
	v_ldexp_f32 v41, v0, 1
	v_add_f32_e32 v9, v10, v18
	v_pk_add_f32 v[0:1], v[8:9], v[40:41]
	v_mov_b32_e32 v42, v9
	v_mov_b32_e32 v43, v1
	;; [unrolled: 1-line block ×3, first 2 shown]
	v_pk_add_f32 v[10:11], v[42:43], v[10:11] neg_lo:[0,1] neg_hi:[0,1]
	v_mov_b32_e32 v19, v9
	v_ldexp_f32 v16, v16, 1
	v_pk_add_f32 v[10:11], v[18:19], v[10:11] neg_lo:[0,1] neg_hi:[0,1]
	v_add_f32_e32 v9, v16, v10
	v_add_f32_e32 v9, v9, v11
	v_pk_add_f32 v[10:11], v[0:1], v[8:9] neg_lo:[0,1] neg_hi:[0,1]
	v_pk_add_f32 v[18:19], v[0:1], v[8:9]
	v_mov_b32_e32 v42, v10
	v_mov_b32_e32 v43, v19
	;; [unrolled: 1-line block ×3, first 2 shown]
	v_pk_add_f32 v[42:43], v[40:41], v[42:43]
	v_mov_b32_e32 v8, v43
	v_pk_add_f32 v[44:45], v[8:9], v[0:1] neg_lo:[0,1] neg_hi:[0,1]
	v_mov_b32_e32 v45, v44
	v_mov_b32_e32 v42, v19
	;; [unrolled: 1-line block ×4, first 2 shown]
	v_pk_add_f32 v[10:11], v[40:41], v[10:11] neg_lo:[0,1] neg_hi:[0,1]
	v_pk_add_f32 v[46:47], v[18:19], v[44:45] neg_lo:[0,1] neg_hi:[0,1]
	;; [unrolled: 1-line block ×3, first 2 shown]
	v_mov_b32_e32 v40, v9
	v_pk_add_f32 v[0:1], v[40:41], v[0:1] neg_lo:[0,1] neg_hi:[0,1]
	v_mov_b32_e32 v46, v10
	v_pk_add_f32 v[18:19], v[46:47], v[0:1]
	v_mov_b32_e32 v16, v19
	v_pk_add_f32 v[40:41], v[18:19], v[16:17]
	v_pk_add_f32 v[8:9], v[8:9], v[40:41]
	v_mov_b32_e32 v11, v43
	v_mov_b32_e32 v19, v8
	v_pk_add_f32 v[42:43], v[18:19], v[10:11] neg_lo:[0,1] neg_hi:[0,1]
	v_mov_b32_e32 v1, v40
	v_sub_f32_e32 v9, v18, v42
	v_pk_add_f32 v[0:1], v[0:1], v[42:43] neg_lo:[0,1] neg_hi:[0,1]
	v_sub_f32_e32 v9, v10, v9
	v_add_f32_e32 v0, v0, v9
	v_add_f32_e32 v0, v0, v1
	;; [unrolled: 1-line block ×3, first 2 shown]
	v_sub_f32_e32 v8, v1, v8
	v_sub_f32_e32 v0, v0, v8
	v_mul_f32_e32 v8, v50, v1
	v_fma_f32 v1, v50, v1, -v8
	v_fmac_f32_e32 v1, v50, v0
	v_add_f32_e32 v0, v8, v1
	v_cmp_class_f32_e64 s[4:5], v8, s42
	v_sub_f32_e32 v9, v0, v8
	v_cndmask_b32_e64 v0, v0, v8, s[4:5]
	v_cmp_eq_f32_e64 s[4:5], s44, v0
	v_cndmask_b32_e64 v8, 0, v30, s[4:5]
	v_sub_f32_e32 v1, v1, v9
	v_sub_f32_e32 v9, v0, v8
	v_mul_f32_e32 v10, 0x3fb8aa3b, v9
	v_fma_f32 v11, v9, s45, -v10
	v_rndne_f32_e32 v16, v10
	v_fmac_f32_e32 v11, 0x32a5705f, v9
	v_sub_f32_e32 v10, v10, v16
	v_add_f32_e32 v10, v10, v11
	v_exp_f32_e32 v10, v10
	v_cvt_i32_f32_e32 v11, v16
	v_cmp_neq_f32_e64 s[4:5], |v0|, s43
	v_cndmask_b32_e64 v0, 0, v1, s[4:5]
	v_cmp_ngt_f32_e64 s[4:5], s46, v9
	v_ldexp_f32 v1, v10, v11
	v_cndmask_b32_e64 v1, 0, v1, s[4:5]
	v_cmp_nlt_f32_e64 s[4:5], s44, v9
	v_add_f32_e32 v0, v8, v0
	v_cndmask_b32_e64 v1, v31, v1, s[4:5]
	v_fma_f32 v0, v1, v0, v1
	v_cmp_class_f32_e64 s[4:5], v1, s42
	v_trunc_f32_e32 v8, v50
	v_cndmask_b32_e64 v0, v0, v1, s[4:5]
	v_cndmask_b32_e64 v1, v48, 1.0, s[2:3]
	v_cmp_eq_f32_e64 s[2:3], v8, v50
	v_mul_f32_e32 v8, 0.5, v50
	v_trunc_f32_e32 v9, v8
	v_cmp_neq_f32_e64 s[4:5], v9, v8
	s_and_b64 s[4:5], s[2:3], s[4:5]
	v_cndmask_b32_e64 v8, 1.0, v1, s[4:5]
	v_bfi_b32 v0, s47, v0, v8
	v_cndmask_b32_e64 v8, v32, v0, s[2:3]
	v_cmp_gt_f32_e64 s[2:3], 0, v1
	v_cndmask_b32_e64 v0, v0, v8, s[2:3]
	v_cndmask_b32_e64 v8, |v49|, 1.0, vcc
	v_cmp_neq_f32_e32 vcc, v50, v8
	v_cmp_gt_f32_e64 s[2:3], 1.0, v51
	s_xor_b64 s[2:3], vcc, s[2:3]
	v_cndmask_b32_e64 v9, v8, 0, s[2:3]
	v_cmp_eq_f32_e32 vcc, 1.0, v51
	v_cmp_eq_f32_e64 s[2:3], 0, v1
	v_cmp_gt_f32_e64 s[6:7], 0, v50
	v_cndmask_b32_e32 v9, v9, v51, vcc
	v_cmp_eq_f32_e32 vcc, s43, v8
	s_xor_b64 s[6:7], s[6:7], s[2:3]
	v_cndmask_b32_e32 v0, v0, v9, vcc
	v_cmp_eq_f32_e32 vcc, s43, v51
	v_cndmask_b32_e64 v8, v31, 0, s[6:7]
	v_cndmask_b32_e64 v1, 0, v1, s[4:5]
	v_bfi_b32 v1, s47, v8, v1
	s_or_b64 vcc, vcc, s[2:3]
	v_pk_mov_b32 v[8:9], v[12:13], v[12:13] op_sel:[0,1]
	v_cndmask_b32_e32 v19, v0, v1, vcc
	v_add_f32_e32 v39, 1.0, v39
	v_pk_mov_b32 v[10:11], v[14:15], v[14:15] op_sel:[0,1]
	v_mov_b32_e32 v59, v17
.LBB123_13:                             ;   in Loop: Header=BB123_4 Depth=1
	s_or_b64 exec, exec, s[24:25]
	s_mov_b32 s4, 0
	s_orn2_b64 s[2:3], s[26:27], exec
.LBB123_14:                             ;   in Loop: Header=BB123_4 Depth=1
	s_or_b64 exec, exec, s[22:23]
	v_mov_b32_e32 v45, s4
	s_and_saveexec_b64 s[4:5], s[2:3]
	s_cbranch_execz .LBB123_3
; %bb.15:                               ;   in Loop: Header=BB123_4 Depth=1
	v_add_f32_e32 v39, 0xbeaaaaab, v39
	v_mul_f32_e32 v0, 0x41100000, v39
	v_mul_f32_e32 v1, 0x4f800000, v0
	v_cmp_gt_f32_e32 vcc, s48, v0
	v_cndmask_b32_e32 v0, v0, v1, vcc
	v_sqrt_f32_e32 v1, v0
	v_mul_f32_e32 v41, v19, v39
	v_add_u32_e32 v42, 0x9e3779b9, v26
	v_add_u32_e32 v43, 0xbb67ae85, v27
	v_add_u32_e32 v12, -1, v1
	v_fma_f32 v14, -v12, v1, v0
	v_add_u32_e32 v13, 1, v1
	v_cmp_ge_f32_e64 s[2:3], 0, v14
	v_cndmask_b32_e64 v12, v1, v12, s[2:3]
	v_fma_f32 v1, -v13, v1, v0
	v_cmp_lt_f32_e64 s[2:3], 0, v1
	v_cndmask_b32_e64 v1, v12, v13, s[2:3]
	v_mul_f32_e32 v12, 0x37800000, v1
	v_cndmask_b32_e32 v1, v1, v12, vcc
	v_cmp_class_f32_e32 vcc, v0, v29
	v_cndmask_b32_e32 v0, v1, v0, vcc
	v_div_scale_f32 v1, s[2:3], v0, v0, 1.0
	v_rcp_f32_e32 v12, v1
	v_add_u32_e32 v44, 0x3c6ef372, v26
	v_add_u32_e32 v46, 0x76cf5d0a, v27
	;; [unrolled: 1-line block ×3, first 2 shown]
	v_fma_f32 v13, -v1, v12, 1.0
	v_fmac_f32_e32 v12, v13, v12
	v_div_scale_f32 v13, vcc, 1.0, v0, 1.0
	v_mul_f32_e32 v14, v13, v12
	v_fma_f32 v15, -v1, v14, v13
	v_fmac_f32_e32 v14, v15, v12
	v_fma_f32 v1, -v1, v14, v13
	v_div_fmas_f32 v1, v1, v12, v14
	v_div_fixup_f32 v40, v1, v0, 1.0
	v_add_u32_e32 v48, 0x32370b8f, v27
	v_add_u32_e32 v49, 0x78dde6e4, v26
	;; [unrolled: 1-line block ×11, first 2 shown]
	s_mov_b64 s[6:7], 0
	v_mov_b32_e32 v61, 0
                                        ; implicit-def: $vgpr0
                                        ; implicit-def: $vgpr45
	s_branch .LBB123_17
.LBB123_16:                             ;   in Loop: Header=BB123_17 Depth=2
	s_or_b64 exec, exec, s[22:23]
	s_xor_b64 s[2:3], s[2:3], -1
	s_and_b64 s[2:3], exec, s[2:3]
	s_or_b64 s[6:7], s[2:3], s[6:7]
	s_andn2_b64 exec, exec, s[6:7]
	s_cbranch_execz .LBB123_2
.LBB123_17:                             ;   Parent Loop BB123_4 Depth=1
                                        ; =>  This Loop Header: Depth=2
                                        ;       Child Loop BB123_20 Depth 3
	v_pk_mov_b32 v[14:15], v[10:11], v[10:11] op_sel:[0,1]
	s_mov_b64 s[22:23], 0
	v_mov_b32_e32 v60, v59
	v_pk_mov_b32 v[12:13], v[8:9], v[8:9] op_sel:[0,1]
	s_branch .LBB123_20
.LBB123_18:                             ;   in Loop: Header=BB123_20 Depth=3
	s_or_b64 exec, exec, s[2:3]
	v_cmp_eq_u32_e32 vcc, 1, v60
	v_cndmask_b32_e32 v1, v12, v13, vcc
	v_cmp_eq_u32_e32 vcc, 2, v60
	v_cndmask_b32_e32 v1, v1, v14, vcc
	;; [unrolled: 2-line block ×3, first 2 shown]
	v_cvt_f32_u32_e32 v1, v1
	v_cmp_eq_u32_e32 vcc, 1, v0
	v_cndmask_b32_e32 v8, v8, v9, vcc
	v_mov_b32_e32 v9, 0x2f800000
	v_cmp_eq_u32_e32 vcc, 2, v0
	v_fmac_f32_e32 v9, 0x2f800000, v1
	v_cndmask_b32_e32 v8, v8, v10, vcc
	v_cmp_gt_f32_e32 vcc, s54, v9
	v_cndmask_b32_e32 v1, 1.0, v33, vcc
	v_mul_f32_e32 v1, v9, v1
	v_log_f32_e32 v1, v1
	v_cmp_eq_u32_e64 s[2:3], 3, v0
	v_cndmask_b32_e64 v0, v8, v11, s[2:3]
	v_cvt_f32_u32_e32 v0, v0
	v_mul_f32_e32 v8, 0x3f317217, v1
	v_fma_f32 v9, v1, s55, -v8
	v_fmac_f32_e32 v9, 0x3377d1cf, v1
	v_add_f32_e32 v8, v8, v9
	v_cmp_lt_f32_e64 s[2:3], |v1|, s43
	v_cndmask_b32_e64 v1, v1, v8, s[2:3]
	v_cndmask_b32_e32 v8, 0, v34, vcc
	v_sub_f32_e32 v1, v1, v8
	v_mul_f32_e32 v1, -2.0, v1
	v_mul_f32_e32 v8, 0x4f800000, v1
	v_cmp_gt_f32_e32 vcc, s48, v1
	v_cndmask_b32_e32 v8, v1, v8, vcc
	v_sqrt_f32_e32 v1, v8
	v_mov_b32_e32 v9, 0x30c90fdb
	v_fmac_f32_e32 v9, 0x30c90fdb, v0
	v_pk_mov_b32 v[12:13], v[16:17], v[16:17] op_sel:[0,1]
	v_add_u32_e32 v0, -1, v1
	v_fma_f32 v10, -v0, v1, v8
	v_cmp_ge_f32_e64 s[2:3], 0, v10
	v_add_u32_e32 v10, 1, v1
	v_cndmask_b32_e64 v0, v1, v0, s[2:3]
	v_fma_f32 v1, -v10, v1, v8
	v_cmp_lt_f32_e64 s[2:3], 0, v1
	v_cndmask_b32_e64 v10, v0, v10, s[2:3]
	v_mul_f32_e32 v0, 0.15915494, v9
	v_sin_f32_e32 v1, v0
	v_cos_f32_e32 v0, v0
	v_mul_f32_e32 v11, 0x37800000, v10
	v_cndmask_b32_e32 v9, v10, v11, vcc
	v_cmp_class_f32_e32 vcc, v8, v29
	v_cndmask_b32_e32 v8, v9, v8, vcc
	v_pk_mul_f32 v[0:1], v[8:9], v[0:1] op_sel_hi:[0,1]
	v_mov_b32_e32 v61, 1
	v_pk_mov_b32 v[14:15], v[18:19], v[18:19] op_sel:[0,1]
	v_mov_b32_e32 v60, v59
.LBB123_19:                             ;   in Loop: Header=BB123_20 Depth=3
	s_or_b64 exec, exec, s[24:25]
	v_fma_f32 v16, v40, v1, 1.0
	v_cmp_nge_f32_e32 vcc, 0, v16
	s_or_b64 s[22:23], vcc, s[22:23]
	s_andn2_b64 exec, exec, s[22:23]
	s_cbranch_execz .LBB123_25
.LBB123_20:                             ;   Parent Loop BB123_4 Depth=1
                                        ;     Parent Loop BB123_17 Depth=2
                                        ; =>    This Inner Loop Header: Depth=3
	v_cmp_eq_u32_e32 vcc, 0, v61
	v_mov_b32_e32 v61, 0
	v_mov_b32_e32 v1, v0
	s_and_saveexec_b64 s[24:25], vcc
	s_cbranch_execz .LBB123_19
; %bb.21:                               ;   in Loop: Header=BB123_20 Depth=3
	v_add_u32_e32 v0, 1, v60
	v_pk_mov_b32 v[8:9], v[12:13], v[12:13] op_sel:[0,1]
	v_cmp_eq_u32_e32 vcc, 4, v0
	v_pk_mov_b32 v[10:11], v[14:15], v[14:15] op_sel:[0,1]
	s_and_saveexec_b64 s[2:3], vcc
	s_cbranch_execz .LBB123_23
; %bb.22:                               ;   in Loop: Header=BB123_20 Depth=3
	v_add_co_u32_e32 v4, vcc, 1, v4
	v_cndmask_b32_e64 v1, 0, 1, vcc
	v_addc_co_u32_e32 v5, vcc, 0, v5, vcc
	v_cmp_eq_u32_e32 vcc, 0, v5
	v_cndmask_b32_e32 v1, 0, v1, vcc
	v_add_u32_e32 v6, v1, v6
	v_cmp_eq_u32_e32 vcc, 0, v6
	v_cndmask_b32_e32 v1, 0, v1, vcc
	v_mad_u64_u32 v[8:9], s[26:27], v4, s17, 0
	v_mad_u64_u32 v[10:11], s[26:27], v6, s31, 0
	v_add_u32_e32 v7, v1, v7
	v_xor_b32_e32 v1, v11, v26
	v_xor_b32_e32 v9, v9, v27
	v_xor_b32_e32 v1, v5, v1
	v_xor_b32_e32 v9, v7, v9
	v_mad_u64_u32 v[16:17], s[26:27], v1, s17, 0
	v_mad_u64_u32 v[18:19], s[26:27], v9, s31, 0
	v_xor_b32_e32 v1, v19, v10
	v_xor_b32_e32 v8, v17, v8
	v_xor_b32_e32 v1, v42, v1
	v_xor_b32_e32 v10, v43, v8
	v_mad_u64_u32 v[8:9], s[26:27], v1, s17, 0
	v_mad_u64_u32 v[10:11], s[26:27], v10, s31, 0
	;; [unrolled: 6-line block ×9, first 2 shown]
	v_xor_b32_e32 v1, v19, v8
	v_xor_b32_e32 v8, v37, v1
	;; [unrolled: 1-line block ×3, first 2 shown]
	v_mov_b32_e32 v0, 0
	v_xor_b32_e32 v10, v38, v1
	v_mov_b32_e32 v9, v18
	v_mov_b32_e32 v11, v16
.LBB123_23:                             ;   in Loop: Header=BB123_20 Depth=3
	s_or_b64 exec, exec, s[2:3]
	v_add_u32_e32 v59, 1, v0
	v_pk_mov_b32 v[18:19], v[10:11], v[10:11] op_sel:[0,1]
	v_cmp_eq_u32_e32 vcc, 4, v59
	v_pk_mov_b32 v[16:17], v[8:9], v[8:9] op_sel:[0,1]
	s_and_saveexec_b64 s[2:3], vcc
	s_cbranch_execz .LBB123_18
; %bb.24:                               ;   in Loop: Header=BB123_20 Depth=3
	v_add_co_u32_e32 v4, vcc, 1, v4
	v_cndmask_b32_e64 v1, 0, 1, vcc
	v_addc_co_u32_e32 v5, vcc, 0, v5, vcc
	v_cmp_eq_u32_e32 vcc, 0, v5
	v_cndmask_b32_e32 v1, 0, v1, vcc
	v_add_u32_e32 v6, v1, v6
	v_cmp_eq_u32_e32 vcc, 0, v6
	v_cndmask_b32_e32 v1, 0, v1, vcc
	v_mad_u64_u32 v[16:17], s[26:27], v4, s17, 0
	v_mad_u64_u32 v[18:19], s[26:27], v6, s31, 0
	v_add_u32_e32 v7, v1, v7
	v_xor_b32_e32 v1, v19, v26
	v_xor_b32_e32 v17, v17, v27
	v_xor_b32_e32 v1, v5, v1
	v_xor_b32_e32 v17, v7, v17
	v_mad_u64_u32 v[62:63], s[26:27], v1, s17, 0
	v_mad_u64_u32 v[64:65], s[26:27], v17, s31, 0
	v_xor_b32_e32 v1, v65, v18
	v_xor_b32_e32 v16, v63, v16
	v_xor_b32_e32 v1, v42, v1
	v_xor_b32_e32 v18, v43, v16
	v_mad_u64_u32 v[16:17], s[26:27], v1, s17, 0
	v_mad_u64_u32 v[18:19], s[26:27], v18, s31, 0
	;; [unrolled: 6-line block ×9, first 2 shown]
	v_xor_b32_e32 v1, v65, v16
	v_xor_b32_e32 v16, v37, v1
	v_xor_b32_e32 v1, v63, v18
	v_mov_b32_e32 v59, 0
	v_xor_b32_e32 v18, v38, v1
	v_mov_b32_e32 v17, v64
	v_mov_b32_e32 v19, v62
	s_branch .LBB123_18
.LBB123_25:                             ;   in Loop: Header=BB123_17 Depth=2
	s_or_b64 exec, exec, s[22:23]
	v_add_u32_e32 v59, 1, v60
	v_pk_mov_b32 v[8:9], v[12:13], v[12:13] op_sel:[0,1]
	v_cmp_eq_u32_e32 vcc, 4, v59
	v_pk_mov_b32 v[10:11], v[14:15], v[14:15] op_sel:[0,1]
	s_and_saveexec_b64 s[2:3], vcc
	s_cbranch_execz .LBB123_27
; %bb.26:                               ;   in Loop: Header=BB123_17 Depth=2
	v_add_co_u32_e32 v4, vcc, 1, v4
	v_cndmask_b32_e64 v8, 0, 1, vcc
	v_addc_co_u32_e32 v5, vcc, 0, v5, vcc
	v_cmp_eq_u32_e32 vcc, 0, v5
	v_cndmask_b32_e32 v8, 0, v8, vcc
	v_add_u32_e32 v6, v8, v6
	v_cmp_eq_u32_e32 vcc, 0, v6
	v_cndmask_b32_e32 v8, 0, v8, vcc
	v_add_u32_e32 v7, v8, v7
	v_mad_u64_u32 v[8:9], s[22:23], v4, s17, 0
	v_mad_u64_u32 v[10:11], s[22:23], v6, s31, 0
	v_xor_b32_e32 v11, v11, v26
	v_xor_b32_e32 v9, v9, v27
	v_xor_b32_e32 v11, v5, v11
	v_xor_b32_e32 v9, v7, v9
	v_mad_u64_u32 v[18:19], s[22:23], v11, s17, 0
	v_mad_u64_u32 v[62:63], s[22:23], v9, s31, 0
	v_xor_b32_e32 v9, v63, v10
	v_xor_b32_e32 v8, v19, v8
	v_xor_b32_e32 v9, v42, v9
	v_xor_b32_e32 v10, v43, v8
	;; [unrolled: 6-line block ×9, first 2 shown]
	v_mad_u64_u32 v[18:19], s[22:23], v9, s17, 0
	v_mad_u64_u32 v[62:63], s[22:23], v11, s31, 0
	v_xor_b32_e32 v8, v63, v8
	v_xor_b32_e32 v9, v19, v10
	v_mov_b32_e32 v59, 0
	v_xor_b32_e32 v8, v37, v8
	v_xor_b32_e32 v10, v38, v9
	v_mov_b32_e32 v9, v62
	v_mov_b32_e32 v11, v18
.LBB123_27:                             ;   in Loop: Header=BB123_17 Depth=2
	s_or_b64 exec, exec, s[2:3]
	v_cmp_eq_u32_e32 vcc, 1, v60
	v_cndmask_b32_e32 v12, v12, v13, vcc
	v_cmp_eq_u32_e32 vcc, 2, v60
	v_cndmask_b32_e32 v12, v12, v14, vcc
	;; [unrolled: 2-line block ×3, first 2 shown]
	v_cvt_f32_u32_e32 v13, v12
	v_mov_b32_e32 v14, 0x2f800000
	v_mul_f32_e32 v1, v1, v1
	v_mul_f32_e32 v12, v16, v16
	v_fmac_f32_e32 v14, 0x2f800000, v13
	v_sub_f32_e32 v13, 1.0, v14
	v_mul_f32_e32 v14, 0xbd0793de, v1
	v_fma_f32 v14, v1, v14, 1.0
	v_mul_f32_e32 v12, v16, v12
	v_cmp_nlt_f32_e32 vcc, v13, v14
                                        ; implicit-def: $sgpr2_sgpr3
	s_and_saveexec_b64 s[22:23], vcc
	s_xor_b64 s[22:23], exec, s[22:23]
	s_cbranch_execz .LBB123_31
; %bb.28:                               ;   in Loop: Header=BB123_17 Depth=2
	v_cmp_gt_f32_e32 vcc, s54, v13
	v_cndmask_b32_e32 v14, 1.0, v33, vcc
	v_mul_f32_e32 v13, v13, v14
	v_log_f32_e32 v13, v13
	v_mul_f32_e32 v14, 0x3f317217, v13
	v_fma_f32 v15, v13, s55, -v14
	v_fmac_f32_e32 v15, 0x3377d1cf, v13
	v_add_f32_e32 v14, v14, v15
	v_cmp_lt_f32_e64 s[2:3], |v13|, s43
	v_cndmask_b32_e64 v13, v13, v14, s[2:3]
	v_cmp_gt_f32_e64 s[2:3], s54, v12
	v_cndmask_b32_e64 v14, 1.0, v33, s[2:3]
	v_mul_f32_e32 v14, v12, v14
	v_log_f32_e32 v14, v14
	v_cndmask_b32_e32 v15, 0, v34, vcc
	v_sub_f32_e32 v13, v13, v15
	v_sub_f32_e32 v15, 1.0, v12
	v_mul_f32_e32 v16, 0x3f317217, v14
	v_fma_f32 v17, v14, s55, -v16
	v_fmac_f32_e32 v17, 0x3377d1cf, v14
	v_add_f32_e32 v16, v16, v17
	v_cmp_lt_f32_e64 vcc, |v14|, s43
	v_cndmask_b32_e32 v14, v14, v16, vcc
	v_cndmask_b32_e64 v16, 0, v34, s[2:3]
	v_sub_f32_e32 v14, v14, v16
	v_add_f32_e32 v14, v15, v14
	v_mul_f32_e32 v14, v39, v14
	v_fmac_f32_e32 v14, 0.5, v1
	v_cmp_lt_f32_e32 vcc, v13, v14
	s_mov_b64 s[2:3], -1
	s_and_saveexec_b64 s[24:25], vcc
; %bb.29:                               ;   in Loop: Header=BB123_17 Depth=2
	v_mul_f32_e32 v45, v41, v12
	s_xor_b64 s[2:3], exec, -1
; %bb.30:                               ;   in Loop: Header=BB123_17 Depth=2
	s_or_b64 exec, exec, s[24:25]
	s_and_b64 s[2:3], s[2:3], exec
                                        ; implicit-def: $vgpr12
.LBB123_31:                             ;   in Loop: Header=BB123_17 Depth=2
	s_andn2_saveexec_b64 s[22:23], s[22:23]
	s_cbranch_execz .LBB123_16
; %bb.32:                               ;   in Loop: Header=BB123_17 Depth=2
	v_mul_f32_e32 v45, v41, v12
	s_andn2_b64 s[2:3], s[2:3], exec
	s_branch .LBB123_16
.LBB123_33:
	s_endpgm
	.section	.rodata,"a",@progbits
	.p2align	6, 0x0
	.amdhsa_kernel _ZN2at4cuda12_GLOBAL__N_121kernelPointwiseApply2IZN12_GLOBAL__N_117gamma_cuda_kernelIfEEvRKNS_10TensorBaseES7_NS_15PhiloxCudaStateEEUlRfRKfE_ffjLi2ELi1ELi1ELi256ELi2EEEvNS0_6detail10TensorInfoIT0_T2_EENSE_IT1_SG_EESG_T_
		.amdhsa_group_segment_fixed_size 0
		.amdhsa_private_segment_fixed_size 0
		.amdhsa_kernarg_size 728
		.amdhsa_user_sgpr_count 6
		.amdhsa_user_sgpr_private_segment_buffer 1
		.amdhsa_user_sgpr_dispatch_ptr 0
		.amdhsa_user_sgpr_queue_ptr 0
		.amdhsa_user_sgpr_kernarg_segment_ptr 1
		.amdhsa_user_sgpr_dispatch_id 0
		.amdhsa_user_sgpr_flat_scratch_init 0
		.amdhsa_user_sgpr_kernarg_preload_length 0
		.amdhsa_user_sgpr_kernarg_preload_offset 0
		.amdhsa_user_sgpr_private_segment_size 0
		.amdhsa_uses_dynamic_stack 0
		.amdhsa_system_sgpr_private_segment_wavefront_offset 0
		.amdhsa_system_sgpr_workgroup_id_x 1
		.amdhsa_system_sgpr_workgroup_id_y 0
		.amdhsa_system_sgpr_workgroup_id_z 0
		.amdhsa_system_sgpr_workgroup_info 0
		.amdhsa_system_vgpr_workitem_id 0
		.amdhsa_next_free_vgpr 66
		.amdhsa_next_free_sgpr 61
		.amdhsa_accum_offset 68
		.amdhsa_reserve_vcc 1
		.amdhsa_reserve_flat_scratch 0
		.amdhsa_float_round_mode_32 0
		.amdhsa_float_round_mode_16_64 0
		.amdhsa_float_denorm_mode_32 3
		.amdhsa_float_denorm_mode_16_64 3
		.amdhsa_dx10_clamp 1
		.amdhsa_ieee_mode 1
		.amdhsa_fp16_overflow 0
		.amdhsa_tg_split 0
		.amdhsa_exception_fp_ieee_invalid_op 0
		.amdhsa_exception_fp_denorm_src 0
		.amdhsa_exception_fp_ieee_div_zero 0
		.amdhsa_exception_fp_ieee_overflow 0
		.amdhsa_exception_fp_ieee_underflow 0
		.amdhsa_exception_fp_ieee_inexact 0
		.amdhsa_exception_int_div_zero 0
	.end_amdhsa_kernel
	.section	.text._ZN2at4cuda12_GLOBAL__N_121kernelPointwiseApply2IZN12_GLOBAL__N_117gamma_cuda_kernelIfEEvRKNS_10TensorBaseES7_NS_15PhiloxCudaStateEEUlRfRKfE_ffjLi2ELi1ELi1ELi256ELi2EEEvNS0_6detail10TensorInfoIT0_T2_EENSE_IT1_SG_EESG_T_,"axG",@progbits,_ZN2at4cuda12_GLOBAL__N_121kernelPointwiseApply2IZN12_GLOBAL__N_117gamma_cuda_kernelIfEEvRKNS_10TensorBaseES7_NS_15PhiloxCudaStateEEUlRfRKfE_ffjLi2ELi1ELi1ELi256ELi2EEEvNS0_6detail10TensorInfoIT0_T2_EENSE_IT1_SG_EESG_T_,comdat
.Lfunc_end123:
	.size	_ZN2at4cuda12_GLOBAL__N_121kernelPointwiseApply2IZN12_GLOBAL__N_117gamma_cuda_kernelIfEEvRKNS_10TensorBaseES7_NS_15PhiloxCudaStateEEUlRfRKfE_ffjLi2ELi1ELi1ELi256ELi2EEEvNS0_6detail10TensorInfoIT0_T2_EENSE_IT1_SG_EESG_T_, .Lfunc_end123-_ZN2at4cuda12_GLOBAL__N_121kernelPointwiseApply2IZN12_GLOBAL__N_117gamma_cuda_kernelIfEEvRKNS_10TensorBaseES7_NS_15PhiloxCudaStateEEUlRfRKfE_ffjLi2ELi1ELi1ELi256ELi2EEEvNS0_6detail10TensorInfoIT0_T2_EENSE_IT1_SG_EESG_T_
                                        ; -- End function
	.section	.AMDGPU.csdata,"",@progbits
; Kernel info:
; codeLenInByte = 5204
; NumSgprs: 65
; NumVgprs: 66
; NumAgprs: 0
; TotalNumVgprs: 66
; ScratchSize: 0
; MemoryBound: 0
; FloatMode: 240
; IeeeMode: 1
; LDSByteSize: 0 bytes/workgroup (compile time only)
; SGPRBlocks: 8
; VGPRBlocks: 8
; NumSGPRsForWavesPerEU: 65
; NumVGPRsForWavesPerEU: 66
; AccumOffset: 68
; Occupancy: 7
; WaveLimiterHint : 1
; COMPUTE_PGM_RSRC2:SCRATCH_EN: 0
; COMPUTE_PGM_RSRC2:USER_SGPR: 6
; COMPUTE_PGM_RSRC2:TRAP_HANDLER: 0
; COMPUTE_PGM_RSRC2:TGID_X_EN: 1
; COMPUTE_PGM_RSRC2:TGID_Y_EN: 0
; COMPUTE_PGM_RSRC2:TGID_Z_EN: 0
; COMPUTE_PGM_RSRC2:TIDIG_COMP_CNT: 0
; COMPUTE_PGM_RSRC3_GFX90A:ACCUM_OFFSET: 16
; COMPUTE_PGM_RSRC3_GFX90A:TG_SPLIT: 0
	.section	.text._ZN2at4cuda12_GLOBAL__N_121kernelPointwiseApply2IZN12_GLOBAL__N_117gamma_cuda_kernelIfEEvRKNS_10TensorBaseES7_NS_15PhiloxCudaStateEEUlRfRKfE_ffjLi2ELi2ELi1ELi256ELi2EEEvNS0_6detail10TensorInfoIT0_T2_EENSE_IT1_SG_EESG_T_,"axG",@progbits,_ZN2at4cuda12_GLOBAL__N_121kernelPointwiseApply2IZN12_GLOBAL__N_117gamma_cuda_kernelIfEEvRKNS_10TensorBaseES7_NS_15PhiloxCudaStateEEUlRfRKfE_ffjLi2ELi2ELi1ELi256ELi2EEEvNS0_6detail10TensorInfoIT0_T2_EENSE_IT1_SG_EESG_T_,comdat
	.globl	_ZN2at4cuda12_GLOBAL__N_121kernelPointwiseApply2IZN12_GLOBAL__N_117gamma_cuda_kernelIfEEvRKNS_10TensorBaseES7_NS_15PhiloxCudaStateEEUlRfRKfE_ffjLi2ELi2ELi1ELi256ELi2EEEvNS0_6detail10TensorInfoIT0_T2_EENSE_IT1_SG_EESG_T_ ; -- Begin function _ZN2at4cuda12_GLOBAL__N_121kernelPointwiseApply2IZN12_GLOBAL__N_117gamma_cuda_kernelIfEEvRKNS_10TensorBaseES7_NS_15PhiloxCudaStateEEUlRfRKfE_ffjLi2ELi2ELi1ELi256ELi2EEEvNS0_6detail10TensorInfoIT0_T2_EENSE_IT1_SG_EESG_T_
	.p2align	8
	.type	_ZN2at4cuda12_GLOBAL__N_121kernelPointwiseApply2IZN12_GLOBAL__N_117gamma_cuda_kernelIfEEvRKNS_10TensorBaseES7_NS_15PhiloxCudaStateEEUlRfRKfE_ffjLi2ELi2ELi1ELi256ELi2EEEvNS0_6detail10TensorInfoIT0_T2_EENSE_IT1_SG_EESG_T_,@function
_ZN2at4cuda12_GLOBAL__N_121kernelPointwiseApply2IZN12_GLOBAL__N_117gamma_cuda_kernelIfEEvRKNS_10TensorBaseES7_NS_15PhiloxCudaStateEEUlRfRKfE_ffjLi2ELi2ELi1ELi256ELi2EEEvNS0_6detail10TensorInfoIT0_T2_EENSE_IT1_SG_EESG_T_: ; @_ZN2at4cuda12_GLOBAL__N_121kernelPointwiseApply2IZN12_GLOBAL__N_117gamma_cuda_kernelIfEEvRKNS_10TensorBaseES7_NS_15PhiloxCudaStateEEUlRfRKfE_ffjLi2ELi2ELi1ELi256ELi2EEEvNS0_6detail10TensorInfoIT0_T2_EENSE_IT1_SG_EESG_T_
; %bb.0:
	s_load_dword s2, s[4:5], 0x1e4
	s_load_dword s30, s[4:5], 0x1b0
	s_add_u32 s0, s4, 0x1d8
	s_addc_u32 s1, s5, 0
	s_waitcnt lgkmcnt(0)
	s_and_b32 s2, s2, 0xffff
	s_mul_i32 s6, s6, s2
	v_add_u32_e32 v2, s6, v0
	v_cmp_gt_u32_e32 vcc, s30, v2
	s_and_saveexec_b64 s[6:7], vcc
	s_cbranch_execz .LBB124_35
; %bb.1:
	s_load_dwordx2 s[12:13], s[4:5], 0x0
	s_load_dword s31, s[4:5], 0xc
	s_load_dwordx2 s[14:15], s[4:5], 0x6c
	s_load_dwordx2 s[16:17], s[4:5], 0xd8
	s_load_dword s3, s[4:5], 0x1d0
	s_load_dword s33, s[4:5], 0xe4
	s_load_dwordx2 s[18:19], s[4:5], 0x144
	s_load_dwordx2 s[20:21], s[4:5], 0x1c8
	s_load_dwordx4 s[8:11], s[4:5], 0x1b8
	s_load_dword s35, s[0:1], 0x0
	s_waitcnt lgkmcnt(0)
	v_cvt_f32_u32_e32 v0, s31
	v_cvt_f32_u32_e32 v1, s33
	s_mov_b32 s34, 0xcd9e8d57
	s_bitcmp1_b32 s3, 0
	v_rcp_iflag_f32_e32 v0, v0
	v_rcp_iflag_f32_e32 v1, v1
	v_mad_u64_u32 v[20:21], s[0:1], v2, s34, 0
	v_mul_f32_e32 v0, 0x4f7ffffe, v0
	v_cvt_u32_f32_e32 v0, v0
	v_mul_f32_e32 v1, 0x4f7ffffe, v1
	v_cvt_u32_f32_e32 v1, v1
	s_mul_i32 s35, s35, s2
	s_cselect_b64 s[0:1], -1, 0
	s_sub_i32 s2, 0, s31
	v_mul_lo_u32 v4, s2, v0
	v_mul_hi_u32 v4, v0, v4
	s_sub_i32 s2, 0, s33
	v_mov_b32_e32 v22, v21
	v_add_u32_e32 v21, v0, v4
	v_mul_lo_u32 v0, s2, v1
	v_mul_hi_u32 v0, v1, v0
	v_add_u32_e32 v23, v1, v0
	v_cndmask_b32_e64 v0, 0, 1, s[0:1]
	v_mov_b32_e32 v3, 0
	s_mov_b64 s[22:23], 0
	v_mov_b32_e32 v28, s17
	v_cmp_ne_u32_e64 s[0:1], 1, v0
	s_mov_b32 s17, 0xd2511f53
	s_mov_b32 s36, 0x9e3779b9
	;; [unrolled: 1-line block ×6, first 2 shown]
	v_mov_b32_e32 v29, 0x3ecccdef
	s_mov_b32 s41, 0x3f317218
	s_movk_i32 s42, 0x204
	s_mov_b32 s43, 0x7f800000
	s_mov_b32 s44, 0x42b17218
	;; [unrolled: 1-line block ×4, first 2 shown]
	s_brev_b32 s47, -2
	s_mov_b32 s48, 0xf800000
	v_mov_b32_e32 v30, 0x260
	s_mov_b32 s49, 0x32370b8f
	s_mov_b32 s50, 0x78dde6e4
	;; [unrolled: 1-line block ×14, first 2 shown]
	v_mov_b32_e32 v31, 0x37000000
	v_mov_b32_e32 v32, 0x7f800000
	;; [unrolled: 1-line block ×7, first 2 shown]
	s_branch .LBB124_4
.LBB124_2:                              ;   in Loop: Header=BB124_4 Depth=1
	s_or_b64 exec, exec, s[6:7]
.LBB124_3:                              ;   in Loop: Header=BB124_4 Depth=1
	s_or_b64 exec, exec, s[4:5]
	v_lshlrev_b64 v[0:1], 2, v[24:25]
	v_mov_b32_e32 v4, s13
	v_add_co_u32_e32 v0, vcc, s12, v0
	v_addc_co_u32_e32 v1, vcc, v4, v1, vcc
	v_cmp_ngt_f32_e32 vcc, s55, v46
	v_add_u32_e32 v37, s35, v37
	v_cndmask_b32_e32 v4, v36, v46, vcc
	v_cmp_le_u32_e32 vcc, s30, v37
	s_or_b64 s[22:23], vcc, s[22:23]
	global_store_dword v[0:1], v4, off
	s_andn2_b64 exec, exec, s[22:23]
	s_cbranch_execz .LBB124_35
.LBB124_4:                              ; =>This Loop Header: Depth=1
                                        ;     Child Loop BB124_19 Depth 2
                                        ;       Child Loop BB124_22 Depth 3
	v_sub_u32_e32 v0, s30, v37
	v_cmp_lt_i32_e32 vcc, 0, v0
	v_pk_mov_b32 v[0:1], 0, 0
	v_pk_mov_b32 v[24:25], v[0:1], v[0:1] op_sel:[0,1]
	s_and_saveexec_b64 s[4:5], vcc
	s_cbranch_execz .LBB124_6
; %bb.5:                                ;   in Loop: Header=BB124_4 Depth=1
	v_mul_hi_u32 v4, v37, v21
	v_mul_lo_u32 v5, v4, s31
	v_sub_u32_e32 v5, v37, v5
	v_add_u32_e32 v6, 1, v4
	v_cmp_le_u32_e64 s[2:3], s31, v5
	v_cndmask_b32_e64 v4, v4, v6, s[2:3]
	v_subrev_u32_e32 v6, s31, v5
	v_cndmask_b32_e64 v5, v5, v6, s[2:3]
	v_add_u32_e32 v6, 1, v4
	v_cmp_le_u32_e64 s[2:3], s31, v5
	v_cndmask_b32_e64 v5, v4, v6, s[2:3]
	v_mul_lo_u32 v4, v5, s31
	v_sub_u32_e32 v4, v37, v4
	v_mul_lo_u32 v4, v4, s15
	v_mad_u64_u32 v[24:25], s[2:3], v5, s14, v[4:5]
	v_mov_b32_e32 v25, v3
.LBB124_6:                              ;   in Loop: Header=BB124_4 Depth=1
	s_or_b64 exec, exec, s[4:5]
	s_and_saveexec_b64 s[2:3], vcc
	s_cbranch_execz .LBB124_8
; %bb.7:                                ;   in Loop: Header=BB124_4 Depth=1
	v_mul_hi_u32 v0, v37, v23
	v_mul_lo_u32 v1, v0, s33
	v_sub_u32_e32 v1, v37, v1
	v_add_u32_e32 v4, 1, v0
	v_cmp_le_u32_e32 vcc, s33, v1
	v_cndmask_b32_e32 v0, v0, v4, vcc
	v_subrev_u32_e32 v4, s33, v1
	v_cndmask_b32_e32 v1, v1, v4, vcc
	v_add_u32_e32 v4, 1, v0
	v_cmp_le_u32_e32 vcc, s33, v1
	v_cndmask_b32_e32 v1, v0, v4, vcc
	v_mul_lo_u32 v0, v1, s33
	v_sub_u32_e32 v0, v37, v0
	v_mul_lo_u32 v0, v0, s19
	v_mad_u64_u32 v[0:1], s[4:5], v1, s18, v[0:1]
	v_mov_b32_e32 v1, v3
.LBB124_8:                              ;   in Loop: Header=BB124_4 Depth=1
	s_or_b64 exec, exec, s[2:3]
	v_lshlrev_b64 v[0:1], 2, v[0:1]
	v_add_co_u32_e32 v0, vcc, s16, v0
	v_addc_co_u32_e32 v1, vcc, v28, v1, vcc
	global_load_dword v40, v[0:1], off
	s_and_b64 vcc, exec, s[0:1]
	v_pk_mov_b32 v[0:1], s[10:11], s[10:11] op_sel:[0,1]
	v_pk_mov_b32 v[26:27], s[8:9], s[8:9] op_sel:[0,1]
	s_cbranch_vccnz .LBB124_10
; %bb.9:                                ;   in Loop: Header=BB124_4 Depth=1
	v_pk_mov_b32 v[0:1], s[10:11], s[10:11] op_sel:[0,1]
	flat_load_dwordx2 v[0:1], v[0:1]
	v_pk_mov_b32 v[4:5], s[8:9], s[8:9] op_sel:[0,1]
	flat_load_dwordx2 v[26:27], v[4:5]
	v_mov_b32_e32 v4, s21
	s_waitcnt vmcnt(0) lgkmcnt(0)
	v_add_co_u32_e32 v0, vcc, s20, v0
	v_addc_co_u32_e32 v1, vcc, v1, v4, vcc
.LBB124_10:                             ;   in Loop: Header=BB124_4 Depth=1
	v_and_b32_e32 v60, 3, v0
	v_alignbit_b32 v0, v1, v0, 2
	v_mad_u64_u32 v[6:7], s[2:3], v0, s17, 0
	v_lshrrev_b32_e32 v1, 2, v1
	v_xor_b32_e32 v5, v7, v27
	v_xor_b32_e32 v7, v22, v26
	v_mov_b32_e32 v4, v27
	v_xor_b32_e32 v7, v7, v1
	v_add_co_u32_e32 v41, vcc, s37, v4
	v_mad_u64_u32 v[8:9], s[2:3], v7, s17, 0
	v_mad_u64_u32 v[10:11], s[2:3], v5, s34, 0
	v_add_co_u32_e32 v42, vcc, s36, v26
	v_xor_b32_e32 v5, v20, v11
	v_xor_b32_e32 v7, v41, v9
	v_xor_b32_e32 v5, v5, v42
	v_xor_b32_e32 v9, v7, v6
	v_add_co_u32_e32 v44, vcc, s38, v26
	v_add_co_u32_e32 v43, vcc, s39, v4
	v_mad_u64_u32 v[6:7], s[2:3], v5, s17, 0
	v_mad_u64_u32 v[12:13], s[2:3], v9, s34, 0
	v_xor_b32_e32 v5, v44, v13
	v_xor_b32_e32 v7, v43, v7
	v_xor_b32_e32 v5, v5, v10
	v_xor_b32_e32 v7, v7, v8
	v_add_co_u32_e32 v46, vcc, s57, v26
	v_add_co_u32_e32 v45, vcc, s49, v4
	v_mad_u64_u32 v[8:9], s[2:3], v5, s17, 0
	v_mad_u64_u32 v[10:11], s[2:3], v7, s34, 0
	;; [unrolled: 8-line block ×7, first 2 shown]
	v_xor_b32_e32 v7, v56, v7
	v_xor_b32_e32 v5, v55, v5
	;; [unrolled: 1-line block ×4, first 2 shown]
	v_mad_u64_u32 v[16:17], s[2:3], v7, s17, 0
	v_mad_u64_u32 v[18:19], s[2:3], v5, s34, 0
	v_add_u32_e32 v38, 0x8ff34781, v26
	v_add_u32_e32 v39, 0x96a522ad, v27
	v_xor_b32_e32 v5, v19, v6
	v_xor_b32_e32 v4, v17, v4
	;; [unrolled: 1-line block ×4, first 2 shown]
	v_pk_mov_b32 v[6:7], v[2:3], v[2:3] op_sel:[0,1]
	v_mov_b32_e32 v9, v18
	v_mov_b32_e32 v11, v16
	s_waitcnt vmcnt(0)
	v_cmp_gt_f32_e32 vcc, 1.0, v40
	s_mov_b64 s[2:3], -1
	v_mov_b32_e32 v19, 1.0
	v_pk_mov_b32 v[4:5], v[0:1], v[0:1] op_sel:[0,1]
                                        ; implicit-def: $sgpr4
	s_and_saveexec_b64 s[24:25], vcc
	s_cbranch_execz .LBB124_16
; %bb.11:                               ;   in Loop: Header=BB124_4 Depth=1
	v_cmp_neq_f32_e32 vcc, 0, v40
	s_mov_b64 s[28:29], 0
	v_mov_b32_e32 v19, 1.0
                                        ; implicit-def: $vgpr4_vgpr5_vgpr6_vgpr7
	s_and_saveexec_b64 s[26:27], vcc
	s_cbranch_execz .LBB124_15
; %bb.12:                               ;   in Loop: Header=BB124_4 Depth=1
	v_add_u32_e32 v17, 1, v60
	v_pk_mov_b32 v[14:15], v[10:11], v[10:11] op_sel:[0,1]
	v_pk_mov_b32 v[6:7], v[2:3], v[2:3] op_sel:[0,1]
	v_cmp_eq_u32_e32 vcc, 4, v17
	v_pk_mov_b32 v[12:13], v[8:9], v[8:9] op_sel:[0,1]
	v_pk_mov_b32 v[4:5], v[0:1], v[0:1] op_sel:[0,1]
	s_and_saveexec_b64 s[2:3], vcc
	s_cbranch_execz .LBB124_14
; %bb.13:                               ;   in Loop: Header=BB124_4 Depth=1
	v_add_co_u32_e32 v4, vcc, 1, v0
	v_cndmask_b32_e64 v0, 0, 1, vcc
	v_addc_co_u32_e32 v5, vcc, 0, v1, vcc
	v_cmp_eq_u32_e32 vcc, 0, v5
	v_cndmask_b32_e32 v0, 0, v0, vcc
	v_add_u32_e32 v6, v0, v2
	v_cmp_eq_u32_e32 vcc, 0, v6
	v_cndmask_b32_e32 v7, 0, v0, vcc
	v_mad_u64_u32 v[0:1], s[4:5], v4, s17, 0
	v_mad_u64_u32 v[12:13], s[4:5], v6, s34, 0
	v_xor_b32_e32 v9, v13, v26
	v_xor_b32_e32 v1, v1, v27
	v_xor_b32_e32 v9, v5, v9
	v_xor_b32_e32 v1, v7, v1
	v_mad_u64_u32 v[14:15], s[4:5], v9, s17, 0
	v_mad_u64_u32 v[58:59], s[4:5], v1, s34, 0
	v_xor_b32_e32 v1, v42, v59
	v_xor_b32_e32 v9, v41, v15
	v_xor_b32_e32 v1, v1, v12
	v_xor_b32_e32 v9, v9, v0
	;; [unrolled: 6-line block ×9, first 2 shown]
	v_mad_u64_u32 v[42:43], s[4:5], v9, s17, 0
	v_mad_u64_u32 v[44:45], s[4:5], v1, s34, 0
	v_xor_b32_e32 v1, v45, v12
	v_xor_b32_e32 v0, v43, v0
	v_mov_b32_e32 v17, 0
	v_xor_b32_e32 v12, v38, v1
	v_xor_b32_e32 v14, v39, v0
	v_mov_b32_e32 v13, v44
	v_mov_b32_e32 v15, v42
.LBB124_14:                             ;   in Loop: Header=BB124_4 Depth=1
	s_or_b64 exec, exec, s[2:3]
	v_cmp_eq_u32_e32 vcc, 1, v60
	v_cndmask_b32_e32 v0, v8, v18, vcc
	v_cmp_eq_u32_e32 vcc, 2, v60
	v_cndmask_b32_e32 v0, v0, v10, vcc
	;; [unrolled: 2-line block ×3, first 2 shown]
	v_div_scale_f32 v1, s[2:3], v40, v40, 1.0
	v_cvt_f32_u32_e32 v0, v0
	v_rcp_f32_e32 v8, v1
	v_mov_b32_e32 v9, 0x2f800000
	s_mov_b64 s[28:29], exec
	v_fmac_f32_e32 v9, 0x2f800000, v0
	v_fma_f32 v0, -v1, v8, 1.0
	v_fmac_f32_e32 v8, v0, v8
	v_div_scale_f32 v0, vcc, 1.0, v40, 1.0
	v_sub_f32_e32 v50, 1.0, v9
	v_mul_f32_e32 v9, v0, v8
	v_fma_f32 v10, -v1, v9, v0
	v_fmac_f32_e32 v9, v10, v8
	v_fma_f32 v0, -v1, v9, v0
	v_div_fmas_f32 v0, v0, v8, v9
	v_div_fixup_f32 v51, v0, v40, 1.0
	v_cmp_eq_f32_e32 vcc, 1.0, v50
	v_cndmask_b32_e64 v52, v51, 1.0, vcc
	v_cmp_eq_f32_e64 s[2:3], 0, v52
	v_cndmask_b32_e64 v53, |v50|, 1.0, s[2:3]
	v_frexp_mant_f32_e32 v0, v53
	v_cmp_gt_f32_e64 s[4:5], s40, v0
	v_cndmask_b32_e64 v1, 1.0, 2.0, s[4:5]
	v_mul_f32_e32 v0, v0, v1
	v_add_f32_e32 v9, 1.0, v0
	v_rcp_f32_e32 v16, v9
	v_add_f32_e32 v1, -1.0, v9
	v_sub_f32_e32 v11, v0, v1
	v_add_f32_e32 v1, -1.0, v0
	v_mul_f32_e32 v41, v1, v16
	v_mul_f32_e32 v8, v9, v41
	v_fma_f32 v10, v41, v9, -v8
	v_fmac_f32_e32 v10, v41, v11
	v_add_f32_e32 v0, v8, v10
	v_sub_f32_e32 v9, v1, v0
	v_pk_add_f32 v[18:19], v[0:1], v[8:9] neg_lo:[0,1] neg_hi:[0,1]
	v_mov_b32_e32 v11, v0
	v_pk_add_f32 v[0:1], v[18:19], v[10:11] neg_lo:[0,1] neg_hi:[0,1]
	v_add_f32_e32 v0, v0, v1
	v_add_f32_e32 v0, v9, v0
	v_mul_f32_e32 v1, v16, v0
	v_add_f32_e32 v0, v41, v1
	v_sub_f32_e32 v8, v0, v41
	v_sub_f32_e32 v16, v1, v8
	v_mul_f32_e32 v1, v0, v0
	v_fma_f32 v9, v0, v0, -v1
	v_add_f32_e32 v8, v16, v16
	v_fmac_f32_e32 v9, v0, v8
	v_add_f32_e32 v8, v1, v9
	v_mov_b32_e32 v10, 0x3e91f4c4
	v_fmac_f32_e32 v10, 0x3e76c4e1, v8
	v_fma_f32 v10, v8, v10, v29
	v_sub_f32_e32 v1, v8, v1
	v_sub_f32_e32 v41, v9, v1
	v_mul_f32_e32 v1, v8, v10
	v_fma_f32 v9, v8, v10, -v1
	v_fmac_f32_e32 v9, v41, v10
	v_add_f32_e32 v10, v1, v9
	v_add_f32_e32 v11, 0x3f2aaaaa, v10
	v_sub_f32_e32 v1, v10, v1
	v_sub_f32_e32 v1, v9, v1
	v_add_f32_e32 v9, 0xbf2aaaaa, v11
	v_add_f32_e32 v1, 0x31739010, v1
	v_sub_f32_e32 v9, v10, v9
	v_pk_mul_f32 v[18:19], v[0:1], v[8:9]
	v_fma_f32 v10, v8, v0, -v18
	v_pk_add_f32 v[42:43], v[0:1], v[8:9]
	v_fmac_f32_e32 v10, v8, v16
	v_mov_b32_e32 v19, v43
	v_fmac_f32_e32 v10, v41, v0
	v_pk_add_f32 v[8:9], v[18:19], v[10:11]
	v_sub_f32_e32 v1, v8, v18
	v_sub_f32_e32 v1, v10, v1
	;; [unrolled: 1-line block ×3, first 2 shown]
	v_add_f32_e32 v41, v43, v10
	v_mov_b32_e32 v10, v9
	v_pk_mul_f32 v[10:11], v[8:9], v[10:11]
	v_cvt_f64_f32_e32 v[18:19], v53
	v_frexp_exp_i32_f64_e32 v11, v[18:19]
	v_subbrev_co_u32_e64 v11, s[4:5], 0, v11, s[4:5]
	v_cvt_f32_i32_e32 v11, v11
	v_fma_f32 v18, v8, v9, -v10
	v_fmac_f32_e32 v18, v8, v41
	v_fmac_f32_e32 v18, v1, v9
	v_mul_f32_e32 v8, 0x3f317218, v11
	v_fma_f32 v42, v11, s41, -v8
	v_fmac_f32_e32 v42, 0xb102e308, v11
	v_ldexp_f32 v43, v0, 1
	v_add_f32_e32 v9, v10, v18
	v_pk_add_f32 v[0:1], v[8:9], v[42:43]
	v_mov_b32_e32 v44, v9
	v_mov_b32_e32 v45, v1
	;; [unrolled: 1-line block ×3, first 2 shown]
	v_pk_add_f32 v[10:11], v[44:45], v[10:11] neg_lo:[0,1] neg_hi:[0,1]
	v_mov_b32_e32 v19, v9
	v_ldexp_f32 v16, v16, 1
	v_pk_add_f32 v[10:11], v[18:19], v[10:11] neg_lo:[0,1] neg_hi:[0,1]
	v_add_f32_e32 v9, v16, v10
	v_add_f32_e32 v9, v9, v11
	v_pk_add_f32 v[10:11], v[0:1], v[8:9] neg_lo:[0,1] neg_hi:[0,1]
	v_pk_add_f32 v[18:19], v[0:1], v[8:9]
	v_mov_b32_e32 v44, v10
	v_mov_b32_e32 v45, v19
	v_mov_b32_e32 v43, v0
	v_pk_add_f32 v[44:45], v[42:43], v[44:45]
	v_mov_b32_e32 v8, v45
	v_pk_add_f32 v[46:47], v[8:9], v[0:1] neg_lo:[0,1] neg_hi:[0,1]
	v_mov_b32_e32 v41, v46
	v_mov_b32_e32 v44, v19
	;; [unrolled: 1-line block ×4, first 2 shown]
	v_pk_add_f32 v[10:11], v[42:43], v[10:11] neg_lo:[0,1] neg_hi:[0,1]
	v_pk_add_f32 v[48:49], v[18:19], v[40:41] neg_lo:[0,1] neg_hi:[0,1]
	;; [unrolled: 1-line block ×3, first 2 shown]
	v_mov_b32_e32 v42, v9
	v_pk_add_f32 v[0:1], v[42:43], v[0:1] neg_lo:[0,1] neg_hi:[0,1]
	v_mov_b32_e32 v48, v10
	v_pk_add_f32 v[18:19], v[48:49], v[0:1]
	v_mov_b32_e32 v16, v19
	v_pk_add_f32 v[42:43], v[18:19], v[16:17]
	v_pk_add_f32 v[8:9], v[8:9], v[42:43]
	v_mov_b32_e32 v11, v45
	v_mov_b32_e32 v19, v8
	v_pk_add_f32 v[44:45], v[18:19], v[10:11] neg_lo:[0,1] neg_hi:[0,1]
	v_mov_b32_e32 v1, v42
	v_sub_f32_e32 v9, v18, v44
	v_pk_add_f32 v[0:1], v[0:1], v[44:45] neg_lo:[0,1] neg_hi:[0,1]
	v_sub_f32_e32 v9, v10, v9
	v_add_f32_e32 v0, v0, v9
	v_add_f32_e32 v0, v0, v1
	;; [unrolled: 1-line block ×3, first 2 shown]
	v_sub_f32_e32 v8, v1, v8
	v_sub_f32_e32 v0, v0, v8
	v_mul_f32_e32 v8, v52, v1
	v_fma_f32 v1, v52, v1, -v8
	v_fmac_f32_e32 v1, v52, v0
	v_add_f32_e32 v0, v8, v1
	v_cmp_class_f32_e64 s[4:5], v8, s42
	v_sub_f32_e32 v9, v0, v8
	v_cndmask_b32_e64 v0, v0, v8, s[4:5]
	v_cmp_eq_f32_e64 s[4:5], s44, v0
	v_cndmask_b32_e64 v8, 0, v31, s[4:5]
	v_sub_f32_e32 v1, v1, v9
	v_sub_f32_e32 v9, v0, v8
	v_mul_f32_e32 v10, 0x3fb8aa3b, v9
	v_fma_f32 v11, v9, s45, -v10
	v_rndne_f32_e32 v16, v10
	v_fmac_f32_e32 v11, 0x32a5705f, v9
	v_sub_f32_e32 v10, v10, v16
	v_add_f32_e32 v10, v10, v11
	v_exp_f32_e32 v10, v10
	v_cvt_i32_f32_e32 v11, v16
	v_cmp_neq_f32_e64 s[4:5], |v0|, s43
	v_cndmask_b32_e64 v0, 0, v1, s[4:5]
	v_cmp_ngt_f32_e64 s[4:5], s46, v9
	v_ldexp_f32 v1, v10, v11
	v_cndmask_b32_e64 v1, 0, v1, s[4:5]
	v_cmp_nlt_f32_e64 s[4:5], s44, v9
	v_add_f32_e32 v0, v8, v0
	v_cndmask_b32_e64 v1, v32, v1, s[4:5]
	v_fma_f32 v0, v1, v0, v1
	v_cmp_class_f32_e64 s[4:5], v1, s42
	v_trunc_f32_e32 v8, v52
	v_cndmask_b32_e64 v0, v0, v1, s[4:5]
	v_cndmask_b32_e64 v1, v50, 1.0, s[2:3]
	v_cmp_eq_f32_e64 s[2:3], v8, v52
	v_mul_f32_e32 v8, 0.5, v52
	v_trunc_f32_e32 v9, v8
	v_cmp_neq_f32_e64 s[4:5], v9, v8
	s_and_b64 s[4:5], s[2:3], s[4:5]
	v_cndmask_b32_e64 v8, 1.0, v1, s[4:5]
	v_bfi_b32 v0, s47, v0, v8
	v_cndmask_b32_e64 v8, v33, v0, s[2:3]
	v_cmp_gt_f32_e64 s[2:3], 0, v1
	v_cndmask_b32_e64 v0, v0, v8, s[2:3]
	v_cndmask_b32_e64 v8, |v51|, 1.0, vcc
	v_cmp_neq_f32_e32 vcc, v52, v8
	v_cmp_gt_f32_e64 s[2:3], 1.0, v53
	s_xor_b64 s[2:3], vcc, s[2:3]
	v_cndmask_b32_e64 v9, v8, 0, s[2:3]
	v_cmp_eq_f32_e32 vcc, 1.0, v53
	v_cmp_eq_f32_e64 s[2:3], 0, v1
	v_cmp_gt_f32_e64 s[6:7], 0, v52
	v_cndmask_b32_e32 v9, v9, v53, vcc
	v_cmp_eq_f32_e32 vcc, s43, v8
	s_xor_b64 s[6:7], s[6:7], s[2:3]
	v_cndmask_b32_e32 v0, v0, v9, vcc
	v_cmp_eq_f32_e32 vcc, s43, v53
	v_cndmask_b32_e64 v8, v32, 0, s[6:7]
	v_cndmask_b32_e64 v1, 0, v1, s[4:5]
	v_bfi_b32 v1, s47, v8, v1
	s_or_b64 vcc, vcc, s[2:3]
	v_pk_mov_b32 v[8:9], v[12:13], v[12:13] op_sel:[0,1]
	v_cndmask_b32_e32 v19, v0, v1, vcc
	v_add_f32_e32 v40, 1.0, v40
	v_pk_mov_b32 v[10:11], v[14:15], v[14:15] op_sel:[0,1]
	v_mov_b32_e32 v60, v17
.LBB124_15:                             ;   in Loop: Header=BB124_4 Depth=1
	s_or_b64 exec, exec, s[26:27]
	s_mov_b32 s4, 0
	s_orn2_b64 s[2:3], s[28:29], exec
.LBB124_16:                             ;   in Loop: Header=BB124_4 Depth=1
	s_or_b64 exec, exec, s[24:25]
	v_mov_b32_e32 v46, s4
	s_and_saveexec_b64 s[4:5], s[2:3]
	s_cbranch_execz .LBB124_3
; %bb.17:                               ;   in Loop: Header=BB124_4 Depth=1
	v_add_f32_e32 v40, 0xbeaaaaab, v40
	v_mul_f32_e32 v0, 0x41100000, v40
	v_mul_f32_e32 v1, 0x4f800000, v0
	v_cmp_gt_f32_e32 vcc, s48, v0
	v_cndmask_b32_e32 v0, v0, v1, vcc
	v_sqrt_f32_e32 v1, v0
	v_mul_f32_e32 v42, v19, v40
	v_add_u32_e32 v43, 0x9e3779b9, v26
	v_add_u32_e32 v44, 0xbb67ae85, v27
	v_add_u32_e32 v12, -1, v1
	v_fma_f32 v14, -v12, v1, v0
	v_add_u32_e32 v13, 1, v1
	v_cmp_ge_f32_e64 s[2:3], 0, v14
	v_cndmask_b32_e64 v12, v1, v12, s[2:3]
	v_fma_f32 v1, -v13, v1, v0
	v_cmp_lt_f32_e64 s[2:3], 0, v1
	v_cndmask_b32_e64 v1, v12, v13, s[2:3]
	v_mul_f32_e32 v12, 0x37800000, v1
	v_cndmask_b32_e32 v1, v1, v12, vcc
	v_cmp_class_f32_e32 vcc, v0, v30
	v_cndmask_b32_e32 v0, v1, v0, vcc
	v_div_scale_f32 v1, s[2:3], v0, v0, 1.0
	v_rcp_f32_e32 v12, v1
	v_add_u32_e32 v45, 0x3c6ef372, v26
	v_add_u32_e32 v47, 0x76cf5d0a, v27
	;; [unrolled: 1-line block ×3, first 2 shown]
	v_fma_f32 v13, -v1, v12, 1.0
	v_fmac_f32_e32 v12, v13, v12
	v_div_scale_f32 v13, vcc, 1.0, v0, 1.0
	v_mul_f32_e32 v14, v13, v12
	v_fma_f32 v15, -v1, v14, v13
	v_fmac_f32_e32 v14, v15, v12
	v_fma_f32 v1, -v1, v14, v13
	v_div_fmas_f32 v1, v1, v12, v14
	v_div_fixup_f32 v41, v1, v0, 1.0
	v_add_u32_e32 v49, 0x32370b8f, v27
	v_add_u32_e32 v50, 0x78dde6e4, v26
	;; [unrolled: 1-line block ×11, first 2 shown]
	s_mov_b64 s[6:7], 0
	v_mov_b32_e32 v62, 0
                                        ; implicit-def: $vgpr0
                                        ; implicit-def: $vgpr46
	s_branch .LBB124_19
.LBB124_18:                             ;   in Loop: Header=BB124_19 Depth=2
	s_or_b64 exec, exec, s[24:25]
	s_xor_b64 s[2:3], s[2:3], -1
	s_and_b64 s[2:3], exec, s[2:3]
	s_or_b64 s[6:7], s[2:3], s[6:7]
	s_andn2_b64 exec, exec, s[6:7]
	s_cbranch_execz .LBB124_2
.LBB124_19:                             ;   Parent Loop BB124_4 Depth=1
                                        ; =>  This Loop Header: Depth=2
                                        ;       Child Loop BB124_22 Depth 3
	v_pk_mov_b32 v[14:15], v[10:11], v[10:11] op_sel:[0,1]
	s_mov_b64 s[24:25], 0
	v_mov_b32_e32 v61, v60
	v_pk_mov_b32 v[12:13], v[8:9], v[8:9] op_sel:[0,1]
	s_branch .LBB124_22
.LBB124_20:                             ;   in Loop: Header=BB124_22 Depth=3
	s_or_b64 exec, exec, s[2:3]
	v_cmp_eq_u32_e32 vcc, 1, v61
	v_cndmask_b32_e32 v1, v12, v13, vcc
	v_cmp_eq_u32_e32 vcc, 2, v61
	v_cndmask_b32_e32 v1, v1, v14, vcc
	;; [unrolled: 2-line block ×3, first 2 shown]
	v_cvt_f32_u32_e32 v1, v1
	v_cmp_eq_u32_e32 vcc, 1, v0
	v_cndmask_b32_e32 v8, v8, v9, vcc
	v_mov_b32_e32 v9, 0x2f800000
	v_cmp_eq_u32_e32 vcc, 2, v0
	v_fmac_f32_e32 v9, 0x2f800000, v1
	v_cndmask_b32_e32 v8, v8, v10, vcc
	v_cmp_gt_f32_e32 vcc, s55, v9
	v_cndmask_b32_e32 v1, 1.0, v34, vcc
	v_mul_f32_e32 v1, v9, v1
	v_log_f32_e32 v1, v1
	v_cmp_eq_u32_e64 s[2:3], 3, v0
	v_cndmask_b32_e64 v0, v8, v11, s[2:3]
	v_cvt_f32_u32_e32 v0, v0
	v_mul_f32_e32 v8, 0x3f317217, v1
	v_fma_f32 v9, v1, s56, -v8
	v_fmac_f32_e32 v9, 0x3377d1cf, v1
	v_add_f32_e32 v8, v8, v9
	v_cmp_lt_f32_e64 s[2:3], |v1|, s43
	v_cndmask_b32_e64 v1, v1, v8, s[2:3]
	v_cndmask_b32_e32 v8, 0, v35, vcc
	v_sub_f32_e32 v1, v1, v8
	v_mul_f32_e32 v1, -2.0, v1
	v_mul_f32_e32 v8, 0x4f800000, v1
	v_cmp_gt_f32_e32 vcc, s48, v1
	v_cndmask_b32_e32 v8, v1, v8, vcc
	v_sqrt_f32_e32 v1, v8
	v_mov_b32_e32 v9, 0x30c90fdb
	v_fmac_f32_e32 v9, 0x30c90fdb, v0
	v_pk_mov_b32 v[12:13], v[16:17], v[16:17] op_sel:[0,1]
	v_add_u32_e32 v0, -1, v1
	v_fma_f32 v10, -v0, v1, v8
	v_cmp_ge_f32_e64 s[2:3], 0, v10
	v_add_u32_e32 v10, 1, v1
	v_cndmask_b32_e64 v0, v1, v0, s[2:3]
	v_fma_f32 v1, -v10, v1, v8
	v_cmp_lt_f32_e64 s[2:3], 0, v1
	v_cndmask_b32_e64 v10, v0, v10, s[2:3]
	v_mul_f32_e32 v0, 0.15915494, v9
	v_sin_f32_e32 v1, v0
	v_cos_f32_e32 v0, v0
	v_mul_f32_e32 v11, 0x37800000, v10
	v_cndmask_b32_e32 v9, v10, v11, vcc
	v_cmp_class_f32_e32 vcc, v8, v30
	v_cndmask_b32_e32 v8, v9, v8, vcc
	v_pk_mul_f32 v[0:1], v[8:9], v[0:1] op_sel_hi:[0,1]
	v_mov_b32_e32 v62, 1
	v_pk_mov_b32 v[14:15], v[18:19], v[18:19] op_sel:[0,1]
	v_mov_b32_e32 v61, v60
.LBB124_21:                             ;   in Loop: Header=BB124_22 Depth=3
	s_or_b64 exec, exec, s[26:27]
	v_fma_f32 v16, v41, v1, 1.0
	v_cmp_nge_f32_e32 vcc, 0, v16
	s_or_b64 s[24:25], vcc, s[24:25]
	s_andn2_b64 exec, exec, s[24:25]
	s_cbranch_execz .LBB124_27
.LBB124_22:                             ;   Parent Loop BB124_4 Depth=1
                                        ;     Parent Loop BB124_19 Depth=2
                                        ; =>    This Inner Loop Header: Depth=3
	v_cmp_eq_u32_e32 vcc, 0, v62
	v_mov_b32_e32 v62, 0
	v_mov_b32_e32 v1, v0
	s_and_saveexec_b64 s[26:27], vcc
	s_cbranch_execz .LBB124_21
; %bb.23:                               ;   in Loop: Header=BB124_22 Depth=3
	v_add_u32_e32 v0, 1, v61
	v_pk_mov_b32 v[8:9], v[12:13], v[12:13] op_sel:[0,1]
	v_cmp_eq_u32_e32 vcc, 4, v0
	v_pk_mov_b32 v[10:11], v[14:15], v[14:15] op_sel:[0,1]
	s_and_saveexec_b64 s[2:3], vcc
	s_cbranch_execz .LBB124_25
; %bb.24:                               ;   in Loop: Header=BB124_22 Depth=3
	v_add_co_u32_e32 v4, vcc, 1, v4
	v_cndmask_b32_e64 v1, 0, 1, vcc
	v_addc_co_u32_e32 v5, vcc, 0, v5, vcc
	v_cmp_eq_u32_e32 vcc, 0, v5
	v_cndmask_b32_e32 v1, 0, v1, vcc
	v_add_u32_e32 v6, v1, v6
	v_cmp_eq_u32_e32 vcc, 0, v6
	v_cndmask_b32_e32 v1, 0, v1, vcc
	v_mad_u64_u32 v[8:9], s[28:29], v4, s17, 0
	v_mad_u64_u32 v[10:11], s[28:29], v6, s34, 0
	v_add_u32_e32 v7, v1, v7
	v_xor_b32_e32 v1, v11, v26
	v_xor_b32_e32 v9, v9, v27
	v_xor_b32_e32 v1, v5, v1
	v_xor_b32_e32 v9, v7, v9
	v_mad_u64_u32 v[16:17], s[28:29], v1, s17, 0
	v_mad_u64_u32 v[18:19], s[28:29], v9, s34, 0
	v_xor_b32_e32 v1, v19, v10
	v_xor_b32_e32 v8, v17, v8
	v_xor_b32_e32 v1, v43, v1
	v_xor_b32_e32 v10, v44, v8
	v_mad_u64_u32 v[8:9], s[28:29], v1, s17, 0
	v_mad_u64_u32 v[10:11], s[28:29], v10, s34, 0
	;; [unrolled: 6-line block ×9, first 2 shown]
	v_xor_b32_e32 v1, v19, v8
	v_xor_b32_e32 v8, v38, v1
	;; [unrolled: 1-line block ×3, first 2 shown]
	v_mov_b32_e32 v0, 0
	v_xor_b32_e32 v10, v39, v1
	v_mov_b32_e32 v9, v18
	v_mov_b32_e32 v11, v16
.LBB124_25:                             ;   in Loop: Header=BB124_22 Depth=3
	s_or_b64 exec, exec, s[2:3]
	v_add_u32_e32 v60, 1, v0
	v_pk_mov_b32 v[18:19], v[10:11], v[10:11] op_sel:[0,1]
	v_cmp_eq_u32_e32 vcc, 4, v60
	v_pk_mov_b32 v[16:17], v[8:9], v[8:9] op_sel:[0,1]
	s_and_saveexec_b64 s[2:3], vcc
	s_cbranch_execz .LBB124_20
; %bb.26:                               ;   in Loop: Header=BB124_22 Depth=3
	v_add_co_u32_e32 v4, vcc, 1, v4
	v_cndmask_b32_e64 v1, 0, 1, vcc
	v_addc_co_u32_e32 v5, vcc, 0, v5, vcc
	v_cmp_eq_u32_e32 vcc, 0, v5
	v_cndmask_b32_e32 v1, 0, v1, vcc
	v_add_u32_e32 v6, v1, v6
	v_cmp_eq_u32_e32 vcc, 0, v6
	v_cndmask_b32_e32 v1, 0, v1, vcc
	v_mad_u64_u32 v[16:17], s[28:29], v4, s17, 0
	v_mad_u64_u32 v[18:19], s[28:29], v6, s34, 0
	v_add_u32_e32 v7, v1, v7
	v_xor_b32_e32 v1, v19, v26
	v_xor_b32_e32 v17, v17, v27
	v_xor_b32_e32 v1, v5, v1
	v_xor_b32_e32 v17, v7, v17
	v_mad_u64_u32 v[62:63], s[28:29], v1, s17, 0
	v_mad_u64_u32 v[64:65], s[28:29], v17, s34, 0
	v_xor_b32_e32 v1, v65, v18
	v_xor_b32_e32 v16, v63, v16
	v_xor_b32_e32 v1, v43, v1
	v_xor_b32_e32 v18, v44, v16
	v_mad_u64_u32 v[16:17], s[28:29], v1, s17, 0
	v_mad_u64_u32 v[18:19], s[28:29], v18, s34, 0
	;; [unrolled: 6-line block ×9, first 2 shown]
	v_xor_b32_e32 v1, v65, v16
	v_xor_b32_e32 v16, v38, v1
	;; [unrolled: 1-line block ×3, first 2 shown]
	v_mov_b32_e32 v60, 0
	v_xor_b32_e32 v18, v39, v1
	v_mov_b32_e32 v17, v64
	v_mov_b32_e32 v19, v62
	s_branch .LBB124_20
.LBB124_27:                             ;   in Loop: Header=BB124_19 Depth=2
	s_or_b64 exec, exec, s[24:25]
	v_add_u32_e32 v60, 1, v61
	v_pk_mov_b32 v[8:9], v[12:13], v[12:13] op_sel:[0,1]
	v_cmp_eq_u32_e32 vcc, 4, v60
	v_pk_mov_b32 v[10:11], v[14:15], v[14:15] op_sel:[0,1]
	s_and_saveexec_b64 s[2:3], vcc
	s_cbranch_execz .LBB124_29
; %bb.28:                               ;   in Loop: Header=BB124_19 Depth=2
	v_add_co_u32_e32 v4, vcc, 1, v4
	v_cndmask_b32_e64 v8, 0, 1, vcc
	v_addc_co_u32_e32 v5, vcc, 0, v5, vcc
	v_cmp_eq_u32_e32 vcc, 0, v5
	v_cndmask_b32_e32 v8, 0, v8, vcc
	v_add_u32_e32 v6, v8, v6
	v_cmp_eq_u32_e32 vcc, 0, v6
	v_cndmask_b32_e32 v8, 0, v8, vcc
	v_add_u32_e32 v7, v8, v7
	v_mad_u64_u32 v[8:9], s[24:25], v4, s17, 0
	v_mad_u64_u32 v[10:11], s[24:25], v6, s34, 0
	v_xor_b32_e32 v11, v11, v26
	v_xor_b32_e32 v9, v9, v27
	v_xor_b32_e32 v11, v5, v11
	v_xor_b32_e32 v9, v7, v9
	v_mad_u64_u32 v[18:19], s[24:25], v11, s17, 0
	v_mad_u64_u32 v[64:65], s[24:25], v9, s34, 0
	v_xor_b32_e32 v9, v65, v10
	v_xor_b32_e32 v8, v19, v8
	v_xor_b32_e32 v9, v43, v9
	v_xor_b32_e32 v10, v44, v8
	v_mad_u64_u32 v[8:9], s[24:25], v9, s17, 0
	v_mad_u64_u32 v[10:11], s[24:25], v10, s34, 0
	v_xor_b32_e32 v11, v11, v64
	v_xor_b32_e32 v9, v9, v18
	v_xor_b32_e32 v11, v45, v11
	v_xor_b32_e32 v9, v47, v9
	v_mad_u64_u32 v[18:19], s[24:25], v11, s17, 0
	v_mad_u64_u32 v[64:65], s[24:25], v9, s34, 0
	v_xor_b32_e32 v9, v65, v10
	v_xor_b32_e32 v8, v19, v8
	v_xor_b32_e32 v9, v48, v9
	v_xor_b32_e32 v10, v49, v8
	v_mad_u64_u32 v[8:9], s[24:25], v9, s17, 0
	v_mad_u64_u32 v[10:11], s[24:25], v10, s34, 0
	v_xor_b32_e32 v11, v11, v64
	v_xor_b32_e32 v9, v9, v18
	v_xor_b32_e32 v11, v50, v11
	v_xor_b32_e32 v9, v51, v9
	v_mad_u64_u32 v[18:19], s[24:25], v11, s17, 0
	v_mad_u64_u32 v[64:65], s[24:25], v9, s34, 0
	v_xor_b32_e32 v9, v65, v10
	v_xor_b32_e32 v8, v19, v8
	v_xor_b32_e32 v9, v52, v9
	v_xor_b32_e32 v10, v53, v8
	v_mad_u64_u32 v[8:9], s[24:25], v9, s17, 0
	v_mad_u64_u32 v[10:11], s[24:25], v10, s34, 0
	v_xor_b32_e32 v11, v11, v64
	v_xor_b32_e32 v9, v9, v18
	v_xor_b32_e32 v11, v54, v11
	v_xor_b32_e32 v9, v55, v9
	v_mad_u64_u32 v[18:19], s[24:25], v11, s17, 0
	v_mad_u64_u32 v[64:65], s[24:25], v9, s34, 0
	v_xor_b32_e32 v9, v65, v10
	v_xor_b32_e32 v8, v19, v8
	v_xor_b32_e32 v9, v56, v9
	v_xor_b32_e32 v8, v57, v8
	v_mad_u64_u32 v[10:11], s[24:25], v9, s17, 0
	v_mad_u64_u32 v[8:9], s[24:25], v8, s34, 0
	v_xor_b32_e32 v9, v9, v64
	v_xor_b32_e32 v11, v11, v18
	v_xor_b32_e32 v9, v58, v9
	v_xor_b32_e32 v11, v59, v11
	v_mad_u64_u32 v[18:19], s[24:25], v9, s17, 0
	v_mad_u64_u32 v[64:65], s[24:25], v11, s34, 0
	v_xor_b32_e32 v8, v65, v8
	v_xor_b32_e32 v9, v19, v10
	v_mov_b32_e32 v60, 0
	v_xor_b32_e32 v8, v38, v8
	v_xor_b32_e32 v10, v39, v9
	v_mov_b32_e32 v9, v64
	v_mov_b32_e32 v11, v18
.LBB124_29:                             ;   in Loop: Header=BB124_19 Depth=2
	s_or_b64 exec, exec, s[2:3]
	v_cmp_eq_u32_e32 vcc, 1, v61
	v_cndmask_b32_e32 v12, v12, v13, vcc
	v_cmp_eq_u32_e32 vcc, 2, v61
	v_cndmask_b32_e32 v12, v12, v14, vcc
	;; [unrolled: 2-line block ×3, first 2 shown]
	v_cvt_f32_u32_e32 v13, v12
	v_mov_b32_e32 v14, 0x2f800000
	v_mul_f32_e32 v1, v1, v1
	v_mul_f32_e32 v12, v16, v16
	v_fmac_f32_e32 v14, 0x2f800000, v13
	v_sub_f32_e32 v13, 1.0, v14
	v_mul_f32_e32 v14, 0xbd0793de, v1
	v_fma_f32 v14, v1, v14, 1.0
	v_mul_f32_e32 v12, v16, v12
	v_cmp_nlt_f32_e32 vcc, v13, v14
                                        ; implicit-def: $sgpr2_sgpr3
	s_and_saveexec_b64 s[24:25], vcc
	s_xor_b64 s[24:25], exec, s[24:25]
	s_cbranch_execz .LBB124_33
; %bb.30:                               ;   in Loop: Header=BB124_19 Depth=2
	v_cmp_gt_f32_e32 vcc, s55, v13
	v_cndmask_b32_e32 v14, 1.0, v34, vcc
	v_mul_f32_e32 v13, v13, v14
	v_log_f32_e32 v13, v13
	v_mul_f32_e32 v14, 0x3f317217, v13
	v_fma_f32 v15, v13, s56, -v14
	v_fmac_f32_e32 v15, 0x3377d1cf, v13
	v_add_f32_e32 v14, v14, v15
	v_cmp_lt_f32_e64 s[2:3], |v13|, s43
	v_cndmask_b32_e64 v13, v13, v14, s[2:3]
	v_cmp_gt_f32_e64 s[2:3], s55, v12
	v_cndmask_b32_e64 v14, 1.0, v34, s[2:3]
	v_mul_f32_e32 v14, v12, v14
	v_log_f32_e32 v14, v14
	v_cndmask_b32_e32 v15, 0, v35, vcc
	v_sub_f32_e32 v13, v13, v15
	v_sub_f32_e32 v15, 1.0, v12
	v_mul_f32_e32 v16, 0x3f317217, v14
	v_fma_f32 v17, v14, s56, -v16
	v_fmac_f32_e32 v17, 0x3377d1cf, v14
	v_add_f32_e32 v16, v16, v17
	v_cmp_lt_f32_e64 vcc, |v14|, s43
	v_cndmask_b32_e32 v14, v14, v16, vcc
	v_cndmask_b32_e64 v16, 0, v35, s[2:3]
	v_sub_f32_e32 v14, v14, v16
	v_add_f32_e32 v14, v15, v14
	v_mul_f32_e32 v14, v40, v14
	v_fmac_f32_e32 v14, 0.5, v1
	v_cmp_lt_f32_e32 vcc, v13, v14
	s_mov_b64 s[2:3], -1
	s_and_saveexec_b64 s[26:27], vcc
; %bb.31:                               ;   in Loop: Header=BB124_19 Depth=2
	v_mul_f32_e32 v46, v42, v12
	s_xor_b64 s[2:3], exec, -1
; %bb.32:                               ;   in Loop: Header=BB124_19 Depth=2
	s_or_b64 exec, exec, s[26:27]
	s_and_b64 s[2:3], s[2:3], exec
                                        ; implicit-def: $vgpr12
.LBB124_33:                             ;   in Loop: Header=BB124_19 Depth=2
	s_andn2_saveexec_b64 s[24:25], s[24:25]
	s_cbranch_execz .LBB124_18
; %bb.34:                               ;   in Loop: Header=BB124_19 Depth=2
	v_mul_f32_e32 v46, v42, v12
	s_andn2_b64 s[2:3], s[2:3], exec
	s_branch .LBB124_18
.LBB124_35:
	s_endpgm
	.section	.rodata,"a",@progbits
	.p2align	6, 0x0
	.amdhsa_kernel _ZN2at4cuda12_GLOBAL__N_121kernelPointwiseApply2IZN12_GLOBAL__N_117gamma_cuda_kernelIfEEvRKNS_10TensorBaseES7_NS_15PhiloxCudaStateEEUlRfRKfE_ffjLi2ELi2ELi1ELi256ELi2EEEvNS0_6detail10TensorInfoIT0_T2_EENSE_IT1_SG_EESG_T_
		.amdhsa_group_segment_fixed_size 0
		.amdhsa_private_segment_fixed_size 0
		.amdhsa_kernarg_size 728
		.amdhsa_user_sgpr_count 6
		.amdhsa_user_sgpr_private_segment_buffer 1
		.amdhsa_user_sgpr_dispatch_ptr 0
		.amdhsa_user_sgpr_queue_ptr 0
		.amdhsa_user_sgpr_kernarg_segment_ptr 1
		.amdhsa_user_sgpr_dispatch_id 0
		.amdhsa_user_sgpr_flat_scratch_init 0
		.amdhsa_user_sgpr_kernarg_preload_length 0
		.amdhsa_user_sgpr_kernarg_preload_offset 0
		.amdhsa_user_sgpr_private_segment_size 0
		.amdhsa_uses_dynamic_stack 0
		.amdhsa_system_sgpr_private_segment_wavefront_offset 0
		.amdhsa_system_sgpr_workgroup_id_x 1
		.amdhsa_system_sgpr_workgroup_id_y 0
		.amdhsa_system_sgpr_workgroup_id_z 0
		.amdhsa_system_sgpr_workgroup_info 0
		.amdhsa_system_vgpr_workitem_id 0
		.amdhsa_next_free_vgpr 66
		.amdhsa_next_free_sgpr 63
		.amdhsa_accum_offset 68
		.amdhsa_reserve_vcc 1
		.amdhsa_reserve_flat_scratch 0
		.amdhsa_float_round_mode_32 0
		.amdhsa_float_round_mode_16_64 0
		.amdhsa_float_denorm_mode_32 3
		.amdhsa_float_denorm_mode_16_64 3
		.amdhsa_dx10_clamp 1
		.amdhsa_ieee_mode 1
		.amdhsa_fp16_overflow 0
		.amdhsa_tg_split 0
		.amdhsa_exception_fp_ieee_invalid_op 0
		.amdhsa_exception_fp_denorm_src 0
		.amdhsa_exception_fp_ieee_div_zero 0
		.amdhsa_exception_fp_ieee_overflow 0
		.amdhsa_exception_fp_ieee_underflow 0
		.amdhsa_exception_fp_ieee_inexact 0
		.amdhsa_exception_int_div_zero 0
	.end_amdhsa_kernel
	.section	.text._ZN2at4cuda12_GLOBAL__N_121kernelPointwiseApply2IZN12_GLOBAL__N_117gamma_cuda_kernelIfEEvRKNS_10TensorBaseES7_NS_15PhiloxCudaStateEEUlRfRKfE_ffjLi2ELi2ELi1ELi256ELi2EEEvNS0_6detail10TensorInfoIT0_T2_EENSE_IT1_SG_EESG_T_,"axG",@progbits,_ZN2at4cuda12_GLOBAL__N_121kernelPointwiseApply2IZN12_GLOBAL__N_117gamma_cuda_kernelIfEEvRKNS_10TensorBaseES7_NS_15PhiloxCudaStateEEUlRfRKfE_ffjLi2ELi2ELi1ELi256ELi2EEEvNS0_6detail10TensorInfoIT0_T2_EENSE_IT1_SG_EESG_T_,comdat
.Lfunc_end124:
	.size	_ZN2at4cuda12_GLOBAL__N_121kernelPointwiseApply2IZN12_GLOBAL__N_117gamma_cuda_kernelIfEEvRKNS_10TensorBaseES7_NS_15PhiloxCudaStateEEUlRfRKfE_ffjLi2ELi2ELi1ELi256ELi2EEEvNS0_6detail10TensorInfoIT0_T2_EENSE_IT1_SG_EESG_T_, .Lfunc_end124-_ZN2at4cuda12_GLOBAL__N_121kernelPointwiseApply2IZN12_GLOBAL__N_117gamma_cuda_kernelIfEEvRKNS_10TensorBaseES7_NS_15PhiloxCudaStateEEUlRfRKfE_ffjLi2ELi2ELi1ELi256ELi2EEEvNS0_6detail10TensorInfoIT0_T2_EENSE_IT1_SG_EESG_T_
                                        ; -- End function
	.section	.AMDGPU.csdata,"",@progbits
; Kernel info:
; codeLenInByte = 5340
; NumSgprs: 67
; NumVgprs: 66
; NumAgprs: 0
; TotalNumVgprs: 66
; ScratchSize: 0
; MemoryBound: 0
; FloatMode: 240
; IeeeMode: 1
; LDSByteSize: 0 bytes/workgroup (compile time only)
; SGPRBlocks: 8
; VGPRBlocks: 8
; NumSGPRsForWavesPerEU: 67
; NumVGPRsForWavesPerEU: 66
; AccumOffset: 68
; Occupancy: 7
; WaveLimiterHint : 1
; COMPUTE_PGM_RSRC2:SCRATCH_EN: 0
; COMPUTE_PGM_RSRC2:USER_SGPR: 6
; COMPUTE_PGM_RSRC2:TRAP_HANDLER: 0
; COMPUTE_PGM_RSRC2:TGID_X_EN: 1
; COMPUTE_PGM_RSRC2:TGID_Y_EN: 0
; COMPUTE_PGM_RSRC2:TGID_Z_EN: 0
; COMPUTE_PGM_RSRC2:TIDIG_COMP_CNT: 0
; COMPUTE_PGM_RSRC3_GFX90A:ACCUM_OFFSET: 16
; COMPUTE_PGM_RSRC3_GFX90A:TG_SPLIT: 0
	.section	.text._ZN2at4cuda12_GLOBAL__N_121kernelPointwiseApply2IZN12_GLOBAL__N_117gamma_cuda_kernelIfEEvRKNS_10TensorBaseES7_NS_15PhiloxCudaStateEEUlRfRKfE_ffjLi2ELin1ELi1ELi256ELi2EEEvNS0_6detail10TensorInfoIT0_T2_EENSE_IT1_SG_EESG_T_,"axG",@progbits,_ZN2at4cuda12_GLOBAL__N_121kernelPointwiseApply2IZN12_GLOBAL__N_117gamma_cuda_kernelIfEEvRKNS_10TensorBaseES7_NS_15PhiloxCudaStateEEUlRfRKfE_ffjLi2ELin1ELi1ELi256ELi2EEEvNS0_6detail10TensorInfoIT0_T2_EENSE_IT1_SG_EESG_T_,comdat
	.globl	_ZN2at4cuda12_GLOBAL__N_121kernelPointwiseApply2IZN12_GLOBAL__N_117gamma_cuda_kernelIfEEvRKNS_10TensorBaseES7_NS_15PhiloxCudaStateEEUlRfRKfE_ffjLi2ELin1ELi1ELi256ELi2EEEvNS0_6detail10TensorInfoIT0_T2_EENSE_IT1_SG_EESG_T_ ; -- Begin function _ZN2at4cuda12_GLOBAL__N_121kernelPointwiseApply2IZN12_GLOBAL__N_117gamma_cuda_kernelIfEEvRKNS_10TensorBaseES7_NS_15PhiloxCudaStateEEUlRfRKfE_ffjLi2ELin1ELi1ELi256ELi2EEEvNS0_6detail10TensorInfoIT0_T2_EENSE_IT1_SG_EESG_T_
	.p2align	8
	.type	_ZN2at4cuda12_GLOBAL__N_121kernelPointwiseApply2IZN12_GLOBAL__N_117gamma_cuda_kernelIfEEvRKNS_10TensorBaseES7_NS_15PhiloxCudaStateEEUlRfRKfE_ffjLi2ELin1ELi1ELi256ELi2EEEvNS0_6detail10TensorInfoIT0_T2_EENSE_IT1_SG_EESG_T_,@function
_ZN2at4cuda12_GLOBAL__N_121kernelPointwiseApply2IZN12_GLOBAL__N_117gamma_cuda_kernelIfEEvRKNS_10TensorBaseES7_NS_15PhiloxCudaStateEEUlRfRKfE_ffjLi2ELin1ELi1ELi256ELi2EEEvNS0_6detail10TensorInfoIT0_T2_EENSE_IT1_SG_EESG_T_: ; @_ZN2at4cuda12_GLOBAL__N_121kernelPointwiseApply2IZN12_GLOBAL__N_117gamma_cuda_kernelIfEEvRKNS_10TensorBaseES7_NS_15PhiloxCudaStateEEUlRfRKfE_ffjLi2ELin1ELi1ELi256ELi2EEEvNS0_6detail10TensorInfoIT0_T2_EENSE_IT1_SG_EESG_T_
; %bb.0:
	s_load_dword s2, s[4:5], 0x1e4
	s_load_dword s33, s[4:5], 0x1b0
	s_add_u32 s0, s4, 0x1d8
	s_addc_u32 s1, s5, 0
	s_waitcnt lgkmcnt(0)
	s_and_b32 s2, s2, 0xffff
	s_mul_i32 s6, s6, s2
	v_add_u32_e32 v2, s6, v0
	v_cmp_gt_u32_e32 vcc, s33, v2
	s_and_saveexec_b64 s[6:7], vcc
	s_cbranch_execz .LBB125_38
; %bb.1:
	s_load_dwordx2 s[12:13], s[4:5], 0x1c8
	s_load_dwordx4 s[8:11], s[4:5], 0x1b8
	s_load_dword s22, s[4:5], 0x1a8
	s_load_dwordx2 s[14:15], s[4:5], 0x0
	s_load_dword s34, s[4:5], 0xc
	s_load_dword s37, s[0:1], 0x0
	;; [unrolled: 1-line block ×4, first 2 shown]
	s_add_u32 s6, s4, 0xd8
	s_waitcnt lgkmcnt(0)
	v_cvt_f32_u32_e32 v0, s34
	s_addc_u32 s7, s5, 0
	s_cmp_gt_i32 s22, 1
	s_cselect_b64 s[0:1], -1, 0
	v_rcp_iflag_f32_e32 v0, v0
	s_bitcmp1_b32 s3, 0
	s_cselect_b64 s[20:21], -1, 0
	s_mul_i32 s37, s37, s2
	v_mul_f32_e32 v0, 0x4f7ffffe, v0
	v_cvt_u32_f32_e32 v0, v0
	s_sub_i32 s2, 0, s34
	s_load_dwordx2 s[16:17], s[4:5], 0x6c
	s_load_dwordx2 s[18:19], s[4:5], 0xd8
	s_mov_b32 s3, 0
	v_mul_lo_u32 v1, s2, v0
	s_add_i32 s2, s22, -1
	s_add_i32 s38, s22, 1
	s_lshl_b64 s[2:3], s[2:3], 2
	s_mov_b32 s36, 0xcd9e8d57
	s_add_u32 s2, s2, s6
	v_mad_u64_u32 v[20:21], s[4:5], v2, s36, 0
	v_mul_hi_u32 v1, v0, v1
	s_addc_u32 s3, s3, s7
	v_mov_b32_e32 v22, v21
	v_add_u32_e32 v21, v0, v1
	s_add_u32 s22, s2, 8
	v_cndmask_b32_e64 v0, 0, 1, s[0:1]
	v_mov_b32_e32 v3, 0
	s_addc_u32 s23, s3, 0
	s_mov_b64 s[24:25], 0
	v_cmp_ne_u32_e64 s[0:1], 1, v0
	s_waitcnt lgkmcnt(0)
	v_mov_b32_e32 v23, s19
	s_mov_b32 s19, 0xd2511f53
	s_mov_b32 s39, 0x3f2aaaab
	v_mov_b32_e32 v28, 0x3ecccdef
	s_mov_b32 s40, 0x3f317218
	s_movk_i32 s41, 0x204
	s_mov_b32 s42, 0x7f800000
	s_mov_b32 s43, 0x42b17218
	;; [unrolled: 1-line block ×4, first 2 shown]
	s_brev_b32 s46, -2
	s_mov_b32 s47, 0xf800000
	v_mov_b32_e32 v29, 0x260
	s_mov_b32 s48, 0x3c6ef372
	s_mov_b32 s49, 0x76cf5d0a
	;; [unrolled: 1-line block ×17, first 2 shown]
	v_mov_b32_e32 v30, 0x37000000
	v_mov_b32_e32 v31, 0x7f800000
	;; [unrolled: 1-line block ×7, first 2 shown]
	s_branch .LBB125_4
.LBB125_2:                              ;   in Loop: Header=BB125_4 Depth=1
	s_or_b64 exec, exec, s[6:7]
.LBB125_3:                              ;   in Loop: Header=BB125_4 Depth=1
	s_or_b64 exec, exec, s[4:5]
	v_lshlrev_b64 v[0:1], 2, v[24:25]
	v_mov_b32_e32 v4, s15
	v_add_co_u32_e32 v0, vcc, s14, v0
	v_addc_co_u32_e32 v1, vcc, v4, v1, vcc
	v_cmp_ngt_f32_e32 vcc, s56, v45
	v_add_u32_e32 v36, s37, v36
	v_cndmask_b32_e32 v4, v35, v45, vcc
	v_cmp_le_u32_e32 vcc, s33, v36
	s_or_b64 s[24:25], vcc, s[24:25]
	global_store_dword v[0:1], v4, off
	s_andn2_b64 exec, exec, s[24:25]
	s_cbranch_execz .LBB125_38
.LBB125_4:                              ; =>This Loop Header: Depth=1
                                        ;     Child Loop BB125_9 Depth 2
                                        ;     Child Loop BB125_22 Depth 2
                                        ;       Child Loop BB125_25 Depth 3
	v_sub_u32_e32 v0, s33, v36
	v_cmp_lt_i32_e32 vcc, 0, v0
	v_pk_mov_b32 v[0:1], 0, 0
	v_pk_mov_b32 v[24:25], v[0:1], v[0:1] op_sel:[0,1]
	s_and_saveexec_b64 s[4:5], vcc
	s_cbranch_execz .LBB125_6
; %bb.5:                                ;   in Loop: Header=BB125_4 Depth=1
	v_mul_hi_u32 v4, v36, v21
	v_mul_lo_u32 v5, v4, s34
	v_sub_u32_e32 v5, v36, v5
	v_add_u32_e32 v6, 1, v4
	v_cmp_le_u32_e64 s[2:3], s34, v5
	v_cndmask_b32_e64 v4, v4, v6, s[2:3]
	v_subrev_u32_e32 v6, s34, v5
	v_cndmask_b32_e64 v5, v5, v6, s[2:3]
	v_add_u32_e32 v6, 1, v4
	v_cmp_le_u32_e64 s[2:3], s34, v5
	v_cndmask_b32_e64 v5, v4, v6, s[2:3]
	v_mul_lo_u32 v4, v5, s34
	v_sub_u32_e32 v4, v36, v4
	v_mul_lo_u32 v4, v4, s17
	v_mad_u64_u32 v[24:25], s[2:3], v5, s16, v[4:5]
	v_mov_b32_e32 v25, v3
.LBB125_6:                              ;   in Loop: Header=BB125_4 Depth=1
	s_or_b64 exec, exec, s[4:5]
	s_and_saveexec_b64 s[2:3], vcc
	s_cbranch_execz .LBB125_11
; %bb.7:                                ;   in Loop: Header=BB125_4 Depth=1
	s_and_b64 vcc, exec, s[0:1]
	v_mov_b32_e32 v0, 0
	v_mov_b32_e32 v4, v36
	s_cbranch_vccnz .LBB125_10
; %bb.8:                                ;   in Loop: Header=BB125_4 Depth=1
	v_mov_b32_e32 v0, 0
	s_mov_b64 s[4:5], s[22:23]
	s_mov_b32 s6, s38
	v_mov_b32_e32 v4, v36
.LBB125_9:                              ;   Parent Loop BB125_4 Depth=1
                                        ; =>  This Inner Loop Header: Depth=2
	s_load_dword s7, s[4:5], 0x0
	s_load_dword s26, s[4:5], 0x64
	v_mov_b32_e32 v1, v4
	s_add_i32 s6, s6, -1
	s_waitcnt lgkmcnt(0)
	v_cvt_f32_u32_e32 v4, s7
	s_sub_i32 s27, 0, s7
	s_add_u32 s4, s4, -4
	s_addc_u32 s5, s5, -1
	v_rcp_iflag_f32_e32 v4, v4
	s_cmp_gt_u32 s6, 2
	v_mul_f32_e32 v4, 0x4f7ffffe, v4
	v_cvt_u32_f32_e32 v4, v4
	v_mul_lo_u32 v5, s27, v4
	v_mul_hi_u32 v5, v4, v5
	v_add_u32_e32 v4, v4, v5
	v_mul_hi_u32 v4, v1, v4
	v_mul_lo_u32 v5, v4, s7
	v_sub_u32_e32 v5, v1, v5
	v_add_u32_e32 v6, 1, v4
	v_cmp_le_u32_e32 vcc, s7, v5
	v_cndmask_b32_e32 v4, v4, v6, vcc
	v_subrev_u32_e32 v6, s7, v5
	v_cndmask_b32_e32 v5, v5, v6, vcc
	v_add_u32_e32 v6, 1, v4
	v_cmp_le_u32_e32 vcc, s7, v5
	v_cndmask_b32_e32 v4, v4, v6, vcc
	v_mul_lo_u32 v5, v4, s7
	v_sub_u32_e32 v1, v1, v5
	v_mad_u64_u32 v[0:1], s[26:27], s26, v1, v[0:1]
	s_cbranch_scc1 .LBB125_9
.LBB125_10:                             ;   in Loop: Header=BB125_4 Depth=1
	v_mad_u64_u32 v[0:1], s[4:5], s35, v4, v[0:1]
	v_mov_b32_e32 v1, v3
.LBB125_11:                             ;   in Loop: Header=BB125_4 Depth=1
	s_or_b64 exec, exec, s[2:3]
	v_lshlrev_b64 v[0:1], 2, v[0:1]
	v_add_co_u32_e32 v0, vcc, s18, v0
	v_addc_co_u32_e32 v1, vcc, v23, v1, vcc
	global_load_dword v39, v[0:1], off
	s_andn2_b64 vcc, exec, s[20:21]
	v_pk_mov_b32 v[0:1], s[10:11], s[10:11] op_sel:[0,1]
	v_pk_mov_b32 v[26:27], s[8:9], s[8:9] op_sel:[0,1]
	s_cbranch_vccnz .LBB125_13
; %bb.12:                               ;   in Loop: Header=BB125_4 Depth=1
	v_pk_mov_b32 v[0:1], s[10:11], s[10:11] op_sel:[0,1]
	flat_load_dwordx2 v[0:1], v[0:1]
	v_pk_mov_b32 v[4:5], s[8:9], s[8:9] op_sel:[0,1]
	flat_load_dwordx2 v[26:27], v[4:5]
	v_mov_b32_e32 v4, s13
	s_waitcnt vmcnt(0) lgkmcnt(0)
	v_add_co_u32_e32 v0, vcc, s12, v0
	v_addc_co_u32_e32 v1, vcc, v1, v4, vcc
.LBB125_13:                             ;   in Loop: Header=BB125_4 Depth=1
	v_and_b32_e32 v59, 3, v0
	v_alignbit_b32 v0, v1, v0, 2
	v_mad_u64_u32 v[6:7], s[2:3], v0, s19, 0
	v_lshrrev_b32_e32 v1, 2, v1
	v_xor_b32_e32 v5, v7, v27
	v_xor_b32_e32 v7, v22, v26
	v_mov_b32_e32 v4, v27
	v_xor_b32_e32 v7, v7, v1
	v_add_co_u32_e32 v40, vcc, s58, v4
	v_mad_u64_u32 v[8:9], s[2:3], v7, s19, 0
	v_mad_u64_u32 v[10:11], s[2:3], v5, s36, 0
	v_add_co_u32_e32 v41, vcc, 0x9e3779b9, v26
	v_xor_b32_e32 v5, v20, v11
	v_xor_b32_e32 v7, v40, v9
	v_xor_b32_e32 v5, v5, v41
	v_xor_b32_e32 v9, v7, v6
	v_add_co_u32_e32 v43, vcc, s48, v26
	v_add_co_u32_e32 v42, vcc, s49, v4
	v_mad_u64_u32 v[6:7], s[2:3], v5, s19, 0
	v_mad_u64_u32 v[12:13], s[2:3], v9, s36, 0
	v_xor_b32_e32 v5, v43, v13
	v_xor_b32_e32 v7, v42, v7
	v_xor_b32_e32 v5, v5, v10
	v_xor_b32_e32 v7, v7, v8
	v_add_co_u32_e32 v45, vcc, s59, v26
	v_add_co_u32_e32 v44, vcc, s50, v4
	v_mad_u64_u32 v[8:9], s[2:3], v5, s19, 0
	v_mad_u64_u32 v[10:11], s[2:3], v7, s36, 0
	;; [unrolled: 8-line block ×7, first 2 shown]
	v_xor_b32_e32 v7, v55, v7
	v_xor_b32_e32 v5, v54, v5
	;; [unrolled: 1-line block ×4, first 2 shown]
	v_mad_u64_u32 v[16:17], s[2:3], v7, s19, 0
	v_mad_u64_u32 v[18:19], s[2:3], v5, s36, 0
	v_add_u32_e32 v37, 0x8ff34781, v26
	v_add_u32_e32 v38, 0x96a522ad, v27
	v_xor_b32_e32 v5, v19, v6
	v_xor_b32_e32 v4, v17, v4
	;; [unrolled: 1-line block ×4, first 2 shown]
	v_pk_mov_b32 v[6:7], v[2:3], v[2:3] op_sel:[0,1]
	v_mov_b32_e32 v9, v18
	v_mov_b32_e32 v11, v16
	s_waitcnt vmcnt(0)
	v_cmp_gt_f32_e32 vcc, 1.0, v39
	s_mov_b64 s[2:3], -1
	v_mov_b32_e32 v19, 1.0
	v_pk_mov_b32 v[4:5], v[0:1], v[0:1] op_sel:[0,1]
                                        ; implicit-def: $sgpr4
	s_and_saveexec_b64 s[26:27], vcc
	s_cbranch_execz .LBB125_19
; %bb.14:                               ;   in Loop: Header=BB125_4 Depth=1
	v_cmp_neq_f32_e32 vcc, 0, v39
	s_mov_b64 s[30:31], 0
	v_mov_b32_e32 v19, 1.0
                                        ; implicit-def: $vgpr4_vgpr5_vgpr6_vgpr7
	s_and_saveexec_b64 s[28:29], vcc
	s_cbranch_execz .LBB125_18
; %bb.15:                               ;   in Loop: Header=BB125_4 Depth=1
	v_add_u32_e32 v17, 1, v59
	v_pk_mov_b32 v[14:15], v[10:11], v[10:11] op_sel:[0,1]
	v_pk_mov_b32 v[6:7], v[2:3], v[2:3] op_sel:[0,1]
	v_cmp_eq_u32_e32 vcc, 4, v17
	v_pk_mov_b32 v[12:13], v[8:9], v[8:9] op_sel:[0,1]
	v_pk_mov_b32 v[4:5], v[0:1], v[0:1] op_sel:[0,1]
	s_and_saveexec_b64 s[2:3], vcc
	s_cbranch_execz .LBB125_17
; %bb.16:                               ;   in Loop: Header=BB125_4 Depth=1
	v_add_co_u32_e32 v4, vcc, 1, v0
	v_cndmask_b32_e64 v0, 0, 1, vcc
	v_addc_co_u32_e32 v5, vcc, 0, v1, vcc
	v_cmp_eq_u32_e32 vcc, 0, v5
	v_cndmask_b32_e32 v0, 0, v0, vcc
	v_add_u32_e32 v6, v0, v2
	v_cmp_eq_u32_e32 vcc, 0, v6
	v_cndmask_b32_e32 v7, 0, v0, vcc
	v_mad_u64_u32 v[0:1], s[4:5], v4, s19, 0
	v_mad_u64_u32 v[12:13], s[4:5], v6, s36, 0
	v_xor_b32_e32 v9, v13, v26
	v_xor_b32_e32 v1, v1, v27
	v_xor_b32_e32 v9, v5, v9
	v_xor_b32_e32 v1, v7, v1
	v_mad_u64_u32 v[14:15], s[4:5], v9, s19, 0
	v_mad_u64_u32 v[56:57], s[4:5], v1, s36, 0
	v_xor_b32_e32 v1, v41, v57
	v_xor_b32_e32 v9, v40, v15
	v_xor_b32_e32 v1, v1, v12
	v_xor_b32_e32 v9, v9, v0
	;; [unrolled: 6-line block ×9, first 2 shown]
	v_mad_u64_u32 v[40:41], s[4:5], v9, s19, 0
	v_mad_u64_u32 v[42:43], s[4:5], v1, s36, 0
	v_xor_b32_e32 v1, v43, v12
	v_xor_b32_e32 v0, v41, v0
	v_mov_b32_e32 v17, 0
	v_xor_b32_e32 v12, v37, v1
	v_xor_b32_e32 v14, v38, v0
	v_mov_b32_e32 v13, v42
	v_mov_b32_e32 v15, v40
.LBB125_17:                             ;   in Loop: Header=BB125_4 Depth=1
	s_or_b64 exec, exec, s[2:3]
	v_cmp_eq_u32_e32 vcc, 1, v59
	v_cndmask_b32_e32 v0, v8, v18, vcc
	v_cmp_eq_u32_e32 vcc, 2, v59
	v_cndmask_b32_e32 v0, v0, v10, vcc
	;; [unrolled: 2-line block ×3, first 2 shown]
	v_div_scale_f32 v1, s[2:3], v39, v39, 1.0
	v_cvt_f32_u32_e32 v0, v0
	v_rcp_f32_e32 v8, v1
	v_mov_b32_e32 v9, 0x2f800000
	s_mov_b64 s[30:31], exec
	v_fmac_f32_e32 v9, 0x2f800000, v0
	v_fma_f32 v0, -v1, v8, 1.0
	v_fmac_f32_e32 v8, v0, v8
	v_div_scale_f32 v0, vcc, 1.0, v39, 1.0
	v_sub_f32_e32 v48, 1.0, v9
	v_mul_f32_e32 v9, v0, v8
	v_fma_f32 v10, -v1, v9, v0
	v_fmac_f32_e32 v9, v10, v8
	v_fma_f32 v0, -v1, v9, v0
	v_div_fmas_f32 v0, v0, v8, v9
	v_div_fixup_f32 v49, v0, v39, 1.0
	v_cmp_eq_f32_e32 vcc, 1.0, v48
	v_cndmask_b32_e64 v50, v49, 1.0, vcc
	v_cmp_eq_f32_e64 s[2:3], 0, v50
	v_cndmask_b32_e64 v51, |v48|, 1.0, s[2:3]
	v_frexp_mant_f32_e32 v0, v51
	v_cmp_gt_f32_e64 s[4:5], s39, v0
	v_cndmask_b32_e64 v1, 1.0, 2.0, s[4:5]
	v_mul_f32_e32 v0, v0, v1
	v_add_f32_e32 v9, 1.0, v0
	v_rcp_f32_e32 v16, v9
	v_add_f32_e32 v1, -1.0, v9
	v_sub_f32_e32 v11, v0, v1
	v_add_f32_e32 v1, -1.0, v0
	v_mul_f32_e32 v40, v1, v16
	v_mul_f32_e32 v8, v9, v40
	v_fma_f32 v10, v40, v9, -v8
	v_fmac_f32_e32 v10, v40, v11
	v_add_f32_e32 v0, v8, v10
	v_sub_f32_e32 v9, v1, v0
	v_pk_add_f32 v[18:19], v[0:1], v[8:9] neg_lo:[0,1] neg_hi:[0,1]
	v_mov_b32_e32 v11, v0
	v_pk_add_f32 v[0:1], v[18:19], v[10:11] neg_lo:[0,1] neg_hi:[0,1]
	v_add_f32_e32 v0, v0, v1
	v_add_f32_e32 v0, v9, v0
	v_mul_f32_e32 v1, v16, v0
	v_add_f32_e32 v0, v40, v1
	v_sub_f32_e32 v8, v0, v40
	v_sub_f32_e32 v16, v1, v8
	v_mul_f32_e32 v1, v0, v0
	v_fma_f32 v9, v0, v0, -v1
	v_add_f32_e32 v8, v16, v16
	v_fmac_f32_e32 v9, v0, v8
	v_add_f32_e32 v8, v1, v9
	v_mov_b32_e32 v10, 0x3e91f4c4
	v_fmac_f32_e32 v10, 0x3e76c4e1, v8
	v_fma_f32 v10, v8, v10, v28
	v_sub_f32_e32 v1, v8, v1
	v_sub_f32_e32 v42, v9, v1
	v_mul_f32_e32 v1, v8, v10
	v_fma_f32 v9, v8, v10, -v1
	v_fmac_f32_e32 v9, v42, v10
	v_add_f32_e32 v10, v1, v9
	v_add_f32_e32 v11, 0x3f2aaaaa, v10
	v_sub_f32_e32 v1, v10, v1
	v_sub_f32_e32 v1, v9, v1
	v_add_f32_e32 v9, 0xbf2aaaaa, v11
	v_add_f32_e32 v1, 0x31739010, v1
	v_sub_f32_e32 v9, v10, v9
	v_pk_mul_f32 v[18:19], v[0:1], v[8:9]
	v_fma_f32 v10, v8, v0, -v18
	v_pk_add_f32 v[40:41], v[0:1], v[8:9]
	v_fmac_f32_e32 v10, v8, v16
	v_mov_b32_e32 v19, v41
	v_fmac_f32_e32 v10, v42, v0
	v_pk_add_f32 v[8:9], v[18:19], v[10:11]
	v_sub_f32_e32 v1, v8, v18
	v_sub_f32_e32 v1, v10, v1
	;; [unrolled: 1-line block ×3, first 2 shown]
	v_add_f32_e32 v40, v41, v10
	v_mov_b32_e32 v10, v9
	v_pk_mul_f32 v[10:11], v[8:9], v[10:11]
	v_cvt_f64_f32_e32 v[18:19], v51
	v_frexp_exp_i32_f64_e32 v11, v[18:19]
	v_subbrev_co_u32_e64 v11, s[4:5], 0, v11, s[4:5]
	v_cvt_f32_i32_e32 v11, v11
	v_fma_f32 v18, v8, v9, -v10
	v_fmac_f32_e32 v18, v8, v40
	v_fmac_f32_e32 v18, v1, v9
	v_mul_f32_e32 v8, 0x3f317218, v11
	v_fma_f32 v40, v11, s40, -v8
	v_fmac_f32_e32 v40, 0xb102e308, v11
	v_ldexp_f32 v41, v0, 1
	v_add_f32_e32 v9, v10, v18
	v_pk_add_f32 v[0:1], v[8:9], v[40:41]
	v_mov_b32_e32 v42, v9
	v_mov_b32_e32 v43, v1
	;; [unrolled: 1-line block ×3, first 2 shown]
	v_pk_add_f32 v[10:11], v[42:43], v[10:11] neg_lo:[0,1] neg_hi:[0,1]
	v_mov_b32_e32 v19, v9
	v_ldexp_f32 v16, v16, 1
	v_pk_add_f32 v[10:11], v[18:19], v[10:11] neg_lo:[0,1] neg_hi:[0,1]
	v_add_f32_e32 v9, v16, v10
	v_add_f32_e32 v9, v9, v11
	v_pk_add_f32 v[10:11], v[0:1], v[8:9] neg_lo:[0,1] neg_hi:[0,1]
	v_pk_add_f32 v[18:19], v[0:1], v[8:9]
	v_mov_b32_e32 v42, v10
	v_mov_b32_e32 v43, v19
	;; [unrolled: 1-line block ×3, first 2 shown]
	v_pk_add_f32 v[42:43], v[40:41], v[42:43]
	v_mov_b32_e32 v8, v43
	v_pk_add_f32 v[44:45], v[8:9], v[0:1] neg_lo:[0,1] neg_hi:[0,1]
	v_mov_b32_e32 v45, v44
	v_mov_b32_e32 v42, v19
	v_mov_b32_e32 v0, v1
	v_mov_b32_e32 v1, v44
	v_pk_add_f32 v[10:11], v[40:41], v[10:11] neg_lo:[0,1] neg_hi:[0,1]
	v_pk_add_f32 v[46:47], v[18:19], v[44:45] neg_lo:[0,1] neg_hi:[0,1]
	;; [unrolled: 1-line block ×3, first 2 shown]
	v_mov_b32_e32 v40, v9
	v_pk_add_f32 v[0:1], v[40:41], v[0:1] neg_lo:[0,1] neg_hi:[0,1]
	v_mov_b32_e32 v46, v10
	v_pk_add_f32 v[18:19], v[46:47], v[0:1]
	v_mov_b32_e32 v16, v19
	v_pk_add_f32 v[40:41], v[18:19], v[16:17]
	v_pk_add_f32 v[8:9], v[8:9], v[40:41]
	v_mov_b32_e32 v11, v43
	v_mov_b32_e32 v19, v8
	v_pk_add_f32 v[42:43], v[18:19], v[10:11] neg_lo:[0,1] neg_hi:[0,1]
	v_mov_b32_e32 v1, v40
	v_sub_f32_e32 v9, v18, v42
	v_pk_add_f32 v[0:1], v[0:1], v[42:43] neg_lo:[0,1] neg_hi:[0,1]
	v_sub_f32_e32 v9, v10, v9
	v_add_f32_e32 v0, v0, v9
	v_add_f32_e32 v0, v0, v1
	;; [unrolled: 1-line block ×3, first 2 shown]
	v_sub_f32_e32 v8, v1, v8
	v_sub_f32_e32 v0, v0, v8
	v_mul_f32_e32 v8, v50, v1
	v_fma_f32 v1, v50, v1, -v8
	v_fmac_f32_e32 v1, v50, v0
	v_add_f32_e32 v0, v8, v1
	v_cmp_class_f32_e64 s[4:5], v8, s41
	v_sub_f32_e32 v9, v0, v8
	v_cndmask_b32_e64 v0, v0, v8, s[4:5]
	v_cmp_eq_f32_e64 s[4:5], s43, v0
	v_cndmask_b32_e64 v8, 0, v30, s[4:5]
	v_sub_f32_e32 v1, v1, v9
	v_sub_f32_e32 v9, v0, v8
	v_mul_f32_e32 v10, 0x3fb8aa3b, v9
	v_fma_f32 v11, v9, s44, -v10
	v_rndne_f32_e32 v16, v10
	v_fmac_f32_e32 v11, 0x32a5705f, v9
	v_sub_f32_e32 v10, v10, v16
	v_add_f32_e32 v10, v10, v11
	v_exp_f32_e32 v10, v10
	v_cvt_i32_f32_e32 v11, v16
	v_cmp_neq_f32_e64 s[4:5], |v0|, s42
	v_cndmask_b32_e64 v0, 0, v1, s[4:5]
	v_cmp_ngt_f32_e64 s[4:5], s45, v9
	v_ldexp_f32 v1, v10, v11
	v_cndmask_b32_e64 v1, 0, v1, s[4:5]
	v_cmp_nlt_f32_e64 s[4:5], s43, v9
	v_add_f32_e32 v0, v8, v0
	v_cndmask_b32_e64 v1, v31, v1, s[4:5]
	v_fma_f32 v0, v1, v0, v1
	v_cmp_class_f32_e64 s[4:5], v1, s41
	v_trunc_f32_e32 v8, v50
	v_cndmask_b32_e64 v0, v0, v1, s[4:5]
	v_cndmask_b32_e64 v1, v48, 1.0, s[2:3]
	v_cmp_eq_f32_e64 s[2:3], v8, v50
	v_mul_f32_e32 v8, 0.5, v50
	v_trunc_f32_e32 v9, v8
	v_cmp_neq_f32_e64 s[4:5], v9, v8
	s_and_b64 s[4:5], s[2:3], s[4:5]
	v_cndmask_b32_e64 v8, 1.0, v1, s[4:5]
	v_bfi_b32 v0, s46, v0, v8
	v_cndmask_b32_e64 v8, v32, v0, s[2:3]
	v_cmp_gt_f32_e64 s[2:3], 0, v1
	v_cndmask_b32_e64 v0, v0, v8, s[2:3]
	v_cndmask_b32_e64 v8, |v49|, 1.0, vcc
	v_cmp_neq_f32_e32 vcc, v50, v8
	v_cmp_gt_f32_e64 s[2:3], 1.0, v51
	s_xor_b64 s[2:3], vcc, s[2:3]
	v_cndmask_b32_e64 v9, v8, 0, s[2:3]
	v_cmp_eq_f32_e32 vcc, 1.0, v51
	v_cmp_eq_f32_e64 s[2:3], 0, v1
	v_cmp_gt_f32_e64 s[6:7], 0, v50
	v_cndmask_b32_e32 v9, v9, v51, vcc
	v_cmp_eq_f32_e32 vcc, s42, v8
	s_xor_b64 s[6:7], s[6:7], s[2:3]
	v_cndmask_b32_e32 v0, v0, v9, vcc
	v_cmp_eq_f32_e32 vcc, s42, v51
	v_cndmask_b32_e64 v8, v31, 0, s[6:7]
	v_cndmask_b32_e64 v1, 0, v1, s[4:5]
	v_bfi_b32 v1, s46, v8, v1
	s_or_b64 vcc, vcc, s[2:3]
	v_pk_mov_b32 v[8:9], v[12:13], v[12:13] op_sel:[0,1]
	v_cndmask_b32_e32 v19, v0, v1, vcc
	v_add_f32_e32 v39, 1.0, v39
	v_pk_mov_b32 v[10:11], v[14:15], v[14:15] op_sel:[0,1]
	v_mov_b32_e32 v59, v17
.LBB125_18:                             ;   in Loop: Header=BB125_4 Depth=1
	s_or_b64 exec, exec, s[28:29]
	s_mov_b32 s4, 0
	s_orn2_b64 s[2:3], s[30:31], exec
.LBB125_19:                             ;   in Loop: Header=BB125_4 Depth=1
	s_or_b64 exec, exec, s[26:27]
	v_mov_b32_e32 v45, s4
	s_and_saveexec_b64 s[4:5], s[2:3]
	s_cbranch_execz .LBB125_3
; %bb.20:                               ;   in Loop: Header=BB125_4 Depth=1
	v_add_f32_e32 v39, 0xbeaaaaab, v39
	v_mul_f32_e32 v0, 0x41100000, v39
	v_mul_f32_e32 v1, 0x4f800000, v0
	v_cmp_gt_f32_e32 vcc, s47, v0
	v_cndmask_b32_e32 v0, v0, v1, vcc
	v_sqrt_f32_e32 v1, v0
	v_mul_f32_e32 v41, v19, v39
	v_add_u32_e32 v42, 0x9e3779b9, v26
	v_add_u32_e32 v43, 0xbb67ae85, v27
	v_add_u32_e32 v12, -1, v1
	v_fma_f32 v14, -v12, v1, v0
	v_add_u32_e32 v13, 1, v1
	v_cmp_ge_f32_e64 s[2:3], 0, v14
	v_cndmask_b32_e64 v12, v1, v12, s[2:3]
	v_fma_f32 v1, -v13, v1, v0
	v_cmp_lt_f32_e64 s[2:3], 0, v1
	v_cndmask_b32_e64 v1, v12, v13, s[2:3]
	v_mul_f32_e32 v12, 0x37800000, v1
	v_cndmask_b32_e32 v1, v1, v12, vcc
	v_cmp_class_f32_e32 vcc, v0, v29
	v_cndmask_b32_e32 v0, v1, v0, vcc
	v_div_scale_f32 v1, s[2:3], v0, v0, 1.0
	v_rcp_f32_e32 v12, v1
	v_add_u32_e32 v44, 0x3c6ef372, v26
	v_add_u32_e32 v46, 0x76cf5d0a, v27
	;; [unrolled: 1-line block ×3, first 2 shown]
	v_fma_f32 v13, -v1, v12, 1.0
	v_fmac_f32_e32 v12, v13, v12
	v_div_scale_f32 v13, vcc, 1.0, v0, 1.0
	v_mul_f32_e32 v14, v13, v12
	v_fma_f32 v15, -v1, v14, v13
	v_fmac_f32_e32 v14, v15, v12
	v_fma_f32 v1, -v1, v14, v13
	v_div_fmas_f32 v1, v1, v12, v14
	v_div_fixup_f32 v40, v1, v0, 1.0
	v_add_u32_e32 v48, 0x32370b8f, v27
	v_add_u32_e32 v49, 0x78dde6e4, v26
	;; [unrolled: 1-line block ×11, first 2 shown]
	s_mov_b64 s[6:7], 0
	v_mov_b32_e32 v61, 0
                                        ; implicit-def: $vgpr0
                                        ; implicit-def: $vgpr45
	s_branch .LBB125_22
.LBB125_21:                             ;   in Loop: Header=BB125_22 Depth=2
	s_or_b64 exec, exec, s[26:27]
	s_xor_b64 s[2:3], s[2:3], -1
	s_and_b64 s[2:3], exec, s[2:3]
	s_or_b64 s[6:7], s[2:3], s[6:7]
	s_andn2_b64 exec, exec, s[6:7]
	s_cbranch_execz .LBB125_2
.LBB125_22:                             ;   Parent Loop BB125_4 Depth=1
                                        ; =>  This Loop Header: Depth=2
                                        ;       Child Loop BB125_25 Depth 3
	v_pk_mov_b32 v[14:15], v[10:11], v[10:11] op_sel:[0,1]
	s_mov_b64 s[26:27], 0
	v_mov_b32_e32 v60, v59
	v_pk_mov_b32 v[12:13], v[8:9], v[8:9] op_sel:[0,1]
	s_branch .LBB125_25
.LBB125_23:                             ;   in Loop: Header=BB125_25 Depth=3
	s_or_b64 exec, exec, s[2:3]
	v_cmp_eq_u32_e32 vcc, 1, v60
	v_cndmask_b32_e32 v1, v12, v13, vcc
	v_cmp_eq_u32_e32 vcc, 2, v60
	v_cndmask_b32_e32 v1, v1, v14, vcc
	;; [unrolled: 2-line block ×3, first 2 shown]
	v_cvt_f32_u32_e32 v1, v1
	v_cmp_eq_u32_e32 vcc, 1, v0
	v_cndmask_b32_e32 v8, v8, v9, vcc
	v_mov_b32_e32 v9, 0x2f800000
	v_cmp_eq_u32_e32 vcc, 2, v0
	v_fmac_f32_e32 v9, 0x2f800000, v1
	v_cndmask_b32_e32 v8, v8, v10, vcc
	v_cmp_gt_f32_e32 vcc, s56, v9
	v_cndmask_b32_e32 v1, 1.0, v33, vcc
	v_mul_f32_e32 v1, v9, v1
	v_log_f32_e32 v1, v1
	v_cmp_eq_u32_e64 s[2:3], 3, v0
	v_cndmask_b32_e64 v0, v8, v11, s[2:3]
	v_cvt_f32_u32_e32 v0, v0
	v_mul_f32_e32 v8, 0x3f317217, v1
	v_fma_f32 v9, v1, s57, -v8
	v_fmac_f32_e32 v9, 0x3377d1cf, v1
	v_add_f32_e32 v8, v8, v9
	v_cmp_lt_f32_e64 s[2:3], |v1|, s42
	v_cndmask_b32_e64 v1, v1, v8, s[2:3]
	v_cndmask_b32_e32 v8, 0, v34, vcc
	v_sub_f32_e32 v1, v1, v8
	v_mul_f32_e32 v1, -2.0, v1
	v_mul_f32_e32 v8, 0x4f800000, v1
	v_cmp_gt_f32_e32 vcc, s47, v1
	v_cndmask_b32_e32 v8, v1, v8, vcc
	v_sqrt_f32_e32 v1, v8
	v_mov_b32_e32 v9, 0x30c90fdb
	v_fmac_f32_e32 v9, 0x30c90fdb, v0
	v_pk_mov_b32 v[12:13], v[16:17], v[16:17] op_sel:[0,1]
	v_add_u32_e32 v0, -1, v1
	v_fma_f32 v10, -v0, v1, v8
	v_cmp_ge_f32_e64 s[2:3], 0, v10
	v_add_u32_e32 v10, 1, v1
	v_cndmask_b32_e64 v0, v1, v0, s[2:3]
	v_fma_f32 v1, -v10, v1, v8
	v_cmp_lt_f32_e64 s[2:3], 0, v1
	v_cndmask_b32_e64 v10, v0, v10, s[2:3]
	v_mul_f32_e32 v0, 0.15915494, v9
	v_sin_f32_e32 v1, v0
	v_cos_f32_e32 v0, v0
	v_mul_f32_e32 v11, 0x37800000, v10
	v_cndmask_b32_e32 v9, v10, v11, vcc
	v_cmp_class_f32_e32 vcc, v8, v29
	v_cndmask_b32_e32 v8, v9, v8, vcc
	v_pk_mul_f32 v[0:1], v[8:9], v[0:1] op_sel_hi:[0,1]
	v_mov_b32_e32 v61, 1
	v_pk_mov_b32 v[14:15], v[18:19], v[18:19] op_sel:[0,1]
	v_mov_b32_e32 v60, v59
.LBB125_24:                             ;   in Loop: Header=BB125_25 Depth=3
	s_or_b64 exec, exec, s[28:29]
	v_fma_f32 v16, v40, v1, 1.0
	v_cmp_nge_f32_e32 vcc, 0, v16
	s_or_b64 s[26:27], vcc, s[26:27]
	s_andn2_b64 exec, exec, s[26:27]
	s_cbranch_execz .LBB125_30
.LBB125_25:                             ;   Parent Loop BB125_4 Depth=1
                                        ;     Parent Loop BB125_22 Depth=2
                                        ; =>    This Inner Loop Header: Depth=3
	v_cmp_eq_u32_e32 vcc, 0, v61
	v_mov_b32_e32 v61, 0
	v_mov_b32_e32 v1, v0
	s_and_saveexec_b64 s[28:29], vcc
	s_cbranch_execz .LBB125_24
; %bb.26:                               ;   in Loop: Header=BB125_25 Depth=3
	v_add_u32_e32 v0, 1, v60
	v_pk_mov_b32 v[8:9], v[12:13], v[12:13] op_sel:[0,1]
	v_cmp_eq_u32_e32 vcc, 4, v0
	v_pk_mov_b32 v[10:11], v[14:15], v[14:15] op_sel:[0,1]
	s_and_saveexec_b64 s[2:3], vcc
	s_cbranch_execz .LBB125_28
; %bb.27:                               ;   in Loop: Header=BB125_25 Depth=3
	v_add_co_u32_e32 v4, vcc, 1, v4
	v_cndmask_b32_e64 v1, 0, 1, vcc
	v_addc_co_u32_e32 v5, vcc, 0, v5, vcc
	v_cmp_eq_u32_e32 vcc, 0, v5
	v_cndmask_b32_e32 v1, 0, v1, vcc
	v_add_u32_e32 v6, v1, v6
	v_cmp_eq_u32_e32 vcc, 0, v6
	v_cndmask_b32_e32 v1, 0, v1, vcc
	v_mad_u64_u32 v[8:9], s[30:31], v4, s19, 0
	v_mad_u64_u32 v[10:11], s[30:31], v6, s36, 0
	v_add_u32_e32 v7, v1, v7
	v_xor_b32_e32 v1, v11, v26
	v_xor_b32_e32 v9, v9, v27
	v_xor_b32_e32 v1, v5, v1
	v_xor_b32_e32 v9, v7, v9
	v_mad_u64_u32 v[16:17], s[30:31], v1, s19, 0
	v_mad_u64_u32 v[18:19], s[30:31], v9, s36, 0
	v_xor_b32_e32 v1, v19, v10
	v_xor_b32_e32 v8, v17, v8
	v_xor_b32_e32 v1, v42, v1
	v_xor_b32_e32 v10, v43, v8
	v_mad_u64_u32 v[8:9], s[30:31], v1, s19, 0
	v_mad_u64_u32 v[10:11], s[30:31], v10, s36, 0
	;; [unrolled: 6-line block ×9, first 2 shown]
	v_xor_b32_e32 v1, v19, v8
	v_xor_b32_e32 v8, v37, v1
	;; [unrolled: 1-line block ×3, first 2 shown]
	v_mov_b32_e32 v0, 0
	v_xor_b32_e32 v10, v38, v1
	v_mov_b32_e32 v9, v18
	v_mov_b32_e32 v11, v16
.LBB125_28:                             ;   in Loop: Header=BB125_25 Depth=3
	s_or_b64 exec, exec, s[2:3]
	v_add_u32_e32 v59, 1, v0
	v_pk_mov_b32 v[18:19], v[10:11], v[10:11] op_sel:[0,1]
	v_cmp_eq_u32_e32 vcc, 4, v59
	v_pk_mov_b32 v[16:17], v[8:9], v[8:9] op_sel:[0,1]
	s_and_saveexec_b64 s[2:3], vcc
	s_cbranch_execz .LBB125_23
; %bb.29:                               ;   in Loop: Header=BB125_25 Depth=3
	v_add_co_u32_e32 v4, vcc, 1, v4
	v_cndmask_b32_e64 v1, 0, 1, vcc
	v_addc_co_u32_e32 v5, vcc, 0, v5, vcc
	v_cmp_eq_u32_e32 vcc, 0, v5
	v_cndmask_b32_e32 v1, 0, v1, vcc
	v_add_u32_e32 v6, v1, v6
	v_cmp_eq_u32_e32 vcc, 0, v6
	v_cndmask_b32_e32 v1, 0, v1, vcc
	v_mad_u64_u32 v[16:17], s[30:31], v4, s19, 0
	v_mad_u64_u32 v[18:19], s[30:31], v6, s36, 0
	v_add_u32_e32 v7, v1, v7
	v_xor_b32_e32 v1, v19, v26
	v_xor_b32_e32 v17, v17, v27
	v_xor_b32_e32 v1, v5, v1
	v_xor_b32_e32 v17, v7, v17
	v_mad_u64_u32 v[62:63], s[30:31], v1, s19, 0
	v_mad_u64_u32 v[64:65], s[30:31], v17, s36, 0
	v_xor_b32_e32 v1, v65, v18
	v_xor_b32_e32 v16, v63, v16
	v_xor_b32_e32 v1, v42, v1
	v_xor_b32_e32 v18, v43, v16
	v_mad_u64_u32 v[16:17], s[30:31], v1, s19, 0
	v_mad_u64_u32 v[18:19], s[30:31], v18, s36, 0
	;; [unrolled: 6-line block ×9, first 2 shown]
	v_xor_b32_e32 v1, v65, v16
	v_xor_b32_e32 v16, v37, v1
	;; [unrolled: 1-line block ×3, first 2 shown]
	v_mov_b32_e32 v59, 0
	v_xor_b32_e32 v18, v38, v1
	v_mov_b32_e32 v17, v64
	v_mov_b32_e32 v19, v62
	s_branch .LBB125_23
.LBB125_30:                             ;   in Loop: Header=BB125_22 Depth=2
	s_or_b64 exec, exec, s[26:27]
	v_add_u32_e32 v59, 1, v60
	v_pk_mov_b32 v[8:9], v[12:13], v[12:13] op_sel:[0,1]
	v_cmp_eq_u32_e32 vcc, 4, v59
	v_pk_mov_b32 v[10:11], v[14:15], v[14:15] op_sel:[0,1]
	s_and_saveexec_b64 s[2:3], vcc
	s_cbranch_execz .LBB125_32
; %bb.31:                               ;   in Loop: Header=BB125_22 Depth=2
	v_add_co_u32_e32 v4, vcc, 1, v4
	v_cndmask_b32_e64 v8, 0, 1, vcc
	v_addc_co_u32_e32 v5, vcc, 0, v5, vcc
	v_cmp_eq_u32_e32 vcc, 0, v5
	v_cndmask_b32_e32 v8, 0, v8, vcc
	v_add_u32_e32 v6, v8, v6
	v_cmp_eq_u32_e32 vcc, 0, v6
	v_cndmask_b32_e32 v8, 0, v8, vcc
	v_add_u32_e32 v7, v8, v7
	v_mad_u64_u32 v[8:9], s[26:27], v4, s19, 0
	v_mad_u64_u32 v[10:11], s[26:27], v6, s36, 0
	v_xor_b32_e32 v11, v11, v26
	v_xor_b32_e32 v9, v9, v27
	v_xor_b32_e32 v11, v5, v11
	v_xor_b32_e32 v9, v7, v9
	v_mad_u64_u32 v[18:19], s[26:27], v11, s19, 0
	v_mad_u64_u32 v[62:63], s[26:27], v9, s36, 0
	v_xor_b32_e32 v9, v63, v10
	v_xor_b32_e32 v8, v19, v8
	v_xor_b32_e32 v9, v42, v9
	v_xor_b32_e32 v10, v43, v8
	;; [unrolled: 6-line block ×9, first 2 shown]
	v_mad_u64_u32 v[18:19], s[26:27], v9, s19, 0
	v_mad_u64_u32 v[62:63], s[26:27], v11, s36, 0
	v_xor_b32_e32 v8, v63, v8
	v_xor_b32_e32 v9, v19, v10
	v_mov_b32_e32 v59, 0
	v_xor_b32_e32 v8, v37, v8
	v_xor_b32_e32 v10, v38, v9
	v_mov_b32_e32 v9, v62
	v_mov_b32_e32 v11, v18
.LBB125_32:                             ;   in Loop: Header=BB125_22 Depth=2
	s_or_b64 exec, exec, s[2:3]
	v_cmp_eq_u32_e32 vcc, 1, v60
	v_cndmask_b32_e32 v12, v12, v13, vcc
	v_cmp_eq_u32_e32 vcc, 2, v60
	v_cndmask_b32_e32 v12, v12, v14, vcc
	;; [unrolled: 2-line block ×3, first 2 shown]
	v_cvt_f32_u32_e32 v13, v12
	v_mov_b32_e32 v14, 0x2f800000
	v_mul_f32_e32 v1, v1, v1
	v_mul_f32_e32 v12, v16, v16
	v_fmac_f32_e32 v14, 0x2f800000, v13
	v_sub_f32_e32 v13, 1.0, v14
	v_mul_f32_e32 v14, 0xbd0793de, v1
	v_fma_f32 v14, v1, v14, 1.0
	v_mul_f32_e32 v12, v16, v12
	v_cmp_nlt_f32_e32 vcc, v13, v14
                                        ; implicit-def: $sgpr2_sgpr3
	s_and_saveexec_b64 s[26:27], vcc
	s_xor_b64 s[26:27], exec, s[26:27]
	s_cbranch_execz .LBB125_36
; %bb.33:                               ;   in Loop: Header=BB125_22 Depth=2
	v_cmp_gt_f32_e32 vcc, s56, v13
	v_cndmask_b32_e32 v14, 1.0, v33, vcc
	v_mul_f32_e32 v13, v13, v14
	v_log_f32_e32 v13, v13
	v_mul_f32_e32 v14, 0x3f317217, v13
	v_fma_f32 v15, v13, s57, -v14
	v_fmac_f32_e32 v15, 0x3377d1cf, v13
	v_add_f32_e32 v14, v14, v15
	v_cmp_lt_f32_e64 s[2:3], |v13|, s42
	v_cndmask_b32_e64 v13, v13, v14, s[2:3]
	v_cmp_gt_f32_e64 s[2:3], s56, v12
	v_cndmask_b32_e64 v14, 1.0, v33, s[2:3]
	v_mul_f32_e32 v14, v12, v14
	v_log_f32_e32 v14, v14
	v_cndmask_b32_e32 v15, 0, v34, vcc
	v_sub_f32_e32 v13, v13, v15
	v_sub_f32_e32 v15, 1.0, v12
	v_mul_f32_e32 v16, 0x3f317217, v14
	v_fma_f32 v17, v14, s57, -v16
	v_fmac_f32_e32 v17, 0x3377d1cf, v14
	v_add_f32_e32 v16, v16, v17
	v_cmp_lt_f32_e64 vcc, |v14|, s42
	v_cndmask_b32_e32 v14, v14, v16, vcc
	v_cndmask_b32_e64 v16, 0, v34, s[2:3]
	v_sub_f32_e32 v14, v14, v16
	v_add_f32_e32 v14, v15, v14
	v_mul_f32_e32 v14, v39, v14
	v_fmac_f32_e32 v14, 0.5, v1
	v_cmp_lt_f32_e32 vcc, v13, v14
	s_mov_b64 s[2:3], -1
	s_and_saveexec_b64 s[28:29], vcc
; %bb.34:                               ;   in Loop: Header=BB125_22 Depth=2
	v_mul_f32_e32 v45, v41, v12
	s_xor_b64 s[2:3], exec, -1
; %bb.35:                               ;   in Loop: Header=BB125_22 Depth=2
	s_or_b64 exec, exec, s[28:29]
	s_and_b64 s[2:3], s[2:3], exec
                                        ; implicit-def: $vgpr12
.LBB125_36:                             ;   in Loop: Header=BB125_22 Depth=2
	s_andn2_saveexec_b64 s[26:27], s[26:27]
	s_cbranch_execz .LBB125_21
; %bb.37:                               ;   in Loop: Header=BB125_22 Depth=2
	v_mul_f32_e32 v45, v41, v12
	s_andn2_b64 s[2:3], s[2:3], exec
	s_branch .LBB125_21
.LBB125_38:
	s_endpgm
	.section	.rodata,"a",@progbits
	.p2align	6, 0x0
	.amdhsa_kernel _ZN2at4cuda12_GLOBAL__N_121kernelPointwiseApply2IZN12_GLOBAL__N_117gamma_cuda_kernelIfEEvRKNS_10TensorBaseES7_NS_15PhiloxCudaStateEEUlRfRKfE_ffjLi2ELin1ELi1ELi256ELi2EEEvNS0_6detail10TensorInfoIT0_T2_EENSE_IT1_SG_EESG_T_
		.amdhsa_group_segment_fixed_size 0
		.amdhsa_private_segment_fixed_size 0
		.amdhsa_kernarg_size 728
		.amdhsa_user_sgpr_count 6
		.amdhsa_user_sgpr_private_segment_buffer 1
		.amdhsa_user_sgpr_dispatch_ptr 0
		.amdhsa_user_sgpr_queue_ptr 0
		.amdhsa_user_sgpr_kernarg_segment_ptr 1
		.amdhsa_user_sgpr_dispatch_id 0
		.amdhsa_user_sgpr_flat_scratch_init 0
		.amdhsa_user_sgpr_kernarg_preload_length 0
		.amdhsa_user_sgpr_kernarg_preload_offset 0
		.amdhsa_user_sgpr_private_segment_size 0
		.amdhsa_uses_dynamic_stack 0
		.amdhsa_system_sgpr_private_segment_wavefront_offset 0
		.amdhsa_system_sgpr_workgroup_id_x 1
		.amdhsa_system_sgpr_workgroup_id_y 0
		.amdhsa_system_sgpr_workgroup_id_z 0
		.amdhsa_system_sgpr_workgroup_info 0
		.amdhsa_system_vgpr_workitem_id 0
		.amdhsa_next_free_vgpr 66
		.amdhsa_next_free_sgpr 65
		.amdhsa_accum_offset 68
		.amdhsa_reserve_vcc 1
		.amdhsa_reserve_flat_scratch 0
		.amdhsa_float_round_mode_32 0
		.amdhsa_float_round_mode_16_64 0
		.amdhsa_float_denorm_mode_32 3
		.amdhsa_float_denorm_mode_16_64 3
		.amdhsa_dx10_clamp 1
		.amdhsa_ieee_mode 1
		.amdhsa_fp16_overflow 0
		.amdhsa_tg_split 0
		.amdhsa_exception_fp_ieee_invalid_op 0
		.amdhsa_exception_fp_denorm_src 0
		.amdhsa_exception_fp_ieee_div_zero 0
		.amdhsa_exception_fp_ieee_overflow 0
		.amdhsa_exception_fp_ieee_underflow 0
		.amdhsa_exception_fp_ieee_inexact 0
		.amdhsa_exception_int_div_zero 0
	.end_amdhsa_kernel
	.section	.text._ZN2at4cuda12_GLOBAL__N_121kernelPointwiseApply2IZN12_GLOBAL__N_117gamma_cuda_kernelIfEEvRKNS_10TensorBaseES7_NS_15PhiloxCudaStateEEUlRfRKfE_ffjLi2ELin1ELi1ELi256ELi2EEEvNS0_6detail10TensorInfoIT0_T2_EENSE_IT1_SG_EESG_T_,"axG",@progbits,_ZN2at4cuda12_GLOBAL__N_121kernelPointwiseApply2IZN12_GLOBAL__N_117gamma_cuda_kernelIfEEvRKNS_10TensorBaseES7_NS_15PhiloxCudaStateEEUlRfRKfE_ffjLi2ELin1ELi1ELi256ELi2EEEvNS0_6detail10TensorInfoIT0_T2_EENSE_IT1_SG_EESG_T_,comdat
.Lfunc_end125:
	.size	_ZN2at4cuda12_GLOBAL__N_121kernelPointwiseApply2IZN12_GLOBAL__N_117gamma_cuda_kernelIfEEvRKNS_10TensorBaseES7_NS_15PhiloxCudaStateEEUlRfRKfE_ffjLi2ELin1ELi1ELi256ELi2EEEvNS0_6detail10TensorInfoIT0_T2_EENSE_IT1_SG_EESG_T_, .Lfunc_end125-_ZN2at4cuda12_GLOBAL__N_121kernelPointwiseApply2IZN12_GLOBAL__N_117gamma_cuda_kernelIfEEvRKNS_10TensorBaseES7_NS_15PhiloxCudaStateEEUlRfRKfE_ffjLi2ELin1ELi1ELi256ELi2EEEvNS0_6detail10TensorInfoIT0_T2_EENSE_IT1_SG_EESG_T_
                                        ; -- End function
	.section	.AMDGPU.csdata,"",@progbits
; Kernel info:
; codeLenInByte = 5468
; NumSgprs: 69
; NumVgprs: 66
; NumAgprs: 0
; TotalNumVgprs: 66
; ScratchSize: 0
; MemoryBound: 0
; FloatMode: 240
; IeeeMode: 1
; LDSByteSize: 0 bytes/workgroup (compile time only)
; SGPRBlocks: 8
; VGPRBlocks: 8
; NumSGPRsForWavesPerEU: 69
; NumVGPRsForWavesPerEU: 66
; AccumOffset: 68
; Occupancy: 7
; WaveLimiterHint : 1
; COMPUTE_PGM_RSRC2:SCRATCH_EN: 0
; COMPUTE_PGM_RSRC2:USER_SGPR: 6
; COMPUTE_PGM_RSRC2:TRAP_HANDLER: 0
; COMPUTE_PGM_RSRC2:TGID_X_EN: 1
; COMPUTE_PGM_RSRC2:TGID_Y_EN: 0
; COMPUTE_PGM_RSRC2:TGID_Z_EN: 0
; COMPUTE_PGM_RSRC2:TIDIG_COMP_CNT: 0
; COMPUTE_PGM_RSRC3_GFX90A:ACCUM_OFFSET: 16
; COMPUTE_PGM_RSRC3_GFX90A:TG_SPLIT: 0
	.section	.text._ZN2at4cuda12_GLOBAL__N_121kernelPointwiseApply2IZN12_GLOBAL__N_117gamma_cuda_kernelIfEEvRKNS_10TensorBaseES7_NS_15PhiloxCudaStateEEUlRfRKfE_ffjLin1ELi1ELi1ELi256ELi2EEEvNS0_6detail10TensorInfoIT0_T2_EENSE_IT1_SG_EESG_T_,"axG",@progbits,_ZN2at4cuda12_GLOBAL__N_121kernelPointwiseApply2IZN12_GLOBAL__N_117gamma_cuda_kernelIfEEvRKNS_10TensorBaseES7_NS_15PhiloxCudaStateEEUlRfRKfE_ffjLin1ELi1ELi1ELi256ELi2EEEvNS0_6detail10TensorInfoIT0_T2_EENSE_IT1_SG_EESG_T_,comdat
	.globl	_ZN2at4cuda12_GLOBAL__N_121kernelPointwiseApply2IZN12_GLOBAL__N_117gamma_cuda_kernelIfEEvRKNS_10TensorBaseES7_NS_15PhiloxCudaStateEEUlRfRKfE_ffjLin1ELi1ELi1ELi256ELi2EEEvNS0_6detail10TensorInfoIT0_T2_EENSE_IT1_SG_EESG_T_ ; -- Begin function _ZN2at4cuda12_GLOBAL__N_121kernelPointwiseApply2IZN12_GLOBAL__N_117gamma_cuda_kernelIfEEvRKNS_10TensorBaseES7_NS_15PhiloxCudaStateEEUlRfRKfE_ffjLin1ELi1ELi1ELi256ELi2EEEvNS0_6detail10TensorInfoIT0_T2_EENSE_IT1_SG_EESG_T_
	.p2align	8
	.type	_ZN2at4cuda12_GLOBAL__N_121kernelPointwiseApply2IZN12_GLOBAL__N_117gamma_cuda_kernelIfEEvRKNS_10TensorBaseES7_NS_15PhiloxCudaStateEEUlRfRKfE_ffjLin1ELi1ELi1ELi256ELi2EEEvNS0_6detail10TensorInfoIT0_T2_EENSE_IT1_SG_EESG_T_,@function
_ZN2at4cuda12_GLOBAL__N_121kernelPointwiseApply2IZN12_GLOBAL__N_117gamma_cuda_kernelIfEEvRKNS_10TensorBaseES7_NS_15PhiloxCudaStateEEUlRfRKfE_ffjLin1ELi1ELi1ELi256ELi2EEEvNS0_6detail10TensorInfoIT0_T2_EENSE_IT1_SG_EESG_T_: ; @_ZN2at4cuda12_GLOBAL__N_121kernelPointwiseApply2IZN12_GLOBAL__N_117gamma_cuda_kernelIfEEvRKNS_10TensorBaseES7_NS_15PhiloxCudaStateEEUlRfRKfE_ffjLin1ELi1ELi1ELi256ELi2EEEvNS0_6detail10TensorInfoIT0_T2_EENSE_IT1_SG_EESG_T_
; %bb.0:
	s_load_dword s2, s[4:5], 0x1e4
	s_load_dword s30, s[4:5], 0x1b0
	s_add_u32 s0, s4, 0x1d8
	s_addc_u32 s1, s5, 0
	s_waitcnt lgkmcnt(0)
	s_and_b32 s2, s2, 0xffff
	s_mul_i32 s6, s6, s2
	v_add_u32_e32 v2, s6, v0
	v_cmp_gt_u32_e32 vcc, s30, v2
	s_and_saveexec_b64 s[6:7], vcc
	s_cbranch_execz .LBB126_36
; %bb.1:
	s_load_dword s31, s[4:5], 0x144
	s_load_dwordx4 s[12:15], s[4:5], 0x1b8
	s_load_dwordx2 s[10:11], s[4:5], 0xd8
	s_load_dword s3, s[4:5], 0xd0
	s_load_dword s35, s[0:1], 0x0
	s_load_dwordx2 s[16:17], s[4:5], 0x1c8
	s_load_dword s6, s[4:5], 0x1d0
	s_load_dword s33, s[4:5], 0x6c
	s_waitcnt lgkmcnt(0)
	s_cmp_gt_i32 s3, 1
	s_cselect_b64 s[0:1], -1, 0
	s_mul_i32 s35, s35, s2
	s_bitcmp1_b32 s6, 0
	s_cselect_b64 s[6:7], -1, 0
	s_add_i32 s36, s3, 1
	s_add_i32 s2, s3, -1
	s_mov_b32 s3, 0
	s_load_dwordx2 s[18:19], s[4:5], 0x0
	s_lshl_b64 s[2:3], s[2:3], 2
	s_add_u32 s2, s2, s4
	s_mov_b32 s34, 0xcd9e8d57
	s_addc_u32 s3, s3, s5
	v_cndmask_b32_e64 v0, 0, 1, s[0:1]
	v_mad_u64_u32 v[20:21], s[8:9], v2, s34, 0
	s_add_u32 s20, s2, 8
	v_cmp_ne_u32_e64 s[0:1], 1, v0
	v_cndmask_b32_e64 v0, 0, 1, s[6:7]
	v_mov_b32_e32 v3, 0
	v_mov_b32_e32 v22, v21
	s_addc_u32 s21, s3, 0
	s_mov_b64 s[22:23], 0
	v_mov_b32_e32 v21, s11
	v_cmp_ne_u32_e64 s[2:3], 1, v0
	s_mov_b32 s11, 0xd2511f53
	s_mov_b32 s37, 0x3f2aaaab
	v_mov_b32_e32 v23, 0x3ecccdef
	s_mov_b32 s38, 0x3f317218
	s_movk_i32 s39, 0x204
	s_mov_b32 s40, 0x7f800000
	s_mov_b32 s41, 0x42b17218
	;; [unrolled: 1-line block ×4, first 2 shown]
	s_brev_b32 s44, -2
	s_mov_b32 s45, 0xf800000
	v_mov_b32_e32 v28, 0x260
	s_mov_b32 s46, 0x3c6ef372
	s_mov_b32 s47, 0x76cf5d0a
	;; [unrolled: 1-line block ×17, first 2 shown]
	v_mov_b32_e32 v29, 0x37000000
	v_mov_b32_e32 v30, 0x7f800000
	;; [unrolled: 1-line block ×7, first 2 shown]
	s_branch .LBB126_4
.LBB126_2:                              ;   in Loop: Header=BB126_4 Depth=1
	s_or_b64 exec, exec, s[8:9]
.LBB126_3:                              ;   in Loop: Header=BB126_4 Depth=1
	s_or_b64 exec, exec, s[6:7]
	v_lshlrev_b64 v[0:1], 2, v[24:25]
	s_waitcnt lgkmcnt(0)
	v_mov_b32_e32 v4, s19
	v_add_co_u32_e32 v0, vcc, s18, v0
	v_addc_co_u32_e32 v1, vcc, v4, v1, vcc
	v_cmp_ngt_f32_e32 vcc, s54, v44
	v_add_u32_e32 v35, s35, v35
	v_cndmask_b32_e32 v4, v34, v44, vcc
	v_cmp_le_u32_e32 vcc, s30, v35
	s_or_b64 s[22:23], vcc, s[22:23]
	global_store_dword v[0:1], v4, off
	s_andn2_b64 exec, exec, s[22:23]
	s_cbranch_execz .LBB126_36
.LBB126_4:                              ; =>This Loop Header: Depth=1
                                        ;     Child Loop BB126_7 Depth 2
                                        ;     Child Loop BB126_20 Depth 2
                                        ;       Child Loop BB126_23 Depth 3
	v_sub_u32_e32 v0, s30, v35
	v_cmp_lt_i32_e64 s[4:5], 0, v0
	v_pk_mov_b32 v[24:25], 0, 0
	s_and_saveexec_b64 s[6:7], s[4:5]
	s_cbranch_execz .LBB126_9
; %bb.5:                                ;   in Loop: Header=BB126_4 Depth=1
	s_and_b64 vcc, exec, s[0:1]
	v_mov_b32_e32 v0, 0
	v_mov_b32_e32 v4, v35
	s_cbranch_vccnz .LBB126_8
; %bb.6:                                ;   in Loop: Header=BB126_4 Depth=1
	v_mov_b32_e32 v0, 0
	s_mov_b64 s[8:9], s[20:21]
	s_mov_b32 s24, s36
	v_mov_b32_e32 v4, v35
.LBB126_7:                              ;   Parent Loop BB126_4 Depth=1
                                        ; =>  This Inner Loop Header: Depth=2
	s_load_dword s25, s[8:9], 0x0
	s_load_dword s26, s[8:9], 0x64
	v_mov_b32_e32 v1, v4
	s_add_i32 s24, s24, -1
	s_waitcnt lgkmcnt(0)
	v_cvt_f32_u32_e32 v4, s25
	s_sub_i32 s27, 0, s25
	s_add_u32 s8, s8, -4
	s_addc_u32 s9, s9, -1
	v_rcp_iflag_f32_e32 v4, v4
	s_cmp_gt_u32 s24, 2
	v_mul_f32_e32 v4, 0x4f7ffffe, v4
	v_cvt_u32_f32_e32 v4, v4
	v_mul_lo_u32 v5, s27, v4
	v_mul_hi_u32 v5, v4, v5
	v_add_u32_e32 v4, v4, v5
	v_mul_hi_u32 v4, v1, v4
	v_mul_lo_u32 v5, v4, s25
	v_sub_u32_e32 v5, v1, v5
	v_add_u32_e32 v6, 1, v4
	v_cmp_le_u32_e32 vcc, s25, v5
	v_cndmask_b32_e32 v4, v4, v6, vcc
	v_subrev_u32_e32 v6, s25, v5
	v_cndmask_b32_e32 v5, v5, v6, vcc
	v_add_u32_e32 v6, 1, v4
	v_cmp_le_u32_e32 vcc, s25, v5
	v_cndmask_b32_e32 v4, v4, v6, vcc
	v_mul_lo_u32 v5, v4, s25
	v_sub_u32_e32 v1, v1, v5
	v_mad_u64_u32 v[0:1], s[26:27], s26, v1, v[0:1]
	s_cbranch_scc1 .LBB126_7
.LBB126_8:                              ;   in Loop: Header=BB126_4 Depth=1
	v_mad_u64_u32 v[24:25], s[8:9], s33, v4, v[0:1]
	v_mov_b32_e32 v25, v3
.LBB126_9:                              ;   in Loop: Header=BB126_4 Depth=1
	s_or_b64 exec, exec, s[6:7]
	v_mul_lo_u32 v0, v35, s31
	v_cndmask_b32_e64 v0, 0, v0, s[4:5]
	v_mov_b32_e32 v1, v3
	v_lshlrev_b64 v[0:1], 2, v[0:1]
	v_add_co_u32_e32 v0, vcc, s10, v0
	v_addc_co_u32_e32 v1, vcc, v21, v1, vcc
	global_load_dword v38, v[0:1], off
	s_and_b64 vcc, exec, s[2:3]
	v_pk_mov_b32 v[0:1], s[14:15], s[14:15] op_sel:[0,1]
	v_pk_mov_b32 v[26:27], s[12:13], s[12:13] op_sel:[0,1]
	s_cbranch_vccnz .LBB126_11
; %bb.10:                               ;   in Loop: Header=BB126_4 Depth=1
	v_pk_mov_b32 v[0:1], s[14:15], s[14:15] op_sel:[0,1]
	flat_load_dwordx2 v[0:1], v[0:1]
	v_pk_mov_b32 v[4:5], s[12:13], s[12:13] op_sel:[0,1]
	flat_load_dwordx2 v[26:27], v[4:5]
	v_mov_b32_e32 v4, s17
	s_waitcnt vmcnt(0) lgkmcnt(0)
	v_add_co_u32_e32 v0, vcc, s16, v0
	v_addc_co_u32_e32 v1, vcc, v1, v4, vcc
.LBB126_11:                             ;   in Loop: Header=BB126_4 Depth=1
	v_and_b32_e32 v58, 3, v0
	v_alignbit_b32 v0, v1, v0, 2
	v_mad_u64_u32 v[6:7], s[4:5], v0, s11, 0
	v_lshrrev_b32_e32 v1, 2, v1
	v_xor_b32_e32 v5, v7, v27
	v_xor_b32_e32 v7, v22, v26
	v_mov_b32_e32 v4, v27
	v_xor_b32_e32 v7, v7, v1
	v_add_co_u32_e32 v39, vcc, s56, v4
	v_mad_u64_u32 v[8:9], s[4:5], v7, s11, 0
	v_mad_u64_u32 v[10:11], s[4:5], v5, s34, 0
	v_add_co_u32_e32 v40, vcc, 0x9e3779b9, v26
	v_xor_b32_e32 v5, v20, v11
	v_xor_b32_e32 v7, v39, v9
	v_xor_b32_e32 v5, v5, v40
	v_xor_b32_e32 v9, v7, v6
	v_add_co_u32_e32 v42, vcc, s46, v26
	v_add_co_u32_e32 v41, vcc, s47, v4
	v_mad_u64_u32 v[6:7], s[4:5], v5, s11, 0
	v_mad_u64_u32 v[12:13], s[4:5], v9, s34, 0
	v_xor_b32_e32 v5, v42, v13
	v_xor_b32_e32 v7, v41, v7
	v_xor_b32_e32 v5, v5, v10
	v_xor_b32_e32 v7, v7, v8
	v_add_co_u32_e32 v44, vcc, s57, v26
	v_add_co_u32_e32 v43, vcc, s48, v4
	v_mad_u64_u32 v[8:9], s[4:5], v5, s11, 0
	v_mad_u64_u32 v[10:11], s[4:5], v7, s34, 0
	;; [unrolled: 8-line block ×7, first 2 shown]
	v_xor_b32_e32 v7, v54, v7
	v_xor_b32_e32 v5, v53, v5
	;; [unrolled: 1-line block ×4, first 2 shown]
	v_mad_u64_u32 v[16:17], s[4:5], v7, s11, 0
	v_mad_u64_u32 v[18:19], s[4:5], v5, s34, 0
	v_add_u32_e32 v36, 0x8ff34781, v26
	v_add_u32_e32 v37, 0x96a522ad, v27
	v_xor_b32_e32 v5, v19, v6
	v_xor_b32_e32 v4, v17, v4
	v_xor_b32_e32 v8, v36, v5
	v_xor_b32_e32 v10, v37, v4
	v_pk_mov_b32 v[6:7], v[2:3], v[2:3] op_sel:[0,1]
	v_mov_b32_e32 v9, v18
	v_mov_b32_e32 v11, v16
	s_waitcnt vmcnt(0)
	v_cmp_gt_f32_e32 vcc, 1.0, v38
	s_mov_b64 s[4:5], -1
	v_mov_b32_e32 v19, 1.0
	v_pk_mov_b32 v[4:5], v[0:1], v[0:1] op_sel:[0,1]
                                        ; implicit-def: $sgpr6
	s_and_saveexec_b64 s[24:25], vcc
	s_cbranch_execz .LBB126_17
; %bb.12:                               ;   in Loop: Header=BB126_4 Depth=1
	v_cmp_neq_f32_e32 vcc, 0, v38
	s_mov_b64 s[28:29], 0
	v_mov_b32_e32 v19, 1.0
                                        ; implicit-def: $vgpr4_vgpr5_vgpr6_vgpr7
	s_and_saveexec_b64 s[26:27], vcc
	s_cbranch_execz .LBB126_16
; %bb.13:                               ;   in Loop: Header=BB126_4 Depth=1
	v_add_u32_e32 v17, 1, v58
	v_pk_mov_b32 v[14:15], v[10:11], v[10:11] op_sel:[0,1]
	v_pk_mov_b32 v[6:7], v[2:3], v[2:3] op_sel:[0,1]
	v_cmp_eq_u32_e32 vcc, 4, v17
	v_pk_mov_b32 v[12:13], v[8:9], v[8:9] op_sel:[0,1]
	v_pk_mov_b32 v[4:5], v[0:1], v[0:1] op_sel:[0,1]
	s_and_saveexec_b64 s[4:5], vcc
	s_cbranch_execz .LBB126_15
; %bb.14:                               ;   in Loop: Header=BB126_4 Depth=1
	v_add_co_u32_e32 v4, vcc, 1, v0
	v_cndmask_b32_e64 v0, 0, 1, vcc
	v_addc_co_u32_e32 v5, vcc, 0, v1, vcc
	v_cmp_eq_u32_e32 vcc, 0, v5
	v_cndmask_b32_e32 v0, 0, v0, vcc
	v_add_u32_e32 v6, v0, v2
	v_cmp_eq_u32_e32 vcc, 0, v6
	v_cndmask_b32_e32 v7, 0, v0, vcc
	v_mad_u64_u32 v[0:1], s[6:7], v4, s11, 0
	v_mad_u64_u32 v[12:13], s[6:7], v6, s34, 0
	v_xor_b32_e32 v9, v13, v26
	v_xor_b32_e32 v1, v1, v27
	v_xor_b32_e32 v9, v5, v9
	v_xor_b32_e32 v1, v7, v1
	v_mad_u64_u32 v[14:15], s[6:7], v9, s11, 0
	v_mad_u64_u32 v[56:57], s[6:7], v1, s34, 0
	v_xor_b32_e32 v1, v40, v57
	v_xor_b32_e32 v9, v39, v15
	v_xor_b32_e32 v1, v1, v12
	v_xor_b32_e32 v9, v9, v0
	;; [unrolled: 6-line block ×9, first 2 shown]
	v_mad_u64_u32 v[40:41], s[6:7], v9, s11, 0
	v_mad_u64_u32 v[42:43], s[6:7], v1, s34, 0
	v_xor_b32_e32 v1, v43, v12
	v_xor_b32_e32 v0, v41, v0
	v_mov_b32_e32 v17, 0
	v_xor_b32_e32 v12, v36, v1
	v_xor_b32_e32 v14, v37, v0
	v_mov_b32_e32 v13, v42
	v_mov_b32_e32 v15, v40
.LBB126_15:                             ;   in Loop: Header=BB126_4 Depth=1
	s_or_b64 exec, exec, s[4:5]
	v_cmp_eq_u32_e32 vcc, 1, v58
	v_cndmask_b32_e32 v0, v8, v18, vcc
	v_cmp_eq_u32_e32 vcc, 2, v58
	v_cndmask_b32_e32 v0, v0, v10, vcc
	;; [unrolled: 2-line block ×3, first 2 shown]
	v_div_scale_f32 v1, s[4:5], v38, v38, 1.0
	v_cvt_f32_u32_e32 v0, v0
	v_rcp_f32_e32 v8, v1
	v_mov_b32_e32 v9, 0x2f800000
	s_mov_b64 s[28:29], exec
	v_fmac_f32_e32 v9, 0x2f800000, v0
	v_fma_f32 v0, -v1, v8, 1.0
	v_fmac_f32_e32 v8, v0, v8
	v_div_scale_f32 v0, vcc, 1.0, v38, 1.0
	v_sub_f32_e32 v48, 1.0, v9
	v_mul_f32_e32 v9, v0, v8
	v_fma_f32 v10, -v1, v9, v0
	v_fmac_f32_e32 v9, v10, v8
	v_fma_f32 v0, -v1, v9, v0
	v_div_fmas_f32 v0, v0, v8, v9
	v_div_fixup_f32 v49, v0, v38, 1.0
	v_cmp_eq_f32_e32 vcc, 1.0, v48
	v_cndmask_b32_e64 v50, v49, 1.0, vcc
	v_cmp_eq_f32_e64 s[4:5], 0, v50
	v_cndmask_b32_e64 v51, |v48|, 1.0, s[4:5]
	v_frexp_mant_f32_e32 v0, v51
	v_cmp_gt_f32_e64 s[6:7], s37, v0
	v_cndmask_b32_e64 v1, 1.0, 2.0, s[6:7]
	v_mul_f32_e32 v0, v0, v1
	v_add_f32_e32 v9, 1.0, v0
	v_rcp_f32_e32 v16, v9
	v_add_f32_e32 v1, -1.0, v9
	v_sub_f32_e32 v11, v0, v1
	v_add_f32_e32 v1, -1.0, v0
	v_mul_f32_e32 v39, v1, v16
	v_mul_f32_e32 v8, v9, v39
	v_fma_f32 v10, v39, v9, -v8
	v_fmac_f32_e32 v10, v39, v11
	v_add_f32_e32 v0, v8, v10
	v_sub_f32_e32 v9, v1, v0
	v_pk_add_f32 v[18:19], v[0:1], v[8:9] neg_lo:[0,1] neg_hi:[0,1]
	v_mov_b32_e32 v11, v0
	v_pk_add_f32 v[0:1], v[18:19], v[10:11] neg_lo:[0,1] neg_hi:[0,1]
	v_add_f32_e32 v0, v0, v1
	v_add_f32_e32 v0, v9, v0
	v_mul_f32_e32 v1, v16, v0
	v_add_f32_e32 v0, v39, v1
	v_sub_f32_e32 v8, v0, v39
	v_sub_f32_e32 v16, v1, v8
	v_mul_f32_e32 v1, v0, v0
	v_fma_f32 v9, v0, v0, -v1
	v_add_f32_e32 v8, v16, v16
	v_fmac_f32_e32 v9, v0, v8
	v_add_f32_e32 v8, v1, v9
	v_mov_b32_e32 v10, 0x3e91f4c4
	v_fmac_f32_e32 v10, 0x3e76c4e1, v8
	v_fma_f32 v10, v8, v10, v23
	v_sub_f32_e32 v1, v8, v1
	v_sub_f32_e32 v39, v9, v1
	v_mul_f32_e32 v1, v8, v10
	v_fma_f32 v9, v8, v10, -v1
	v_fmac_f32_e32 v9, v39, v10
	v_add_f32_e32 v10, v1, v9
	v_add_f32_e32 v11, 0x3f2aaaaa, v10
	v_sub_f32_e32 v1, v10, v1
	v_sub_f32_e32 v1, v9, v1
	v_add_f32_e32 v9, 0xbf2aaaaa, v11
	v_add_f32_e32 v1, 0x31739010, v1
	v_sub_f32_e32 v9, v10, v9
	v_pk_mul_f32 v[18:19], v[0:1], v[8:9]
	v_fma_f32 v10, v8, v0, -v18
	v_pk_add_f32 v[40:41], v[0:1], v[8:9]
	v_fmac_f32_e32 v10, v8, v16
	v_mov_b32_e32 v19, v41
	v_fmac_f32_e32 v10, v39, v0
	v_pk_add_f32 v[8:9], v[18:19], v[10:11]
	v_sub_f32_e32 v1, v8, v18
	v_sub_f32_e32 v1, v10, v1
	;; [unrolled: 1-line block ×3, first 2 shown]
	v_add_f32_e32 v39, v41, v10
	v_mov_b32_e32 v10, v9
	v_pk_mul_f32 v[10:11], v[8:9], v[10:11]
	v_cvt_f64_f32_e32 v[18:19], v51
	v_frexp_exp_i32_f64_e32 v11, v[18:19]
	v_subbrev_co_u32_e64 v11, s[6:7], 0, v11, s[6:7]
	v_cvt_f32_i32_e32 v11, v11
	v_fma_f32 v18, v8, v9, -v10
	v_fmac_f32_e32 v18, v8, v39
	v_fmac_f32_e32 v18, v1, v9
	v_mul_f32_e32 v8, 0x3f317218, v11
	v_fma_f32 v40, v11, s38, -v8
	v_fmac_f32_e32 v40, 0xb102e308, v11
	v_ldexp_f32 v41, v0, 1
	v_add_f32_e32 v9, v10, v18
	v_pk_add_f32 v[0:1], v[8:9], v[40:41]
	v_mov_b32_e32 v42, v9
	v_mov_b32_e32 v43, v1
	;; [unrolled: 1-line block ×3, first 2 shown]
	v_pk_add_f32 v[10:11], v[42:43], v[10:11] neg_lo:[0,1] neg_hi:[0,1]
	v_mov_b32_e32 v19, v9
	v_ldexp_f32 v16, v16, 1
	v_pk_add_f32 v[10:11], v[18:19], v[10:11] neg_lo:[0,1] neg_hi:[0,1]
	v_add_f32_e32 v9, v16, v10
	v_add_f32_e32 v9, v9, v11
	v_pk_add_f32 v[10:11], v[0:1], v[8:9] neg_lo:[0,1] neg_hi:[0,1]
	v_pk_add_f32 v[18:19], v[0:1], v[8:9]
	v_mov_b32_e32 v42, v10
	v_mov_b32_e32 v43, v19
	;; [unrolled: 1-line block ×3, first 2 shown]
	v_pk_add_f32 v[42:43], v[40:41], v[42:43]
	v_mov_b32_e32 v8, v43
	v_pk_add_f32 v[44:45], v[8:9], v[0:1] neg_lo:[0,1] neg_hi:[0,1]
	v_mov_b32_e32 v39, v44
	v_mov_b32_e32 v42, v19
	;; [unrolled: 1-line block ×4, first 2 shown]
	v_pk_add_f32 v[10:11], v[40:41], v[10:11] neg_lo:[0,1] neg_hi:[0,1]
	v_pk_add_f32 v[46:47], v[18:19], v[38:39] neg_lo:[0,1] neg_hi:[0,1]
	;; [unrolled: 1-line block ×3, first 2 shown]
	v_mov_b32_e32 v40, v9
	v_pk_add_f32 v[0:1], v[40:41], v[0:1] neg_lo:[0,1] neg_hi:[0,1]
	v_mov_b32_e32 v46, v10
	v_pk_add_f32 v[18:19], v[46:47], v[0:1]
	v_mov_b32_e32 v16, v19
	v_pk_add_f32 v[40:41], v[18:19], v[16:17]
	v_pk_add_f32 v[8:9], v[8:9], v[40:41]
	v_mov_b32_e32 v11, v43
	v_mov_b32_e32 v19, v8
	v_pk_add_f32 v[42:43], v[18:19], v[10:11] neg_lo:[0,1] neg_hi:[0,1]
	v_mov_b32_e32 v1, v40
	v_sub_f32_e32 v9, v18, v42
	v_pk_add_f32 v[0:1], v[0:1], v[42:43] neg_lo:[0,1] neg_hi:[0,1]
	v_sub_f32_e32 v9, v10, v9
	v_add_f32_e32 v0, v0, v9
	v_add_f32_e32 v0, v0, v1
	;; [unrolled: 1-line block ×3, first 2 shown]
	v_sub_f32_e32 v8, v1, v8
	v_sub_f32_e32 v0, v0, v8
	v_mul_f32_e32 v8, v50, v1
	v_fma_f32 v1, v50, v1, -v8
	v_fmac_f32_e32 v1, v50, v0
	v_add_f32_e32 v0, v8, v1
	v_cmp_class_f32_e64 s[6:7], v8, s39
	v_sub_f32_e32 v9, v0, v8
	v_cndmask_b32_e64 v0, v0, v8, s[6:7]
	v_cmp_eq_f32_e64 s[6:7], s41, v0
	v_cndmask_b32_e64 v8, 0, v29, s[6:7]
	v_sub_f32_e32 v1, v1, v9
	v_sub_f32_e32 v9, v0, v8
	v_mul_f32_e32 v10, 0x3fb8aa3b, v9
	v_fma_f32 v11, v9, s42, -v10
	v_rndne_f32_e32 v16, v10
	v_fmac_f32_e32 v11, 0x32a5705f, v9
	v_sub_f32_e32 v10, v10, v16
	v_add_f32_e32 v10, v10, v11
	v_exp_f32_e32 v10, v10
	v_cvt_i32_f32_e32 v11, v16
	v_cmp_neq_f32_e64 s[6:7], |v0|, s40
	v_cndmask_b32_e64 v0, 0, v1, s[6:7]
	v_cmp_ngt_f32_e64 s[6:7], s43, v9
	v_ldexp_f32 v1, v10, v11
	v_cndmask_b32_e64 v1, 0, v1, s[6:7]
	v_cmp_nlt_f32_e64 s[6:7], s41, v9
	v_add_f32_e32 v0, v8, v0
	v_cndmask_b32_e64 v1, v30, v1, s[6:7]
	v_fma_f32 v0, v1, v0, v1
	v_cmp_class_f32_e64 s[6:7], v1, s39
	v_trunc_f32_e32 v8, v50
	v_cndmask_b32_e64 v0, v0, v1, s[6:7]
	v_cndmask_b32_e64 v1, v48, 1.0, s[4:5]
	v_cmp_eq_f32_e64 s[4:5], v8, v50
	v_mul_f32_e32 v8, 0.5, v50
	v_trunc_f32_e32 v9, v8
	v_cmp_neq_f32_e64 s[6:7], v9, v8
	s_and_b64 s[6:7], s[4:5], s[6:7]
	v_cndmask_b32_e64 v8, 1.0, v1, s[6:7]
	v_bfi_b32 v0, s44, v0, v8
	v_cndmask_b32_e64 v8, v31, v0, s[4:5]
	v_cmp_gt_f32_e64 s[4:5], 0, v1
	v_cndmask_b32_e64 v0, v0, v8, s[4:5]
	v_cndmask_b32_e64 v8, |v49|, 1.0, vcc
	v_cmp_neq_f32_e32 vcc, v50, v8
	v_cmp_gt_f32_e64 s[4:5], 1.0, v51
	s_xor_b64 s[4:5], vcc, s[4:5]
	v_cndmask_b32_e64 v9, v8, 0, s[4:5]
	v_cmp_eq_f32_e32 vcc, 1.0, v51
	v_cmp_eq_f32_e64 s[4:5], 0, v1
	v_cmp_gt_f32_e64 s[8:9], 0, v50
	v_cndmask_b32_e32 v9, v9, v51, vcc
	v_cmp_eq_f32_e32 vcc, s40, v8
	s_xor_b64 s[8:9], s[8:9], s[4:5]
	v_cndmask_b32_e32 v0, v0, v9, vcc
	v_cmp_eq_f32_e32 vcc, s40, v51
	v_cndmask_b32_e64 v8, v30, 0, s[8:9]
	v_cndmask_b32_e64 v1, 0, v1, s[6:7]
	v_bfi_b32 v1, s44, v8, v1
	s_or_b64 vcc, vcc, s[4:5]
	v_pk_mov_b32 v[8:9], v[12:13], v[12:13] op_sel:[0,1]
	v_cndmask_b32_e32 v19, v0, v1, vcc
	v_add_f32_e32 v38, 1.0, v38
	v_pk_mov_b32 v[10:11], v[14:15], v[14:15] op_sel:[0,1]
	v_mov_b32_e32 v58, v17
.LBB126_16:                             ;   in Loop: Header=BB126_4 Depth=1
	s_or_b64 exec, exec, s[26:27]
	s_mov_b32 s6, 0
	s_orn2_b64 s[4:5], s[28:29], exec
.LBB126_17:                             ;   in Loop: Header=BB126_4 Depth=1
	s_or_b64 exec, exec, s[24:25]
	v_mov_b32_e32 v44, s6
	s_and_saveexec_b64 s[6:7], s[4:5]
	s_cbranch_execz .LBB126_3
; %bb.18:                               ;   in Loop: Header=BB126_4 Depth=1
	v_add_f32_e32 v38, 0xbeaaaaab, v38
	v_mul_f32_e32 v0, 0x41100000, v38
	v_mul_f32_e32 v1, 0x4f800000, v0
	v_cmp_gt_f32_e32 vcc, s45, v0
	v_cndmask_b32_e32 v0, v0, v1, vcc
	v_sqrt_f32_e32 v1, v0
	v_mul_f32_e32 v40, v19, v38
	v_add_u32_e32 v41, 0x9e3779b9, v26
	v_add_u32_e32 v42, 0xbb67ae85, v27
	v_add_u32_e32 v12, -1, v1
	v_fma_f32 v14, -v12, v1, v0
	v_add_u32_e32 v13, 1, v1
	v_cmp_ge_f32_e64 s[4:5], 0, v14
	v_cndmask_b32_e64 v12, v1, v12, s[4:5]
	v_fma_f32 v1, -v13, v1, v0
	v_cmp_lt_f32_e64 s[4:5], 0, v1
	v_cndmask_b32_e64 v1, v12, v13, s[4:5]
	v_mul_f32_e32 v12, 0x37800000, v1
	v_cndmask_b32_e32 v1, v1, v12, vcc
	v_cmp_class_f32_e32 vcc, v0, v28
	v_cndmask_b32_e32 v0, v1, v0, vcc
	v_div_scale_f32 v1, s[4:5], v0, v0, 1.0
	v_rcp_f32_e32 v12, v1
	v_add_u32_e32 v43, 0x3c6ef372, v26
	v_add_u32_e32 v45, 0x76cf5d0a, v27
	;; [unrolled: 1-line block ×3, first 2 shown]
	v_fma_f32 v13, -v1, v12, 1.0
	v_fmac_f32_e32 v12, v13, v12
	v_div_scale_f32 v13, vcc, 1.0, v0, 1.0
	v_mul_f32_e32 v14, v13, v12
	v_fma_f32 v15, -v1, v14, v13
	v_fmac_f32_e32 v14, v15, v12
	v_fma_f32 v1, -v1, v14, v13
	v_div_fmas_f32 v1, v1, v12, v14
	v_div_fixup_f32 v39, v1, v0, 1.0
	v_add_u32_e32 v47, 0x32370b8f, v27
	v_add_u32_e32 v48, 0x78dde6e4, v26
	;; [unrolled: 1-line block ×11, first 2 shown]
	s_mov_b64 s[8:9], 0
	v_mov_b32_e32 v60, 0
                                        ; implicit-def: $vgpr0
                                        ; implicit-def: $vgpr44
	s_branch .LBB126_20
.LBB126_19:                             ;   in Loop: Header=BB126_20 Depth=2
	s_or_b64 exec, exec, s[24:25]
	s_xor_b64 s[4:5], s[4:5], -1
	s_and_b64 s[4:5], exec, s[4:5]
	s_or_b64 s[8:9], s[4:5], s[8:9]
	s_andn2_b64 exec, exec, s[8:9]
	s_cbranch_execz .LBB126_2
.LBB126_20:                             ;   Parent Loop BB126_4 Depth=1
                                        ; =>  This Loop Header: Depth=2
                                        ;       Child Loop BB126_23 Depth 3
	v_pk_mov_b32 v[14:15], v[10:11], v[10:11] op_sel:[0,1]
	s_mov_b64 s[24:25], 0
	v_mov_b32_e32 v59, v58
	v_pk_mov_b32 v[12:13], v[8:9], v[8:9] op_sel:[0,1]
	s_branch .LBB126_23
.LBB126_21:                             ;   in Loop: Header=BB126_23 Depth=3
	s_or_b64 exec, exec, s[4:5]
	v_cmp_eq_u32_e32 vcc, 1, v59
	v_cndmask_b32_e32 v1, v12, v13, vcc
	v_cmp_eq_u32_e32 vcc, 2, v59
	v_cndmask_b32_e32 v1, v1, v14, vcc
	;; [unrolled: 2-line block ×3, first 2 shown]
	v_cvt_f32_u32_e32 v1, v1
	v_cmp_eq_u32_e32 vcc, 1, v0
	v_cndmask_b32_e32 v8, v8, v9, vcc
	v_mov_b32_e32 v9, 0x2f800000
	v_cmp_eq_u32_e32 vcc, 2, v0
	v_fmac_f32_e32 v9, 0x2f800000, v1
	v_cndmask_b32_e32 v8, v8, v10, vcc
	v_cmp_gt_f32_e32 vcc, s54, v9
	v_cndmask_b32_e32 v1, 1.0, v32, vcc
	v_mul_f32_e32 v1, v9, v1
	v_log_f32_e32 v1, v1
	v_cmp_eq_u32_e64 s[4:5], 3, v0
	v_cndmask_b32_e64 v0, v8, v11, s[4:5]
	v_cvt_f32_u32_e32 v0, v0
	v_mul_f32_e32 v8, 0x3f317217, v1
	v_fma_f32 v9, v1, s55, -v8
	v_fmac_f32_e32 v9, 0x3377d1cf, v1
	v_add_f32_e32 v8, v8, v9
	v_cmp_lt_f32_e64 s[4:5], |v1|, s40
	v_cndmask_b32_e64 v1, v1, v8, s[4:5]
	v_cndmask_b32_e32 v8, 0, v33, vcc
	v_sub_f32_e32 v1, v1, v8
	v_mul_f32_e32 v1, -2.0, v1
	v_mul_f32_e32 v8, 0x4f800000, v1
	v_cmp_gt_f32_e32 vcc, s45, v1
	v_cndmask_b32_e32 v8, v1, v8, vcc
	v_sqrt_f32_e32 v1, v8
	v_mov_b32_e32 v9, 0x30c90fdb
	v_fmac_f32_e32 v9, 0x30c90fdb, v0
	v_pk_mov_b32 v[12:13], v[16:17], v[16:17] op_sel:[0,1]
	v_add_u32_e32 v0, -1, v1
	v_fma_f32 v10, -v0, v1, v8
	v_cmp_ge_f32_e64 s[4:5], 0, v10
	v_add_u32_e32 v10, 1, v1
	v_cndmask_b32_e64 v0, v1, v0, s[4:5]
	v_fma_f32 v1, -v10, v1, v8
	v_cmp_lt_f32_e64 s[4:5], 0, v1
	v_cndmask_b32_e64 v10, v0, v10, s[4:5]
	v_mul_f32_e32 v0, 0.15915494, v9
	v_sin_f32_e32 v1, v0
	v_cos_f32_e32 v0, v0
	v_mul_f32_e32 v11, 0x37800000, v10
	v_cndmask_b32_e32 v9, v10, v11, vcc
	v_cmp_class_f32_e32 vcc, v8, v28
	v_cndmask_b32_e32 v8, v9, v8, vcc
	v_pk_mul_f32 v[0:1], v[8:9], v[0:1] op_sel_hi:[0,1]
	v_mov_b32_e32 v60, 1
	v_pk_mov_b32 v[14:15], v[18:19], v[18:19] op_sel:[0,1]
	v_mov_b32_e32 v59, v58
.LBB126_22:                             ;   in Loop: Header=BB126_23 Depth=3
	s_or_b64 exec, exec, s[26:27]
	v_fma_f32 v16, v39, v1, 1.0
	v_cmp_nge_f32_e32 vcc, 0, v16
	s_or_b64 s[24:25], vcc, s[24:25]
	s_andn2_b64 exec, exec, s[24:25]
	s_cbranch_execz .LBB126_28
.LBB126_23:                             ;   Parent Loop BB126_4 Depth=1
                                        ;     Parent Loop BB126_20 Depth=2
                                        ; =>    This Inner Loop Header: Depth=3
	v_cmp_eq_u32_e32 vcc, 0, v60
	v_mov_b32_e32 v60, 0
	v_mov_b32_e32 v1, v0
	s_and_saveexec_b64 s[26:27], vcc
	s_cbranch_execz .LBB126_22
; %bb.24:                               ;   in Loop: Header=BB126_23 Depth=3
	v_add_u32_e32 v0, 1, v59
	v_pk_mov_b32 v[8:9], v[12:13], v[12:13] op_sel:[0,1]
	v_cmp_eq_u32_e32 vcc, 4, v0
	v_pk_mov_b32 v[10:11], v[14:15], v[14:15] op_sel:[0,1]
	s_and_saveexec_b64 s[4:5], vcc
	s_cbranch_execz .LBB126_26
; %bb.25:                               ;   in Loop: Header=BB126_23 Depth=3
	v_add_co_u32_e32 v4, vcc, 1, v4
	v_cndmask_b32_e64 v1, 0, 1, vcc
	v_addc_co_u32_e32 v5, vcc, 0, v5, vcc
	v_cmp_eq_u32_e32 vcc, 0, v5
	v_cndmask_b32_e32 v1, 0, v1, vcc
	v_add_u32_e32 v6, v1, v6
	v_cmp_eq_u32_e32 vcc, 0, v6
	v_cndmask_b32_e32 v1, 0, v1, vcc
	v_mad_u64_u32 v[8:9], s[28:29], v4, s11, 0
	v_mad_u64_u32 v[10:11], s[28:29], v6, s34, 0
	v_add_u32_e32 v7, v1, v7
	v_xor_b32_e32 v1, v11, v26
	v_xor_b32_e32 v9, v9, v27
	v_xor_b32_e32 v1, v5, v1
	v_xor_b32_e32 v9, v7, v9
	v_mad_u64_u32 v[16:17], s[28:29], v1, s11, 0
	v_mad_u64_u32 v[18:19], s[28:29], v9, s34, 0
	v_xor_b32_e32 v1, v19, v10
	v_xor_b32_e32 v8, v17, v8
	v_xor_b32_e32 v1, v41, v1
	v_xor_b32_e32 v10, v42, v8
	v_mad_u64_u32 v[8:9], s[28:29], v1, s11, 0
	v_mad_u64_u32 v[10:11], s[28:29], v10, s34, 0
	v_xor_b32_e32 v1, v11, v18
	v_xor_b32_e32 v9, v9, v16
	v_xor_b32_e32 v1, v43, v1
	v_xor_b32_e32 v9, v45, v9
	v_mad_u64_u32 v[16:17], s[28:29], v1, s11, 0
	v_mad_u64_u32 v[18:19], s[28:29], v9, s34, 0
	v_xor_b32_e32 v1, v19, v10
	v_xor_b32_e32 v8, v17, v8
	v_xor_b32_e32 v1, v46, v1
	v_xor_b32_e32 v10, v47, v8
	v_mad_u64_u32 v[8:9], s[28:29], v1, s11, 0
	v_mad_u64_u32 v[10:11], s[28:29], v10, s34, 0
	v_xor_b32_e32 v1, v11, v18
	v_xor_b32_e32 v9, v9, v16
	v_xor_b32_e32 v1, v48, v1
	v_xor_b32_e32 v9, v49, v9
	v_mad_u64_u32 v[16:17], s[28:29], v1, s11, 0
	v_mad_u64_u32 v[18:19], s[28:29], v9, s34, 0
	v_xor_b32_e32 v1, v19, v10
	v_xor_b32_e32 v8, v17, v8
	v_xor_b32_e32 v1, v50, v1
	v_xor_b32_e32 v10, v51, v8
	v_mad_u64_u32 v[8:9], s[28:29], v1, s11, 0
	v_mad_u64_u32 v[10:11], s[28:29], v10, s34, 0
	v_xor_b32_e32 v1, v11, v18
	v_xor_b32_e32 v9, v9, v16
	v_xor_b32_e32 v1, v52, v1
	v_xor_b32_e32 v9, v53, v9
	v_mad_u64_u32 v[16:17], s[28:29], v1, s11, 0
	v_mad_u64_u32 v[18:19], s[28:29], v9, s34, 0
	v_xor_b32_e32 v1, v19, v10
	v_xor_b32_e32 v8, v17, v8
	v_xor_b32_e32 v1, v54, v1
	v_xor_b32_e32 v8, v55, v8
	v_mad_u64_u32 v[10:11], s[28:29], v1, s11, 0
	v_mad_u64_u32 v[8:9], s[28:29], v8, s34, 0
	v_xor_b32_e32 v1, v9, v18
	v_xor_b32_e32 v9, v11, v16
	v_xor_b32_e32 v9, v57, v9
	v_xor_b32_e32 v1, v56, v1
	v_mad_u64_u32 v[18:19], s[28:29], v9, s34, 0
	v_mad_u64_u32 v[16:17], s[28:29], v1, s11, 0
	v_xor_b32_e32 v1, v19, v8
	v_xor_b32_e32 v8, v36, v1
	;; [unrolled: 1-line block ×3, first 2 shown]
	v_mov_b32_e32 v0, 0
	v_xor_b32_e32 v10, v37, v1
	v_mov_b32_e32 v9, v18
	v_mov_b32_e32 v11, v16
.LBB126_26:                             ;   in Loop: Header=BB126_23 Depth=3
	s_or_b64 exec, exec, s[4:5]
	v_add_u32_e32 v58, 1, v0
	v_pk_mov_b32 v[18:19], v[10:11], v[10:11] op_sel:[0,1]
	v_cmp_eq_u32_e32 vcc, 4, v58
	v_pk_mov_b32 v[16:17], v[8:9], v[8:9] op_sel:[0,1]
	s_and_saveexec_b64 s[4:5], vcc
	s_cbranch_execz .LBB126_21
; %bb.27:                               ;   in Loop: Header=BB126_23 Depth=3
	v_add_co_u32_e32 v4, vcc, 1, v4
	v_cndmask_b32_e64 v1, 0, 1, vcc
	v_addc_co_u32_e32 v5, vcc, 0, v5, vcc
	v_cmp_eq_u32_e32 vcc, 0, v5
	v_cndmask_b32_e32 v1, 0, v1, vcc
	v_add_u32_e32 v6, v1, v6
	v_cmp_eq_u32_e32 vcc, 0, v6
	v_cndmask_b32_e32 v1, 0, v1, vcc
	v_mad_u64_u32 v[16:17], s[28:29], v4, s11, 0
	v_mad_u64_u32 v[18:19], s[28:29], v6, s34, 0
	v_add_u32_e32 v7, v1, v7
	v_xor_b32_e32 v1, v19, v26
	v_xor_b32_e32 v17, v17, v27
	v_xor_b32_e32 v1, v5, v1
	v_xor_b32_e32 v17, v7, v17
	v_mad_u64_u32 v[60:61], s[28:29], v1, s11, 0
	v_mad_u64_u32 v[62:63], s[28:29], v17, s34, 0
	v_xor_b32_e32 v1, v63, v18
	v_xor_b32_e32 v16, v61, v16
	v_xor_b32_e32 v1, v41, v1
	v_xor_b32_e32 v18, v42, v16
	v_mad_u64_u32 v[16:17], s[28:29], v1, s11, 0
	v_mad_u64_u32 v[18:19], s[28:29], v18, s34, 0
	;; [unrolled: 6-line block ×9, first 2 shown]
	v_xor_b32_e32 v1, v63, v16
	v_xor_b32_e32 v16, v36, v1
	;; [unrolled: 1-line block ×3, first 2 shown]
	v_mov_b32_e32 v58, 0
	v_xor_b32_e32 v18, v37, v1
	v_mov_b32_e32 v17, v62
	v_mov_b32_e32 v19, v60
	s_branch .LBB126_21
.LBB126_28:                             ;   in Loop: Header=BB126_20 Depth=2
	s_or_b64 exec, exec, s[24:25]
	v_add_u32_e32 v58, 1, v59
	v_pk_mov_b32 v[8:9], v[12:13], v[12:13] op_sel:[0,1]
	v_cmp_eq_u32_e32 vcc, 4, v58
	v_pk_mov_b32 v[10:11], v[14:15], v[14:15] op_sel:[0,1]
	s_and_saveexec_b64 s[4:5], vcc
	s_cbranch_execz .LBB126_30
; %bb.29:                               ;   in Loop: Header=BB126_20 Depth=2
	v_add_co_u32_e32 v4, vcc, 1, v4
	v_cndmask_b32_e64 v8, 0, 1, vcc
	v_addc_co_u32_e32 v5, vcc, 0, v5, vcc
	v_cmp_eq_u32_e32 vcc, 0, v5
	v_cndmask_b32_e32 v8, 0, v8, vcc
	v_add_u32_e32 v6, v8, v6
	v_cmp_eq_u32_e32 vcc, 0, v6
	v_cndmask_b32_e32 v8, 0, v8, vcc
	v_add_u32_e32 v7, v8, v7
	v_mad_u64_u32 v[8:9], s[24:25], v4, s11, 0
	v_mad_u64_u32 v[10:11], s[24:25], v6, s34, 0
	v_xor_b32_e32 v11, v11, v26
	v_xor_b32_e32 v9, v9, v27
	v_xor_b32_e32 v11, v5, v11
	v_xor_b32_e32 v9, v7, v9
	v_mad_u64_u32 v[18:19], s[24:25], v11, s11, 0
	v_mad_u64_u32 v[62:63], s[24:25], v9, s34, 0
	v_xor_b32_e32 v9, v63, v10
	v_xor_b32_e32 v8, v19, v8
	v_xor_b32_e32 v9, v41, v9
	v_xor_b32_e32 v10, v42, v8
	;; [unrolled: 6-line block ×9, first 2 shown]
	v_mad_u64_u32 v[18:19], s[24:25], v9, s11, 0
	v_mad_u64_u32 v[62:63], s[24:25], v11, s34, 0
	v_xor_b32_e32 v8, v63, v8
	v_xor_b32_e32 v9, v19, v10
	v_mov_b32_e32 v58, 0
	v_xor_b32_e32 v8, v36, v8
	v_xor_b32_e32 v10, v37, v9
	v_mov_b32_e32 v9, v62
	v_mov_b32_e32 v11, v18
.LBB126_30:                             ;   in Loop: Header=BB126_20 Depth=2
	s_or_b64 exec, exec, s[4:5]
	v_cmp_eq_u32_e32 vcc, 1, v59
	v_cndmask_b32_e32 v12, v12, v13, vcc
	v_cmp_eq_u32_e32 vcc, 2, v59
	v_cndmask_b32_e32 v12, v12, v14, vcc
	v_cmp_eq_u32_e32 vcc, 3, v59
	v_cndmask_b32_e32 v12, v12, v15, vcc
	v_cvt_f32_u32_e32 v13, v12
	v_mov_b32_e32 v14, 0x2f800000
	v_mul_f32_e32 v1, v1, v1
	v_mul_f32_e32 v12, v16, v16
	v_fmac_f32_e32 v14, 0x2f800000, v13
	v_sub_f32_e32 v13, 1.0, v14
	v_mul_f32_e32 v14, 0xbd0793de, v1
	v_fma_f32 v14, v1, v14, 1.0
	v_mul_f32_e32 v12, v16, v12
	v_cmp_nlt_f32_e32 vcc, v13, v14
                                        ; implicit-def: $sgpr4_sgpr5
	s_and_saveexec_b64 s[24:25], vcc
	s_xor_b64 s[24:25], exec, s[24:25]
	s_cbranch_execz .LBB126_34
; %bb.31:                               ;   in Loop: Header=BB126_20 Depth=2
	v_cmp_gt_f32_e32 vcc, s54, v13
	v_cndmask_b32_e32 v14, 1.0, v32, vcc
	v_mul_f32_e32 v13, v13, v14
	v_log_f32_e32 v13, v13
	v_mul_f32_e32 v14, 0x3f317217, v13
	v_fma_f32 v15, v13, s55, -v14
	v_fmac_f32_e32 v15, 0x3377d1cf, v13
	v_add_f32_e32 v14, v14, v15
	v_cmp_lt_f32_e64 s[4:5], |v13|, s40
	v_cndmask_b32_e64 v13, v13, v14, s[4:5]
	v_cmp_gt_f32_e64 s[4:5], s54, v12
	v_cndmask_b32_e64 v14, 1.0, v32, s[4:5]
	v_mul_f32_e32 v14, v12, v14
	v_log_f32_e32 v14, v14
	v_cndmask_b32_e32 v15, 0, v33, vcc
	v_sub_f32_e32 v13, v13, v15
	v_sub_f32_e32 v15, 1.0, v12
	v_mul_f32_e32 v16, 0x3f317217, v14
	v_fma_f32 v17, v14, s55, -v16
	v_fmac_f32_e32 v17, 0x3377d1cf, v14
	v_add_f32_e32 v16, v16, v17
	v_cmp_lt_f32_e64 vcc, |v14|, s40
	v_cndmask_b32_e32 v14, v14, v16, vcc
	v_cndmask_b32_e64 v16, 0, v33, s[4:5]
	v_sub_f32_e32 v14, v14, v16
	v_add_f32_e32 v14, v15, v14
	v_mul_f32_e32 v14, v38, v14
	v_fmac_f32_e32 v14, 0.5, v1
	v_cmp_lt_f32_e32 vcc, v13, v14
	s_mov_b64 s[4:5], -1
	s_and_saveexec_b64 s[26:27], vcc
; %bb.32:                               ;   in Loop: Header=BB126_20 Depth=2
	v_mul_f32_e32 v44, v40, v12
	s_xor_b64 s[4:5], exec, -1
; %bb.33:                               ;   in Loop: Header=BB126_20 Depth=2
	s_or_b64 exec, exec, s[26:27]
	s_and_b64 s[4:5], s[4:5], exec
                                        ; implicit-def: $vgpr12
.LBB126_34:                             ;   in Loop: Header=BB126_20 Depth=2
	s_andn2_saveexec_b64 s[24:25], s[24:25]
	s_cbranch_execz .LBB126_19
; %bb.35:                               ;   in Loop: Header=BB126_20 Depth=2
	v_mul_f32_e32 v44, v40, v12
	s_andn2_b64 s[4:5], s[4:5], exec
	s_branch .LBB126_19
.LBB126_36:
	s_endpgm
	.section	.rodata,"a",@progbits
	.p2align	6, 0x0
	.amdhsa_kernel _ZN2at4cuda12_GLOBAL__N_121kernelPointwiseApply2IZN12_GLOBAL__N_117gamma_cuda_kernelIfEEvRKNS_10TensorBaseES7_NS_15PhiloxCudaStateEEUlRfRKfE_ffjLin1ELi1ELi1ELi256ELi2EEEvNS0_6detail10TensorInfoIT0_T2_EENSE_IT1_SG_EESG_T_
		.amdhsa_group_segment_fixed_size 0
		.amdhsa_private_segment_fixed_size 0
		.amdhsa_kernarg_size 728
		.amdhsa_user_sgpr_count 6
		.amdhsa_user_sgpr_private_segment_buffer 1
		.amdhsa_user_sgpr_dispatch_ptr 0
		.amdhsa_user_sgpr_queue_ptr 0
		.amdhsa_user_sgpr_kernarg_segment_ptr 1
		.amdhsa_user_sgpr_dispatch_id 0
		.amdhsa_user_sgpr_flat_scratch_init 0
		.amdhsa_user_sgpr_kernarg_preload_length 0
		.amdhsa_user_sgpr_kernarg_preload_offset 0
		.amdhsa_user_sgpr_private_segment_size 0
		.amdhsa_uses_dynamic_stack 0
		.amdhsa_system_sgpr_private_segment_wavefront_offset 0
		.amdhsa_system_sgpr_workgroup_id_x 1
		.amdhsa_system_sgpr_workgroup_id_y 0
		.amdhsa_system_sgpr_workgroup_id_z 0
		.amdhsa_system_sgpr_workgroup_info 0
		.amdhsa_system_vgpr_workitem_id 0
		.amdhsa_next_free_vgpr 64
		.amdhsa_next_free_sgpr 63
		.amdhsa_accum_offset 64
		.amdhsa_reserve_vcc 1
		.amdhsa_reserve_flat_scratch 0
		.amdhsa_float_round_mode_32 0
		.amdhsa_float_round_mode_16_64 0
		.amdhsa_float_denorm_mode_32 3
		.amdhsa_float_denorm_mode_16_64 3
		.amdhsa_dx10_clamp 1
		.amdhsa_ieee_mode 1
		.amdhsa_fp16_overflow 0
		.amdhsa_tg_split 0
		.amdhsa_exception_fp_ieee_invalid_op 0
		.amdhsa_exception_fp_denorm_src 0
		.amdhsa_exception_fp_ieee_div_zero 0
		.amdhsa_exception_fp_ieee_overflow 0
		.amdhsa_exception_fp_ieee_underflow 0
		.amdhsa_exception_fp_ieee_inexact 0
		.amdhsa_exception_int_div_zero 0
	.end_amdhsa_kernel
	.section	.text._ZN2at4cuda12_GLOBAL__N_121kernelPointwiseApply2IZN12_GLOBAL__N_117gamma_cuda_kernelIfEEvRKNS_10TensorBaseES7_NS_15PhiloxCudaStateEEUlRfRKfE_ffjLin1ELi1ELi1ELi256ELi2EEEvNS0_6detail10TensorInfoIT0_T2_EENSE_IT1_SG_EESG_T_,"axG",@progbits,_ZN2at4cuda12_GLOBAL__N_121kernelPointwiseApply2IZN12_GLOBAL__N_117gamma_cuda_kernelIfEEvRKNS_10TensorBaseES7_NS_15PhiloxCudaStateEEUlRfRKfE_ffjLin1ELi1ELi1ELi256ELi2EEEvNS0_6detail10TensorInfoIT0_T2_EENSE_IT1_SG_EESG_T_,comdat
.Lfunc_end126:
	.size	_ZN2at4cuda12_GLOBAL__N_121kernelPointwiseApply2IZN12_GLOBAL__N_117gamma_cuda_kernelIfEEvRKNS_10TensorBaseES7_NS_15PhiloxCudaStateEEUlRfRKfE_ffjLin1ELi1ELi1ELi256ELi2EEEvNS0_6detail10TensorInfoIT0_T2_EENSE_IT1_SG_EESG_T_, .Lfunc_end126-_ZN2at4cuda12_GLOBAL__N_121kernelPointwiseApply2IZN12_GLOBAL__N_117gamma_cuda_kernelIfEEvRKNS_10TensorBaseES7_NS_15PhiloxCudaStateEEUlRfRKfE_ffjLin1ELi1ELi1ELi256ELi2EEEvNS0_6detail10TensorInfoIT0_T2_EENSE_IT1_SG_EESG_T_
                                        ; -- End function
	.section	.AMDGPU.csdata,"",@progbits
; Kernel info:
; codeLenInByte = 5320
; NumSgprs: 67
; NumVgprs: 64
; NumAgprs: 0
; TotalNumVgprs: 64
; ScratchSize: 0
; MemoryBound: 0
; FloatMode: 240
; IeeeMode: 1
; LDSByteSize: 0 bytes/workgroup (compile time only)
; SGPRBlocks: 8
; VGPRBlocks: 7
; NumSGPRsForWavesPerEU: 67
; NumVGPRsForWavesPerEU: 64
; AccumOffset: 64
; Occupancy: 8
; WaveLimiterHint : 1
; COMPUTE_PGM_RSRC2:SCRATCH_EN: 0
; COMPUTE_PGM_RSRC2:USER_SGPR: 6
; COMPUTE_PGM_RSRC2:TRAP_HANDLER: 0
; COMPUTE_PGM_RSRC2:TGID_X_EN: 1
; COMPUTE_PGM_RSRC2:TGID_Y_EN: 0
; COMPUTE_PGM_RSRC2:TGID_Z_EN: 0
; COMPUTE_PGM_RSRC2:TIDIG_COMP_CNT: 0
; COMPUTE_PGM_RSRC3_GFX90A:ACCUM_OFFSET: 15
; COMPUTE_PGM_RSRC3_GFX90A:TG_SPLIT: 0
	.section	.text._ZN2at4cuda12_GLOBAL__N_121kernelPointwiseApply2IZN12_GLOBAL__N_117gamma_cuda_kernelIfEEvRKNS_10TensorBaseES7_NS_15PhiloxCudaStateEEUlRfRKfE_ffjLin1ELi2ELi1ELi256ELi2EEEvNS0_6detail10TensorInfoIT0_T2_EENSE_IT1_SG_EESG_T_,"axG",@progbits,_ZN2at4cuda12_GLOBAL__N_121kernelPointwiseApply2IZN12_GLOBAL__N_117gamma_cuda_kernelIfEEvRKNS_10TensorBaseES7_NS_15PhiloxCudaStateEEUlRfRKfE_ffjLin1ELi2ELi1ELi256ELi2EEEvNS0_6detail10TensorInfoIT0_T2_EENSE_IT1_SG_EESG_T_,comdat
	.globl	_ZN2at4cuda12_GLOBAL__N_121kernelPointwiseApply2IZN12_GLOBAL__N_117gamma_cuda_kernelIfEEvRKNS_10TensorBaseES7_NS_15PhiloxCudaStateEEUlRfRKfE_ffjLin1ELi2ELi1ELi256ELi2EEEvNS0_6detail10TensorInfoIT0_T2_EENSE_IT1_SG_EESG_T_ ; -- Begin function _ZN2at4cuda12_GLOBAL__N_121kernelPointwiseApply2IZN12_GLOBAL__N_117gamma_cuda_kernelIfEEvRKNS_10TensorBaseES7_NS_15PhiloxCudaStateEEUlRfRKfE_ffjLin1ELi2ELi1ELi256ELi2EEEvNS0_6detail10TensorInfoIT0_T2_EENSE_IT1_SG_EESG_T_
	.p2align	8
	.type	_ZN2at4cuda12_GLOBAL__N_121kernelPointwiseApply2IZN12_GLOBAL__N_117gamma_cuda_kernelIfEEvRKNS_10TensorBaseES7_NS_15PhiloxCudaStateEEUlRfRKfE_ffjLin1ELi2ELi1ELi256ELi2EEEvNS0_6detail10TensorInfoIT0_T2_EENSE_IT1_SG_EESG_T_,@function
_ZN2at4cuda12_GLOBAL__N_121kernelPointwiseApply2IZN12_GLOBAL__N_117gamma_cuda_kernelIfEEvRKNS_10TensorBaseES7_NS_15PhiloxCudaStateEEUlRfRKfE_ffjLin1ELi2ELi1ELi256ELi2EEEvNS0_6detail10TensorInfoIT0_T2_EENSE_IT1_SG_EESG_T_: ; @_ZN2at4cuda12_GLOBAL__N_121kernelPointwiseApply2IZN12_GLOBAL__N_117gamma_cuda_kernelIfEEvRKNS_10TensorBaseES7_NS_15PhiloxCudaStateEEUlRfRKfE_ffjLin1ELi2ELi1ELi256ELi2EEEvNS0_6detail10TensorInfoIT0_T2_EENSE_IT1_SG_EESG_T_
; %bb.0:
	s_load_dword s2, s[4:5], 0x1e4
	s_load_dword s33, s[4:5], 0x1b0
	s_add_u32 s0, s4, 0x1d8
	s_addc_u32 s1, s5, 0
	s_waitcnt lgkmcnt(0)
	s_and_b32 s2, s2, 0xffff
	s_mul_i32 s6, s6, s2
	v_add_u32_e32 v2, s6, v0
	v_cmp_gt_u32_e32 vcc, s33, v2
	s_and_saveexec_b64 s[6:7], vcc
	s_cbranch_execz .LBB127_38
; %bb.1:
	s_load_dword s34, s[4:5], 0xe4
	s_load_dwordx2 s[12:13], s[4:5], 0x144
	s_load_dwordx2 s[14:15], s[4:5], 0xd8
	s_load_dword s22, s[4:5], 0xd0
	s_load_dwordx2 s[16:17], s[4:5], 0x1c8
	s_load_dwordx4 s[8:11], s[4:5], 0x1b8
	s_load_dword s37, s[0:1], 0x0
	s_load_dword s3, s[4:5], 0x1d0
	;; [unrolled: 1-line block ×3, first 2 shown]
	s_waitcnt lgkmcnt(0)
	v_cvt_f32_u32_e32 v0, s34
	s_cmp_gt_i32 s22, 1
	s_cselect_b64 s[0:1], -1, 0
	s_bitcmp1_b32 s3, 0
	v_rcp_iflag_f32_e32 v0, v0
	s_cselect_b64 s[20:21], -1, 0
	s_mul_i32 s37, s37, s2
	s_sub_i32 s2, 0, s34
	v_mul_f32_e32 v0, 0x4f7ffffe, v0
	v_cvt_u32_f32_e32 v0, v0
	s_mov_b32 s3, 0
	s_load_dwordx2 s[18:19], s[4:5], 0x0
	s_add_i32 s38, s22, 1
	v_mul_lo_u32 v1, s2, v0
	s_add_i32 s2, s22, -1
	s_lshl_b64 s[2:3], s[2:3], 2
	s_mov_b32 s36, 0xcd9e8d57
	s_add_u32 s2, s2, s4
	v_mad_u64_u32 v[20:21], s[6:7], v2, s36, 0
	v_mul_hi_u32 v1, v0, v1
	s_addc_u32 s3, s3, s5
	v_mov_b32_e32 v22, v21
	v_add_u32_e32 v21, v0, v1
	s_add_u32 s22, s2, 8
	v_cndmask_b32_e64 v0, 0, 1, s[0:1]
	v_mov_b32_e32 v3, 0
	s_addc_u32 s23, s3, 0
	s_mov_b64 s[24:25], 0
	v_cmp_ne_u32_e64 s[0:1], 1, v0
	v_mov_b32_e32 v23, s15
	s_mov_b32 s15, 0xd2511f53
	s_mov_b32 s39, 0x3f2aaaab
	v_mov_b32_e32 v28, 0x3ecccdef
	s_mov_b32 s40, 0x3f317218
	s_movk_i32 s41, 0x204
	s_mov_b32 s42, 0x7f800000
	s_mov_b32 s43, 0x42b17218
	;; [unrolled: 1-line block ×4, first 2 shown]
	s_brev_b32 s46, -2
	s_mov_b32 s47, 0xf800000
	v_mov_b32_e32 v29, 0x260
	s_mov_b32 s48, 0x3c6ef372
	s_mov_b32 s49, 0x76cf5d0a
	;; [unrolled: 1-line block ×17, first 2 shown]
	v_mov_b32_e32 v30, 0x37000000
	v_mov_b32_e32 v31, 0x7f800000
	;; [unrolled: 1-line block ×7, first 2 shown]
	s_branch .LBB127_4
.LBB127_2:                              ;   in Loop: Header=BB127_4 Depth=1
	s_or_b64 exec, exec, s[6:7]
.LBB127_3:                              ;   in Loop: Header=BB127_4 Depth=1
	s_or_b64 exec, exec, s[4:5]
	v_lshlrev_b64 v[0:1], 2, v[24:25]
	s_waitcnt lgkmcnt(0)
	v_mov_b32_e32 v4, s19
	v_add_co_u32_e32 v0, vcc, s18, v0
	v_addc_co_u32_e32 v1, vcc, v4, v1, vcc
	v_cmp_ngt_f32_e32 vcc, s56, v45
	v_add_u32_e32 v36, s37, v36
	v_cndmask_b32_e32 v4, v35, v45, vcc
	v_cmp_le_u32_e32 vcc, s33, v36
	s_or_b64 s[24:25], vcc, s[24:25]
	global_store_dword v[0:1], v4, off
	s_andn2_b64 exec, exec, s[24:25]
	s_cbranch_execz .LBB127_38
.LBB127_4:                              ; =>This Loop Header: Depth=1
                                        ;     Child Loop BB127_7 Depth 2
                                        ;     Child Loop BB127_22 Depth 2
                                        ;       Child Loop BB127_25 Depth 3
	v_sub_u32_e32 v0, s33, v36
	v_cmp_lt_i32_e64 s[2:3], 0, v0
	v_pk_mov_b32 v[24:25], 0, 0
	s_and_saveexec_b64 s[4:5], s[2:3]
	s_cbranch_execz .LBB127_9
; %bb.5:                                ;   in Loop: Header=BB127_4 Depth=1
	s_and_b64 vcc, exec, s[0:1]
	v_mov_b32_e32 v0, 0
	v_mov_b32_e32 v4, v36
	s_cbranch_vccnz .LBB127_8
; %bb.6:                                ;   in Loop: Header=BB127_4 Depth=1
	v_mov_b32_e32 v0, 0
	s_mov_b64 s[6:7], s[22:23]
	s_mov_b32 s26, s38
	v_mov_b32_e32 v4, v36
.LBB127_7:                              ;   Parent Loop BB127_4 Depth=1
                                        ; =>  This Inner Loop Header: Depth=2
	s_load_dword s27, s[6:7], 0x0
	s_load_dword s28, s[6:7], 0x64
	v_mov_b32_e32 v1, v4
	s_add_i32 s26, s26, -1
	s_waitcnt lgkmcnt(0)
	v_cvt_f32_u32_e32 v4, s27
	s_sub_i32 s29, 0, s27
	s_add_u32 s6, s6, -4
	s_addc_u32 s7, s7, -1
	v_rcp_iflag_f32_e32 v4, v4
	s_cmp_gt_u32 s26, 2
	v_mul_f32_e32 v4, 0x4f7ffffe, v4
	v_cvt_u32_f32_e32 v4, v4
	v_mul_lo_u32 v5, s29, v4
	v_mul_hi_u32 v5, v4, v5
	v_add_u32_e32 v4, v4, v5
	v_mul_hi_u32 v4, v1, v4
	v_mul_lo_u32 v5, v4, s27
	v_sub_u32_e32 v5, v1, v5
	v_add_u32_e32 v6, 1, v4
	v_cmp_le_u32_e32 vcc, s27, v5
	v_cndmask_b32_e32 v4, v4, v6, vcc
	v_subrev_u32_e32 v6, s27, v5
	v_cndmask_b32_e32 v5, v5, v6, vcc
	v_add_u32_e32 v6, 1, v4
	v_cmp_le_u32_e32 vcc, s27, v5
	v_cndmask_b32_e32 v4, v4, v6, vcc
	v_mul_lo_u32 v5, v4, s27
	v_sub_u32_e32 v1, v1, v5
	v_mad_u64_u32 v[0:1], s[28:29], s28, v1, v[0:1]
	s_cbranch_scc1 .LBB127_7
.LBB127_8:                              ;   in Loop: Header=BB127_4 Depth=1
	v_mad_u64_u32 v[24:25], s[6:7], s35, v4, v[0:1]
	v_mov_b32_e32 v25, v3
.LBB127_9:                              ;   in Loop: Header=BB127_4 Depth=1
	s_or_b64 exec, exec, s[4:5]
	v_pk_mov_b32 v[0:1], 0, 0
	s_and_saveexec_b64 s[4:5], s[2:3]
	s_cbranch_execz .LBB127_11
; %bb.10:                               ;   in Loop: Header=BB127_4 Depth=1
	v_mul_hi_u32 v0, v36, v21
	v_mul_lo_u32 v1, v0, s34
	v_sub_u32_e32 v1, v36, v1
	v_add_u32_e32 v4, 1, v0
	v_cmp_le_u32_e32 vcc, s34, v1
	v_cndmask_b32_e32 v0, v0, v4, vcc
	v_subrev_u32_e32 v4, s34, v1
	v_cndmask_b32_e32 v1, v1, v4, vcc
	v_add_u32_e32 v4, 1, v0
	v_cmp_le_u32_e32 vcc, s34, v1
	v_cndmask_b32_e32 v1, v0, v4, vcc
	v_mul_lo_u32 v0, v1, s34
	v_sub_u32_e32 v0, v36, v0
	v_mul_lo_u32 v0, v0, s13
	v_mad_u64_u32 v[0:1], s[2:3], v1, s12, v[0:1]
	v_mov_b32_e32 v1, v3
.LBB127_11:                             ;   in Loop: Header=BB127_4 Depth=1
	s_or_b64 exec, exec, s[4:5]
	v_lshlrev_b64 v[0:1], 2, v[0:1]
	v_add_co_u32_e32 v0, vcc, s14, v0
	v_addc_co_u32_e32 v1, vcc, v23, v1, vcc
	global_load_dword v39, v[0:1], off
	s_andn2_b64 vcc, exec, s[20:21]
	v_pk_mov_b32 v[0:1], s[10:11], s[10:11] op_sel:[0,1]
	v_pk_mov_b32 v[26:27], s[8:9], s[8:9] op_sel:[0,1]
	s_cbranch_vccnz .LBB127_13
; %bb.12:                               ;   in Loop: Header=BB127_4 Depth=1
	v_pk_mov_b32 v[0:1], s[10:11], s[10:11] op_sel:[0,1]
	flat_load_dwordx2 v[0:1], v[0:1]
	v_pk_mov_b32 v[4:5], s[8:9], s[8:9] op_sel:[0,1]
	flat_load_dwordx2 v[26:27], v[4:5]
	v_mov_b32_e32 v4, s17
	s_waitcnt vmcnt(0) lgkmcnt(0)
	v_add_co_u32_e32 v0, vcc, s16, v0
	v_addc_co_u32_e32 v1, vcc, v1, v4, vcc
.LBB127_13:                             ;   in Loop: Header=BB127_4 Depth=1
	v_and_b32_e32 v59, 3, v0
	v_alignbit_b32 v0, v1, v0, 2
	v_mad_u64_u32 v[6:7], s[2:3], v0, s15, 0
	v_lshrrev_b32_e32 v1, 2, v1
	v_xor_b32_e32 v5, v7, v27
	v_xor_b32_e32 v7, v22, v26
	v_mov_b32_e32 v4, v27
	v_xor_b32_e32 v7, v7, v1
	v_add_co_u32_e32 v40, vcc, s58, v4
	v_mad_u64_u32 v[8:9], s[2:3], v7, s15, 0
	v_mad_u64_u32 v[10:11], s[2:3], v5, s36, 0
	v_add_co_u32_e32 v41, vcc, 0x9e3779b9, v26
	v_xor_b32_e32 v5, v20, v11
	v_xor_b32_e32 v7, v40, v9
	v_xor_b32_e32 v5, v5, v41
	v_xor_b32_e32 v9, v7, v6
	v_add_co_u32_e32 v43, vcc, s48, v26
	v_add_co_u32_e32 v42, vcc, s49, v4
	v_mad_u64_u32 v[6:7], s[2:3], v5, s15, 0
	v_mad_u64_u32 v[12:13], s[2:3], v9, s36, 0
	v_xor_b32_e32 v5, v43, v13
	v_xor_b32_e32 v7, v42, v7
	v_xor_b32_e32 v5, v5, v10
	v_xor_b32_e32 v7, v7, v8
	v_add_co_u32_e32 v45, vcc, s59, v26
	v_add_co_u32_e32 v44, vcc, s50, v4
	v_mad_u64_u32 v[8:9], s[2:3], v5, s15, 0
	v_mad_u64_u32 v[10:11], s[2:3], v7, s36, 0
	;; [unrolled: 8-line block ×7, first 2 shown]
	v_xor_b32_e32 v7, v55, v7
	v_xor_b32_e32 v5, v54, v5
	;; [unrolled: 1-line block ×4, first 2 shown]
	v_mad_u64_u32 v[16:17], s[2:3], v7, s15, 0
	v_mad_u64_u32 v[18:19], s[2:3], v5, s36, 0
	v_add_u32_e32 v37, 0x8ff34781, v26
	v_add_u32_e32 v38, 0x96a522ad, v27
	v_xor_b32_e32 v5, v19, v6
	v_xor_b32_e32 v4, v17, v4
	;; [unrolled: 1-line block ×4, first 2 shown]
	v_pk_mov_b32 v[6:7], v[2:3], v[2:3] op_sel:[0,1]
	v_mov_b32_e32 v9, v18
	v_mov_b32_e32 v11, v16
	s_waitcnt vmcnt(0)
	v_cmp_gt_f32_e32 vcc, 1.0, v39
	s_mov_b64 s[2:3], -1
	v_mov_b32_e32 v19, 1.0
	v_pk_mov_b32 v[4:5], v[0:1], v[0:1] op_sel:[0,1]
                                        ; implicit-def: $sgpr4
	s_and_saveexec_b64 s[26:27], vcc
	s_cbranch_execz .LBB127_19
; %bb.14:                               ;   in Loop: Header=BB127_4 Depth=1
	v_cmp_neq_f32_e32 vcc, 0, v39
	s_mov_b64 s[30:31], 0
	v_mov_b32_e32 v19, 1.0
                                        ; implicit-def: $vgpr4_vgpr5_vgpr6_vgpr7
	s_and_saveexec_b64 s[28:29], vcc
	s_cbranch_execz .LBB127_18
; %bb.15:                               ;   in Loop: Header=BB127_4 Depth=1
	v_add_u32_e32 v17, 1, v59
	v_pk_mov_b32 v[14:15], v[10:11], v[10:11] op_sel:[0,1]
	v_pk_mov_b32 v[6:7], v[2:3], v[2:3] op_sel:[0,1]
	v_cmp_eq_u32_e32 vcc, 4, v17
	v_pk_mov_b32 v[12:13], v[8:9], v[8:9] op_sel:[0,1]
	v_pk_mov_b32 v[4:5], v[0:1], v[0:1] op_sel:[0,1]
	s_and_saveexec_b64 s[2:3], vcc
	s_cbranch_execz .LBB127_17
; %bb.16:                               ;   in Loop: Header=BB127_4 Depth=1
	v_add_co_u32_e32 v4, vcc, 1, v0
	v_cndmask_b32_e64 v0, 0, 1, vcc
	v_addc_co_u32_e32 v5, vcc, 0, v1, vcc
	v_cmp_eq_u32_e32 vcc, 0, v5
	v_cndmask_b32_e32 v0, 0, v0, vcc
	v_add_u32_e32 v6, v0, v2
	v_cmp_eq_u32_e32 vcc, 0, v6
	v_cndmask_b32_e32 v7, 0, v0, vcc
	v_mad_u64_u32 v[0:1], s[4:5], v4, s15, 0
	v_mad_u64_u32 v[12:13], s[4:5], v6, s36, 0
	v_xor_b32_e32 v9, v13, v26
	v_xor_b32_e32 v1, v1, v27
	v_xor_b32_e32 v9, v5, v9
	v_xor_b32_e32 v1, v7, v1
	v_mad_u64_u32 v[14:15], s[4:5], v9, s15, 0
	v_mad_u64_u32 v[56:57], s[4:5], v1, s36, 0
	v_xor_b32_e32 v1, v41, v57
	v_xor_b32_e32 v9, v40, v15
	v_xor_b32_e32 v1, v1, v12
	v_xor_b32_e32 v9, v9, v0
	;; [unrolled: 6-line block ×9, first 2 shown]
	v_mad_u64_u32 v[40:41], s[4:5], v9, s15, 0
	v_mad_u64_u32 v[42:43], s[4:5], v1, s36, 0
	v_xor_b32_e32 v1, v43, v12
	v_xor_b32_e32 v0, v41, v0
	v_mov_b32_e32 v17, 0
	v_xor_b32_e32 v12, v37, v1
	v_xor_b32_e32 v14, v38, v0
	v_mov_b32_e32 v13, v42
	v_mov_b32_e32 v15, v40
.LBB127_17:                             ;   in Loop: Header=BB127_4 Depth=1
	s_or_b64 exec, exec, s[2:3]
	v_cmp_eq_u32_e32 vcc, 1, v59
	v_cndmask_b32_e32 v0, v8, v18, vcc
	v_cmp_eq_u32_e32 vcc, 2, v59
	v_cndmask_b32_e32 v0, v0, v10, vcc
	;; [unrolled: 2-line block ×3, first 2 shown]
	v_div_scale_f32 v1, s[2:3], v39, v39, 1.0
	v_cvt_f32_u32_e32 v0, v0
	v_rcp_f32_e32 v8, v1
	v_mov_b32_e32 v9, 0x2f800000
	s_mov_b64 s[30:31], exec
	v_fmac_f32_e32 v9, 0x2f800000, v0
	v_fma_f32 v0, -v1, v8, 1.0
	v_fmac_f32_e32 v8, v0, v8
	v_div_scale_f32 v0, vcc, 1.0, v39, 1.0
	v_sub_f32_e32 v48, 1.0, v9
	v_mul_f32_e32 v9, v0, v8
	v_fma_f32 v10, -v1, v9, v0
	v_fmac_f32_e32 v9, v10, v8
	v_fma_f32 v0, -v1, v9, v0
	v_div_fmas_f32 v0, v0, v8, v9
	v_div_fixup_f32 v49, v0, v39, 1.0
	v_cmp_eq_f32_e32 vcc, 1.0, v48
	v_cndmask_b32_e64 v50, v49, 1.0, vcc
	v_cmp_eq_f32_e64 s[2:3], 0, v50
	v_cndmask_b32_e64 v51, |v48|, 1.0, s[2:3]
	v_frexp_mant_f32_e32 v0, v51
	v_cmp_gt_f32_e64 s[4:5], s39, v0
	v_cndmask_b32_e64 v1, 1.0, 2.0, s[4:5]
	v_mul_f32_e32 v0, v0, v1
	v_add_f32_e32 v9, 1.0, v0
	v_rcp_f32_e32 v16, v9
	v_add_f32_e32 v1, -1.0, v9
	v_sub_f32_e32 v11, v0, v1
	v_add_f32_e32 v1, -1.0, v0
	v_mul_f32_e32 v40, v1, v16
	v_mul_f32_e32 v8, v9, v40
	v_fma_f32 v10, v40, v9, -v8
	v_fmac_f32_e32 v10, v40, v11
	v_add_f32_e32 v0, v8, v10
	v_sub_f32_e32 v9, v1, v0
	v_pk_add_f32 v[18:19], v[0:1], v[8:9] neg_lo:[0,1] neg_hi:[0,1]
	v_mov_b32_e32 v11, v0
	v_pk_add_f32 v[0:1], v[18:19], v[10:11] neg_lo:[0,1] neg_hi:[0,1]
	v_add_f32_e32 v0, v0, v1
	v_add_f32_e32 v0, v9, v0
	v_mul_f32_e32 v1, v16, v0
	v_add_f32_e32 v0, v40, v1
	v_sub_f32_e32 v8, v0, v40
	v_sub_f32_e32 v16, v1, v8
	v_mul_f32_e32 v1, v0, v0
	v_fma_f32 v9, v0, v0, -v1
	v_add_f32_e32 v8, v16, v16
	v_fmac_f32_e32 v9, v0, v8
	v_add_f32_e32 v8, v1, v9
	v_mov_b32_e32 v10, 0x3e91f4c4
	v_fmac_f32_e32 v10, 0x3e76c4e1, v8
	v_fma_f32 v10, v8, v10, v28
	v_sub_f32_e32 v1, v8, v1
	v_sub_f32_e32 v42, v9, v1
	v_mul_f32_e32 v1, v8, v10
	v_fma_f32 v9, v8, v10, -v1
	v_fmac_f32_e32 v9, v42, v10
	v_add_f32_e32 v10, v1, v9
	v_add_f32_e32 v11, 0x3f2aaaaa, v10
	v_sub_f32_e32 v1, v10, v1
	v_sub_f32_e32 v1, v9, v1
	v_add_f32_e32 v9, 0xbf2aaaaa, v11
	v_add_f32_e32 v1, 0x31739010, v1
	v_sub_f32_e32 v9, v10, v9
	v_pk_mul_f32 v[18:19], v[0:1], v[8:9]
	v_fma_f32 v10, v8, v0, -v18
	v_pk_add_f32 v[40:41], v[0:1], v[8:9]
	v_fmac_f32_e32 v10, v8, v16
	v_mov_b32_e32 v19, v41
	v_fmac_f32_e32 v10, v42, v0
	v_pk_add_f32 v[8:9], v[18:19], v[10:11]
	v_sub_f32_e32 v1, v8, v18
	v_sub_f32_e32 v1, v10, v1
	;; [unrolled: 1-line block ×3, first 2 shown]
	v_add_f32_e32 v40, v41, v10
	v_mov_b32_e32 v10, v9
	v_pk_mul_f32 v[10:11], v[8:9], v[10:11]
	v_cvt_f64_f32_e32 v[18:19], v51
	v_frexp_exp_i32_f64_e32 v11, v[18:19]
	v_subbrev_co_u32_e64 v11, s[4:5], 0, v11, s[4:5]
	v_cvt_f32_i32_e32 v11, v11
	v_fma_f32 v18, v8, v9, -v10
	v_fmac_f32_e32 v18, v8, v40
	v_fmac_f32_e32 v18, v1, v9
	v_mul_f32_e32 v8, 0x3f317218, v11
	v_fma_f32 v40, v11, s40, -v8
	v_fmac_f32_e32 v40, 0xb102e308, v11
	v_ldexp_f32 v41, v0, 1
	v_add_f32_e32 v9, v10, v18
	v_pk_add_f32 v[0:1], v[8:9], v[40:41]
	v_mov_b32_e32 v42, v9
	v_mov_b32_e32 v43, v1
	;; [unrolled: 1-line block ×3, first 2 shown]
	v_pk_add_f32 v[10:11], v[42:43], v[10:11] neg_lo:[0,1] neg_hi:[0,1]
	v_mov_b32_e32 v19, v9
	v_ldexp_f32 v16, v16, 1
	v_pk_add_f32 v[10:11], v[18:19], v[10:11] neg_lo:[0,1] neg_hi:[0,1]
	v_add_f32_e32 v9, v16, v10
	v_add_f32_e32 v9, v9, v11
	v_pk_add_f32 v[10:11], v[0:1], v[8:9] neg_lo:[0,1] neg_hi:[0,1]
	v_pk_add_f32 v[18:19], v[0:1], v[8:9]
	v_mov_b32_e32 v42, v10
	v_mov_b32_e32 v43, v19
	;; [unrolled: 1-line block ×3, first 2 shown]
	v_pk_add_f32 v[42:43], v[40:41], v[42:43]
	v_mov_b32_e32 v8, v43
	v_pk_add_f32 v[44:45], v[8:9], v[0:1] neg_lo:[0,1] neg_hi:[0,1]
	v_mov_b32_e32 v45, v44
	v_mov_b32_e32 v42, v19
	;; [unrolled: 1-line block ×4, first 2 shown]
	v_pk_add_f32 v[10:11], v[40:41], v[10:11] neg_lo:[0,1] neg_hi:[0,1]
	v_pk_add_f32 v[46:47], v[18:19], v[44:45] neg_lo:[0,1] neg_hi:[0,1]
	;; [unrolled: 1-line block ×3, first 2 shown]
	v_mov_b32_e32 v40, v9
	v_pk_add_f32 v[0:1], v[40:41], v[0:1] neg_lo:[0,1] neg_hi:[0,1]
	v_mov_b32_e32 v46, v10
	v_pk_add_f32 v[18:19], v[46:47], v[0:1]
	v_mov_b32_e32 v16, v19
	v_pk_add_f32 v[40:41], v[18:19], v[16:17]
	v_pk_add_f32 v[8:9], v[8:9], v[40:41]
	v_mov_b32_e32 v11, v43
	v_mov_b32_e32 v19, v8
	v_pk_add_f32 v[42:43], v[18:19], v[10:11] neg_lo:[0,1] neg_hi:[0,1]
	v_mov_b32_e32 v1, v40
	v_sub_f32_e32 v9, v18, v42
	v_pk_add_f32 v[0:1], v[0:1], v[42:43] neg_lo:[0,1] neg_hi:[0,1]
	v_sub_f32_e32 v9, v10, v9
	v_add_f32_e32 v0, v0, v9
	v_add_f32_e32 v0, v0, v1
	;; [unrolled: 1-line block ×3, first 2 shown]
	v_sub_f32_e32 v8, v1, v8
	v_sub_f32_e32 v0, v0, v8
	v_mul_f32_e32 v8, v50, v1
	v_fma_f32 v1, v50, v1, -v8
	v_fmac_f32_e32 v1, v50, v0
	v_add_f32_e32 v0, v8, v1
	v_cmp_class_f32_e64 s[4:5], v8, s41
	v_sub_f32_e32 v9, v0, v8
	v_cndmask_b32_e64 v0, v0, v8, s[4:5]
	v_cmp_eq_f32_e64 s[4:5], s43, v0
	v_cndmask_b32_e64 v8, 0, v30, s[4:5]
	v_sub_f32_e32 v1, v1, v9
	v_sub_f32_e32 v9, v0, v8
	v_mul_f32_e32 v10, 0x3fb8aa3b, v9
	v_fma_f32 v11, v9, s44, -v10
	v_rndne_f32_e32 v16, v10
	v_fmac_f32_e32 v11, 0x32a5705f, v9
	v_sub_f32_e32 v10, v10, v16
	v_add_f32_e32 v10, v10, v11
	v_exp_f32_e32 v10, v10
	v_cvt_i32_f32_e32 v11, v16
	v_cmp_neq_f32_e64 s[4:5], |v0|, s42
	v_cndmask_b32_e64 v0, 0, v1, s[4:5]
	v_cmp_ngt_f32_e64 s[4:5], s45, v9
	v_ldexp_f32 v1, v10, v11
	v_cndmask_b32_e64 v1, 0, v1, s[4:5]
	v_cmp_nlt_f32_e64 s[4:5], s43, v9
	v_add_f32_e32 v0, v8, v0
	v_cndmask_b32_e64 v1, v31, v1, s[4:5]
	v_fma_f32 v0, v1, v0, v1
	v_cmp_class_f32_e64 s[4:5], v1, s41
	v_trunc_f32_e32 v8, v50
	v_cndmask_b32_e64 v0, v0, v1, s[4:5]
	v_cndmask_b32_e64 v1, v48, 1.0, s[2:3]
	v_cmp_eq_f32_e64 s[2:3], v8, v50
	v_mul_f32_e32 v8, 0.5, v50
	v_trunc_f32_e32 v9, v8
	v_cmp_neq_f32_e64 s[4:5], v9, v8
	s_and_b64 s[4:5], s[2:3], s[4:5]
	v_cndmask_b32_e64 v8, 1.0, v1, s[4:5]
	v_bfi_b32 v0, s46, v0, v8
	v_cndmask_b32_e64 v8, v32, v0, s[2:3]
	v_cmp_gt_f32_e64 s[2:3], 0, v1
	v_cndmask_b32_e64 v0, v0, v8, s[2:3]
	v_cndmask_b32_e64 v8, |v49|, 1.0, vcc
	v_cmp_neq_f32_e32 vcc, v50, v8
	v_cmp_gt_f32_e64 s[2:3], 1.0, v51
	s_xor_b64 s[2:3], vcc, s[2:3]
	v_cndmask_b32_e64 v9, v8, 0, s[2:3]
	v_cmp_eq_f32_e32 vcc, 1.0, v51
	v_cmp_eq_f32_e64 s[2:3], 0, v1
	v_cmp_gt_f32_e64 s[6:7], 0, v50
	v_cndmask_b32_e32 v9, v9, v51, vcc
	v_cmp_eq_f32_e32 vcc, s42, v8
	s_xor_b64 s[6:7], s[6:7], s[2:3]
	v_cndmask_b32_e32 v0, v0, v9, vcc
	v_cmp_eq_f32_e32 vcc, s42, v51
	v_cndmask_b32_e64 v8, v31, 0, s[6:7]
	v_cndmask_b32_e64 v1, 0, v1, s[4:5]
	v_bfi_b32 v1, s46, v8, v1
	s_or_b64 vcc, vcc, s[2:3]
	v_pk_mov_b32 v[8:9], v[12:13], v[12:13] op_sel:[0,1]
	v_cndmask_b32_e32 v19, v0, v1, vcc
	v_add_f32_e32 v39, 1.0, v39
	v_pk_mov_b32 v[10:11], v[14:15], v[14:15] op_sel:[0,1]
	v_mov_b32_e32 v59, v17
.LBB127_18:                             ;   in Loop: Header=BB127_4 Depth=1
	s_or_b64 exec, exec, s[28:29]
	s_mov_b32 s4, 0
	s_orn2_b64 s[2:3], s[30:31], exec
.LBB127_19:                             ;   in Loop: Header=BB127_4 Depth=1
	s_or_b64 exec, exec, s[26:27]
	v_mov_b32_e32 v45, s4
	s_and_saveexec_b64 s[4:5], s[2:3]
	s_cbranch_execz .LBB127_3
; %bb.20:                               ;   in Loop: Header=BB127_4 Depth=1
	v_add_f32_e32 v39, 0xbeaaaaab, v39
	v_mul_f32_e32 v0, 0x41100000, v39
	v_mul_f32_e32 v1, 0x4f800000, v0
	v_cmp_gt_f32_e32 vcc, s47, v0
	v_cndmask_b32_e32 v0, v0, v1, vcc
	v_sqrt_f32_e32 v1, v0
	v_mul_f32_e32 v41, v19, v39
	v_add_u32_e32 v42, 0x9e3779b9, v26
	v_add_u32_e32 v43, 0xbb67ae85, v27
	v_add_u32_e32 v12, -1, v1
	v_fma_f32 v14, -v12, v1, v0
	v_add_u32_e32 v13, 1, v1
	v_cmp_ge_f32_e64 s[2:3], 0, v14
	v_cndmask_b32_e64 v12, v1, v12, s[2:3]
	v_fma_f32 v1, -v13, v1, v0
	v_cmp_lt_f32_e64 s[2:3], 0, v1
	v_cndmask_b32_e64 v1, v12, v13, s[2:3]
	v_mul_f32_e32 v12, 0x37800000, v1
	v_cndmask_b32_e32 v1, v1, v12, vcc
	v_cmp_class_f32_e32 vcc, v0, v29
	v_cndmask_b32_e32 v0, v1, v0, vcc
	v_div_scale_f32 v1, s[2:3], v0, v0, 1.0
	v_rcp_f32_e32 v12, v1
	v_add_u32_e32 v44, 0x3c6ef372, v26
	v_add_u32_e32 v46, 0x76cf5d0a, v27
	;; [unrolled: 1-line block ×3, first 2 shown]
	v_fma_f32 v13, -v1, v12, 1.0
	v_fmac_f32_e32 v12, v13, v12
	v_div_scale_f32 v13, vcc, 1.0, v0, 1.0
	v_mul_f32_e32 v14, v13, v12
	v_fma_f32 v15, -v1, v14, v13
	v_fmac_f32_e32 v14, v15, v12
	v_fma_f32 v1, -v1, v14, v13
	v_div_fmas_f32 v1, v1, v12, v14
	v_div_fixup_f32 v40, v1, v0, 1.0
	v_add_u32_e32 v48, 0x32370b8f, v27
	v_add_u32_e32 v49, 0x78dde6e4, v26
	;; [unrolled: 1-line block ×11, first 2 shown]
	s_mov_b64 s[6:7], 0
	v_mov_b32_e32 v61, 0
                                        ; implicit-def: $vgpr0
                                        ; implicit-def: $vgpr45
	s_branch .LBB127_22
.LBB127_21:                             ;   in Loop: Header=BB127_22 Depth=2
	s_or_b64 exec, exec, s[26:27]
	s_xor_b64 s[2:3], s[2:3], -1
	s_and_b64 s[2:3], exec, s[2:3]
	s_or_b64 s[6:7], s[2:3], s[6:7]
	s_andn2_b64 exec, exec, s[6:7]
	s_cbranch_execz .LBB127_2
.LBB127_22:                             ;   Parent Loop BB127_4 Depth=1
                                        ; =>  This Loop Header: Depth=2
                                        ;       Child Loop BB127_25 Depth 3
	v_pk_mov_b32 v[14:15], v[10:11], v[10:11] op_sel:[0,1]
	s_mov_b64 s[26:27], 0
	v_mov_b32_e32 v60, v59
	v_pk_mov_b32 v[12:13], v[8:9], v[8:9] op_sel:[0,1]
	s_branch .LBB127_25
.LBB127_23:                             ;   in Loop: Header=BB127_25 Depth=3
	s_or_b64 exec, exec, s[2:3]
	v_cmp_eq_u32_e32 vcc, 1, v60
	v_cndmask_b32_e32 v1, v12, v13, vcc
	v_cmp_eq_u32_e32 vcc, 2, v60
	v_cndmask_b32_e32 v1, v1, v14, vcc
	;; [unrolled: 2-line block ×3, first 2 shown]
	v_cvt_f32_u32_e32 v1, v1
	v_cmp_eq_u32_e32 vcc, 1, v0
	v_cndmask_b32_e32 v8, v8, v9, vcc
	v_mov_b32_e32 v9, 0x2f800000
	v_cmp_eq_u32_e32 vcc, 2, v0
	v_fmac_f32_e32 v9, 0x2f800000, v1
	v_cndmask_b32_e32 v8, v8, v10, vcc
	v_cmp_gt_f32_e32 vcc, s56, v9
	v_cndmask_b32_e32 v1, 1.0, v33, vcc
	v_mul_f32_e32 v1, v9, v1
	v_log_f32_e32 v1, v1
	v_cmp_eq_u32_e64 s[2:3], 3, v0
	v_cndmask_b32_e64 v0, v8, v11, s[2:3]
	v_cvt_f32_u32_e32 v0, v0
	v_mul_f32_e32 v8, 0x3f317217, v1
	v_fma_f32 v9, v1, s57, -v8
	v_fmac_f32_e32 v9, 0x3377d1cf, v1
	v_add_f32_e32 v8, v8, v9
	v_cmp_lt_f32_e64 s[2:3], |v1|, s42
	v_cndmask_b32_e64 v1, v1, v8, s[2:3]
	v_cndmask_b32_e32 v8, 0, v34, vcc
	v_sub_f32_e32 v1, v1, v8
	v_mul_f32_e32 v1, -2.0, v1
	v_mul_f32_e32 v8, 0x4f800000, v1
	v_cmp_gt_f32_e32 vcc, s47, v1
	v_cndmask_b32_e32 v8, v1, v8, vcc
	v_sqrt_f32_e32 v1, v8
	v_mov_b32_e32 v9, 0x30c90fdb
	v_fmac_f32_e32 v9, 0x30c90fdb, v0
	v_pk_mov_b32 v[12:13], v[16:17], v[16:17] op_sel:[0,1]
	v_add_u32_e32 v0, -1, v1
	v_fma_f32 v10, -v0, v1, v8
	v_cmp_ge_f32_e64 s[2:3], 0, v10
	v_add_u32_e32 v10, 1, v1
	v_cndmask_b32_e64 v0, v1, v0, s[2:3]
	v_fma_f32 v1, -v10, v1, v8
	v_cmp_lt_f32_e64 s[2:3], 0, v1
	v_cndmask_b32_e64 v10, v0, v10, s[2:3]
	v_mul_f32_e32 v0, 0.15915494, v9
	v_sin_f32_e32 v1, v0
	v_cos_f32_e32 v0, v0
	v_mul_f32_e32 v11, 0x37800000, v10
	v_cndmask_b32_e32 v9, v10, v11, vcc
	v_cmp_class_f32_e32 vcc, v8, v29
	v_cndmask_b32_e32 v8, v9, v8, vcc
	v_pk_mul_f32 v[0:1], v[8:9], v[0:1] op_sel_hi:[0,1]
	v_mov_b32_e32 v61, 1
	v_pk_mov_b32 v[14:15], v[18:19], v[18:19] op_sel:[0,1]
	v_mov_b32_e32 v60, v59
.LBB127_24:                             ;   in Loop: Header=BB127_25 Depth=3
	s_or_b64 exec, exec, s[28:29]
	v_fma_f32 v16, v40, v1, 1.0
	v_cmp_nge_f32_e32 vcc, 0, v16
	s_or_b64 s[26:27], vcc, s[26:27]
	s_andn2_b64 exec, exec, s[26:27]
	s_cbranch_execz .LBB127_30
.LBB127_25:                             ;   Parent Loop BB127_4 Depth=1
                                        ;     Parent Loop BB127_22 Depth=2
                                        ; =>    This Inner Loop Header: Depth=3
	v_cmp_eq_u32_e32 vcc, 0, v61
	v_mov_b32_e32 v61, 0
	v_mov_b32_e32 v1, v0
	s_and_saveexec_b64 s[28:29], vcc
	s_cbranch_execz .LBB127_24
; %bb.26:                               ;   in Loop: Header=BB127_25 Depth=3
	v_add_u32_e32 v0, 1, v60
	v_pk_mov_b32 v[8:9], v[12:13], v[12:13] op_sel:[0,1]
	v_cmp_eq_u32_e32 vcc, 4, v0
	v_pk_mov_b32 v[10:11], v[14:15], v[14:15] op_sel:[0,1]
	s_and_saveexec_b64 s[2:3], vcc
	s_cbranch_execz .LBB127_28
; %bb.27:                               ;   in Loop: Header=BB127_25 Depth=3
	v_add_co_u32_e32 v4, vcc, 1, v4
	v_cndmask_b32_e64 v1, 0, 1, vcc
	v_addc_co_u32_e32 v5, vcc, 0, v5, vcc
	v_cmp_eq_u32_e32 vcc, 0, v5
	v_cndmask_b32_e32 v1, 0, v1, vcc
	v_add_u32_e32 v6, v1, v6
	v_cmp_eq_u32_e32 vcc, 0, v6
	v_cndmask_b32_e32 v1, 0, v1, vcc
	v_mad_u64_u32 v[8:9], s[30:31], v4, s15, 0
	v_mad_u64_u32 v[10:11], s[30:31], v6, s36, 0
	v_add_u32_e32 v7, v1, v7
	v_xor_b32_e32 v1, v11, v26
	v_xor_b32_e32 v9, v9, v27
	v_xor_b32_e32 v1, v5, v1
	v_xor_b32_e32 v9, v7, v9
	v_mad_u64_u32 v[16:17], s[30:31], v1, s15, 0
	v_mad_u64_u32 v[18:19], s[30:31], v9, s36, 0
	v_xor_b32_e32 v1, v19, v10
	v_xor_b32_e32 v8, v17, v8
	v_xor_b32_e32 v1, v42, v1
	v_xor_b32_e32 v10, v43, v8
	v_mad_u64_u32 v[8:9], s[30:31], v1, s15, 0
	v_mad_u64_u32 v[10:11], s[30:31], v10, s36, 0
	;; [unrolled: 6-line block ×9, first 2 shown]
	v_xor_b32_e32 v1, v19, v8
	v_xor_b32_e32 v8, v37, v1
	;; [unrolled: 1-line block ×3, first 2 shown]
	v_mov_b32_e32 v0, 0
	v_xor_b32_e32 v10, v38, v1
	v_mov_b32_e32 v9, v18
	v_mov_b32_e32 v11, v16
.LBB127_28:                             ;   in Loop: Header=BB127_25 Depth=3
	s_or_b64 exec, exec, s[2:3]
	v_add_u32_e32 v59, 1, v0
	v_pk_mov_b32 v[18:19], v[10:11], v[10:11] op_sel:[0,1]
	v_cmp_eq_u32_e32 vcc, 4, v59
	v_pk_mov_b32 v[16:17], v[8:9], v[8:9] op_sel:[0,1]
	s_and_saveexec_b64 s[2:3], vcc
	s_cbranch_execz .LBB127_23
; %bb.29:                               ;   in Loop: Header=BB127_25 Depth=3
	v_add_co_u32_e32 v4, vcc, 1, v4
	v_cndmask_b32_e64 v1, 0, 1, vcc
	v_addc_co_u32_e32 v5, vcc, 0, v5, vcc
	v_cmp_eq_u32_e32 vcc, 0, v5
	v_cndmask_b32_e32 v1, 0, v1, vcc
	v_add_u32_e32 v6, v1, v6
	v_cmp_eq_u32_e32 vcc, 0, v6
	v_cndmask_b32_e32 v1, 0, v1, vcc
	v_mad_u64_u32 v[16:17], s[30:31], v4, s15, 0
	v_mad_u64_u32 v[18:19], s[30:31], v6, s36, 0
	v_add_u32_e32 v7, v1, v7
	v_xor_b32_e32 v1, v19, v26
	v_xor_b32_e32 v17, v17, v27
	v_xor_b32_e32 v1, v5, v1
	v_xor_b32_e32 v17, v7, v17
	v_mad_u64_u32 v[62:63], s[30:31], v1, s15, 0
	v_mad_u64_u32 v[64:65], s[30:31], v17, s36, 0
	v_xor_b32_e32 v1, v65, v18
	v_xor_b32_e32 v16, v63, v16
	v_xor_b32_e32 v1, v42, v1
	v_xor_b32_e32 v18, v43, v16
	v_mad_u64_u32 v[16:17], s[30:31], v1, s15, 0
	v_mad_u64_u32 v[18:19], s[30:31], v18, s36, 0
	;; [unrolled: 6-line block ×9, first 2 shown]
	v_xor_b32_e32 v1, v65, v16
	v_xor_b32_e32 v16, v37, v1
	;; [unrolled: 1-line block ×3, first 2 shown]
	v_mov_b32_e32 v59, 0
	v_xor_b32_e32 v18, v38, v1
	v_mov_b32_e32 v17, v64
	v_mov_b32_e32 v19, v62
	s_branch .LBB127_23
.LBB127_30:                             ;   in Loop: Header=BB127_22 Depth=2
	s_or_b64 exec, exec, s[26:27]
	v_add_u32_e32 v59, 1, v60
	v_pk_mov_b32 v[8:9], v[12:13], v[12:13] op_sel:[0,1]
	v_cmp_eq_u32_e32 vcc, 4, v59
	v_pk_mov_b32 v[10:11], v[14:15], v[14:15] op_sel:[0,1]
	s_and_saveexec_b64 s[2:3], vcc
	s_cbranch_execz .LBB127_32
; %bb.31:                               ;   in Loop: Header=BB127_22 Depth=2
	v_add_co_u32_e32 v4, vcc, 1, v4
	v_cndmask_b32_e64 v8, 0, 1, vcc
	v_addc_co_u32_e32 v5, vcc, 0, v5, vcc
	v_cmp_eq_u32_e32 vcc, 0, v5
	v_cndmask_b32_e32 v8, 0, v8, vcc
	v_add_u32_e32 v6, v8, v6
	v_cmp_eq_u32_e32 vcc, 0, v6
	v_cndmask_b32_e32 v8, 0, v8, vcc
	v_add_u32_e32 v7, v8, v7
	v_mad_u64_u32 v[8:9], s[26:27], v4, s15, 0
	v_mad_u64_u32 v[10:11], s[26:27], v6, s36, 0
	v_xor_b32_e32 v11, v11, v26
	v_xor_b32_e32 v9, v9, v27
	v_xor_b32_e32 v11, v5, v11
	v_xor_b32_e32 v9, v7, v9
	v_mad_u64_u32 v[18:19], s[26:27], v11, s15, 0
	v_mad_u64_u32 v[62:63], s[26:27], v9, s36, 0
	v_xor_b32_e32 v9, v63, v10
	v_xor_b32_e32 v8, v19, v8
	v_xor_b32_e32 v9, v42, v9
	v_xor_b32_e32 v10, v43, v8
	;; [unrolled: 6-line block ×9, first 2 shown]
	v_mad_u64_u32 v[18:19], s[26:27], v9, s15, 0
	v_mad_u64_u32 v[62:63], s[26:27], v11, s36, 0
	v_xor_b32_e32 v8, v63, v8
	v_xor_b32_e32 v9, v19, v10
	v_mov_b32_e32 v59, 0
	v_xor_b32_e32 v8, v37, v8
	v_xor_b32_e32 v10, v38, v9
	v_mov_b32_e32 v9, v62
	v_mov_b32_e32 v11, v18
.LBB127_32:                             ;   in Loop: Header=BB127_22 Depth=2
	s_or_b64 exec, exec, s[2:3]
	v_cmp_eq_u32_e32 vcc, 1, v60
	v_cndmask_b32_e32 v12, v12, v13, vcc
	v_cmp_eq_u32_e32 vcc, 2, v60
	v_cndmask_b32_e32 v12, v12, v14, vcc
	;; [unrolled: 2-line block ×3, first 2 shown]
	v_cvt_f32_u32_e32 v13, v12
	v_mov_b32_e32 v14, 0x2f800000
	v_mul_f32_e32 v1, v1, v1
	v_mul_f32_e32 v12, v16, v16
	v_fmac_f32_e32 v14, 0x2f800000, v13
	v_sub_f32_e32 v13, 1.0, v14
	v_mul_f32_e32 v14, 0xbd0793de, v1
	v_fma_f32 v14, v1, v14, 1.0
	v_mul_f32_e32 v12, v16, v12
	v_cmp_nlt_f32_e32 vcc, v13, v14
                                        ; implicit-def: $sgpr2_sgpr3
	s_and_saveexec_b64 s[26:27], vcc
	s_xor_b64 s[26:27], exec, s[26:27]
	s_cbranch_execz .LBB127_36
; %bb.33:                               ;   in Loop: Header=BB127_22 Depth=2
	v_cmp_gt_f32_e32 vcc, s56, v13
	v_cndmask_b32_e32 v14, 1.0, v33, vcc
	v_mul_f32_e32 v13, v13, v14
	v_log_f32_e32 v13, v13
	v_mul_f32_e32 v14, 0x3f317217, v13
	v_fma_f32 v15, v13, s57, -v14
	v_fmac_f32_e32 v15, 0x3377d1cf, v13
	v_add_f32_e32 v14, v14, v15
	v_cmp_lt_f32_e64 s[2:3], |v13|, s42
	v_cndmask_b32_e64 v13, v13, v14, s[2:3]
	v_cmp_gt_f32_e64 s[2:3], s56, v12
	v_cndmask_b32_e64 v14, 1.0, v33, s[2:3]
	v_mul_f32_e32 v14, v12, v14
	v_log_f32_e32 v14, v14
	v_cndmask_b32_e32 v15, 0, v34, vcc
	v_sub_f32_e32 v13, v13, v15
	v_sub_f32_e32 v15, 1.0, v12
	v_mul_f32_e32 v16, 0x3f317217, v14
	v_fma_f32 v17, v14, s57, -v16
	v_fmac_f32_e32 v17, 0x3377d1cf, v14
	v_add_f32_e32 v16, v16, v17
	v_cmp_lt_f32_e64 vcc, |v14|, s42
	v_cndmask_b32_e32 v14, v14, v16, vcc
	v_cndmask_b32_e64 v16, 0, v34, s[2:3]
	v_sub_f32_e32 v14, v14, v16
	v_add_f32_e32 v14, v15, v14
	v_mul_f32_e32 v14, v39, v14
	v_fmac_f32_e32 v14, 0.5, v1
	v_cmp_lt_f32_e32 vcc, v13, v14
	s_mov_b64 s[2:3], -1
	s_and_saveexec_b64 s[28:29], vcc
; %bb.34:                               ;   in Loop: Header=BB127_22 Depth=2
	v_mul_f32_e32 v45, v41, v12
	s_xor_b64 s[2:3], exec, -1
; %bb.35:                               ;   in Loop: Header=BB127_22 Depth=2
	s_or_b64 exec, exec, s[28:29]
	s_and_b64 s[2:3], s[2:3], exec
                                        ; implicit-def: $vgpr12
.LBB127_36:                             ;   in Loop: Header=BB127_22 Depth=2
	s_andn2_saveexec_b64 s[26:27], s[26:27]
	s_cbranch_execz .LBB127_21
; %bb.37:                               ;   in Loop: Header=BB127_22 Depth=2
	v_mul_f32_e32 v45, v41, v12
	s_andn2_b64 s[2:3], s[2:3], exec
	s_branch .LBB127_21
.LBB127_38:
	s_endpgm
	.section	.rodata,"a",@progbits
	.p2align	6, 0x0
	.amdhsa_kernel _ZN2at4cuda12_GLOBAL__N_121kernelPointwiseApply2IZN12_GLOBAL__N_117gamma_cuda_kernelIfEEvRKNS_10TensorBaseES7_NS_15PhiloxCudaStateEEUlRfRKfE_ffjLin1ELi2ELi1ELi256ELi2EEEvNS0_6detail10TensorInfoIT0_T2_EENSE_IT1_SG_EESG_T_
		.amdhsa_group_segment_fixed_size 0
		.amdhsa_private_segment_fixed_size 0
		.amdhsa_kernarg_size 728
		.amdhsa_user_sgpr_count 6
		.amdhsa_user_sgpr_private_segment_buffer 1
		.amdhsa_user_sgpr_dispatch_ptr 0
		.amdhsa_user_sgpr_queue_ptr 0
		.amdhsa_user_sgpr_kernarg_segment_ptr 1
		.amdhsa_user_sgpr_dispatch_id 0
		.amdhsa_user_sgpr_flat_scratch_init 0
		.amdhsa_user_sgpr_kernarg_preload_length 0
		.amdhsa_user_sgpr_kernarg_preload_offset 0
		.amdhsa_user_sgpr_private_segment_size 0
		.amdhsa_uses_dynamic_stack 0
		.amdhsa_system_sgpr_private_segment_wavefront_offset 0
		.amdhsa_system_sgpr_workgroup_id_x 1
		.amdhsa_system_sgpr_workgroup_id_y 0
		.amdhsa_system_sgpr_workgroup_id_z 0
		.amdhsa_system_sgpr_workgroup_info 0
		.amdhsa_system_vgpr_workitem_id 0
		.amdhsa_next_free_vgpr 66
		.amdhsa_next_free_sgpr 65
		.amdhsa_accum_offset 68
		.amdhsa_reserve_vcc 1
		.amdhsa_reserve_flat_scratch 0
		.amdhsa_float_round_mode_32 0
		.amdhsa_float_round_mode_16_64 0
		.amdhsa_float_denorm_mode_32 3
		.amdhsa_float_denorm_mode_16_64 3
		.amdhsa_dx10_clamp 1
		.amdhsa_ieee_mode 1
		.amdhsa_fp16_overflow 0
		.amdhsa_tg_split 0
		.amdhsa_exception_fp_ieee_invalid_op 0
		.amdhsa_exception_fp_denorm_src 0
		.amdhsa_exception_fp_ieee_div_zero 0
		.amdhsa_exception_fp_ieee_overflow 0
		.amdhsa_exception_fp_ieee_underflow 0
		.amdhsa_exception_fp_ieee_inexact 0
		.amdhsa_exception_int_div_zero 0
	.end_amdhsa_kernel
	.section	.text._ZN2at4cuda12_GLOBAL__N_121kernelPointwiseApply2IZN12_GLOBAL__N_117gamma_cuda_kernelIfEEvRKNS_10TensorBaseES7_NS_15PhiloxCudaStateEEUlRfRKfE_ffjLin1ELi2ELi1ELi256ELi2EEEvNS0_6detail10TensorInfoIT0_T2_EENSE_IT1_SG_EESG_T_,"axG",@progbits,_ZN2at4cuda12_GLOBAL__N_121kernelPointwiseApply2IZN12_GLOBAL__N_117gamma_cuda_kernelIfEEvRKNS_10TensorBaseES7_NS_15PhiloxCudaStateEEUlRfRKfE_ffjLin1ELi2ELi1ELi256ELi2EEEvNS0_6detail10TensorInfoIT0_T2_EENSE_IT1_SG_EESG_T_,comdat
.Lfunc_end127:
	.size	_ZN2at4cuda12_GLOBAL__N_121kernelPointwiseApply2IZN12_GLOBAL__N_117gamma_cuda_kernelIfEEvRKNS_10TensorBaseES7_NS_15PhiloxCudaStateEEUlRfRKfE_ffjLin1ELi2ELi1ELi256ELi2EEEvNS0_6detail10TensorInfoIT0_T2_EENSE_IT1_SG_EESG_T_, .Lfunc_end127-_ZN2at4cuda12_GLOBAL__N_121kernelPointwiseApply2IZN12_GLOBAL__N_117gamma_cuda_kernelIfEEvRKNS_10TensorBaseES7_NS_15PhiloxCudaStateEEUlRfRKfE_ffjLin1ELi2ELi1ELi256ELi2EEEvNS0_6detail10TensorInfoIT0_T2_EENSE_IT1_SG_EESG_T_
                                        ; -- End function
	.section	.AMDGPU.csdata,"",@progbits
; Kernel info:
; codeLenInByte = 5440
; NumSgprs: 69
; NumVgprs: 66
; NumAgprs: 0
; TotalNumVgprs: 66
; ScratchSize: 0
; MemoryBound: 0
; FloatMode: 240
; IeeeMode: 1
; LDSByteSize: 0 bytes/workgroup (compile time only)
; SGPRBlocks: 8
; VGPRBlocks: 8
; NumSGPRsForWavesPerEU: 69
; NumVGPRsForWavesPerEU: 66
; AccumOffset: 68
; Occupancy: 7
; WaveLimiterHint : 1
; COMPUTE_PGM_RSRC2:SCRATCH_EN: 0
; COMPUTE_PGM_RSRC2:USER_SGPR: 6
; COMPUTE_PGM_RSRC2:TRAP_HANDLER: 0
; COMPUTE_PGM_RSRC2:TGID_X_EN: 1
; COMPUTE_PGM_RSRC2:TGID_Y_EN: 0
; COMPUTE_PGM_RSRC2:TGID_Z_EN: 0
; COMPUTE_PGM_RSRC2:TIDIG_COMP_CNT: 0
; COMPUTE_PGM_RSRC3_GFX90A:ACCUM_OFFSET: 16
; COMPUTE_PGM_RSRC3_GFX90A:TG_SPLIT: 0
	.section	.text._ZN2at4cuda12_GLOBAL__N_121kernelPointwiseApply2IZN12_GLOBAL__N_117gamma_cuda_kernelIfEEvRKNS_10TensorBaseES7_NS_15PhiloxCudaStateEEUlRfRKfE_ffjLin1ELin1ELi1ELi256ELi2EEEvNS0_6detail10TensorInfoIT0_T2_EENSE_IT1_SG_EESG_T_,"axG",@progbits,_ZN2at4cuda12_GLOBAL__N_121kernelPointwiseApply2IZN12_GLOBAL__N_117gamma_cuda_kernelIfEEvRKNS_10TensorBaseES7_NS_15PhiloxCudaStateEEUlRfRKfE_ffjLin1ELin1ELi1ELi256ELi2EEEvNS0_6detail10TensorInfoIT0_T2_EENSE_IT1_SG_EESG_T_,comdat
	.globl	_ZN2at4cuda12_GLOBAL__N_121kernelPointwiseApply2IZN12_GLOBAL__N_117gamma_cuda_kernelIfEEvRKNS_10TensorBaseES7_NS_15PhiloxCudaStateEEUlRfRKfE_ffjLin1ELin1ELi1ELi256ELi2EEEvNS0_6detail10TensorInfoIT0_T2_EENSE_IT1_SG_EESG_T_ ; -- Begin function _ZN2at4cuda12_GLOBAL__N_121kernelPointwiseApply2IZN12_GLOBAL__N_117gamma_cuda_kernelIfEEvRKNS_10TensorBaseES7_NS_15PhiloxCudaStateEEUlRfRKfE_ffjLin1ELin1ELi1ELi256ELi2EEEvNS0_6detail10TensorInfoIT0_T2_EENSE_IT1_SG_EESG_T_
	.p2align	8
	.type	_ZN2at4cuda12_GLOBAL__N_121kernelPointwiseApply2IZN12_GLOBAL__N_117gamma_cuda_kernelIfEEvRKNS_10TensorBaseES7_NS_15PhiloxCudaStateEEUlRfRKfE_ffjLin1ELin1ELi1ELi256ELi2EEEvNS0_6detail10TensorInfoIT0_T2_EENSE_IT1_SG_EESG_T_,@function
_ZN2at4cuda12_GLOBAL__N_121kernelPointwiseApply2IZN12_GLOBAL__N_117gamma_cuda_kernelIfEEvRKNS_10TensorBaseES7_NS_15PhiloxCudaStateEEUlRfRKfE_ffjLin1ELin1ELi1ELi256ELi2EEEvNS0_6detail10TensorInfoIT0_T2_EENSE_IT1_SG_EESG_T_: ; @_ZN2at4cuda12_GLOBAL__N_121kernelPointwiseApply2IZN12_GLOBAL__N_117gamma_cuda_kernelIfEEvRKNS_10TensorBaseES7_NS_15PhiloxCudaStateEEUlRfRKfE_ffjLin1ELin1ELi1ELi256ELi2EEEvNS0_6detail10TensorInfoIT0_T2_EENSE_IT1_SG_EESG_T_
; %bb.0:
	s_load_dword s2, s[4:5], 0x1e4
	s_load_dword s33, s[4:5], 0x1b0
	s_add_u32 s0, s4, 0x1d8
	s_addc_u32 s1, s5, 0
	s_waitcnt lgkmcnt(0)
	s_and_b32 s2, s2, 0xffff
	s_mul_i32 s6, s6, s2
	v_add_u32_e32 v2, s6, v0
	v_cmp_gt_u32_e32 vcc, s33, v2
	s_and_saveexec_b64 s[6:7], vcc
	s_cbranch_execz .LBB128_41
; %bb.1:
	s_add_u32 s24, s4, 0xd8
	s_load_dword s39, s[0:1], 0x0
	s_load_dword s3, s[4:5], 0x1d0
	;; [unrolled: 1-line block ×3, first 2 shown]
	s_load_dwordx2 s[6:7], s[4:5], 0x1c8
	s_load_dwordx4 s[8:11], s[4:5], 0x1b8
	s_load_dword s26, s[4:5], 0x1a8
	s_load_dwordx2 s[12:13], s[4:5], 0xd8
	s_load_dword s36, s[4:5], 0x6c
	s_addc_u32 s25, s5, 0
	s_waitcnt lgkmcnt(0)
	s_cmp_gt_i32 s22, 1
	s_cselect_b64 s[14:15], -1, 0
	s_cmp_gt_i32 s26, 1
	s_mov_b32 s38, 0xcd9e8d57
	s_cselect_b64 s[16:17], -1, 0
	s_bitcmp1_b32 s3, 0
	v_mad_u64_u32 v[20:21], s[0:1], v2, s38, 0
	s_cselect_b64 s[20:21], -1, 0
	s_add_i32 s0, s22, -1
	s_mov_b32 s1, 0
	s_mul_i32 s39, s39, s2
	s_add_i32 s40, s22, 1
	s_lshl_b64 s[2:3], s[0:1], 2
	s_add_u32 s0, s2, s4
	s_addc_u32 s2, s3, s5
	s_add_u32 s22, s0, 8
	s_addc_u32 s23, s2, 0
	s_add_i32 s0, s26, -1
	s_load_dword s37, s[4:5], 0x144
	s_load_dwordx2 s[18:19], s[4:5], 0x0
	s_add_i32 s41, s26, 1
	s_lshl_b64 s[0:1], s[0:1], 2
	s_add_u32 s0, s0, s24
	s_addc_u32 s1, s1, s25
	s_add_u32 s24, s0, 8
	v_mov_b32_e32 v3, 0
	v_mov_b32_e32 v22, v21
	s_addc_u32 s25, s1, 0
	s_mov_b64 s[26:27], 0
	v_mov_b32_e32 v21, s13
	s_mov_b32 s13, 0xd2511f53
	s_mov_b32 s42, 0x3f2aaaab
	;; [unrolled: 1-line block ×3, first 2 shown]
	s_movk_i32 s44, 0x204
	s_mov_b32 s45, 0x7f800000
	s_mov_b32 s46, 0x42b17218
	;; [unrolled: 1-line block ×4, first 2 shown]
	s_brev_b32 s49, -2
	s_mov_b32 s50, 0xf800000
	v_mov_b32_e32 v23, 0x260
	s_mov_b32 s51, 0x3c6ef372
	s_mov_b32 s52, 0x76cf5d0a
	;; [unrolled: 1-line block ×17, first 2 shown]
	v_mov_b32_e32 v28, 0x37000000
	v_mov_b32_e32 v29, 0x7f800000
	;; [unrolled: 1-line block ×7, first 2 shown]
	s_branch .LBB128_4
.LBB128_2:                              ;   in Loop: Header=BB128_4 Depth=1
	s_or_b64 exec, exec, s[4:5]
.LBB128_3:                              ;   in Loop: Header=BB128_4 Depth=1
	s_or_b64 exec, exec, s[2:3]
	v_lshlrev_b64 v[0:1], 2, v[24:25]
	s_waitcnt lgkmcnt(0)
	v_mov_b32_e32 v4, s19
	v_add_co_u32_e32 v0, vcc, s18, v0
	v_addc_co_u32_e32 v1, vcc, v4, v1, vcc
	v_cmp_ngt_f32_e32 vcc, s59, v43
	v_add_u32_e32 v34, s39, v34
	v_cndmask_b32_e32 v4, v33, v43, vcc
	v_cmp_le_u32_e32 vcc, s33, v34
	s_or_b64 s[26:27], vcc, s[26:27]
	global_store_dword v[0:1], v4, off
	s_andn2_b64 exec, exec, s[26:27]
	s_cbranch_execz .LBB128_41
.LBB128_4:                              ; =>This Loop Header: Depth=1
                                        ;     Child Loop BB128_7 Depth 2
                                        ;     Child Loop BB128_12 Depth 2
	;; [unrolled: 1-line block ×3, first 2 shown]
                                        ;       Child Loop BB128_28 Depth 3
	v_sub_u32_e32 v0, s33, v34
	v_cmp_lt_i32_e64 s[0:1], 0, v0
	v_pk_mov_b32 v[24:25], 0, 0
	s_and_saveexec_b64 s[2:3], s[0:1]
	s_cbranch_execz .LBB128_9
; %bb.5:                                ;   in Loop: Header=BB128_4 Depth=1
	s_andn2_b64 vcc, exec, s[14:15]
	v_mov_b32_e32 v0, 0
	v_mov_b32_e32 v4, v34
	s_cbranch_vccnz .LBB128_8
; %bb.6:                                ;   in Loop: Header=BB128_4 Depth=1
	v_mov_b32_e32 v0, 0
	s_mov_b64 s[4:5], s[22:23]
	s_mov_b32 s28, s40
	v_mov_b32_e32 v4, v34
.LBB128_7:                              ;   Parent Loop BB128_4 Depth=1
                                        ; =>  This Inner Loop Header: Depth=2
	s_load_dword s29, s[4:5], 0x0
	s_load_dword s30, s[4:5], 0x64
	v_mov_b32_e32 v1, v4
	s_add_i32 s28, s28, -1
	s_waitcnt lgkmcnt(0)
	v_cvt_f32_u32_e32 v4, s29
	s_sub_i32 s31, 0, s29
	s_add_u32 s4, s4, -4
	s_addc_u32 s5, s5, -1
	v_rcp_iflag_f32_e32 v4, v4
	s_cmp_gt_u32 s28, 2
	v_mul_f32_e32 v4, 0x4f7ffffe, v4
	v_cvt_u32_f32_e32 v4, v4
	v_mul_lo_u32 v5, s31, v4
	v_mul_hi_u32 v5, v4, v5
	v_add_u32_e32 v4, v4, v5
	v_mul_hi_u32 v4, v1, v4
	v_mul_lo_u32 v5, v4, s29
	v_sub_u32_e32 v5, v1, v5
	v_add_u32_e32 v6, 1, v4
	v_cmp_le_u32_e32 vcc, s29, v5
	v_cndmask_b32_e32 v4, v4, v6, vcc
	v_subrev_u32_e32 v6, s29, v5
	v_cndmask_b32_e32 v5, v5, v6, vcc
	v_add_u32_e32 v6, 1, v4
	v_cmp_le_u32_e32 vcc, s29, v5
	v_cndmask_b32_e32 v4, v4, v6, vcc
	v_mul_lo_u32 v5, v4, s29
	v_sub_u32_e32 v1, v1, v5
	v_mad_u64_u32 v[0:1], s[30:31], s30, v1, v[0:1]
	s_cbranch_scc1 .LBB128_7
.LBB128_8:                              ;   in Loop: Header=BB128_4 Depth=1
	v_mad_u64_u32 v[24:25], s[4:5], s36, v4, v[0:1]
	v_mov_b32_e32 v25, v3
.LBB128_9:                              ;   in Loop: Header=BB128_4 Depth=1
	s_or_b64 exec, exec, s[2:3]
	v_pk_mov_b32 v[0:1], 0, 0
	s_and_saveexec_b64 s[2:3], s[0:1]
	s_cbranch_execz .LBB128_14
; %bb.10:                               ;   in Loop: Header=BB128_4 Depth=1
	s_andn2_b64 vcc, exec, s[16:17]
	v_mov_b32_e32 v0, 0
	v_mov_b32_e32 v4, v34
	s_cbranch_vccnz .LBB128_13
; %bb.11:                               ;   in Loop: Header=BB128_4 Depth=1
	v_mov_b32_e32 v0, 0
	s_mov_b64 s[0:1], s[24:25]
	s_mov_b32 s4, s41
	v_mov_b32_e32 v4, v34
.LBB128_12:                             ;   Parent Loop BB128_4 Depth=1
                                        ; =>  This Inner Loop Header: Depth=2
	s_load_dword s5, s[0:1], 0x0
	s_load_dword s28, s[0:1], 0x64
	v_mov_b32_e32 v1, v4
	s_add_i32 s4, s4, -1
	s_waitcnt lgkmcnt(0)
	v_cvt_f32_u32_e32 v4, s5
	s_sub_i32 s29, 0, s5
	s_add_u32 s0, s0, -4
	s_addc_u32 s1, s1, -1
	v_rcp_iflag_f32_e32 v4, v4
	s_cmp_gt_u32 s4, 2
	v_mul_f32_e32 v4, 0x4f7ffffe, v4
	v_cvt_u32_f32_e32 v4, v4
	v_mul_lo_u32 v5, s29, v4
	v_mul_hi_u32 v5, v4, v5
	v_add_u32_e32 v4, v4, v5
	v_mul_hi_u32 v4, v1, v4
	v_mul_lo_u32 v5, v4, s5
	v_sub_u32_e32 v5, v1, v5
	v_add_u32_e32 v6, 1, v4
	v_cmp_le_u32_e32 vcc, s5, v5
	v_cndmask_b32_e32 v4, v4, v6, vcc
	v_subrev_u32_e32 v6, s5, v5
	v_cndmask_b32_e32 v5, v5, v6, vcc
	v_add_u32_e32 v6, 1, v4
	v_cmp_le_u32_e32 vcc, s5, v5
	v_cndmask_b32_e32 v4, v4, v6, vcc
	v_mul_lo_u32 v5, v4, s5
	v_sub_u32_e32 v1, v1, v5
	v_mad_u64_u32 v[0:1], s[28:29], s28, v1, v[0:1]
	s_cbranch_scc1 .LBB128_12
.LBB128_13:                             ;   in Loop: Header=BB128_4 Depth=1
	s_waitcnt lgkmcnt(0)
	v_mad_u64_u32 v[0:1], s[0:1], s37, v4, v[0:1]
	v_mov_b32_e32 v1, v3
.LBB128_14:                             ;   in Loop: Header=BB128_4 Depth=1
	s_or_b64 exec, exec, s[2:3]
	v_lshlrev_b64 v[0:1], 2, v[0:1]
	v_add_co_u32_e32 v0, vcc, s12, v0
	v_addc_co_u32_e32 v1, vcc, v21, v1, vcc
	global_load_dword v37, v[0:1], off
	s_andn2_b64 vcc, exec, s[20:21]
	v_pk_mov_b32 v[0:1], s[10:11], s[10:11] op_sel:[0,1]
	v_pk_mov_b32 v[26:27], s[8:9], s[8:9] op_sel:[0,1]
	s_cbranch_vccnz .LBB128_16
; %bb.15:                               ;   in Loop: Header=BB128_4 Depth=1
	v_pk_mov_b32 v[0:1], s[10:11], s[10:11] op_sel:[0,1]
	flat_load_dwordx2 v[0:1], v[0:1]
	v_pk_mov_b32 v[4:5], s[8:9], s[8:9] op_sel:[0,1]
	flat_load_dwordx2 v[26:27], v[4:5]
	v_mov_b32_e32 v4, s7
	s_waitcnt vmcnt(0) lgkmcnt(0)
	v_add_co_u32_e32 v0, vcc, s6, v0
	v_addc_co_u32_e32 v1, vcc, v1, v4, vcc
.LBB128_16:                             ;   in Loop: Header=BB128_4 Depth=1
	v_and_b32_e32 v57, 3, v0
	v_alignbit_b32 v0, v1, v0, 2
	v_mad_u64_u32 v[6:7], s[0:1], v0, s13, 0
	v_lshrrev_b32_e32 v1, 2, v1
	v_xor_b32_e32 v5, v7, v27
	v_xor_b32_e32 v7, v22, v26
	v_mov_b32_e32 v4, v27
	v_xor_b32_e32 v7, v7, v1
	v_add_co_u32_e32 v38, vcc, s61, v4
	v_mad_u64_u32 v[8:9], s[0:1], v7, s13, 0
	v_mad_u64_u32 v[10:11], s[0:1], v5, s38, 0
	v_add_co_u32_e32 v39, vcc, 0x9e3779b9, v26
	v_xor_b32_e32 v5, v20, v11
	v_xor_b32_e32 v7, v38, v9
	v_xor_b32_e32 v5, v5, v39
	v_xor_b32_e32 v9, v7, v6
	v_add_co_u32_e32 v41, vcc, s51, v26
	v_add_co_u32_e32 v40, vcc, s52, v4
	v_mad_u64_u32 v[6:7], s[0:1], v5, s13, 0
	v_mad_u64_u32 v[12:13], s[0:1], v9, s38, 0
	v_xor_b32_e32 v5, v41, v13
	v_xor_b32_e32 v7, v40, v7
	v_xor_b32_e32 v5, v5, v10
	v_xor_b32_e32 v7, v7, v8
	v_add_co_u32_e32 v43, vcc, s62, v26
	v_add_co_u32_e32 v42, vcc, s53, v4
	v_mad_u64_u32 v[8:9], s[0:1], v5, s13, 0
	v_mad_u64_u32 v[10:11], s[0:1], v7, s38, 0
	;; [unrolled: 8-line block ×7, first 2 shown]
	v_xor_b32_e32 v7, v53, v7
	v_xor_b32_e32 v5, v52, v5
	;; [unrolled: 1-line block ×4, first 2 shown]
	v_mad_u64_u32 v[16:17], s[0:1], v7, s13, 0
	v_mad_u64_u32 v[18:19], s[0:1], v5, s38, 0
	v_add_u32_e32 v35, 0x8ff34781, v26
	v_add_u32_e32 v36, 0x96a522ad, v27
	v_xor_b32_e32 v5, v19, v6
	v_xor_b32_e32 v4, v17, v4
	;; [unrolled: 1-line block ×4, first 2 shown]
	v_pk_mov_b32 v[6:7], v[2:3], v[2:3] op_sel:[0,1]
	v_mov_b32_e32 v9, v18
	v_mov_b32_e32 v11, v16
	s_waitcnt vmcnt(0)
	v_cmp_gt_f32_e32 vcc, 1.0, v37
	s_mov_b64 s[0:1], -1
	v_mov_b32_e32 v19, 1.0
	v_pk_mov_b32 v[4:5], v[0:1], v[0:1] op_sel:[0,1]
                                        ; implicit-def: $sgpr2
	s_and_saveexec_b64 s[28:29], vcc
	s_cbranch_execz .LBB128_22
; %bb.17:                               ;   in Loop: Header=BB128_4 Depth=1
	v_cmp_neq_f32_e32 vcc, 0, v37
	s_mov_b64 s[34:35], 0
	v_mov_b32_e32 v19, 1.0
                                        ; implicit-def: $vgpr4_vgpr5_vgpr6_vgpr7
	s_and_saveexec_b64 s[30:31], vcc
	s_cbranch_execz .LBB128_21
; %bb.18:                               ;   in Loop: Header=BB128_4 Depth=1
	v_add_u32_e32 v17, 1, v57
	v_pk_mov_b32 v[14:15], v[10:11], v[10:11] op_sel:[0,1]
	v_pk_mov_b32 v[6:7], v[2:3], v[2:3] op_sel:[0,1]
	v_cmp_eq_u32_e32 vcc, 4, v17
	v_pk_mov_b32 v[12:13], v[8:9], v[8:9] op_sel:[0,1]
	v_pk_mov_b32 v[4:5], v[0:1], v[0:1] op_sel:[0,1]
	s_and_saveexec_b64 s[0:1], vcc
	s_cbranch_execz .LBB128_20
; %bb.19:                               ;   in Loop: Header=BB128_4 Depth=1
	v_add_co_u32_e32 v4, vcc, 1, v0
	v_cndmask_b32_e64 v0, 0, 1, vcc
	v_addc_co_u32_e32 v5, vcc, 0, v1, vcc
	v_cmp_eq_u32_e32 vcc, 0, v5
	v_cndmask_b32_e32 v0, 0, v0, vcc
	v_add_u32_e32 v6, v0, v2
	v_cmp_eq_u32_e32 vcc, 0, v6
	v_cndmask_b32_e32 v7, 0, v0, vcc
	v_mad_u64_u32 v[0:1], s[2:3], v4, s13, 0
	v_mad_u64_u32 v[12:13], s[2:3], v6, s38, 0
	v_xor_b32_e32 v9, v13, v26
	v_xor_b32_e32 v1, v1, v27
	v_xor_b32_e32 v9, v5, v9
	v_xor_b32_e32 v1, v7, v1
	v_mad_u64_u32 v[14:15], s[2:3], v9, s13, 0
	v_mad_u64_u32 v[54:55], s[2:3], v1, s38, 0
	v_xor_b32_e32 v1, v39, v55
	v_xor_b32_e32 v9, v38, v15
	v_xor_b32_e32 v1, v1, v12
	v_xor_b32_e32 v9, v9, v0
	;; [unrolled: 6-line block ×9, first 2 shown]
	v_mad_u64_u32 v[38:39], s[2:3], v9, s13, 0
	v_mad_u64_u32 v[40:41], s[2:3], v1, s38, 0
	v_xor_b32_e32 v1, v41, v12
	v_xor_b32_e32 v0, v39, v0
	v_mov_b32_e32 v17, 0
	v_xor_b32_e32 v12, v35, v1
	v_xor_b32_e32 v14, v36, v0
	v_mov_b32_e32 v13, v40
	v_mov_b32_e32 v15, v38
.LBB128_20:                             ;   in Loop: Header=BB128_4 Depth=1
	s_or_b64 exec, exec, s[0:1]
	v_cmp_eq_u32_e32 vcc, 1, v57
	v_cndmask_b32_e32 v0, v8, v18, vcc
	v_cmp_eq_u32_e32 vcc, 2, v57
	v_cndmask_b32_e32 v0, v0, v10, vcc
	;; [unrolled: 2-line block ×3, first 2 shown]
	v_div_scale_f32 v1, s[0:1], v37, v37, 1.0
	v_cvt_f32_u32_e32 v0, v0
	v_rcp_f32_e32 v8, v1
	v_mov_b32_e32 v9, 0x2f800000
	s_mov_b64 s[34:35], exec
	v_fmac_f32_e32 v9, 0x2f800000, v0
	v_fma_f32 v0, -v1, v8, 1.0
	v_fmac_f32_e32 v8, v0, v8
	v_div_scale_f32 v0, vcc, 1.0, v37, 1.0
	v_sub_f32_e32 v46, 1.0, v9
	v_mul_f32_e32 v9, v0, v8
	v_fma_f32 v10, -v1, v9, v0
	v_fmac_f32_e32 v9, v10, v8
	v_fma_f32 v0, -v1, v9, v0
	v_div_fmas_f32 v0, v0, v8, v9
	v_div_fixup_f32 v47, v0, v37, 1.0
	v_cmp_eq_f32_e32 vcc, 1.0, v46
	v_cndmask_b32_e64 v48, v47, 1.0, vcc
	v_cmp_eq_f32_e64 s[0:1], 0, v48
	v_cndmask_b32_e64 v49, |v46|, 1.0, s[0:1]
	v_frexp_mant_f32_e32 v0, v49
	v_cmp_gt_f32_e64 s[2:3], s42, v0
	v_cndmask_b32_e64 v1, 1.0, 2.0, s[2:3]
	v_mul_f32_e32 v0, v0, v1
	v_add_f32_e32 v9, 1.0, v0
	v_rcp_f32_e32 v16, v9
	v_add_f32_e32 v1, -1.0, v9
	v_sub_f32_e32 v11, v0, v1
	v_add_f32_e32 v1, -1.0, v0
	v_mul_f32_e32 v38, v1, v16
	v_mul_f32_e32 v8, v9, v38
	v_fma_f32 v10, v38, v9, -v8
	v_fmac_f32_e32 v10, v38, v11
	v_add_f32_e32 v0, v8, v10
	v_sub_f32_e32 v9, v1, v0
	v_pk_add_f32 v[18:19], v[0:1], v[8:9] neg_lo:[0,1] neg_hi:[0,1]
	v_mov_b32_e32 v11, v0
	v_pk_add_f32 v[0:1], v[18:19], v[10:11] neg_lo:[0,1] neg_hi:[0,1]
	v_add_f32_e32 v0, v0, v1
	v_add_f32_e32 v0, v9, v0
	v_mul_f32_e32 v1, v16, v0
	v_add_f32_e32 v0, v38, v1
	v_sub_f32_e32 v8, v0, v38
	v_sub_f32_e32 v16, v1, v8
	v_mul_f32_e32 v1, v0, v0
	v_fma_f32 v9, v0, v0, -v1
	v_add_f32_e32 v8, v16, v16
	v_fmac_f32_e32 v9, v0, v8
	v_add_f32_e32 v8, v1, v9
	v_mov_b32_e32 v10, 0x3e91f4c4
	v_fmac_f32_e32 v10, 0x3e76c4e1, v8
	v_mov_b32_e32 v11, 0x3ecccdef
	v_fma_f32 v10, v8, v10, v11
	v_sub_f32_e32 v1, v8, v1
	v_sub_f32_e32 v40, v9, v1
	v_mul_f32_e32 v1, v8, v10
	v_fma_f32 v9, v8, v10, -v1
	v_fmac_f32_e32 v9, v40, v10
	v_add_f32_e32 v10, v1, v9
	v_add_f32_e32 v11, 0x3f2aaaaa, v10
	v_sub_f32_e32 v1, v10, v1
	v_sub_f32_e32 v1, v9, v1
	v_add_f32_e32 v9, 0xbf2aaaaa, v11
	v_add_f32_e32 v1, 0x31739010, v1
	v_sub_f32_e32 v9, v10, v9
	v_pk_mul_f32 v[18:19], v[0:1], v[8:9]
	v_fma_f32 v10, v8, v0, -v18
	v_pk_add_f32 v[38:39], v[0:1], v[8:9]
	v_fmac_f32_e32 v10, v8, v16
	v_mov_b32_e32 v19, v39
	v_fmac_f32_e32 v10, v40, v0
	v_pk_add_f32 v[8:9], v[18:19], v[10:11]
	v_sub_f32_e32 v1, v8, v18
	v_sub_f32_e32 v1, v10, v1
	;; [unrolled: 1-line block ×3, first 2 shown]
	v_add_f32_e32 v38, v39, v10
	v_mov_b32_e32 v10, v9
	v_pk_mul_f32 v[10:11], v[8:9], v[10:11]
	v_cvt_f64_f32_e32 v[18:19], v49
	v_frexp_exp_i32_f64_e32 v11, v[18:19]
	v_subbrev_co_u32_e64 v11, s[2:3], 0, v11, s[2:3]
	v_cvt_f32_i32_e32 v11, v11
	v_fma_f32 v18, v8, v9, -v10
	v_fmac_f32_e32 v18, v8, v38
	v_fmac_f32_e32 v18, v1, v9
	v_mul_f32_e32 v8, 0x3f317218, v11
	v_fma_f32 v38, v11, s43, -v8
	v_fmac_f32_e32 v38, 0xb102e308, v11
	v_ldexp_f32 v39, v0, 1
	v_add_f32_e32 v9, v10, v18
	v_pk_add_f32 v[0:1], v[8:9], v[38:39]
	v_mov_b32_e32 v40, v9
	v_mov_b32_e32 v41, v1
	;; [unrolled: 1-line block ×3, first 2 shown]
	v_pk_add_f32 v[10:11], v[40:41], v[10:11] neg_lo:[0,1] neg_hi:[0,1]
	v_mov_b32_e32 v19, v9
	v_ldexp_f32 v16, v16, 1
	v_pk_add_f32 v[10:11], v[18:19], v[10:11] neg_lo:[0,1] neg_hi:[0,1]
	v_add_f32_e32 v9, v16, v10
	v_add_f32_e32 v9, v9, v11
	v_pk_add_f32 v[10:11], v[0:1], v[8:9] neg_lo:[0,1] neg_hi:[0,1]
	v_pk_add_f32 v[18:19], v[0:1], v[8:9]
	v_mov_b32_e32 v40, v10
	v_mov_b32_e32 v41, v19
	;; [unrolled: 1-line block ×3, first 2 shown]
	v_pk_add_f32 v[40:41], v[38:39], v[40:41]
	v_mov_b32_e32 v8, v41
	v_pk_add_f32 v[42:43], v[8:9], v[0:1] neg_lo:[0,1] neg_hi:[0,1]
	v_mov_b32_e32 v43, v42
	v_mov_b32_e32 v40, v19
	;; [unrolled: 1-line block ×4, first 2 shown]
	v_pk_add_f32 v[10:11], v[38:39], v[10:11] neg_lo:[0,1] neg_hi:[0,1]
	v_pk_add_f32 v[44:45], v[18:19], v[42:43] neg_lo:[0,1] neg_hi:[0,1]
	;; [unrolled: 1-line block ×3, first 2 shown]
	v_mov_b32_e32 v38, v9
	v_pk_add_f32 v[0:1], v[38:39], v[0:1] neg_lo:[0,1] neg_hi:[0,1]
	v_mov_b32_e32 v44, v10
	v_pk_add_f32 v[18:19], v[44:45], v[0:1]
	v_mov_b32_e32 v16, v19
	v_pk_add_f32 v[38:39], v[18:19], v[16:17]
	v_pk_add_f32 v[8:9], v[8:9], v[38:39]
	v_mov_b32_e32 v11, v41
	v_mov_b32_e32 v19, v8
	v_pk_add_f32 v[40:41], v[18:19], v[10:11] neg_lo:[0,1] neg_hi:[0,1]
	v_mov_b32_e32 v1, v38
	v_sub_f32_e32 v9, v18, v40
	v_pk_add_f32 v[0:1], v[0:1], v[40:41] neg_lo:[0,1] neg_hi:[0,1]
	v_sub_f32_e32 v9, v10, v9
	v_add_f32_e32 v0, v0, v9
	v_add_f32_e32 v0, v0, v1
	;; [unrolled: 1-line block ×3, first 2 shown]
	v_sub_f32_e32 v8, v1, v8
	v_sub_f32_e32 v0, v0, v8
	v_mul_f32_e32 v8, v48, v1
	v_fma_f32 v1, v48, v1, -v8
	v_fmac_f32_e32 v1, v48, v0
	v_add_f32_e32 v0, v8, v1
	v_cmp_class_f32_e64 s[2:3], v8, s44
	v_sub_f32_e32 v9, v0, v8
	v_cndmask_b32_e64 v0, v0, v8, s[2:3]
	v_cmp_eq_f32_e64 s[2:3], s46, v0
	v_cndmask_b32_e64 v8, 0, v28, s[2:3]
	v_sub_f32_e32 v1, v1, v9
	v_sub_f32_e32 v9, v0, v8
	v_mul_f32_e32 v10, 0x3fb8aa3b, v9
	v_fma_f32 v11, v9, s47, -v10
	v_rndne_f32_e32 v16, v10
	v_fmac_f32_e32 v11, 0x32a5705f, v9
	v_sub_f32_e32 v10, v10, v16
	v_add_f32_e32 v10, v10, v11
	v_exp_f32_e32 v10, v10
	v_cvt_i32_f32_e32 v11, v16
	v_cmp_neq_f32_e64 s[2:3], |v0|, s45
	v_cndmask_b32_e64 v0, 0, v1, s[2:3]
	v_cmp_ngt_f32_e64 s[2:3], s48, v9
	v_ldexp_f32 v1, v10, v11
	v_cndmask_b32_e64 v1, 0, v1, s[2:3]
	v_cmp_nlt_f32_e64 s[2:3], s46, v9
	v_add_f32_e32 v0, v8, v0
	v_cndmask_b32_e64 v1, v29, v1, s[2:3]
	v_fma_f32 v0, v1, v0, v1
	v_cmp_class_f32_e64 s[2:3], v1, s44
	v_trunc_f32_e32 v8, v48
	v_cndmask_b32_e64 v0, v0, v1, s[2:3]
	v_cndmask_b32_e64 v1, v46, 1.0, s[0:1]
	v_cmp_eq_f32_e64 s[0:1], v8, v48
	v_mul_f32_e32 v8, 0.5, v48
	v_trunc_f32_e32 v9, v8
	v_cmp_neq_f32_e64 s[2:3], v9, v8
	s_and_b64 s[2:3], s[0:1], s[2:3]
	v_cndmask_b32_e64 v8, 1.0, v1, s[2:3]
	v_bfi_b32 v0, s49, v0, v8
	v_cndmask_b32_e64 v8, v30, v0, s[0:1]
	v_cmp_gt_f32_e64 s[0:1], 0, v1
	v_cndmask_b32_e64 v0, v0, v8, s[0:1]
	v_cndmask_b32_e64 v8, |v47|, 1.0, vcc
	v_cmp_neq_f32_e32 vcc, v48, v8
	v_cmp_gt_f32_e64 s[0:1], 1.0, v49
	s_xor_b64 s[0:1], vcc, s[0:1]
	v_cndmask_b32_e64 v9, v8, 0, s[0:1]
	v_cmp_eq_f32_e32 vcc, 1.0, v49
	v_cmp_eq_f32_e64 s[0:1], 0, v1
	v_cmp_gt_f32_e64 s[4:5], 0, v48
	v_cndmask_b32_e32 v9, v9, v49, vcc
	v_cmp_eq_f32_e32 vcc, s45, v8
	s_xor_b64 s[4:5], s[4:5], s[0:1]
	v_cndmask_b32_e32 v0, v0, v9, vcc
	v_cmp_eq_f32_e32 vcc, s45, v49
	v_cndmask_b32_e64 v8, v29, 0, s[4:5]
	v_cndmask_b32_e64 v1, 0, v1, s[2:3]
	v_bfi_b32 v1, s49, v8, v1
	s_or_b64 vcc, vcc, s[0:1]
	v_pk_mov_b32 v[8:9], v[12:13], v[12:13] op_sel:[0,1]
	v_cndmask_b32_e32 v19, v0, v1, vcc
	v_add_f32_e32 v37, 1.0, v37
	v_pk_mov_b32 v[10:11], v[14:15], v[14:15] op_sel:[0,1]
	v_mov_b32_e32 v57, v17
.LBB128_21:                             ;   in Loop: Header=BB128_4 Depth=1
	s_or_b64 exec, exec, s[30:31]
	s_mov_b32 s2, 0
	s_orn2_b64 s[0:1], s[34:35], exec
.LBB128_22:                             ;   in Loop: Header=BB128_4 Depth=1
	s_or_b64 exec, exec, s[28:29]
	v_mov_b32_e32 v43, s2
	s_and_saveexec_b64 s[2:3], s[0:1]
	s_cbranch_execz .LBB128_3
; %bb.23:                               ;   in Loop: Header=BB128_4 Depth=1
	v_add_f32_e32 v37, 0xbeaaaaab, v37
	v_mul_f32_e32 v0, 0x41100000, v37
	v_mul_f32_e32 v1, 0x4f800000, v0
	v_cmp_gt_f32_e32 vcc, s50, v0
	v_cndmask_b32_e32 v0, v0, v1, vcc
	v_sqrt_f32_e32 v1, v0
	v_mul_f32_e32 v39, v19, v37
	v_add_u32_e32 v40, 0x9e3779b9, v26
	v_add_u32_e32 v41, 0xbb67ae85, v27
	v_add_u32_e32 v12, -1, v1
	v_fma_f32 v14, -v12, v1, v0
	v_add_u32_e32 v13, 1, v1
	v_cmp_ge_f32_e64 s[0:1], 0, v14
	v_cndmask_b32_e64 v12, v1, v12, s[0:1]
	v_fma_f32 v1, -v13, v1, v0
	v_cmp_lt_f32_e64 s[0:1], 0, v1
	v_cndmask_b32_e64 v1, v12, v13, s[0:1]
	v_mul_f32_e32 v12, 0x37800000, v1
	v_cndmask_b32_e32 v1, v1, v12, vcc
	v_cmp_class_f32_e32 vcc, v0, v23
	v_cndmask_b32_e32 v0, v1, v0, vcc
	v_div_scale_f32 v1, s[0:1], v0, v0, 1.0
	v_rcp_f32_e32 v12, v1
	v_add_u32_e32 v42, 0x3c6ef372, v26
	v_add_u32_e32 v44, 0x76cf5d0a, v27
	;; [unrolled: 1-line block ×3, first 2 shown]
	v_fma_f32 v13, -v1, v12, 1.0
	v_fmac_f32_e32 v12, v13, v12
	v_div_scale_f32 v13, vcc, 1.0, v0, 1.0
	v_mul_f32_e32 v14, v13, v12
	v_fma_f32 v15, -v1, v14, v13
	v_fmac_f32_e32 v14, v15, v12
	v_fma_f32 v1, -v1, v14, v13
	v_div_fmas_f32 v1, v1, v12, v14
	v_div_fixup_f32 v38, v1, v0, 1.0
	v_add_u32_e32 v46, 0x32370b8f, v27
	v_add_u32_e32 v47, 0x78dde6e4, v26
	;; [unrolled: 1-line block ×11, first 2 shown]
	s_mov_b64 s[4:5], 0
	v_mov_b32_e32 v59, 0
                                        ; implicit-def: $vgpr0
                                        ; implicit-def: $vgpr43
	s_branch .LBB128_25
.LBB128_24:                             ;   in Loop: Header=BB128_25 Depth=2
	s_or_b64 exec, exec, s[28:29]
	s_xor_b64 s[0:1], s[0:1], -1
	s_and_b64 s[0:1], exec, s[0:1]
	s_or_b64 s[4:5], s[0:1], s[4:5]
	s_andn2_b64 exec, exec, s[4:5]
	s_cbranch_execz .LBB128_2
.LBB128_25:                             ;   Parent Loop BB128_4 Depth=1
                                        ; =>  This Loop Header: Depth=2
                                        ;       Child Loop BB128_28 Depth 3
	v_pk_mov_b32 v[14:15], v[10:11], v[10:11] op_sel:[0,1]
	s_mov_b64 s[28:29], 0
	v_mov_b32_e32 v58, v57
	v_pk_mov_b32 v[12:13], v[8:9], v[8:9] op_sel:[0,1]
	s_branch .LBB128_28
.LBB128_26:                             ;   in Loop: Header=BB128_28 Depth=3
	s_or_b64 exec, exec, s[0:1]
	v_cmp_eq_u32_e32 vcc, 1, v58
	v_cndmask_b32_e32 v1, v12, v13, vcc
	v_cmp_eq_u32_e32 vcc, 2, v58
	v_cndmask_b32_e32 v1, v1, v14, vcc
	;; [unrolled: 2-line block ×3, first 2 shown]
	v_cvt_f32_u32_e32 v1, v1
	v_cmp_eq_u32_e32 vcc, 1, v0
	v_cndmask_b32_e32 v8, v8, v9, vcc
	v_mov_b32_e32 v9, 0x2f800000
	v_cmp_eq_u32_e32 vcc, 2, v0
	v_fmac_f32_e32 v9, 0x2f800000, v1
	v_cndmask_b32_e32 v8, v8, v10, vcc
	v_cmp_gt_f32_e32 vcc, s59, v9
	v_cndmask_b32_e32 v1, 1.0, v31, vcc
	v_mul_f32_e32 v1, v9, v1
	v_log_f32_e32 v1, v1
	v_cmp_eq_u32_e64 s[0:1], 3, v0
	v_cndmask_b32_e64 v0, v8, v11, s[0:1]
	v_cvt_f32_u32_e32 v0, v0
	v_mul_f32_e32 v8, 0x3f317217, v1
	v_fma_f32 v9, v1, s60, -v8
	v_fmac_f32_e32 v9, 0x3377d1cf, v1
	v_add_f32_e32 v8, v8, v9
	v_cmp_lt_f32_e64 s[0:1], |v1|, s45
	v_cndmask_b32_e64 v1, v1, v8, s[0:1]
	v_cndmask_b32_e32 v8, 0, v32, vcc
	v_sub_f32_e32 v1, v1, v8
	v_mul_f32_e32 v1, -2.0, v1
	v_mul_f32_e32 v8, 0x4f800000, v1
	v_cmp_gt_f32_e32 vcc, s50, v1
	v_cndmask_b32_e32 v8, v1, v8, vcc
	v_sqrt_f32_e32 v1, v8
	v_mov_b32_e32 v9, 0x30c90fdb
	v_fmac_f32_e32 v9, 0x30c90fdb, v0
	v_pk_mov_b32 v[12:13], v[16:17], v[16:17] op_sel:[0,1]
	v_add_u32_e32 v0, -1, v1
	v_fma_f32 v10, -v0, v1, v8
	v_cmp_ge_f32_e64 s[0:1], 0, v10
	v_add_u32_e32 v10, 1, v1
	v_cndmask_b32_e64 v0, v1, v0, s[0:1]
	v_fma_f32 v1, -v10, v1, v8
	v_cmp_lt_f32_e64 s[0:1], 0, v1
	v_cndmask_b32_e64 v10, v0, v10, s[0:1]
	v_mul_f32_e32 v0, 0.15915494, v9
	v_sin_f32_e32 v1, v0
	v_cos_f32_e32 v0, v0
	v_mul_f32_e32 v11, 0x37800000, v10
	v_cndmask_b32_e32 v9, v10, v11, vcc
	v_cmp_class_f32_e32 vcc, v8, v23
	v_cndmask_b32_e32 v8, v9, v8, vcc
	v_pk_mul_f32 v[0:1], v[8:9], v[0:1] op_sel_hi:[0,1]
	v_mov_b32_e32 v59, 1
	v_pk_mov_b32 v[14:15], v[18:19], v[18:19] op_sel:[0,1]
	v_mov_b32_e32 v58, v57
.LBB128_27:                             ;   in Loop: Header=BB128_28 Depth=3
	s_or_b64 exec, exec, s[30:31]
	v_fma_f32 v16, v38, v1, 1.0
	v_cmp_nge_f32_e32 vcc, 0, v16
	s_or_b64 s[28:29], vcc, s[28:29]
	s_andn2_b64 exec, exec, s[28:29]
	s_cbranch_execz .LBB128_33
.LBB128_28:                             ;   Parent Loop BB128_4 Depth=1
                                        ;     Parent Loop BB128_25 Depth=2
                                        ; =>    This Inner Loop Header: Depth=3
	v_cmp_eq_u32_e32 vcc, 0, v59
	v_mov_b32_e32 v59, 0
	v_mov_b32_e32 v1, v0
	s_and_saveexec_b64 s[30:31], vcc
	s_cbranch_execz .LBB128_27
; %bb.29:                               ;   in Loop: Header=BB128_28 Depth=3
	v_add_u32_e32 v0, 1, v58
	v_pk_mov_b32 v[8:9], v[12:13], v[12:13] op_sel:[0,1]
	v_cmp_eq_u32_e32 vcc, 4, v0
	v_pk_mov_b32 v[10:11], v[14:15], v[14:15] op_sel:[0,1]
	s_and_saveexec_b64 s[0:1], vcc
	s_cbranch_execz .LBB128_31
; %bb.30:                               ;   in Loop: Header=BB128_28 Depth=3
	v_add_co_u32_e32 v4, vcc, 1, v4
	v_cndmask_b32_e64 v1, 0, 1, vcc
	v_addc_co_u32_e32 v5, vcc, 0, v5, vcc
	v_cmp_eq_u32_e32 vcc, 0, v5
	v_cndmask_b32_e32 v1, 0, v1, vcc
	v_add_u32_e32 v6, v1, v6
	v_cmp_eq_u32_e32 vcc, 0, v6
	v_cndmask_b32_e32 v1, 0, v1, vcc
	v_mad_u64_u32 v[8:9], s[34:35], v4, s13, 0
	v_mad_u64_u32 v[10:11], s[34:35], v6, s38, 0
	v_add_u32_e32 v7, v1, v7
	v_xor_b32_e32 v1, v11, v26
	v_xor_b32_e32 v9, v9, v27
	v_xor_b32_e32 v1, v5, v1
	v_xor_b32_e32 v9, v7, v9
	v_mad_u64_u32 v[16:17], s[34:35], v1, s13, 0
	v_mad_u64_u32 v[18:19], s[34:35], v9, s38, 0
	v_xor_b32_e32 v1, v19, v10
	v_xor_b32_e32 v8, v17, v8
	v_xor_b32_e32 v1, v40, v1
	v_xor_b32_e32 v10, v41, v8
	v_mad_u64_u32 v[8:9], s[34:35], v1, s13, 0
	v_mad_u64_u32 v[10:11], s[34:35], v10, s38, 0
	;; [unrolled: 6-line block ×9, first 2 shown]
	v_xor_b32_e32 v1, v19, v8
	v_xor_b32_e32 v8, v35, v1
	;; [unrolled: 1-line block ×3, first 2 shown]
	v_mov_b32_e32 v0, 0
	v_xor_b32_e32 v10, v36, v1
	v_mov_b32_e32 v9, v18
	v_mov_b32_e32 v11, v16
.LBB128_31:                             ;   in Loop: Header=BB128_28 Depth=3
	s_or_b64 exec, exec, s[0:1]
	v_add_u32_e32 v57, 1, v0
	v_pk_mov_b32 v[18:19], v[10:11], v[10:11] op_sel:[0,1]
	v_cmp_eq_u32_e32 vcc, 4, v57
	v_pk_mov_b32 v[16:17], v[8:9], v[8:9] op_sel:[0,1]
	s_and_saveexec_b64 s[0:1], vcc
	s_cbranch_execz .LBB128_26
; %bb.32:                               ;   in Loop: Header=BB128_28 Depth=3
	v_add_co_u32_e32 v4, vcc, 1, v4
	v_cndmask_b32_e64 v1, 0, 1, vcc
	v_addc_co_u32_e32 v5, vcc, 0, v5, vcc
	v_cmp_eq_u32_e32 vcc, 0, v5
	v_cndmask_b32_e32 v1, 0, v1, vcc
	v_add_u32_e32 v6, v1, v6
	v_cmp_eq_u32_e32 vcc, 0, v6
	v_cndmask_b32_e32 v1, 0, v1, vcc
	v_mad_u64_u32 v[16:17], s[34:35], v4, s13, 0
	v_mad_u64_u32 v[18:19], s[34:35], v6, s38, 0
	v_add_u32_e32 v7, v1, v7
	v_xor_b32_e32 v1, v19, v26
	v_xor_b32_e32 v17, v17, v27
	v_xor_b32_e32 v1, v5, v1
	v_xor_b32_e32 v17, v7, v17
	v_mad_u64_u32 v[60:61], s[34:35], v1, s13, 0
	v_mad_u64_u32 v[62:63], s[34:35], v17, s38, 0
	v_xor_b32_e32 v1, v63, v18
	v_xor_b32_e32 v16, v61, v16
	v_xor_b32_e32 v1, v40, v1
	v_xor_b32_e32 v18, v41, v16
	v_mad_u64_u32 v[16:17], s[34:35], v1, s13, 0
	v_mad_u64_u32 v[18:19], s[34:35], v18, s38, 0
	;; [unrolled: 6-line block ×9, first 2 shown]
	v_xor_b32_e32 v1, v63, v16
	v_xor_b32_e32 v16, v35, v1
	;; [unrolled: 1-line block ×3, first 2 shown]
	v_mov_b32_e32 v57, 0
	v_xor_b32_e32 v18, v36, v1
	v_mov_b32_e32 v17, v62
	v_mov_b32_e32 v19, v60
	s_branch .LBB128_26
.LBB128_33:                             ;   in Loop: Header=BB128_25 Depth=2
	s_or_b64 exec, exec, s[28:29]
	v_add_u32_e32 v57, 1, v58
	v_pk_mov_b32 v[8:9], v[12:13], v[12:13] op_sel:[0,1]
	v_cmp_eq_u32_e32 vcc, 4, v57
	v_pk_mov_b32 v[10:11], v[14:15], v[14:15] op_sel:[0,1]
	s_and_saveexec_b64 s[0:1], vcc
	s_cbranch_execz .LBB128_35
; %bb.34:                               ;   in Loop: Header=BB128_25 Depth=2
	v_add_co_u32_e32 v4, vcc, 1, v4
	v_cndmask_b32_e64 v8, 0, 1, vcc
	v_addc_co_u32_e32 v5, vcc, 0, v5, vcc
	v_cmp_eq_u32_e32 vcc, 0, v5
	v_cndmask_b32_e32 v8, 0, v8, vcc
	v_add_u32_e32 v6, v8, v6
	v_cmp_eq_u32_e32 vcc, 0, v6
	v_cndmask_b32_e32 v8, 0, v8, vcc
	v_add_u32_e32 v7, v8, v7
	v_mad_u64_u32 v[8:9], s[28:29], v4, s13, 0
	v_mad_u64_u32 v[10:11], s[28:29], v6, s38, 0
	v_xor_b32_e32 v11, v11, v26
	v_xor_b32_e32 v9, v9, v27
	v_xor_b32_e32 v11, v5, v11
	v_xor_b32_e32 v9, v7, v9
	v_mad_u64_u32 v[18:19], s[28:29], v11, s13, 0
	v_mad_u64_u32 v[60:61], s[28:29], v9, s38, 0
	v_xor_b32_e32 v9, v61, v10
	v_xor_b32_e32 v8, v19, v8
	v_xor_b32_e32 v9, v40, v9
	v_xor_b32_e32 v10, v41, v8
	;; [unrolled: 6-line block ×9, first 2 shown]
	v_mad_u64_u32 v[18:19], s[28:29], v9, s13, 0
	v_mad_u64_u32 v[60:61], s[28:29], v11, s38, 0
	v_xor_b32_e32 v8, v61, v8
	v_xor_b32_e32 v9, v19, v10
	v_mov_b32_e32 v57, 0
	v_xor_b32_e32 v8, v35, v8
	v_xor_b32_e32 v10, v36, v9
	v_mov_b32_e32 v9, v60
	v_mov_b32_e32 v11, v18
.LBB128_35:                             ;   in Loop: Header=BB128_25 Depth=2
	s_or_b64 exec, exec, s[0:1]
	v_cmp_eq_u32_e32 vcc, 1, v58
	v_cndmask_b32_e32 v12, v12, v13, vcc
	v_cmp_eq_u32_e32 vcc, 2, v58
	v_cndmask_b32_e32 v12, v12, v14, vcc
	;; [unrolled: 2-line block ×3, first 2 shown]
	v_cvt_f32_u32_e32 v13, v12
	v_mov_b32_e32 v14, 0x2f800000
	v_mul_f32_e32 v1, v1, v1
	v_mul_f32_e32 v12, v16, v16
	v_fmac_f32_e32 v14, 0x2f800000, v13
	v_sub_f32_e32 v13, 1.0, v14
	v_mul_f32_e32 v14, 0xbd0793de, v1
	v_fma_f32 v14, v1, v14, 1.0
	v_mul_f32_e32 v12, v16, v12
	v_cmp_nlt_f32_e32 vcc, v13, v14
                                        ; implicit-def: $sgpr0_sgpr1
	s_and_saveexec_b64 s[28:29], vcc
	s_xor_b64 s[28:29], exec, s[28:29]
	s_cbranch_execz .LBB128_39
; %bb.36:                               ;   in Loop: Header=BB128_25 Depth=2
	v_cmp_gt_f32_e32 vcc, s59, v13
	v_cndmask_b32_e32 v14, 1.0, v31, vcc
	v_mul_f32_e32 v13, v13, v14
	v_log_f32_e32 v13, v13
	v_mul_f32_e32 v14, 0x3f317217, v13
	v_fma_f32 v15, v13, s60, -v14
	v_fmac_f32_e32 v15, 0x3377d1cf, v13
	v_add_f32_e32 v14, v14, v15
	v_cmp_lt_f32_e64 s[0:1], |v13|, s45
	v_cndmask_b32_e64 v13, v13, v14, s[0:1]
	v_cmp_gt_f32_e64 s[0:1], s59, v12
	v_cndmask_b32_e64 v14, 1.0, v31, s[0:1]
	v_mul_f32_e32 v14, v12, v14
	v_log_f32_e32 v14, v14
	v_cndmask_b32_e32 v15, 0, v32, vcc
	v_sub_f32_e32 v13, v13, v15
	v_sub_f32_e32 v15, 1.0, v12
	v_mul_f32_e32 v16, 0x3f317217, v14
	v_fma_f32 v17, v14, s60, -v16
	v_fmac_f32_e32 v17, 0x3377d1cf, v14
	v_add_f32_e32 v16, v16, v17
	v_cmp_lt_f32_e64 vcc, |v14|, s45
	v_cndmask_b32_e32 v14, v14, v16, vcc
	v_cndmask_b32_e64 v16, 0, v32, s[0:1]
	v_sub_f32_e32 v14, v14, v16
	v_add_f32_e32 v14, v15, v14
	v_mul_f32_e32 v14, v37, v14
	v_fmac_f32_e32 v14, 0.5, v1
	v_cmp_lt_f32_e32 vcc, v13, v14
	s_mov_b64 s[0:1], -1
	s_and_saveexec_b64 s[30:31], vcc
; %bb.37:                               ;   in Loop: Header=BB128_25 Depth=2
	v_mul_f32_e32 v43, v39, v12
	s_xor_b64 s[0:1], exec, -1
; %bb.38:                               ;   in Loop: Header=BB128_25 Depth=2
	s_or_b64 exec, exec, s[30:31]
	s_and_b64 s[0:1], s[0:1], exec
                                        ; implicit-def: $vgpr12
.LBB128_39:                             ;   in Loop: Header=BB128_25 Depth=2
	s_andn2_saveexec_b64 s[28:29], s[28:29]
	s_cbranch_execz .LBB128_24
; %bb.40:                               ;   in Loop: Header=BB128_25 Depth=2
	v_mul_f32_e32 v43, v39, v12
	s_andn2_b64 s[0:1], s[0:1], exec
	s_branch .LBB128_24
.LBB128_41:
	s_endpgm
	.section	.rodata,"a",@progbits
	.p2align	6, 0x0
	.amdhsa_kernel _ZN2at4cuda12_GLOBAL__N_121kernelPointwiseApply2IZN12_GLOBAL__N_117gamma_cuda_kernelIfEEvRKNS_10TensorBaseES7_NS_15PhiloxCudaStateEEUlRfRKfE_ffjLin1ELin1ELi1ELi256ELi2EEEvNS0_6detail10TensorInfoIT0_T2_EENSE_IT1_SG_EESG_T_
		.amdhsa_group_segment_fixed_size 0
		.amdhsa_private_segment_fixed_size 0
		.amdhsa_kernarg_size 728
		.amdhsa_user_sgpr_count 6
		.amdhsa_user_sgpr_private_segment_buffer 1
		.amdhsa_user_sgpr_dispatch_ptr 0
		.amdhsa_user_sgpr_queue_ptr 0
		.amdhsa_user_sgpr_kernarg_segment_ptr 1
		.amdhsa_user_sgpr_dispatch_id 0
		.amdhsa_user_sgpr_flat_scratch_init 0
		.amdhsa_user_sgpr_kernarg_preload_length 0
		.amdhsa_user_sgpr_kernarg_preload_offset 0
		.amdhsa_user_sgpr_private_segment_size 0
		.amdhsa_uses_dynamic_stack 0
		.amdhsa_system_sgpr_private_segment_wavefront_offset 0
		.amdhsa_system_sgpr_workgroup_id_x 1
		.amdhsa_system_sgpr_workgroup_id_y 0
		.amdhsa_system_sgpr_workgroup_id_z 0
		.amdhsa_system_sgpr_workgroup_info 0
		.amdhsa_system_vgpr_workitem_id 0
		.amdhsa_next_free_vgpr 64
		.amdhsa_next_free_sgpr 68
		.amdhsa_accum_offset 64
		.amdhsa_reserve_vcc 1
		.amdhsa_reserve_flat_scratch 0
		.amdhsa_float_round_mode_32 0
		.amdhsa_float_round_mode_16_64 0
		.amdhsa_float_denorm_mode_32 3
		.amdhsa_float_denorm_mode_16_64 3
		.amdhsa_dx10_clamp 1
		.amdhsa_ieee_mode 1
		.amdhsa_fp16_overflow 0
		.amdhsa_tg_split 0
		.amdhsa_exception_fp_ieee_invalid_op 0
		.amdhsa_exception_fp_denorm_src 0
		.amdhsa_exception_fp_ieee_div_zero 0
		.amdhsa_exception_fp_ieee_overflow 0
		.amdhsa_exception_fp_ieee_underflow 0
		.amdhsa_exception_fp_ieee_inexact 0
		.amdhsa_exception_int_div_zero 0
	.end_amdhsa_kernel
	.section	.text._ZN2at4cuda12_GLOBAL__N_121kernelPointwiseApply2IZN12_GLOBAL__N_117gamma_cuda_kernelIfEEvRKNS_10TensorBaseES7_NS_15PhiloxCudaStateEEUlRfRKfE_ffjLin1ELin1ELi1ELi256ELi2EEEvNS0_6detail10TensorInfoIT0_T2_EENSE_IT1_SG_EESG_T_,"axG",@progbits,_ZN2at4cuda12_GLOBAL__N_121kernelPointwiseApply2IZN12_GLOBAL__N_117gamma_cuda_kernelIfEEvRKNS_10TensorBaseES7_NS_15PhiloxCudaStateEEUlRfRKfE_ffjLin1ELin1ELi1ELi256ELi2EEEvNS0_6detail10TensorInfoIT0_T2_EENSE_IT1_SG_EESG_T_,comdat
.Lfunc_end128:
	.size	_ZN2at4cuda12_GLOBAL__N_121kernelPointwiseApply2IZN12_GLOBAL__N_117gamma_cuda_kernelIfEEvRKNS_10TensorBaseES7_NS_15PhiloxCudaStateEEUlRfRKfE_ffjLin1ELin1ELi1ELi256ELi2EEEvNS0_6detail10TensorInfoIT0_T2_EENSE_IT1_SG_EESG_T_, .Lfunc_end128-_ZN2at4cuda12_GLOBAL__N_121kernelPointwiseApply2IZN12_GLOBAL__N_117gamma_cuda_kernelIfEEvRKNS_10TensorBaseES7_NS_15PhiloxCudaStateEEUlRfRKfE_ffjLin1ELin1ELi1ELi256ELi2EEEvNS0_6detail10TensorInfoIT0_T2_EENSE_IT1_SG_EESG_T_
                                        ; -- End function
	.section	.AMDGPU.csdata,"",@progbits
; Kernel info:
; codeLenInByte = 5552
; NumSgprs: 72
; NumVgprs: 64
; NumAgprs: 0
; TotalNumVgprs: 64
; ScratchSize: 0
; MemoryBound: 0
; FloatMode: 240
; IeeeMode: 1
; LDSByteSize: 0 bytes/workgroup (compile time only)
; SGPRBlocks: 8
; VGPRBlocks: 7
; NumSGPRsForWavesPerEU: 72
; NumVGPRsForWavesPerEU: 64
; AccumOffset: 64
; Occupancy: 8
; WaveLimiterHint : 1
; COMPUTE_PGM_RSRC2:SCRATCH_EN: 0
; COMPUTE_PGM_RSRC2:USER_SGPR: 6
; COMPUTE_PGM_RSRC2:TRAP_HANDLER: 0
; COMPUTE_PGM_RSRC2:TGID_X_EN: 1
; COMPUTE_PGM_RSRC2:TGID_Y_EN: 0
; COMPUTE_PGM_RSRC2:TGID_Z_EN: 0
; COMPUTE_PGM_RSRC2:TIDIG_COMP_CNT: 0
; COMPUTE_PGM_RSRC3_GFX90A:ACCUM_OFFSET: 15
; COMPUTE_PGM_RSRC3_GFX90A:TG_SPLIT: 0
	.section	.text._ZN2at4cuda12_GLOBAL__N_121kernelPointwiseApply2IZN12_GLOBAL__N_117gamma_cuda_kernelIfEEvRKNS_10TensorBaseES7_NS_15PhiloxCudaStateEEUlRfRKfE_ffmLi1ELi1ELi1ELi256ELi2EEEvNS0_6detail10TensorInfoIT0_T2_EENSE_IT1_SG_EESG_T_,"axG",@progbits,_ZN2at4cuda12_GLOBAL__N_121kernelPointwiseApply2IZN12_GLOBAL__N_117gamma_cuda_kernelIfEEvRKNS_10TensorBaseES7_NS_15PhiloxCudaStateEEUlRfRKfE_ffmLi1ELi1ELi1ELi256ELi2EEEvNS0_6detail10TensorInfoIT0_T2_EENSE_IT1_SG_EESG_T_,comdat
	.globl	_ZN2at4cuda12_GLOBAL__N_121kernelPointwiseApply2IZN12_GLOBAL__N_117gamma_cuda_kernelIfEEvRKNS_10TensorBaseES7_NS_15PhiloxCudaStateEEUlRfRKfE_ffmLi1ELi1ELi1ELi256ELi2EEEvNS0_6detail10TensorInfoIT0_T2_EENSE_IT1_SG_EESG_T_ ; -- Begin function _ZN2at4cuda12_GLOBAL__N_121kernelPointwiseApply2IZN12_GLOBAL__N_117gamma_cuda_kernelIfEEvRKNS_10TensorBaseES7_NS_15PhiloxCudaStateEEUlRfRKfE_ffmLi1ELi1ELi1ELi256ELi2EEEvNS0_6detail10TensorInfoIT0_T2_EENSE_IT1_SG_EESG_T_
	.p2align	8
	.type	_ZN2at4cuda12_GLOBAL__N_121kernelPointwiseApply2IZN12_GLOBAL__N_117gamma_cuda_kernelIfEEvRKNS_10TensorBaseES7_NS_15PhiloxCudaStateEEUlRfRKfE_ffmLi1ELi1ELi1ELi256ELi2EEEvNS0_6detail10TensorInfoIT0_T2_EENSE_IT1_SG_EESG_T_,@function
_ZN2at4cuda12_GLOBAL__N_121kernelPointwiseApply2IZN12_GLOBAL__N_117gamma_cuda_kernelIfEEvRKNS_10TensorBaseES7_NS_15PhiloxCudaStateEEUlRfRKfE_ffmLi1ELi1ELi1ELi256ELi2EEEvNS0_6detail10TensorInfoIT0_T2_EENSE_IT1_SG_EESG_T_: ; @_ZN2at4cuda12_GLOBAL__N_121kernelPointwiseApply2IZN12_GLOBAL__N_117gamma_cuda_kernelIfEEvRKNS_10TensorBaseES7_NS_15PhiloxCudaStateEEUlRfRKfE_ffmLi1ELi1ELi1ELi256ELi2EEEvNS0_6detail10TensorInfoIT0_T2_EENSE_IT1_SG_EESG_T_
; %bb.0:
	s_load_dword s2, s[4:5], 0x374
	s_load_dwordx8 s[12:19], s[4:5], 0x340
	s_add_u32 s0, s4, 0x368
	s_addc_u32 s1, s5, 0
	v_mov_b32_e32 v3, 0
	s_waitcnt lgkmcnt(0)
	s_and_b32 s2, s2, 0xffff
	s_mul_i32 s6, s6, s2
	v_add_u32_e32 v2, s6, v0
	v_cmp_gt_u64_e32 vcc, s[12:13], v[2:3]
	s_and_saveexec_b64 s[6:7], vcc
	s_cbranch_execz .LBB129_31
; %bb.1:
	s_load_dword s3, s[4:5], 0x360
	s_load_dwordx2 s[10:11], s[4:5], 0x0
	s_load_dwordx2 s[20:21], s[4:5], 0xd0
	;; [unrolled: 1-line block ×4, first 2 shown]
	s_load_dword s6, s[0:1], 0x0
	s_mov_b32 s33, 0xcd9e8d57
	s_waitcnt lgkmcnt(0)
	s_bitcmp1_b32 s3, 0
	v_mad_u64_u32 v[20:21], s[0:1], v2, s33, 0
	s_cselect_b64 s[0:1], -1, 0
	v_cndmask_b32_e64 v0, 0, 1, s[0:1]
	v_mov_b32_e32 v22, v21
	s_mul_i32 s36, s6, s2
	s_mov_b32 s37, 0
	s_mov_b64 s[26:27], 0
	v_mov_b32_e32 v21, s23
	v_cmp_ne_u32_e64 s[0:1], 1, v0
	s_mov_b32 s23, 0xd2511f53
	s_mov_b32 s38, 0x9e3779b9
	;; [unrolled: 1-line block ×7, first 2 shown]
	v_mov_b32_e32 v23, 0x3ecccdef
	s_mov_b32 s44, 0x3f317218
	s_movk_i32 s45, 0x204
	s_mov_b32 s46, 0x7f800000
	s_mov_b32 s47, 0x42b17218
	;; [unrolled: 1-line block ×4, first 2 shown]
	s_brev_b32 s50, -2
	s_mov_b32 s51, 0xf800000
	v_mov_b32_e32 v28, 0x260
	s_mov_b32 s52, 0x32370b8f
	s_mov_b32 s53, 0x78dde6e4
	;; [unrolled: 1-line block ×13, first 2 shown]
	v_mov_b32_e32 v29, 0x37000000
	v_mov_b32_e32 v30, 0x7f800000
	;; [unrolled: 1-line block ×6, first 2 shown]
	v_pk_mov_b32 v[24:25], v[2:3], v[2:3] op_sel:[0,1]
	s_branch .LBB129_4
.LBB129_2:                              ;   in Loop: Header=BB129_4 Depth=1
	s_or_b64 exec, exec, s[8:9]
.LBB129_3:                              ;   in Loop: Header=BB129_4 Depth=1
	s_or_b64 exec, exec, s[6:7]
	v_mul_lo_u32 v4, v25, s20
	v_mul_lo_u32 v5, v24, s21
	v_mad_u64_u32 v[0:1], s[4:5], v24, s20, 0
	v_add3_u32 v1, v1, v5, v4
	v_cndmask_b32_e64 v1, 0, v1, s[2:3]
	v_cndmask_b32_e64 v0, 0, v0, s[2:3]
	v_lshlrev_b64 v[0:1], 2, v[0:1]
	v_mov_b32_e32 v4, s11
	v_add_co_u32_e32 v0, vcc, s10, v0
	v_addc_co_u32_e32 v1, vcc, v4, v1, vcc
	v_cmp_ngt_f32_e32 vcc, s58, v38
	v_cndmask_b32_e32 v4, v34, v38, vcc
	v_mov_b32_e32 v5, s37
	v_add_co_u32_e32 v24, vcc, s36, v24
	v_addc_co_u32_e32 v25, vcc, v25, v5, vcc
	v_cmp_le_u64_e32 vcc, s[12:13], v[24:25]
	s_or_b64 s[26:27], vcc, s[26:27]
	global_store_dword v[0:1], v4, off
	s_andn2_b64 exec, exec, s[26:27]
	s_cbranch_execz .LBB129_31
.LBB129_4:                              ; =>This Loop Header: Depth=1
                                        ;     Child Loop BB129_15 Depth 2
                                        ;       Child Loop BB129_18 Depth 3
	v_sub_u32_e32 v4, s12, v24
	v_mul_lo_u32 v5, v25, s24
	v_mul_lo_u32 v6, v24, s25
	v_mad_u64_u32 v[0:1], s[2:3], v24, s24, 0
	v_add3_u32 v1, v1, v6, v5
	v_cmp_lt_i32_e64 s[2:3], 0, v4
	v_cndmask_b32_e64 v1, 0, v1, s[2:3]
	v_cndmask_b32_e64 v0, 0, v0, s[2:3]
	v_lshlrev_b64 v[0:1], 2, v[0:1]
	v_add_co_u32_e32 v0, vcc, s22, v0
	v_addc_co_u32_e32 v1, vcc, v21, v1, vcc
	global_load_dword v37, v[0:1], off
	s_and_b64 vcc, exec, s[0:1]
	v_pk_mov_b32 v[0:1], s[16:17], s[16:17] op_sel:[0,1]
	v_pk_mov_b32 v[26:27], s[14:15], s[14:15] op_sel:[0,1]
	s_cbranch_vccnz .LBB129_6
; %bb.5:                                ;   in Loop: Header=BB129_4 Depth=1
	v_pk_mov_b32 v[0:1], s[16:17], s[16:17] op_sel:[0,1]
	flat_load_dwordx2 v[0:1], v[0:1]
	v_pk_mov_b32 v[4:5], s[14:15], s[14:15] op_sel:[0,1]
	flat_load_dwordx2 v[26:27], v[4:5]
	v_mov_b32_e32 v4, s19
	s_waitcnt vmcnt(0) lgkmcnt(0)
	v_add_co_u32_e32 v0, vcc, s18, v0
	v_addc_co_u32_e32 v1, vcc, v1, v4, vcc
.LBB129_6:                              ;   in Loop: Header=BB129_4 Depth=1
	v_and_b32_e32 v57, 3, v0
	v_alignbit_b32 v0, v1, v0, 2
	v_mad_u64_u32 v[6:7], s[4:5], v0, s23, 0
	v_lshrrev_b32_e32 v1, 2, v1
	v_xor_b32_e32 v5, v7, v27
	v_xor_b32_e32 v7, v22, v26
	v_mov_b32_e32 v4, v27
	v_xor_b32_e32 v7, v7, v1
	v_add_co_u32_e32 v38, vcc, s39, v4
	v_mad_u64_u32 v[8:9], s[4:5], v7, s23, 0
	v_mad_u64_u32 v[10:11], s[4:5], v5, s33, 0
	v_add_co_u32_e32 v39, vcc, s38, v26
	v_xor_b32_e32 v5, v20, v11
	v_xor_b32_e32 v7, v38, v9
	v_xor_b32_e32 v5, v5, v39
	v_xor_b32_e32 v9, v7, v6
	v_add_co_u32_e32 v41, vcc, s40, v26
	v_add_co_u32_e32 v40, vcc, s41, v4
	v_mad_u64_u32 v[6:7], s[4:5], v5, s23, 0
	v_mad_u64_u32 v[12:13], s[4:5], v9, s33, 0
	v_xor_b32_e32 v5, v41, v13
	v_xor_b32_e32 v7, v40, v7
	v_xor_b32_e32 v5, v5, v10
	v_xor_b32_e32 v7, v7, v8
	v_add_co_u32_e32 v43, vcc, s42, v26
	v_add_co_u32_e32 v42, vcc, s52, v4
	v_mad_u64_u32 v[8:9], s[4:5], v5, s23, 0
	v_mad_u64_u32 v[10:11], s[4:5], v7, s33, 0
	;; [unrolled: 8-line block ×7, first 2 shown]
	v_xor_b32_e32 v7, v53, v7
	v_xor_b32_e32 v5, v52, v5
	;; [unrolled: 1-line block ×4, first 2 shown]
	v_mad_u64_u32 v[16:17], s[4:5], v7, s23, 0
	v_mad_u64_u32 v[18:19], s[4:5], v5, s33, 0
	v_add_u32_e32 v35, 0x8ff34781, v26
	v_add_u32_e32 v36, 0x96a522ad, v27
	v_xor_b32_e32 v5, v19, v6
	v_xor_b32_e32 v4, v17, v4
	;; [unrolled: 1-line block ×4, first 2 shown]
	v_pk_mov_b32 v[6:7], v[2:3], v[2:3] op_sel:[0,1]
	v_mov_b32_e32 v9, v18
	v_mov_b32_e32 v11, v16
	s_waitcnt vmcnt(0)
	v_cmp_gt_f32_e32 vcc, 1.0, v37
	s_mov_b64 s[4:5], -1
	v_mov_b32_e32 v19, 1.0
	v_pk_mov_b32 v[4:5], v[0:1], v[0:1] op_sel:[0,1]
                                        ; implicit-def: $sgpr6
	s_and_saveexec_b64 s[28:29], vcc
	s_cbranch_execz .LBB129_12
; %bb.7:                                ;   in Loop: Header=BB129_4 Depth=1
	v_cmp_neq_f32_e32 vcc, 0, v37
	s_mov_b64 s[34:35], 0
	v_mov_b32_e32 v19, 1.0
                                        ; implicit-def: $vgpr4_vgpr5_vgpr6_vgpr7
	s_and_saveexec_b64 s[30:31], vcc
	s_cbranch_execz .LBB129_11
; %bb.8:                                ;   in Loop: Header=BB129_4 Depth=1
	v_add_u32_e32 v17, 1, v57
	v_pk_mov_b32 v[14:15], v[10:11], v[10:11] op_sel:[0,1]
	v_pk_mov_b32 v[6:7], v[2:3], v[2:3] op_sel:[0,1]
	v_cmp_eq_u32_e32 vcc, 4, v17
	v_pk_mov_b32 v[12:13], v[8:9], v[8:9] op_sel:[0,1]
	v_pk_mov_b32 v[4:5], v[0:1], v[0:1] op_sel:[0,1]
	s_and_saveexec_b64 s[4:5], vcc
	s_cbranch_execz .LBB129_10
; %bb.9:                                ;   in Loop: Header=BB129_4 Depth=1
	v_add_co_u32_e32 v4, vcc, 1, v0
	v_cndmask_b32_e64 v0, 0, 1, vcc
	v_addc_co_u32_e32 v5, vcc, 0, v1, vcc
	v_cmp_eq_u32_e32 vcc, 0, v5
	v_cndmask_b32_e32 v0, 0, v0, vcc
	v_add_u32_e32 v6, v0, v2
	v_cmp_eq_u32_e32 vcc, 0, v6
	v_cndmask_b32_e32 v7, 0, v0, vcc
	v_mad_u64_u32 v[0:1], s[6:7], v4, s23, 0
	v_mad_u64_u32 v[12:13], s[6:7], v6, s33, 0
	v_xor_b32_e32 v9, v13, v26
	v_xor_b32_e32 v1, v1, v27
	v_xor_b32_e32 v9, v5, v9
	v_xor_b32_e32 v1, v7, v1
	v_mad_u64_u32 v[14:15], s[6:7], v9, s23, 0
	v_mad_u64_u32 v[54:55], s[6:7], v1, s33, 0
	v_xor_b32_e32 v1, v39, v55
	v_xor_b32_e32 v9, v38, v15
	v_xor_b32_e32 v1, v1, v12
	v_xor_b32_e32 v9, v9, v0
	;; [unrolled: 6-line block ×9, first 2 shown]
	v_mad_u64_u32 v[38:39], s[6:7], v9, s23, 0
	v_mad_u64_u32 v[40:41], s[6:7], v1, s33, 0
	v_xor_b32_e32 v1, v41, v12
	v_xor_b32_e32 v0, v39, v0
	v_mov_b32_e32 v17, 0
	v_xor_b32_e32 v12, v35, v1
	v_xor_b32_e32 v14, v36, v0
	v_mov_b32_e32 v13, v40
	v_mov_b32_e32 v15, v38
.LBB129_10:                             ;   in Loop: Header=BB129_4 Depth=1
	s_or_b64 exec, exec, s[4:5]
	v_cmp_eq_u32_e32 vcc, 1, v57
	v_cndmask_b32_e32 v0, v8, v18, vcc
	v_cmp_eq_u32_e32 vcc, 2, v57
	v_cndmask_b32_e32 v0, v0, v10, vcc
	;; [unrolled: 2-line block ×3, first 2 shown]
	v_div_scale_f32 v1, s[4:5], v37, v37, 1.0
	v_cvt_f32_u32_e32 v0, v0
	v_rcp_f32_e32 v8, v1
	v_mov_b32_e32 v9, 0x2f800000
	s_mov_b64 s[34:35], exec
	v_fmac_f32_e32 v9, 0x2f800000, v0
	v_fma_f32 v0, -v1, v8, 1.0
	v_fmac_f32_e32 v8, v0, v8
	v_div_scale_f32 v0, vcc, 1.0, v37, 1.0
	v_sub_f32_e32 v46, 1.0, v9
	v_mul_f32_e32 v9, v0, v8
	v_fma_f32 v10, -v1, v9, v0
	v_fmac_f32_e32 v9, v10, v8
	v_fma_f32 v0, -v1, v9, v0
	v_div_fmas_f32 v0, v0, v8, v9
	v_div_fixup_f32 v47, v0, v37, 1.0
	v_cmp_eq_f32_e32 vcc, 1.0, v46
	v_cndmask_b32_e64 v48, v47, 1.0, vcc
	v_cmp_eq_f32_e64 s[4:5], 0, v48
	v_cndmask_b32_e64 v49, |v46|, 1.0, s[4:5]
	v_frexp_mant_f32_e32 v0, v49
	v_cmp_gt_f32_e64 s[6:7], s43, v0
	v_cndmask_b32_e64 v1, 1.0, 2.0, s[6:7]
	v_mul_f32_e32 v0, v0, v1
	v_add_f32_e32 v9, 1.0, v0
	v_rcp_f32_e32 v16, v9
	v_add_f32_e32 v1, -1.0, v9
	v_sub_f32_e32 v11, v0, v1
	v_add_f32_e32 v1, -1.0, v0
	v_mul_f32_e32 v38, v1, v16
	v_mul_f32_e32 v8, v9, v38
	v_fma_f32 v10, v38, v9, -v8
	v_fmac_f32_e32 v10, v38, v11
	v_add_f32_e32 v0, v8, v10
	v_sub_f32_e32 v9, v1, v0
	v_pk_add_f32 v[18:19], v[0:1], v[8:9] neg_lo:[0,1] neg_hi:[0,1]
	v_mov_b32_e32 v11, v0
	v_pk_add_f32 v[0:1], v[18:19], v[10:11] neg_lo:[0,1] neg_hi:[0,1]
	v_add_f32_e32 v0, v0, v1
	v_add_f32_e32 v0, v9, v0
	v_mul_f32_e32 v1, v16, v0
	v_add_f32_e32 v0, v38, v1
	v_sub_f32_e32 v8, v0, v38
	v_sub_f32_e32 v16, v1, v8
	v_mul_f32_e32 v1, v0, v0
	v_fma_f32 v9, v0, v0, -v1
	v_add_f32_e32 v8, v16, v16
	v_fmac_f32_e32 v9, v0, v8
	v_add_f32_e32 v8, v1, v9
	v_mov_b32_e32 v10, 0x3e91f4c4
	v_fmac_f32_e32 v10, 0x3e76c4e1, v8
	v_fma_f32 v10, v8, v10, v23
	v_sub_f32_e32 v1, v8, v1
	v_sub_f32_e32 v40, v9, v1
	v_mul_f32_e32 v1, v8, v10
	v_fma_f32 v9, v8, v10, -v1
	v_fmac_f32_e32 v9, v40, v10
	v_add_f32_e32 v10, v1, v9
	v_add_f32_e32 v11, 0x3f2aaaaa, v10
	v_sub_f32_e32 v1, v10, v1
	v_sub_f32_e32 v1, v9, v1
	v_add_f32_e32 v9, 0xbf2aaaaa, v11
	v_add_f32_e32 v1, 0x31739010, v1
	v_sub_f32_e32 v9, v10, v9
	v_pk_mul_f32 v[18:19], v[0:1], v[8:9]
	v_fma_f32 v10, v8, v0, -v18
	v_pk_add_f32 v[38:39], v[0:1], v[8:9]
	v_fmac_f32_e32 v10, v8, v16
	v_mov_b32_e32 v19, v39
	v_fmac_f32_e32 v10, v40, v0
	v_pk_add_f32 v[8:9], v[18:19], v[10:11]
	v_sub_f32_e32 v1, v8, v18
	v_sub_f32_e32 v1, v10, v1
	v_sub_f32_e32 v10, v11, v9
	v_add_f32_e32 v38, v39, v10
	v_mov_b32_e32 v10, v9
	v_pk_mul_f32 v[10:11], v[8:9], v[10:11]
	v_cvt_f64_f32_e32 v[18:19], v49
	v_frexp_exp_i32_f64_e32 v11, v[18:19]
	v_subbrev_co_u32_e64 v11, s[6:7], 0, v11, s[6:7]
	v_cvt_f32_i32_e32 v11, v11
	v_fma_f32 v18, v8, v9, -v10
	v_fmac_f32_e32 v18, v8, v38
	v_fmac_f32_e32 v18, v1, v9
	v_mul_f32_e32 v8, 0x3f317218, v11
	v_fma_f32 v38, v11, s44, -v8
	v_fmac_f32_e32 v38, 0xb102e308, v11
	v_ldexp_f32 v39, v0, 1
	v_add_f32_e32 v9, v10, v18
	v_pk_add_f32 v[0:1], v[8:9], v[38:39]
	v_mov_b32_e32 v40, v9
	v_mov_b32_e32 v41, v1
	;; [unrolled: 1-line block ×3, first 2 shown]
	v_pk_add_f32 v[10:11], v[40:41], v[10:11] neg_lo:[0,1] neg_hi:[0,1]
	v_mov_b32_e32 v19, v9
	v_ldexp_f32 v16, v16, 1
	v_pk_add_f32 v[10:11], v[18:19], v[10:11] neg_lo:[0,1] neg_hi:[0,1]
	v_add_f32_e32 v9, v16, v10
	v_add_f32_e32 v9, v9, v11
	v_pk_add_f32 v[10:11], v[0:1], v[8:9] neg_lo:[0,1] neg_hi:[0,1]
	v_pk_add_f32 v[18:19], v[0:1], v[8:9]
	v_mov_b32_e32 v40, v10
	v_mov_b32_e32 v41, v19
	;; [unrolled: 1-line block ×3, first 2 shown]
	v_pk_add_f32 v[40:41], v[38:39], v[40:41]
	v_mov_b32_e32 v8, v41
	v_pk_add_f32 v[42:43], v[8:9], v[0:1] neg_lo:[0,1] neg_hi:[0,1]
	v_mov_b32_e32 v43, v42
	v_mov_b32_e32 v40, v19
	;; [unrolled: 1-line block ×4, first 2 shown]
	v_pk_add_f32 v[10:11], v[38:39], v[10:11] neg_lo:[0,1] neg_hi:[0,1]
	v_pk_add_f32 v[44:45], v[18:19], v[42:43] neg_lo:[0,1] neg_hi:[0,1]
	;; [unrolled: 1-line block ×3, first 2 shown]
	v_mov_b32_e32 v38, v9
	v_pk_add_f32 v[0:1], v[38:39], v[0:1] neg_lo:[0,1] neg_hi:[0,1]
	v_mov_b32_e32 v44, v10
	v_pk_add_f32 v[18:19], v[44:45], v[0:1]
	v_mov_b32_e32 v16, v19
	v_pk_add_f32 v[38:39], v[18:19], v[16:17]
	v_pk_add_f32 v[8:9], v[8:9], v[38:39]
	v_mov_b32_e32 v11, v41
	v_mov_b32_e32 v19, v8
	v_pk_add_f32 v[40:41], v[18:19], v[10:11] neg_lo:[0,1] neg_hi:[0,1]
	v_mov_b32_e32 v1, v38
	v_sub_f32_e32 v9, v18, v40
	v_pk_add_f32 v[0:1], v[0:1], v[40:41] neg_lo:[0,1] neg_hi:[0,1]
	v_sub_f32_e32 v9, v10, v9
	v_add_f32_e32 v0, v0, v9
	v_add_f32_e32 v0, v0, v1
	;; [unrolled: 1-line block ×3, first 2 shown]
	v_sub_f32_e32 v8, v1, v8
	v_sub_f32_e32 v0, v0, v8
	v_mul_f32_e32 v8, v48, v1
	v_fma_f32 v1, v48, v1, -v8
	v_fmac_f32_e32 v1, v48, v0
	v_add_f32_e32 v0, v8, v1
	v_cmp_class_f32_e64 s[6:7], v8, s45
	v_sub_f32_e32 v9, v0, v8
	v_cndmask_b32_e64 v0, v0, v8, s[6:7]
	v_cmp_eq_f32_e64 s[6:7], s47, v0
	v_cndmask_b32_e64 v8, 0, v29, s[6:7]
	v_sub_f32_e32 v1, v1, v9
	v_sub_f32_e32 v9, v0, v8
	v_mul_f32_e32 v10, 0x3fb8aa3b, v9
	v_fma_f32 v11, v9, s48, -v10
	v_rndne_f32_e32 v16, v10
	v_fmac_f32_e32 v11, 0x32a5705f, v9
	v_sub_f32_e32 v10, v10, v16
	v_add_f32_e32 v10, v10, v11
	v_exp_f32_e32 v10, v10
	v_cvt_i32_f32_e32 v11, v16
	v_cmp_neq_f32_e64 s[6:7], |v0|, s46
	v_cndmask_b32_e64 v0, 0, v1, s[6:7]
	v_cmp_ngt_f32_e64 s[6:7], s49, v9
	v_ldexp_f32 v1, v10, v11
	v_cndmask_b32_e64 v1, 0, v1, s[6:7]
	v_cmp_nlt_f32_e64 s[6:7], s47, v9
	v_add_f32_e32 v0, v8, v0
	v_cndmask_b32_e64 v1, v30, v1, s[6:7]
	v_fma_f32 v0, v1, v0, v1
	v_cmp_class_f32_e64 s[6:7], v1, s45
	v_trunc_f32_e32 v8, v48
	v_cndmask_b32_e64 v0, v0, v1, s[6:7]
	v_cndmask_b32_e64 v1, v46, 1.0, s[4:5]
	v_cmp_eq_f32_e64 s[4:5], v8, v48
	v_mul_f32_e32 v8, 0.5, v48
	v_trunc_f32_e32 v9, v8
	v_cmp_neq_f32_e64 s[6:7], v9, v8
	s_and_b64 s[6:7], s[4:5], s[6:7]
	v_cndmask_b32_e64 v8, 1.0, v1, s[6:7]
	v_bfi_b32 v0, s50, v0, v8
	v_cndmask_b32_e64 v8, v31, v0, s[4:5]
	v_cmp_gt_f32_e64 s[4:5], 0, v1
	v_cndmask_b32_e64 v0, v0, v8, s[4:5]
	v_cndmask_b32_e64 v8, |v47|, 1.0, vcc
	v_cmp_neq_f32_e32 vcc, v48, v8
	v_cmp_gt_f32_e64 s[4:5], 1.0, v49
	s_xor_b64 s[4:5], vcc, s[4:5]
	v_cndmask_b32_e64 v9, v8, 0, s[4:5]
	v_cmp_eq_f32_e32 vcc, 1.0, v49
	v_cmp_eq_f32_e64 s[4:5], 0, v1
	v_cmp_gt_f32_e64 s[8:9], 0, v48
	v_cndmask_b32_e32 v9, v9, v49, vcc
	v_cmp_eq_f32_e32 vcc, s46, v8
	s_xor_b64 s[8:9], s[8:9], s[4:5]
	v_cndmask_b32_e32 v0, v0, v9, vcc
	v_cmp_eq_f32_e32 vcc, s46, v49
	v_cndmask_b32_e64 v8, v30, 0, s[8:9]
	v_cndmask_b32_e64 v1, 0, v1, s[6:7]
	v_bfi_b32 v1, s50, v8, v1
	s_or_b64 vcc, vcc, s[4:5]
	v_pk_mov_b32 v[8:9], v[12:13], v[12:13] op_sel:[0,1]
	v_cndmask_b32_e32 v19, v0, v1, vcc
	v_add_f32_e32 v37, 1.0, v37
	v_pk_mov_b32 v[10:11], v[14:15], v[14:15] op_sel:[0,1]
	v_mov_b32_e32 v57, v17
.LBB129_11:                             ;   in Loop: Header=BB129_4 Depth=1
	s_or_b64 exec, exec, s[30:31]
	s_mov_b32 s6, 0
	s_orn2_b64 s[4:5], s[34:35], exec
.LBB129_12:                             ;   in Loop: Header=BB129_4 Depth=1
	s_or_b64 exec, exec, s[28:29]
	v_mov_b32_e32 v38, s6
	s_and_saveexec_b64 s[6:7], s[4:5]
	s_cbranch_execz .LBB129_3
; %bb.13:                               ;   in Loop: Header=BB129_4 Depth=1
	v_add_f32_e32 v37, 0xbeaaaaab, v37
	v_mul_f32_e32 v0, 0x41100000, v37
	v_mul_f32_e32 v1, 0x4f800000, v0
	v_cmp_gt_f32_e32 vcc, s51, v0
	v_cndmask_b32_e32 v0, v0, v1, vcc
	v_sqrt_f32_e32 v1, v0
	v_mul_f32_e32 v40, v19, v37
	v_add_u32_e32 v41, 0x9e3779b9, v26
	v_add_u32_e32 v42, 0xbb67ae85, v27
	v_add_u32_e32 v12, -1, v1
	v_fma_f32 v14, -v12, v1, v0
	v_add_u32_e32 v13, 1, v1
	v_cmp_ge_f32_e64 s[4:5], 0, v14
	v_cndmask_b32_e64 v12, v1, v12, s[4:5]
	v_fma_f32 v1, -v13, v1, v0
	v_cmp_lt_f32_e64 s[4:5], 0, v1
	v_cndmask_b32_e64 v1, v12, v13, s[4:5]
	v_mul_f32_e32 v12, 0x37800000, v1
	v_cndmask_b32_e32 v1, v1, v12, vcc
	v_cmp_class_f32_e32 vcc, v0, v28
	v_cndmask_b32_e32 v0, v1, v0, vcc
	v_div_scale_f32 v1, s[4:5], v0, v0, 1.0
	v_rcp_f32_e32 v12, v1
	v_add_u32_e32 v43, 0x3c6ef372, v26
	v_add_u32_e32 v44, 0x76cf5d0a, v27
	;; [unrolled: 1-line block ×3, first 2 shown]
	v_fma_f32 v13, -v1, v12, 1.0
	v_fmac_f32_e32 v12, v13, v12
	v_div_scale_f32 v13, vcc, 1.0, v0, 1.0
	v_mul_f32_e32 v14, v13, v12
	v_fma_f32 v15, -v1, v14, v13
	v_fmac_f32_e32 v14, v15, v12
	v_fma_f32 v1, -v1, v14, v13
	v_div_fmas_f32 v1, v1, v12, v14
	v_div_fixup_f32 v39, v1, v0, 1.0
	v_add_u32_e32 v46, 0x32370b8f, v27
	v_add_u32_e32 v47, 0x78dde6e4, v26
	;; [unrolled: 1-line block ×11, first 2 shown]
	s_mov_b64 s[8:9], 0
	v_mov_b32_e32 v59, 0
                                        ; implicit-def: $vgpr0
                                        ; implicit-def: $vgpr38
	s_branch .LBB129_15
.LBB129_14:                             ;   in Loop: Header=BB129_15 Depth=2
	s_or_b64 exec, exec, s[28:29]
	s_xor_b64 s[4:5], s[4:5], -1
	s_and_b64 s[4:5], exec, s[4:5]
	s_or_b64 s[8:9], s[4:5], s[8:9]
	s_andn2_b64 exec, exec, s[8:9]
	s_cbranch_execz .LBB129_2
.LBB129_15:                             ;   Parent Loop BB129_4 Depth=1
                                        ; =>  This Loop Header: Depth=2
                                        ;       Child Loop BB129_18 Depth 3
	v_pk_mov_b32 v[14:15], v[10:11], v[10:11] op_sel:[0,1]
	s_mov_b64 s[28:29], 0
	v_mov_b32_e32 v58, v57
	v_pk_mov_b32 v[12:13], v[8:9], v[8:9] op_sel:[0,1]
	s_branch .LBB129_18
.LBB129_16:                             ;   in Loop: Header=BB129_18 Depth=3
	s_or_b64 exec, exec, s[4:5]
	v_cmp_eq_u32_e32 vcc, 1, v58
	v_cndmask_b32_e32 v1, v12, v13, vcc
	v_cmp_eq_u32_e32 vcc, 2, v58
	v_cndmask_b32_e32 v1, v1, v14, vcc
	;; [unrolled: 2-line block ×3, first 2 shown]
	v_cvt_f32_u32_e32 v1, v1
	v_cmp_eq_u32_e32 vcc, 1, v0
	v_cndmask_b32_e32 v8, v8, v9, vcc
	v_mov_b32_e32 v9, 0x2f800000
	v_cmp_eq_u32_e32 vcc, 2, v0
	v_fmac_f32_e32 v9, 0x2f800000, v1
	v_cndmask_b32_e32 v8, v8, v10, vcc
	v_cmp_gt_f32_e32 vcc, s58, v9
	v_cndmask_b32_e32 v1, 1.0, v32, vcc
	v_mul_f32_e32 v1, v9, v1
	v_log_f32_e32 v1, v1
	v_cmp_eq_u32_e64 s[4:5], 3, v0
	v_cndmask_b32_e64 v0, v8, v11, s[4:5]
	v_cvt_f32_u32_e32 v0, v0
	v_mul_f32_e32 v8, 0x3f317217, v1
	v_fma_f32 v9, v1, s59, -v8
	v_fmac_f32_e32 v9, 0x3377d1cf, v1
	v_add_f32_e32 v8, v8, v9
	v_cmp_lt_f32_e64 s[4:5], |v1|, s46
	v_cndmask_b32_e64 v1, v1, v8, s[4:5]
	v_cndmask_b32_e32 v8, 0, v33, vcc
	v_sub_f32_e32 v1, v1, v8
	v_mul_f32_e32 v1, -2.0, v1
	v_mul_f32_e32 v8, 0x4f800000, v1
	v_cmp_gt_f32_e32 vcc, s51, v1
	v_cndmask_b32_e32 v8, v1, v8, vcc
	v_sqrt_f32_e32 v1, v8
	v_mov_b32_e32 v9, 0x30c90fdb
	v_fmac_f32_e32 v9, 0x30c90fdb, v0
	v_pk_mov_b32 v[12:13], v[16:17], v[16:17] op_sel:[0,1]
	v_add_u32_e32 v0, -1, v1
	v_fma_f32 v10, -v0, v1, v8
	v_cmp_ge_f32_e64 s[4:5], 0, v10
	v_add_u32_e32 v10, 1, v1
	v_cndmask_b32_e64 v0, v1, v0, s[4:5]
	v_fma_f32 v1, -v10, v1, v8
	v_cmp_lt_f32_e64 s[4:5], 0, v1
	v_cndmask_b32_e64 v10, v0, v10, s[4:5]
	v_mul_f32_e32 v0, 0.15915494, v9
	v_sin_f32_e32 v1, v0
	v_cos_f32_e32 v0, v0
	v_mul_f32_e32 v11, 0x37800000, v10
	v_cndmask_b32_e32 v9, v10, v11, vcc
	v_cmp_class_f32_e32 vcc, v8, v28
	v_cndmask_b32_e32 v8, v9, v8, vcc
	v_pk_mul_f32 v[0:1], v[8:9], v[0:1] op_sel_hi:[0,1]
	v_mov_b32_e32 v59, 1
	v_pk_mov_b32 v[14:15], v[18:19], v[18:19] op_sel:[0,1]
	v_mov_b32_e32 v58, v57
.LBB129_17:                             ;   in Loop: Header=BB129_18 Depth=3
	s_or_b64 exec, exec, s[30:31]
	v_fma_f32 v16, v39, v1, 1.0
	v_cmp_nge_f32_e32 vcc, 0, v16
	s_or_b64 s[28:29], vcc, s[28:29]
	s_andn2_b64 exec, exec, s[28:29]
	s_cbranch_execz .LBB129_23
.LBB129_18:                             ;   Parent Loop BB129_4 Depth=1
                                        ;     Parent Loop BB129_15 Depth=2
                                        ; =>    This Inner Loop Header: Depth=3
	v_cmp_eq_u32_e32 vcc, 0, v59
	v_mov_b32_e32 v59, 0
	v_mov_b32_e32 v1, v0
	s_and_saveexec_b64 s[30:31], vcc
	s_cbranch_execz .LBB129_17
; %bb.19:                               ;   in Loop: Header=BB129_18 Depth=3
	v_add_u32_e32 v0, 1, v58
	v_pk_mov_b32 v[8:9], v[12:13], v[12:13] op_sel:[0,1]
	v_cmp_eq_u32_e32 vcc, 4, v0
	v_pk_mov_b32 v[10:11], v[14:15], v[14:15] op_sel:[0,1]
	s_and_saveexec_b64 s[4:5], vcc
	s_cbranch_execz .LBB129_21
; %bb.20:                               ;   in Loop: Header=BB129_18 Depth=3
	v_add_co_u32_e32 v4, vcc, 1, v4
	v_cndmask_b32_e64 v1, 0, 1, vcc
	v_addc_co_u32_e32 v5, vcc, 0, v5, vcc
	v_cmp_eq_u32_e32 vcc, 0, v5
	v_cndmask_b32_e32 v1, 0, v1, vcc
	v_add_u32_e32 v6, v1, v6
	v_cmp_eq_u32_e32 vcc, 0, v6
	v_cndmask_b32_e32 v1, 0, v1, vcc
	v_mad_u64_u32 v[8:9], s[34:35], v4, s23, 0
	v_mad_u64_u32 v[10:11], s[34:35], v6, s33, 0
	v_add_u32_e32 v7, v1, v7
	v_xor_b32_e32 v1, v11, v26
	v_xor_b32_e32 v9, v9, v27
	v_xor_b32_e32 v1, v5, v1
	v_xor_b32_e32 v9, v7, v9
	v_mad_u64_u32 v[16:17], s[34:35], v1, s23, 0
	v_mad_u64_u32 v[18:19], s[34:35], v9, s33, 0
	v_xor_b32_e32 v1, v19, v10
	v_xor_b32_e32 v8, v17, v8
	v_xor_b32_e32 v1, v41, v1
	v_xor_b32_e32 v10, v42, v8
	v_mad_u64_u32 v[8:9], s[34:35], v1, s23, 0
	v_mad_u64_u32 v[10:11], s[34:35], v10, s33, 0
	;; [unrolled: 6-line block ×9, first 2 shown]
	v_xor_b32_e32 v1, v19, v8
	v_xor_b32_e32 v8, v35, v1
	;; [unrolled: 1-line block ×3, first 2 shown]
	v_mov_b32_e32 v0, 0
	v_xor_b32_e32 v10, v36, v1
	v_mov_b32_e32 v9, v18
	v_mov_b32_e32 v11, v16
.LBB129_21:                             ;   in Loop: Header=BB129_18 Depth=3
	s_or_b64 exec, exec, s[4:5]
	v_add_u32_e32 v57, 1, v0
	v_pk_mov_b32 v[18:19], v[10:11], v[10:11] op_sel:[0,1]
	v_cmp_eq_u32_e32 vcc, 4, v57
	v_pk_mov_b32 v[16:17], v[8:9], v[8:9] op_sel:[0,1]
	s_and_saveexec_b64 s[4:5], vcc
	s_cbranch_execz .LBB129_16
; %bb.22:                               ;   in Loop: Header=BB129_18 Depth=3
	v_add_co_u32_e32 v4, vcc, 1, v4
	v_cndmask_b32_e64 v1, 0, 1, vcc
	v_addc_co_u32_e32 v5, vcc, 0, v5, vcc
	v_cmp_eq_u32_e32 vcc, 0, v5
	v_cndmask_b32_e32 v1, 0, v1, vcc
	v_add_u32_e32 v6, v1, v6
	v_cmp_eq_u32_e32 vcc, 0, v6
	v_cndmask_b32_e32 v1, 0, v1, vcc
	v_mad_u64_u32 v[16:17], s[34:35], v4, s23, 0
	v_mad_u64_u32 v[18:19], s[34:35], v6, s33, 0
	v_add_u32_e32 v7, v1, v7
	v_xor_b32_e32 v1, v19, v26
	v_xor_b32_e32 v17, v17, v27
	v_xor_b32_e32 v1, v5, v1
	v_xor_b32_e32 v17, v7, v17
	v_mad_u64_u32 v[60:61], s[34:35], v1, s23, 0
	v_mad_u64_u32 v[62:63], s[34:35], v17, s33, 0
	v_xor_b32_e32 v1, v63, v18
	v_xor_b32_e32 v16, v61, v16
	v_xor_b32_e32 v1, v41, v1
	v_xor_b32_e32 v18, v42, v16
	v_mad_u64_u32 v[16:17], s[34:35], v1, s23, 0
	v_mad_u64_u32 v[18:19], s[34:35], v18, s33, 0
	;; [unrolled: 6-line block ×9, first 2 shown]
	v_xor_b32_e32 v1, v63, v16
	v_xor_b32_e32 v16, v35, v1
	;; [unrolled: 1-line block ×3, first 2 shown]
	v_mov_b32_e32 v57, 0
	v_xor_b32_e32 v18, v36, v1
	v_mov_b32_e32 v17, v62
	v_mov_b32_e32 v19, v60
	s_branch .LBB129_16
.LBB129_23:                             ;   in Loop: Header=BB129_15 Depth=2
	s_or_b64 exec, exec, s[28:29]
	v_add_u32_e32 v57, 1, v58
	v_pk_mov_b32 v[8:9], v[12:13], v[12:13] op_sel:[0,1]
	v_cmp_eq_u32_e32 vcc, 4, v57
	v_pk_mov_b32 v[10:11], v[14:15], v[14:15] op_sel:[0,1]
	s_and_saveexec_b64 s[4:5], vcc
	s_cbranch_execz .LBB129_25
; %bb.24:                               ;   in Loop: Header=BB129_15 Depth=2
	v_add_co_u32_e32 v4, vcc, 1, v4
	v_cndmask_b32_e64 v8, 0, 1, vcc
	v_addc_co_u32_e32 v5, vcc, 0, v5, vcc
	v_cmp_eq_u32_e32 vcc, 0, v5
	v_cndmask_b32_e32 v8, 0, v8, vcc
	v_add_u32_e32 v6, v8, v6
	v_cmp_eq_u32_e32 vcc, 0, v6
	v_cndmask_b32_e32 v8, 0, v8, vcc
	v_add_u32_e32 v7, v8, v7
	v_mad_u64_u32 v[8:9], s[28:29], v4, s23, 0
	v_mad_u64_u32 v[10:11], s[28:29], v6, s33, 0
	v_xor_b32_e32 v11, v11, v26
	v_xor_b32_e32 v9, v9, v27
	v_xor_b32_e32 v11, v5, v11
	v_xor_b32_e32 v9, v7, v9
	v_mad_u64_u32 v[18:19], s[28:29], v11, s23, 0
	v_mad_u64_u32 v[60:61], s[28:29], v9, s33, 0
	v_xor_b32_e32 v9, v61, v10
	v_xor_b32_e32 v8, v19, v8
	v_xor_b32_e32 v9, v41, v9
	v_xor_b32_e32 v10, v42, v8
	;; [unrolled: 6-line block ×9, first 2 shown]
	v_mad_u64_u32 v[18:19], s[28:29], v9, s23, 0
	v_mad_u64_u32 v[60:61], s[28:29], v11, s33, 0
	v_xor_b32_e32 v8, v61, v8
	v_xor_b32_e32 v9, v19, v10
	v_mov_b32_e32 v57, 0
	v_xor_b32_e32 v8, v35, v8
	v_xor_b32_e32 v10, v36, v9
	v_mov_b32_e32 v9, v60
	v_mov_b32_e32 v11, v18
.LBB129_25:                             ;   in Loop: Header=BB129_15 Depth=2
	s_or_b64 exec, exec, s[4:5]
	v_cmp_eq_u32_e32 vcc, 1, v58
	v_cndmask_b32_e32 v12, v12, v13, vcc
	v_cmp_eq_u32_e32 vcc, 2, v58
	v_cndmask_b32_e32 v12, v12, v14, vcc
	;; [unrolled: 2-line block ×3, first 2 shown]
	v_cvt_f32_u32_e32 v13, v12
	v_mov_b32_e32 v14, 0x2f800000
	v_mul_f32_e32 v1, v1, v1
	v_mul_f32_e32 v12, v16, v16
	v_fmac_f32_e32 v14, 0x2f800000, v13
	v_sub_f32_e32 v13, 1.0, v14
	v_mul_f32_e32 v14, 0xbd0793de, v1
	v_fma_f32 v14, v1, v14, 1.0
	v_mul_f32_e32 v12, v16, v12
	v_cmp_nlt_f32_e32 vcc, v13, v14
                                        ; implicit-def: $sgpr4_sgpr5
	s_and_saveexec_b64 s[28:29], vcc
	s_xor_b64 s[28:29], exec, s[28:29]
	s_cbranch_execz .LBB129_29
; %bb.26:                               ;   in Loop: Header=BB129_15 Depth=2
	v_cmp_gt_f32_e32 vcc, s58, v13
	v_cndmask_b32_e32 v14, 1.0, v32, vcc
	v_mul_f32_e32 v13, v13, v14
	v_log_f32_e32 v13, v13
	v_mul_f32_e32 v14, 0x3f317217, v13
	v_fma_f32 v15, v13, s59, -v14
	v_fmac_f32_e32 v15, 0x3377d1cf, v13
	v_add_f32_e32 v14, v14, v15
	v_cmp_lt_f32_e64 s[4:5], |v13|, s46
	v_cndmask_b32_e64 v13, v13, v14, s[4:5]
	v_cmp_gt_f32_e64 s[4:5], s58, v12
	v_cndmask_b32_e64 v14, 1.0, v32, s[4:5]
	v_mul_f32_e32 v14, v12, v14
	v_log_f32_e32 v14, v14
	v_cndmask_b32_e32 v15, 0, v33, vcc
	v_sub_f32_e32 v13, v13, v15
	v_sub_f32_e32 v15, 1.0, v12
	v_mul_f32_e32 v16, 0x3f317217, v14
	v_fma_f32 v17, v14, s59, -v16
	v_fmac_f32_e32 v17, 0x3377d1cf, v14
	v_add_f32_e32 v16, v16, v17
	v_cmp_lt_f32_e64 vcc, |v14|, s46
	v_cndmask_b32_e32 v14, v14, v16, vcc
	v_cndmask_b32_e64 v16, 0, v33, s[4:5]
	v_sub_f32_e32 v14, v14, v16
	v_add_f32_e32 v14, v15, v14
	v_mul_f32_e32 v14, v37, v14
	v_fmac_f32_e32 v14, 0.5, v1
	v_cmp_lt_f32_e32 vcc, v13, v14
	s_mov_b64 s[4:5], -1
	s_and_saveexec_b64 s[30:31], vcc
; %bb.27:                               ;   in Loop: Header=BB129_15 Depth=2
	v_mul_f32_e32 v38, v40, v12
	s_xor_b64 s[4:5], exec, -1
; %bb.28:                               ;   in Loop: Header=BB129_15 Depth=2
	s_or_b64 exec, exec, s[30:31]
	s_and_b64 s[4:5], s[4:5], exec
                                        ; implicit-def: $vgpr12
.LBB129_29:                             ;   in Loop: Header=BB129_15 Depth=2
	s_andn2_saveexec_b64 s[28:29], s[28:29]
	s_cbranch_execz .LBB129_14
; %bb.30:                               ;   in Loop: Header=BB129_15 Depth=2
	v_mul_f32_e32 v38, v40, v12
	s_andn2_b64 s[4:5], s[4:5], exec
	s_branch .LBB129_14
.LBB129_31:
	s_endpgm
	.section	.rodata,"a",@progbits
	.p2align	6, 0x0
	.amdhsa_kernel _ZN2at4cuda12_GLOBAL__N_121kernelPointwiseApply2IZN12_GLOBAL__N_117gamma_cuda_kernelIfEEvRKNS_10TensorBaseES7_NS_15PhiloxCudaStateEEUlRfRKfE_ffmLi1ELi1ELi1ELi256ELi2EEEvNS0_6detail10TensorInfoIT0_T2_EENSE_IT1_SG_EESG_T_
		.amdhsa_group_segment_fixed_size 0
		.amdhsa_private_segment_fixed_size 0
		.amdhsa_kernarg_size 1128
		.amdhsa_user_sgpr_count 6
		.amdhsa_user_sgpr_private_segment_buffer 1
		.amdhsa_user_sgpr_dispatch_ptr 0
		.amdhsa_user_sgpr_queue_ptr 0
		.amdhsa_user_sgpr_kernarg_segment_ptr 1
		.amdhsa_user_sgpr_dispatch_id 0
		.amdhsa_user_sgpr_flat_scratch_init 0
		.amdhsa_user_sgpr_kernarg_preload_length 0
		.amdhsa_user_sgpr_kernarg_preload_offset 0
		.amdhsa_user_sgpr_private_segment_size 0
		.amdhsa_uses_dynamic_stack 0
		.amdhsa_system_sgpr_private_segment_wavefront_offset 0
		.amdhsa_system_sgpr_workgroup_id_x 1
		.amdhsa_system_sgpr_workgroup_id_y 0
		.amdhsa_system_sgpr_workgroup_id_z 0
		.amdhsa_system_sgpr_workgroup_info 0
		.amdhsa_system_vgpr_workitem_id 0
		.amdhsa_next_free_vgpr 64
		.amdhsa_next_free_sgpr 65
		.amdhsa_accum_offset 64
		.amdhsa_reserve_vcc 1
		.amdhsa_reserve_flat_scratch 0
		.amdhsa_float_round_mode_32 0
		.amdhsa_float_round_mode_16_64 0
		.amdhsa_float_denorm_mode_32 3
		.amdhsa_float_denorm_mode_16_64 3
		.amdhsa_dx10_clamp 1
		.amdhsa_ieee_mode 1
		.amdhsa_fp16_overflow 0
		.amdhsa_tg_split 0
		.amdhsa_exception_fp_ieee_invalid_op 0
		.amdhsa_exception_fp_denorm_src 0
		.amdhsa_exception_fp_ieee_div_zero 0
		.amdhsa_exception_fp_ieee_overflow 0
		.amdhsa_exception_fp_ieee_underflow 0
		.amdhsa_exception_fp_ieee_inexact 0
		.amdhsa_exception_int_div_zero 0
	.end_amdhsa_kernel
	.section	.text._ZN2at4cuda12_GLOBAL__N_121kernelPointwiseApply2IZN12_GLOBAL__N_117gamma_cuda_kernelIfEEvRKNS_10TensorBaseES7_NS_15PhiloxCudaStateEEUlRfRKfE_ffmLi1ELi1ELi1ELi256ELi2EEEvNS0_6detail10TensorInfoIT0_T2_EENSE_IT1_SG_EESG_T_,"axG",@progbits,_ZN2at4cuda12_GLOBAL__N_121kernelPointwiseApply2IZN12_GLOBAL__N_117gamma_cuda_kernelIfEEvRKNS_10TensorBaseES7_NS_15PhiloxCudaStateEEUlRfRKfE_ffmLi1ELi1ELi1ELi256ELi2EEEvNS0_6detail10TensorInfoIT0_T2_EENSE_IT1_SG_EESG_T_,comdat
.Lfunc_end129:
	.size	_ZN2at4cuda12_GLOBAL__N_121kernelPointwiseApply2IZN12_GLOBAL__N_117gamma_cuda_kernelIfEEvRKNS_10TensorBaseES7_NS_15PhiloxCudaStateEEUlRfRKfE_ffmLi1ELi1ELi1ELi256ELi2EEEvNS0_6detail10TensorInfoIT0_T2_EENSE_IT1_SG_EESG_T_, .Lfunc_end129-_ZN2at4cuda12_GLOBAL__N_121kernelPointwiseApply2IZN12_GLOBAL__N_117gamma_cuda_kernelIfEEvRKNS_10TensorBaseES7_NS_15PhiloxCudaStateEEUlRfRKfE_ffmLi1ELi1ELi1ELi256ELi2EEEvNS0_6detail10TensorInfoIT0_T2_EENSE_IT1_SG_EESG_T_
                                        ; -- End function
	.section	.AMDGPU.csdata,"",@progbits
; Kernel info:
; codeLenInByte = 5108
; NumSgprs: 69
; NumVgprs: 64
; NumAgprs: 0
; TotalNumVgprs: 64
; ScratchSize: 0
; MemoryBound: 0
; FloatMode: 240
; IeeeMode: 1
; LDSByteSize: 0 bytes/workgroup (compile time only)
; SGPRBlocks: 8
; VGPRBlocks: 7
; NumSGPRsForWavesPerEU: 69
; NumVGPRsForWavesPerEU: 64
; AccumOffset: 64
; Occupancy: 8
; WaveLimiterHint : 1
; COMPUTE_PGM_RSRC2:SCRATCH_EN: 0
; COMPUTE_PGM_RSRC2:USER_SGPR: 6
; COMPUTE_PGM_RSRC2:TRAP_HANDLER: 0
; COMPUTE_PGM_RSRC2:TGID_X_EN: 1
; COMPUTE_PGM_RSRC2:TGID_Y_EN: 0
; COMPUTE_PGM_RSRC2:TGID_Z_EN: 0
; COMPUTE_PGM_RSRC2:TIDIG_COMP_CNT: 0
; COMPUTE_PGM_RSRC3_GFX90A:ACCUM_OFFSET: 15
; COMPUTE_PGM_RSRC3_GFX90A:TG_SPLIT: 0
	.section	.text._ZN2at4cuda12_GLOBAL__N_121kernelPointwiseApply2IZN12_GLOBAL__N_117gamma_cuda_kernelIfEEvRKNS_10TensorBaseES7_NS_15PhiloxCudaStateEEUlRfRKfE_ffmLin1ELin1ELi1ELi256ELi2EEEvNS0_6detail10TensorInfoIT0_T2_EENSE_IT1_SG_EESG_T_,"axG",@progbits,_ZN2at4cuda12_GLOBAL__N_121kernelPointwiseApply2IZN12_GLOBAL__N_117gamma_cuda_kernelIfEEvRKNS_10TensorBaseES7_NS_15PhiloxCudaStateEEUlRfRKfE_ffmLin1ELin1ELi1ELi256ELi2EEEvNS0_6detail10TensorInfoIT0_T2_EENSE_IT1_SG_EESG_T_,comdat
	.globl	_ZN2at4cuda12_GLOBAL__N_121kernelPointwiseApply2IZN12_GLOBAL__N_117gamma_cuda_kernelIfEEvRKNS_10TensorBaseES7_NS_15PhiloxCudaStateEEUlRfRKfE_ffmLin1ELin1ELi1ELi256ELi2EEEvNS0_6detail10TensorInfoIT0_T2_EENSE_IT1_SG_EESG_T_ ; -- Begin function _ZN2at4cuda12_GLOBAL__N_121kernelPointwiseApply2IZN12_GLOBAL__N_117gamma_cuda_kernelIfEEvRKNS_10TensorBaseES7_NS_15PhiloxCudaStateEEUlRfRKfE_ffmLin1ELin1ELi1ELi256ELi2EEEvNS0_6detail10TensorInfoIT0_T2_EENSE_IT1_SG_EESG_T_
	.p2align	8
	.type	_ZN2at4cuda12_GLOBAL__N_121kernelPointwiseApply2IZN12_GLOBAL__N_117gamma_cuda_kernelIfEEvRKNS_10TensorBaseES7_NS_15PhiloxCudaStateEEUlRfRKfE_ffmLin1ELin1ELi1ELi256ELi2EEEvNS0_6detail10TensorInfoIT0_T2_EENSE_IT1_SG_EESG_T_,@function
_ZN2at4cuda12_GLOBAL__N_121kernelPointwiseApply2IZN12_GLOBAL__N_117gamma_cuda_kernelIfEEvRKNS_10TensorBaseES7_NS_15PhiloxCudaStateEEUlRfRKfE_ffmLin1ELin1ELi1ELi256ELi2EEEvNS0_6detail10TensorInfoIT0_T2_EENSE_IT1_SG_EESG_T_: ; @_ZN2at4cuda12_GLOBAL__N_121kernelPointwiseApply2IZN12_GLOBAL__N_117gamma_cuda_kernelIfEEvRKNS_10TensorBaseES7_NS_15PhiloxCudaStateEEUlRfRKfE_ffmLin1ELin1ELi1ELi256ELi2EEEvNS0_6detail10TensorInfoIT0_T2_EENSE_IT1_SG_EESG_T_
; %bb.0:
	s_load_dword s2, s[4:5], 0x374
	s_load_dwordx8 s[8:15], s[4:5], 0x340
	s_add_u32 s0, s4, 0x368
	s_addc_u32 s1, s5, 0
	v_mov_b32_e32 v18, 0
	s_waitcnt lgkmcnt(0)
	s_and_b32 s2, s2, 0xffff
	s_mul_i32 s6, s6, s2
	v_add_u32_e32 v16, s6, v0
	v_mov_b32_e32 v17, v18
	v_cmp_gt_u64_e32 vcc, s[8:9], v[16:17]
	s_and_saveexec_b64 s[6:7], vcc
	s_cbranch_execz .LBB130_49
; %bb.1:
	s_add_u32 s3, s4, 0x1a0
	s_load_dword s28, s[0:1], 0x0
	s_load_dword s29, s[4:5], 0x198
	;; [unrolled: 1-line block ×4, first 2 shown]
	s_load_dwordx2 s[6:7], s[4:5], 0x1a0
	s_load_dwordx2 s[16:17], s[4:5], 0xd0
	s_addc_u32 s30, s5, 0
	s_waitcnt lgkmcnt(0)
	s_cmp_gt_i32 s29, 1
	s_cselect_b64 s[18:19], -1, 0
	s_cmp_gt_i32 s31, 1
	s_mov_b32 s33, 0xcd9e8d57
	s_cselect_b64 s[22:23], -1, 0
	s_bitcmp1_b32 s26, 0
	v_mad_u64_u32 v[20:21], s[0:1], v16, s33, 0
	s_mov_b32 s43, 0
	s_cselect_b64 s[26:27], -1, 0
	s_add_i32 s0, s29, -1
	s_mov_b32 s1, s43
	s_add_i32 s44, s29, 1
	s_lshl_b64 s[0:1], s[0:1], 3
	s_add_u32 s0, s0, s4
	s_addc_u32 s1, s1, s5
	s_mul_i32 s42, s28, s2
	s_add_u32 s28, s0, 8
	s_addc_u32 s29, s1, 0
	s_add_i32 s0, s31, -1
	s_mov_b32 s1, s43
	s_load_dwordx2 s[20:21], s[4:5], 0x270
	s_load_dwordx2 s[24:25], s[4:5], 0x0
	s_add_i32 s45, s31, 1
	s_lshl_b64 s[0:1], s[0:1], 3
	s_add_u32 s0, s0, s3
	s_addc_u32 s1, s1, s30
	s_add_u32 s30, s0, 8
	v_mov_b32_e32 v22, v21
	s_addc_u32 s31, s1, 0
	s_mov_b64 s[34:35], 0
	s_mov_b32 s46, 0xd2511f53
	s_mov_b32 s47, 0x3f2aaaab
	v_mov_b32_e32 v21, 0x3ecccdef
	s_mov_b32 s48, 0x3f317218
	s_movk_i32 s49, 0x204
	s_mov_b32 s50, 0x7f800000
	s_mov_b32 s51, 0x42b17218
	;; [unrolled: 1-line block ×4, first 2 shown]
	s_brev_b32 s54, -2
	s_mov_b32 s55, 0xf800000
	v_mov_b32_e32 v23, 0x260
	s_mov_b32 s56, 0x3c6ef372
	s_mov_b32 s57, 0x76cf5d0a
	;; [unrolled: 1-line block ×17, first 2 shown]
	v_mov_b32_e32 v32, 0x37000000
	v_mov_b32_e32 v33, 0x7f800000
	;; [unrolled: 1-line block ×6, first 2 shown]
	v_pk_mov_b32 v[24:25], v[16:17], v[16:17] op_sel:[0,1]
	s_branch .LBB130_4
.LBB130_2:                              ;   in Loop: Header=BB130_4 Depth=1
	s_or_b64 exec, exec, s[4:5]
.LBB130_3:                              ;   in Loop: Header=BB130_4 Depth=1
	s_or_b64 exec, exec, s[2:3]
	v_lshlrev_b64 v[0:1], 2, v[26:27]
	s_waitcnt lgkmcnt(0)
	v_mov_b32_e32 v2, s25
	v_add_co_u32_e32 v0, vcc, s24, v0
	v_addc_co_u32_e32 v1, vcc, v2, v1, vcc
	v_cmp_ngt_f32_e32 vcc, s64, v44
	v_cndmask_b32_e32 v2, v37, v44, vcc
	v_mov_b32_e32 v3, s43
	v_add_co_u32_e32 v24, vcc, s42, v24
	v_addc_co_u32_e32 v25, vcc, v25, v3, vcc
	v_cmp_le_u64_e32 vcc, s[8:9], v[24:25]
	s_or_b64 s[34:35], vcc, s[34:35]
	global_store_dword v[0:1], v2, off
	s_andn2_b64 exec, exec, s[34:35]
	s_cbranch_execz .LBB130_49
.LBB130_4:                              ; =>This Loop Header: Depth=1
                                        ;     Child Loop BB130_6 Depth 2
                                        ;     Child Loop BB130_15 Depth 2
	;; [unrolled: 1-line block ×3, first 2 shown]
                                        ;       Child Loop BB130_36 Depth 3
	v_sub_u32_e32 v0, s8, v24
	v_cmp_lt_i32_e64 s[0:1], 0, v0
	v_pk_mov_b32 v[26:27], 0, 0
	s_and_saveexec_b64 s[4:5], s[0:1]
	s_cbranch_execz .LBB130_13
; %bb.5:                                ;   in Loop: Header=BB130_4 Depth=1
	s_andn2_b64 vcc, exec, s[18:19]
	v_pk_mov_b32 v[0:1], 0, 0
	s_mov_b64 s[36:37], s[28:29]
	s_mov_b32 s73, s44
	v_pk_mov_b32 v[2:3], v[24:25], v[24:25] op_sel:[0,1]
	v_pk_mov_b32 v[4:5], v[24:25], v[24:25] op_sel:[0,1]
	s_cbranch_vccnz .LBB130_12
.LBB130_6:                              ;   Parent Loop BB130_4 Depth=1
                                        ; =>  This Inner Loop Header: Depth=2
	s_load_dwordx2 s[38:39], s[36:37], 0x0
                                        ; implicit-def: $vgpr4_vgpr5
	s_waitcnt lgkmcnt(0)
	v_or_b32_e32 v19, s39, v3
	v_cmp_ne_u64_e32 vcc, 0, v[18:19]
	s_and_saveexec_b64 s[2:3], vcc
	s_xor_b64 s[40:41], exec, s[2:3]
	s_cbranch_execz .LBB130_8
; %bb.7:                                ;   in Loop: Header=BB130_6 Depth=2
	v_cvt_f32_u32_e32 v4, s38
	v_cvt_f32_u32_e32 v5, s39
	s_sub_u32 s2, 0, s38
	s_subb_u32 s3, 0, s39
	v_mac_f32_e32 v4, 0x4f800000, v5
	v_rcp_f32_e32 v4, v4
	v_mul_f32_e32 v4, 0x5f7ffffc, v4
	v_mul_f32_e32 v5, 0x2f800000, v4
	v_trunc_f32_e32 v5, v5
	v_mac_f32_e32 v4, 0xcf800000, v5
	v_cvt_u32_f32_e32 v5, v5
	v_cvt_u32_f32_e32 v4, v4
	v_mul_lo_u32 v6, s2, v5
	v_mul_hi_u32 v8, s2, v4
	v_mul_lo_u32 v7, s3, v4
	v_add_u32_e32 v6, v8, v6
	v_mul_lo_u32 v9, s2, v4
	v_add_u32_e32 v6, v6, v7
	v_mul_hi_u32 v8, v4, v9
	v_mul_lo_u32 v10, v4, v6
	v_mul_hi_u32 v7, v4, v6
	v_add_co_u32_e32 v8, vcc, v8, v10
	v_addc_co_u32_e32 v7, vcc, 0, v7, vcc
	v_mul_hi_u32 v11, v5, v9
	v_mul_lo_u32 v9, v5, v9
	v_add_co_u32_e32 v8, vcc, v8, v9
	v_mul_hi_u32 v10, v5, v6
	v_addc_co_u32_e32 v7, vcc, v7, v11, vcc
	v_addc_co_u32_e32 v8, vcc, 0, v10, vcc
	v_mul_lo_u32 v6, v5, v6
	v_add_co_u32_e32 v6, vcc, v7, v6
	v_addc_co_u32_e32 v7, vcc, 0, v8, vcc
	v_add_co_u32_e32 v4, vcc, v4, v6
	v_addc_co_u32_e32 v5, vcc, v5, v7, vcc
	v_mul_lo_u32 v6, s2, v5
	v_mul_hi_u32 v7, s2, v4
	v_add_u32_e32 v6, v7, v6
	v_mul_lo_u32 v7, s3, v4
	v_add_u32_e32 v6, v6, v7
	v_mul_lo_u32 v8, s2, v4
	v_mul_hi_u32 v9, v5, v8
	v_mul_lo_u32 v10, v5, v8
	v_mul_lo_u32 v12, v4, v6
	v_mul_hi_u32 v8, v4, v8
	v_mul_hi_u32 v11, v4, v6
	v_add_co_u32_e32 v8, vcc, v8, v12
	v_addc_co_u32_e32 v11, vcc, 0, v11, vcc
	v_add_co_u32_e32 v8, vcc, v8, v10
	v_mul_hi_u32 v7, v5, v6
	v_addc_co_u32_e32 v8, vcc, v11, v9, vcc
	v_addc_co_u32_e32 v7, vcc, 0, v7, vcc
	v_mul_lo_u32 v6, v5, v6
	v_add_co_u32_e32 v6, vcc, v8, v6
	v_addc_co_u32_e32 v7, vcc, 0, v7, vcc
	v_add_co_u32_e32 v6, vcc, v4, v6
	v_addc_co_u32_e32 v7, vcc, v5, v7, vcc
	v_mad_u64_u32 v[4:5], s[2:3], v2, v7, 0
	v_mul_hi_u32 v8, v2, v6
	v_add_co_u32_e32 v8, vcc, v8, v4
	v_addc_co_u32_e32 v9, vcc, 0, v5, vcc
	v_mad_u64_u32 v[4:5], s[2:3], v3, v7, 0
	v_mad_u64_u32 v[6:7], s[2:3], v3, v6, 0
	v_add_co_u32_e32 v6, vcc, v8, v6
	v_addc_co_u32_e32 v6, vcc, v9, v7, vcc
	v_addc_co_u32_e32 v5, vcc, 0, v5, vcc
	v_add_co_u32_e32 v6, vcc, v6, v4
	v_addc_co_u32_e32 v7, vcc, 0, v5, vcc
	v_mul_lo_u32 v8, s39, v6
	v_mul_lo_u32 v9, s38, v7
	v_mad_u64_u32 v[4:5], s[2:3], s38, v6, 0
	v_add3_u32 v5, v5, v9, v8
	v_sub_u32_e32 v8, v3, v5
	v_mov_b32_e32 v9, s39
	v_sub_co_u32_e32 v4, vcc, v2, v4
	v_subb_co_u32_e64 v8, s[2:3], v8, v9, vcc
	v_subrev_co_u32_e64 v9, s[2:3], s38, v4
	v_subbrev_co_u32_e64 v8, s[2:3], 0, v8, s[2:3]
	v_cmp_le_u32_e64 s[2:3], s39, v8
	v_cndmask_b32_e64 v10, 0, -1, s[2:3]
	v_cmp_le_u32_e64 s[2:3], s38, v9
	v_cndmask_b32_e64 v9, 0, -1, s[2:3]
	v_cmp_eq_u32_e64 s[2:3], s39, v8
	v_cndmask_b32_e64 v8, v10, v9, s[2:3]
	v_add_co_u32_e64 v9, s[2:3], 2, v6
	v_addc_co_u32_e64 v10, s[2:3], 0, v7, s[2:3]
	v_add_co_u32_e64 v11, s[2:3], 1, v6
	v_addc_co_u32_e64 v12, s[2:3], 0, v7, s[2:3]
	v_subb_co_u32_e32 v5, vcc, v3, v5, vcc
	v_cmp_ne_u32_e64 s[2:3], 0, v8
	v_cmp_le_u32_e32 vcc, s39, v5
	v_cndmask_b32_e64 v8, v12, v10, s[2:3]
	v_cndmask_b32_e64 v10, 0, -1, vcc
	v_cmp_le_u32_e32 vcc, s38, v4
	v_cndmask_b32_e64 v4, 0, -1, vcc
	v_cmp_eq_u32_e32 vcc, s39, v5
	v_cndmask_b32_e32 v4, v10, v4, vcc
	v_cmp_ne_u32_e32 vcc, 0, v4
	v_cndmask_b32_e64 v4, v11, v9, s[2:3]
	v_cndmask_b32_e32 v5, v7, v8, vcc
	v_cndmask_b32_e32 v4, v6, v4, vcc
.LBB130_8:                              ;   in Loop: Header=BB130_6 Depth=2
	s_andn2_saveexec_b64 s[2:3], s[40:41]
	s_cbranch_execz .LBB130_10
; %bb.9:                                ;   in Loop: Header=BB130_6 Depth=2
	v_cvt_f32_u32_e32 v4, s38
	s_sub_i32 s40, 0, s38
	v_rcp_iflag_f32_e32 v4, v4
	v_mul_f32_e32 v4, 0x4f7ffffe, v4
	v_cvt_u32_f32_e32 v4, v4
	v_mul_lo_u32 v5, s40, v4
	v_mul_hi_u32 v5, v4, v5
	v_add_u32_e32 v4, v4, v5
	v_mul_hi_u32 v4, v2, v4
	v_mul_lo_u32 v5, v4, s38
	v_sub_u32_e32 v5, v2, v5
	v_add_u32_e32 v6, 1, v4
	v_subrev_u32_e32 v7, s38, v5
	v_cmp_le_u32_e32 vcc, s38, v5
	v_cndmask_b32_e32 v5, v5, v7, vcc
	v_cndmask_b32_e32 v4, v4, v6, vcc
	v_add_u32_e32 v6, 1, v4
	v_cmp_le_u32_e32 vcc, s38, v5
	v_cndmask_b32_e32 v4, v4, v6, vcc
	v_mov_b32_e32 v5, v18
.LBB130_10:                             ;   in Loop: Header=BB130_6 Depth=2
	s_or_b64 exec, exec, s[2:3]
	v_mad_u64_u32 v[6:7], s[2:3], v4, s38, 0
	s_load_dwordx2 s[2:3], s[36:37], 0xc8
	v_mul_lo_u32 v8, v5, s38
	v_mul_lo_u32 v9, v4, s39
	v_add3_u32 v7, v7, v9, v8
	v_sub_co_u32_e32 v2, vcc, v2, v6
	s_add_i32 s73, s73, -1
	v_subb_co_u32_e32 v3, vcc, v3, v7, vcc
	s_add_u32 s36, s36, -8
	s_waitcnt lgkmcnt(0)
	v_mul_lo_u32 v3, s2, v3
	v_mul_lo_u32 v6, s3, v2
	v_mad_u64_u32 v[0:1], s[2:3], s2, v2, v[0:1]
	s_addc_u32 s37, s37, -1
	s_cmp_gt_u32 s73, 2
	v_add3_u32 v1, v6, v1, v3
	s_cbranch_scc0 .LBB130_12
; %bb.11:                               ;   in Loop: Header=BB130_6 Depth=2
	v_pk_mov_b32 v[2:3], v[4:5], v[4:5] op_sel:[0,1]
	s_branch .LBB130_6
.LBB130_12:                             ;   in Loop: Header=BB130_4 Depth=1
	v_mad_u64_u32 v[26:27], s[2:3], s16, v4, v[0:1]
	v_mul_lo_u32 v0, s16, v5
	v_mul_lo_u32 v1, s17, v4
	v_add3_u32 v27, v1, v27, v0
.LBB130_13:                             ;   in Loop: Header=BB130_4 Depth=1
	s_or_b64 exec, exec, s[4:5]
	v_pk_mov_b32 v[0:1], 0, 0
	s_and_saveexec_b64 s[2:3], s[0:1]
	s_cbranch_execz .LBB130_22
; %bb.14:                               ;   in Loop: Header=BB130_4 Depth=1
	s_andn2_b64 vcc, exec, s[22:23]
	v_pk_mov_b32 v[0:1], 0, 0
	s_mov_b64 s[4:5], s[30:31]
	s_mov_b32 s40, s45
	v_pk_mov_b32 v[2:3], v[24:25], v[24:25] op_sel:[0,1]
	v_pk_mov_b32 v[4:5], v[24:25], v[24:25] op_sel:[0,1]
	s_cbranch_vccnz .LBB130_21
.LBB130_15:                             ;   Parent Loop BB130_4 Depth=1
                                        ; =>  This Inner Loop Header: Depth=2
	s_load_dwordx2 s[36:37], s[4:5], 0x0
                                        ; implicit-def: $vgpr4_vgpr5
	s_waitcnt lgkmcnt(0)
	v_or_b32_e32 v19, s37, v3
	v_cmp_ne_u64_e32 vcc, 0, v[18:19]
	s_and_saveexec_b64 s[0:1], vcc
	s_xor_b64 s[38:39], exec, s[0:1]
	s_cbranch_execz .LBB130_17
; %bb.16:                               ;   in Loop: Header=BB130_15 Depth=2
	v_cvt_f32_u32_e32 v4, s36
	v_cvt_f32_u32_e32 v5, s37
	s_sub_u32 s0, 0, s36
	s_subb_u32 s1, 0, s37
	v_mac_f32_e32 v4, 0x4f800000, v5
	v_rcp_f32_e32 v4, v4
	v_mul_f32_e32 v4, 0x5f7ffffc, v4
	v_mul_f32_e32 v5, 0x2f800000, v4
	v_trunc_f32_e32 v5, v5
	v_mac_f32_e32 v4, 0xcf800000, v5
	v_cvt_u32_f32_e32 v5, v5
	v_cvt_u32_f32_e32 v4, v4
	v_mul_lo_u32 v6, s0, v5
	v_mul_hi_u32 v8, s0, v4
	v_mul_lo_u32 v7, s1, v4
	v_add_u32_e32 v6, v8, v6
	v_mul_lo_u32 v9, s0, v4
	v_add_u32_e32 v6, v6, v7
	v_mul_hi_u32 v8, v4, v9
	v_mul_lo_u32 v10, v4, v6
	v_mul_hi_u32 v7, v4, v6
	v_add_co_u32_e32 v8, vcc, v8, v10
	v_addc_co_u32_e32 v7, vcc, 0, v7, vcc
	v_mul_hi_u32 v11, v5, v9
	v_mul_lo_u32 v9, v5, v9
	v_add_co_u32_e32 v8, vcc, v8, v9
	v_mul_hi_u32 v10, v5, v6
	v_addc_co_u32_e32 v7, vcc, v7, v11, vcc
	v_addc_co_u32_e32 v8, vcc, 0, v10, vcc
	v_mul_lo_u32 v6, v5, v6
	v_add_co_u32_e32 v6, vcc, v7, v6
	v_addc_co_u32_e32 v7, vcc, 0, v8, vcc
	v_add_co_u32_e32 v4, vcc, v4, v6
	v_addc_co_u32_e32 v5, vcc, v5, v7, vcc
	v_mul_lo_u32 v6, s0, v5
	v_mul_hi_u32 v7, s0, v4
	v_add_u32_e32 v6, v7, v6
	v_mul_lo_u32 v7, s1, v4
	v_add_u32_e32 v6, v6, v7
	v_mul_lo_u32 v8, s0, v4
	v_mul_hi_u32 v9, v5, v8
	v_mul_lo_u32 v10, v5, v8
	v_mul_lo_u32 v12, v4, v6
	v_mul_hi_u32 v8, v4, v8
	v_mul_hi_u32 v11, v4, v6
	v_add_co_u32_e32 v8, vcc, v8, v12
	v_addc_co_u32_e32 v11, vcc, 0, v11, vcc
	v_add_co_u32_e32 v8, vcc, v8, v10
	v_mul_hi_u32 v7, v5, v6
	v_addc_co_u32_e32 v8, vcc, v11, v9, vcc
	v_addc_co_u32_e32 v7, vcc, 0, v7, vcc
	v_mul_lo_u32 v6, v5, v6
	v_add_co_u32_e32 v6, vcc, v8, v6
	v_addc_co_u32_e32 v7, vcc, 0, v7, vcc
	v_add_co_u32_e32 v6, vcc, v4, v6
	v_addc_co_u32_e32 v7, vcc, v5, v7, vcc
	v_mad_u64_u32 v[4:5], s[0:1], v2, v7, 0
	v_mul_hi_u32 v8, v2, v6
	v_add_co_u32_e32 v8, vcc, v8, v4
	v_addc_co_u32_e32 v9, vcc, 0, v5, vcc
	v_mad_u64_u32 v[4:5], s[0:1], v3, v7, 0
	v_mad_u64_u32 v[6:7], s[0:1], v3, v6, 0
	v_add_co_u32_e32 v6, vcc, v8, v6
	v_addc_co_u32_e32 v6, vcc, v9, v7, vcc
	v_addc_co_u32_e32 v5, vcc, 0, v5, vcc
	v_add_co_u32_e32 v6, vcc, v6, v4
	v_addc_co_u32_e32 v7, vcc, 0, v5, vcc
	v_mul_lo_u32 v8, s37, v6
	v_mul_lo_u32 v9, s36, v7
	v_mad_u64_u32 v[4:5], s[0:1], s36, v6, 0
	v_add3_u32 v5, v5, v9, v8
	v_sub_u32_e32 v8, v3, v5
	v_mov_b32_e32 v9, s37
	v_sub_co_u32_e32 v4, vcc, v2, v4
	v_subb_co_u32_e64 v8, s[0:1], v8, v9, vcc
	v_subrev_co_u32_e64 v9, s[0:1], s36, v4
	v_subbrev_co_u32_e64 v8, s[0:1], 0, v8, s[0:1]
	v_cmp_le_u32_e64 s[0:1], s37, v8
	v_cndmask_b32_e64 v10, 0, -1, s[0:1]
	v_cmp_le_u32_e64 s[0:1], s36, v9
	v_cndmask_b32_e64 v9, 0, -1, s[0:1]
	v_cmp_eq_u32_e64 s[0:1], s37, v8
	v_cndmask_b32_e64 v8, v10, v9, s[0:1]
	v_add_co_u32_e64 v9, s[0:1], 2, v6
	v_addc_co_u32_e64 v10, s[0:1], 0, v7, s[0:1]
	v_add_co_u32_e64 v11, s[0:1], 1, v6
	v_addc_co_u32_e64 v12, s[0:1], 0, v7, s[0:1]
	v_subb_co_u32_e32 v5, vcc, v3, v5, vcc
	v_cmp_ne_u32_e64 s[0:1], 0, v8
	v_cmp_le_u32_e32 vcc, s37, v5
	v_cndmask_b32_e64 v8, v12, v10, s[0:1]
	v_cndmask_b32_e64 v10, 0, -1, vcc
	v_cmp_le_u32_e32 vcc, s36, v4
	v_cndmask_b32_e64 v4, 0, -1, vcc
	v_cmp_eq_u32_e32 vcc, s37, v5
	v_cndmask_b32_e32 v4, v10, v4, vcc
	v_cmp_ne_u32_e32 vcc, 0, v4
	v_cndmask_b32_e64 v4, v11, v9, s[0:1]
	v_cndmask_b32_e32 v5, v7, v8, vcc
	v_cndmask_b32_e32 v4, v6, v4, vcc
.LBB130_17:                             ;   in Loop: Header=BB130_15 Depth=2
	s_andn2_saveexec_b64 s[0:1], s[38:39]
	s_cbranch_execz .LBB130_19
; %bb.18:                               ;   in Loop: Header=BB130_15 Depth=2
	v_cvt_f32_u32_e32 v4, s36
	s_sub_i32 s38, 0, s36
	v_rcp_iflag_f32_e32 v4, v4
	v_mul_f32_e32 v4, 0x4f7ffffe, v4
	v_cvt_u32_f32_e32 v4, v4
	v_mul_lo_u32 v5, s38, v4
	v_mul_hi_u32 v5, v4, v5
	v_add_u32_e32 v4, v4, v5
	v_mul_hi_u32 v4, v2, v4
	v_mul_lo_u32 v5, v4, s36
	v_sub_u32_e32 v5, v2, v5
	v_add_u32_e32 v6, 1, v4
	v_subrev_u32_e32 v7, s36, v5
	v_cmp_le_u32_e32 vcc, s36, v5
	v_cndmask_b32_e32 v5, v5, v7, vcc
	v_cndmask_b32_e32 v4, v4, v6, vcc
	v_add_u32_e32 v6, 1, v4
	v_cmp_le_u32_e32 vcc, s36, v5
	v_cndmask_b32_e32 v4, v4, v6, vcc
	v_mov_b32_e32 v5, v18
.LBB130_19:                             ;   in Loop: Header=BB130_15 Depth=2
	s_or_b64 exec, exec, s[0:1]
	v_mad_u64_u32 v[6:7], s[0:1], v4, s36, 0
	s_load_dwordx2 s[0:1], s[4:5], 0xc8
	v_mul_lo_u32 v8, v5, s36
	v_mul_lo_u32 v9, v4, s37
	v_add3_u32 v7, v7, v9, v8
	v_sub_co_u32_e32 v2, vcc, v2, v6
	s_add_i32 s40, s40, -1
	v_subb_co_u32_e32 v3, vcc, v3, v7, vcc
	s_add_u32 s4, s4, -8
	s_waitcnt lgkmcnt(0)
	v_mul_lo_u32 v3, s0, v3
	v_mul_lo_u32 v6, s1, v2
	v_mad_u64_u32 v[0:1], s[0:1], s0, v2, v[0:1]
	s_addc_u32 s5, s5, -1
	s_cmp_gt_u32 s40, 2
	v_add3_u32 v1, v6, v1, v3
	s_cbranch_scc0 .LBB130_21
; %bb.20:                               ;   in Loop: Header=BB130_15 Depth=2
	v_pk_mov_b32 v[2:3], v[4:5], v[4:5] op_sel:[0,1]
	s_branch .LBB130_15
.LBB130_21:                             ;   in Loop: Header=BB130_4 Depth=1
	s_waitcnt lgkmcnt(0)
	v_mad_u64_u32 v[0:1], s[0:1], s20, v4, v[0:1]
	v_mul_lo_u32 v2, s20, v5
	v_mul_lo_u32 v3, s21, v4
	v_add3_u32 v1, v3, v1, v2
.LBB130_22:                             ;   in Loop: Header=BB130_4 Depth=1
	s_or_b64 exec, exec, s[2:3]
	v_lshlrev_b64 v[0:1], 2, v[0:1]
	v_mov_b32_e32 v2, s7
	v_add_co_u32_e32 v0, vcc, s6, v0
	v_addc_co_u32_e32 v1, vcc, v2, v1, vcc
	global_load_dword v30, v[0:1], off
	s_andn2_b64 vcc, exec, s[26:27]
	v_pk_mov_b32 v[0:1], s[12:13], s[12:13] op_sel:[0,1]
	v_pk_mov_b32 v[28:29], s[10:11], s[10:11] op_sel:[0,1]
	s_cbranch_vccnz .LBB130_24
; %bb.23:                               ;   in Loop: Header=BB130_4 Depth=1
	v_pk_mov_b32 v[0:1], s[12:13], s[12:13] op_sel:[0,1]
	flat_load_dwordx2 v[0:1], v[0:1]
	v_pk_mov_b32 v[2:3], s[10:11], s[10:11] op_sel:[0,1]
	flat_load_dwordx2 v[28:29], v[2:3]
	v_mov_b32_e32 v2, s15
	s_waitcnt vmcnt(0) lgkmcnt(0)
	v_add_co_u32_e32 v0, vcc, s14, v0
	v_addc_co_u32_e32 v1, vcc, v1, v2, vcc
.LBB130_24:                             ;   in Loop: Header=BB130_4 Depth=1
	v_and_b32_e32 v58, 3, v0
	v_alignbit_b32 v0, v1, v0, 2
	v_mad_u64_u32 v[6:7], s[0:1], v0, s46, 0
	v_lshrrev_b32_e32 v1, 2, v1
	v_xor_b32_e32 v5, v7, v29
	v_xor_b32_e32 v7, v22, v28
	v_mov_b32_e32 v4, v29
	v_xor_b32_e32 v7, v7, v1
	v_add_co_u32_e32 v31, vcc, s66, v4
	v_mad_u64_u32 v[8:9], s[0:1], v7, s46, 0
	v_mad_u64_u32 v[10:11], s[0:1], v5, s33, 0
	v_add_co_u32_e32 v38, vcc, 0x9e3779b9, v28
	v_xor_b32_e32 v5, v20, v11
	v_xor_b32_e32 v7, v31, v9
	v_xor_b32_e32 v5, v5, v38
	v_xor_b32_e32 v9, v7, v6
	v_add_co_u32_e32 v40, vcc, s56, v28
	v_add_co_u32_e32 v39, vcc, s57, v4
	v_mad_u64_u32 v[6:7], s[0:1], v5, s46, 0
	v_mad_u64_u32 v[12:13], s[0:1], v9, s33, 0
	v_xor_b32_e32 v5, v40, v13
	v_xor_b32_e32 v7, v39, v7
	v_xor_b32_e32 v5, v5, v10
	v_xor_b32_e32 v7, v7, v8
	v_add_co_u32_e32 v42, vcc, s67, v28
	v_add_co_u32_e32 v41, vcc, s58, v4
	v_mad_u64_u32 v[8:9], s[0:1], v5, s46, 0
	v_mad_u64_u32 v[10:11], s[0:1], v7, s33, 0
	;; [unrolled: 8-line block ×7, first 2 shown]
	v_xor_b32_e32 v5, v52, v5
	v_xor_b32_e32 v7, v51, v7
	;; [unrolled: 1-line block ×4, first 2 shown]
	v_mad_u64_u32 v[12:13], s[0:1], v5, s46, 0
	v_mad_u64_u32 v[14:15], s[0:1], v7, s33, 0
	v_add_u32_e32 v17, 0x8ff34781, v28
	v_add_u32_e32 v19, 0x96a522ad, v29
	v_xor_b32_e32 v4, v15, v4
	v_xor_b32_e32 v5, v13, v6
	v_mov_b32_e32 v2, v16
	v_mov_b32_e32 v3, v18
	v_xor_b32_e32 v4, v17, v4
	v_xor_b32_e32 v6, v19, v5
	v_mov_b32_e32 v5, v14
	v_mov_b32_e32 v7, v12
	s_waitcnt vmcnt(0)
	v_cmp_gt_f32_e32 vcc, 1.0, v30
	s_mov_b64 s[0:1], -1
	v_mov_b32_e32 v15, 1.0
                                        ; implicit-def: $sgpr2
	s_and_saveexec_b64 s[36:37], vcc
	s_cbranch_execz .LBB130_30
; %bb.25:                               ;   in Loop: Header=BB130_4 Depth=1
	v_cmp_neq_f32_e32 vcc, 0, v30
	s_mov_b64 s[40:41], 0
	v_mov_b32_e32 v15, 1.0
	s_and_saveexec_b64 s[38:39], vcc
	s_cbranch_execz .LBB130_29
; %bb.26:                               ;   in Loop: Header=BB130_4 Depth=1
	v_add_u32_e32 v13, 1, v58
	v_pk_mov_b32 v[10:11], v[6:7], v[6:7] op_sel:[0,1]
	v_cmp_eq_u32_e32 vcc, 4, v13
	v_pk_mov_b32 v[8:9], v[4:5], v[4:5] op_sel:[0,1]
	s_and_saveexec_b64 s[0:1], vcc
	s_cbranch_execz .LBB130_28
; %bb.27:                               ;   in Loop: Header=BB130_4 Depth=1
	v_add_co_u32_e32 v0, vcc, 1, v0
	v_cndmask_b32_e64 v2, 0, 1, vcc
	v_addc_co_u32_e32 v1, vcc, 0, v1, vcc
	v_cmp_eq_u32_e32 vcc, 0, v1
	v_cndmask_b32_e32 v3, 0, v2, vcc
	v_add_u32_e32 v2, v3, v16
	v_cmp_eq_u32_e32 vcc, 0, v2
	v_mad_u64_u32 v[8:9], s[2:3], v0, s46, 0
	v_cndmask_b32_e32 v3, 0, v3, vcc
	v_mad_u64_u32 v[10:11], s[2:3], v2, s33, 0
	v_xor_b32_e32 v7, v9, v29
	v_xor_b32_e32 v5, v11, v28
	v_xor_b32_e32 v7, v3, v7
	v_xor_b32_e32 v5, v1, v5
	v_mad_u64_u32 v[56:57], s[2:3], v7, s33, 0
	v_mad_u64_u32 v[54:55], s[2:3], v5, s46, 0
	v_xor_b32_e32 v5, v38, v57
	v_xor_b32_e32 v5, v5, v10
	v_xor_b32_e32 v7, v31, v55
	v_xor_b32_e32 v7, v7, v8
	v_mad_u64_u32 v[8:9], s[2:3], v5, s46, 0
	;; [unrolled: 6-line block ×9, first 2 shown]
	v_mad_u64_u32 v[38:39], s[2:3], v5, s46, 0
	v_xor_b32_e32 v5, v41, v8
	v_xor_b32_e32 v8, v17, v5
	;; [unrolled: 1-line block ×3, first 2 shown]
	v_mov_b32_e32 v13, 0
	v_xor_b32_e32 v10, v19, v5
	v_mov_b32_e32 v9, v40
	v_mov_b32_e32 v11, v38
.LBB130_28:                             ;   in Loop: Header=BB130_4 Depth=1
	s_or_b64 exec, exec, s[0:1]
	v_cmp_eq_u32_e32 vcc, 1, v58
	v_cndmask_b32_e32 v4, v4, v14, vcc
	v_cmp_eq_u32_e32 vcc, 2, v58
	v_cndmask_b32_e32 v4, v4, v6, vcc
	;; [unrolled: 2-line block ×3, first 2 shown]
	v_div_scale_f32 v5, s[0:1], v30, v30, 1.0
	v_cvt_f32_u32_e32 v4, v4
	v_rcp_f32_e32 v6, v5
	v_mov_b32_e32 v7, 0x2f800000
	s_mov_b64 s[40:41], exec
	v_fmac_f32_e32 v7, 0x2f800000, v4
	v_fma_f32 v4, -v5, v6, 1.0
	v_fmac_f32_e32 v6, v4, v6
	v_div_scale_f32 v4, vcc, 1.0, v30, 1.0
	v_sub_f32_e32 v48, 1.0, v7
	v_mul_f32_e32 v7, v4, v6
	v_fma_f32 v12, -v5, v7, v4
	v_fmac_f32_e32 v7, v12, v6
	v_fma_f32 v4, -v5, v7, v4
	v_div_fmas_f32 v4, v4, v6, v7
	v_div_fixup_f32 v49, v4, v30, 1.0
	v_cmp_eq_f32_e32 vcc, 1.0, v48
	v_cndmask_b32_e64 v50, v49, 1.0, vcc
	v_cmp_eq_f32_e64 s[0:1], 0, v50
	v_cndmask_b32_e64 v51, |v48|, 1.0, s[0:1]
	v_frexp_mant_f32_e32 v4, v51
	v_cmp_gt_f32_e64 s[2:3], s47, v4
	v_cndmask_b32_e64 v5, 1.0, 2.0, s[2:3]
	v_mul_f32_e32 v4, v4, v5
	v_add_f32_e32 v7, 1.0, v4
	v_rcp_f32_e32 v12, v7
	v_add_f32_e32 v5, -1.0, v7
	v_sub_f32_e32 v15, v4, v5
	v_add_f32_e32 v5, -1.0, v4
	v_mul_f32_e32 v31, v5, v12
	v_mul_f32_e32 v6, v7, v31
	v_fma_f32 v14, v31, v7, -v6
	v_fmac_f32_e32 v14, v31, v15
	v_add_f32_e32 v4, v6, v14
	v_sub_f32_e32 v7, v5, v4
	v_pk_add_f32 v[38:39], v[4:5], v[6:7] neg_lo:[0,1] neg_hi:[0,1]
	v_mov_b32_e32 v15, v4
	v_pk_add_f32 v[4:5], v[38:39], v[14:15] neg_lo:[0,1] neg_hi:[0,1]
	v_add_f32_e32 v4, v4, v5
	v_add_f32_e32 v4, v7, v4
	v_mul_f32_e32 v5, v12, v4
	v_add_f32_e32 v4, v31, v5
	v_sub_f32_e32 v6, v4, v31
	v_sub_f32_e32 v31, v5, v6
	v_mul_f32_e32 v5, v4, v4
	v_fma_f32 v7, v4, v4, -v5
	v_add_f32_e32 v6, v31, v31
	v_fmac_f32_e32 v7, v4, v6
	v_add_f32_e32 v6, v5, v7
	v_mov_b32_e32 v12, 0x3e91f4c4
	v_fmac_f32_e32 v12, 0x3e76c4e1, v6
	v_fma_f32 v12, v6, v12, v21
	v_sub_f32_e32 v5, v6, v5
	v_sub_f32_e32 v42, v7, v5
	v_mul_f32_e32 v5, v6, v12
	v_fma_f32 v7, v6, v12, -v5
	v_fmac_f32_e32 v7, v42, v12
	v_add_f32_e32 v12, v5, v7
	v_add_f32_e32 v15, 0x3f2aaaaa, v12
	v_sub_f32_e32 v5, v12, v5
	v_sub_f32_e32 v5, v7, v5
	v_add_f32_e32 v7, 0xbf2aaaaa, v15
	v_add_f32_e32 v5, 0x31739010, v5
	v_sub_f32_e32 v7, v12, v7
	v_pk_mul_f32 v[38:39], v[4:5], v[6:7]
	v_fma_f32 v14, v6, v4, -v38
	v_pk_add_f32 v[40:41], v[4:5], v[6:7]
	v_fmac_f32_e32 v14, v6, v31
	v_mov_b32_e32 v39, v41
	v_fmac_f32_e32 v14, v42, v4
	v_pk_add_f32 v[6:7], v[38:39], v[14:15]
	v_sub_f32_e32 v12, v15, v7
	v_sub_f32_e32 v5, v6, v38
	v_add_f32_e32 v40, v41, v12
	v_mov_b32_e32 v12, v7
	v_cvt_f64_f32_e32 v[38:39], v51
	v_sub_f32_e32 v5, v14, v5
	v_pk_mul_f32 v[14:15], v[6:7], v[12:13]
	v_frexp_exp_i32_f64_e32 v12, v[38:39]
	v_subbrev_co_u32_e64 v12, s[2:3], 0, v12, s[2:3]
	v_cvt_f32_i32_e32 v12, v12
	v_fma_f32 v38, v6, v7, -v14
	v_fmac_f32_e32 v38, v6, v40
	v_fmac_f32_e32 v38, v5, v7
	v_mul_f32_e32 v6, 0x3f317218, v12
	v_fma_f32 v40, v12, s48, -v6
	v_fmac_f32_e32 v40, 0xb102e308, v12
	v_ldexp_f32 v41, v4, 1
	v_add_f32_e32 v7, v14, v38
	v_pk_add_f32 v[4:5], v[6:7], v[40:41]
	v_mov_b32_e32 v42, v7
	v_mov_b32_e32 v43, v5
	;; [unrolled: 1-line block ×3, first 2 shown]
	v_pk_add_f32 v[14:15], v[42:43], v[14:15] neg_lo:[0,1] neg_hi:[0,1]
	v_mov_b32_e32 v39, v7
	v_ldexp_f32 v12, v31, 1
	v_pk_add_f32 v[14:15], v[38:39], v[14:15] neg_lo:[0,1] neg_hi:[0,1]
	v_add_f32_e32 v7, v12, v14
	v_add_f32_e32 v7, v7, v15
	v_pk_add_f32 v[14:15], v[4:5], v[6:7] neg_lo:[0,1] neg_hi:[0,1]
	v_pk_add_f32 v[38:39], v[4:5], v[6:7]
	v_mov_b32_e32 v42, v14
	v_mov_b32_e32 v43, v39
	;; [unrolled: 1-line block ×3, first 2 shown]
	v_pk_add_f32 v[42:43], v[40:41], v[42:43]
	v_mov_b32_e32 v6, v43
	v_pk_add_f32 v[44:45], v[6:7], v[4:5] neg_lo:[0,1] neg_hi:[0,1]
	v_mov_b32_e32 v31, v44
	v_mov_b32_e32 v42, v39
	;; [unrolled: 1-line block ×4, first 2 shown]
	v_pk_add_f32 v[14:15], v[40:41], v[14:15] neg_lo:[0,1] neg_hi:[0,1]
	v_pk_add_f32 v[46:47], v[38:39], v[30:31] neg_lo:[0,1] neg_hi:[0,1]
	;; [unrolled: 1-line block ×3, first 2 shown]
	v_mov_b32_e32 v40, v7
	v_pk_add_f32 v[4:5], v[40:41], v[4:5] neg_lo:[0,1] neg_hi:[0,1]
	v_mov_b32_e32 v46, v14
	v_pk_add_f32 v[38:39], v[46:47], v[4:5]
	v_mov_b32_e32 v12, v39
	v_pk_add_f32 v[40:41], v[38:39], v[12:13]
	v_pk_add_f32 v[6:7], v[6:7], v[40:41]
	v_mov_b32_e32 v15, v43
	v_mov_b32_e32 v39, v6
	v_pk_add_f32 v[42:43], v[38:39], v[14:15] neg_lo:[0,1] neg_hi:[0,1]
	v_mov_b32_e32 v5, v40
	v_sub_f32_e32 v7, v38, v42
	v_pk_add_f32 v[4:5], v[4:5], v[42:43] neg_lo:[0,1] neg_hi:[0,1]
	v_sub_f32_e32 v7, v14, v7
	v_add_f32_e32 v4, v4, v7
	v_add_f32_e32 v4, v4, v5
	v_add_f32_e32 v5, v6, v4
	v_sub_f32_e32 v6, v5, v6
	v_sub_f32_e32 v4, v4, v6
	v_mul_f32_e32 v6, v50, v5
	v_fma_f32 v5, v50, v5, -v6
	v_fmac_f32_e32 v5, v50, v4
	v_add_f32_e32 v4, v6, v5
	v_cmp_class_f32_e64 s[2:3], v6, s49
	v_sub_f32_e32 v7, v4, v6
	v_cndmask_b32_e64 v4, v4, v6, s[2:3]
	v_cmp_eq_f32_e64 s[2:3], s51, v4
	v_cndmask_b32_e64 v6, 0, v32, s[2:3]
	v_sub_f32_e32 v5, v5, v7
	v_sub_f32_e32 v7, v4, v6
	v_mul_f32_e32 v12, 0x3fb8aa3b, v7
	v_fma_f32 v14, v7, s52, -v12
	v_rndne_f32_e32 v15, v12
	v_fmac_f32_e32 v14, 0x32a5705f, v7
	v_sub_f32_e32 v12, v12, v15
	v_add_f32_e32 v12, v12, v14
	v_exp_f32_e32 v12, v12
	v_cvt_i32_f32_e32 v14, v15
	v_cmp_neq_f32_e64 s[2:3], |v4|, s50
	v_cndmask_b32_e64 v4, 0, v5, s[2:3]
	v_cmp_ngt_f32_e64 s[2:3], s53, v7
	v_ldexp_f32 v5, v12, v14
	v_cndmask_b32_e64 v5, 0, v5, s[2:3]
	v_cmp_nlt_f32_e64 s[2:3], s51, v7
	v_add_f32_e32 v4, v6, v4
	v_cndmask_b32_e64 v5, v33, v5, s[2:3]
	v_fma_f32 v4, v5, v4, v5
	v_cmp_class_f32_e64 s[2:3], v5, s49
	v_trunc_f32_e32 v6, v50
	v_cndmask_b32_e64 v4, v4, v5, s[2:3]
	v_cndmask_b32_e64 v5, v48, 1.0, s[0:1]
	v_cmp_eq_f32_e64 s[0:1], v6, v50
	v_mul_f32_e32 v6, 0.5, v50
	v_trunc_f32_e32 v7, v6
	v_cmp_neq_f32_e64 s[2:3], v7, v6
	s_and_b64 s[2:3], s[0:1], s[2:3]
	v_cndmask_b32_e64 v6, 1.0, v5, s[2:3]
	v_bfi_b32 v4, s54, v4, v6
	v_cndmask_b32_e64 v6, v34, v4, s[0:1]
	v_cmp_gt_f32_e64 s[0:1], 0, v5
	v_cndmask_b32_e64 v4, v4, v6, s[0:1]
	v_cndmask_b32_e64 v6, |v49|, 1.0, vcc
	v_cmp_neq_f32_e32 vcc, v50, v6
	v_cmp_gt_f32_e64 s[0:1], 1.0, v51
	s_xor_b64 s[0:1], vcc, s[0:1]
	v_cndmask_b32_e64 v7, v6, 0, s[0:1]
	v_cmp_eq_f32_e32 vcc, 1.0, v51
	v_cmp_eq_f32_e64 s[0:1], 0, v5
	v_cmp_gt_f32_e64 s[4:5], 0, v50
	v_cndmask_b32_e32 v7, v7, v51, vcc
	v_cmp_eq_f32_e32 vcc, s50, v6
	s_xor_b64 s[4:5], s[4:5], s[0:1]
	v_cndmask_b32_e32 v4, v4, v7, vcc
	v_cmp_eq_f32_e32 vcc, s50, v51
	v_cndmask_b32_e64 v6, v33, 0, s[4:5]
	v_cndmask_b32_e64 v5, 0, v5, s[2:3]
	v_bfi_b32 v5, s54, v6, v5
	s_or_b64 vcc, vcc, s[0:1]
	v_cndmask_b32_e32 v15, v4, v5, vcc
	v_pk_mov_b32 v[4:5], v[8:9], v[8:9] op_sel:[0,1]
	v_add_f32_e32 v30, 1.0, v30
	v_pk_mov_b32 v[6:7], v[10:11], v[10:11] op_sel:[0,1]
	v_mov_b32_e32 v58, v13
.LBB130_29:                             ;   in Loop: Header=BB130_4 Depth=1
	s_or_b64 exec, exec, s[38:39]
	s_mov_b32 s2, 0
	s_orn2_b64 s[0:1], s[40:41], exec
.LBB130_30:                             ;   in Loop: Header=BB130_4 Depth=1
	s_or_b64 exec, exec, s[36:37]
	v_mov_b32_e32 v44, s2
	s_and_saveexec_b64 s[2:3], s[0:1]
	s_cbranch_execz .LBB130_3
; %bb.31:                               ;   in Loop: Header=BB130_4 Depth=1
	v_add_f32_e32 v38, 0xbeaaaaab, v30
	v_mul_f32_e32 v8, 0x41100000, v38
	v_mul_f32_e32 v9, 0x4f800000, v8
	v_cmp_gt_f32_e32 vcc, s55, v8
	v_cndmask_b32_e32 v8, v8, v9, vcc
	v_sqrt_f32_e32 v9, v8
	v_mul_f32_e32 v40, v15, v38
	v_add_u32_e32 v41, 0x9e3779b9, v28
	v_add_u32_e32 v42, 0xbb67ae85, v29
	v_add_u32_e32 v10, -1, v9
	v_fma_f32 v12, -v10, v9, v8
	v_add_u32_e32 v11, 1, v9
	v_cmp_ge_f32_e64 s[0:1], 0, v12
	v_cndmask_b32_e64 v10, v9, v10, s[0:1]
	v_fma_f32 v9, -v11, v9, v8
	v_cmp_lt_f32_e64 s[0:1], 0, v9
	v_cndmask_b32_e64 v9, v10, v11, s[0:1]
	v_mul_f32_e32 v10, 0x37800000, v9
	v_cndmask_b32_e32 v9, v9, v10, vcc
	v_cmp_class_f32_e32 vcc, v8, v23
	v_cndmask_b32_e32 v8, v9, v8, vcc
	v_div_scale_f32 v9, s[0:1], v8, v8, 1.0
	v_rcp_f32_e32 v10, v9
	v_add_u32_e32 v43, 0x3c6ef372, v28
	v_add_u32_e32 v45, 0x76cf5d0a, v29
	;; [unrolled: 1-line block ×3, first 2 shown]
	v_fma_f32 v11, -v9, v10, 1.0
	v_fmac_f32_e32 v10, v11, v10
	v_div_scale_f32 v11, vcc, 1.0, v8, 1.0
	v_mul_f32_e32 v12, v11, v10
	v_fma_f32 v13, -v9, v12, v11
	v_fmac_f32_e32 v12, v13, v10
	v_fma_f32 v9, -v9, v12, v11
	v_div_fmas_f32 v9, v9, v10, v12
	v_div_fixup_f32 v39, v9, v8, 1.0
	v_add_u32_e32 v47, 0x32370b8f, v29
	v_add_u32_e32 v48, 0x78dde6e4, v28
	;; [unrolled: 1-line block ×11, first 2 shown]
	s_mov_b64 s[4:5], 0
	v_mov_b32_e32 v60, 0
                                        ; implicit-def: $vgpr30
                                        ; implicit-def: $vgpr44
	s_branch .LBB130_33
.LBB130_32:                             ;   in Loop: Header=BB130_33 Depth=2
	s_or_b64 exec, exec, s[36:37]
	s_xor_b64 s[0:1], s[0:1], -1
	s_and_b64 s[0:1], exec, s[0:1]
	s_or_b64 s[4:5], s[0:1], s[4:5]
	s_andn2_b64 exec, exec, s[4:5]
	s_cbranch_execz .LBB130_2
.LBB130_33:                             ;   Parent Loop BB130_4 Depth=1
                                        ; =>  This Loop Header: Depth=2
                                        ;       Child Loop BB130_36 Depth 3
	v_pk_mov_b32 v[10:11], v[6:7], v[6:7] op_sel:[0,1]
	s_mov_b64 s[36:37], 0
	v_mov_b32_e32 v59, v58
	v_pk_mov_b32 v[8:9], v[4:5], v[4:5] op_sel:[0,1]
	s_branch .LBB130_36
.LBB130_34:                             ;   in Loop: Header=BB130_36 Depth=3
	s_or_b64 exec, exec, s[0:1]
	v_cmp_eq_u32_e32 vcc, 1, v59
	v_cndmask_b32_e32 v8, v8, v9, vcc
	v_cmp_eq_u32_e32 vcc, 2, v59
	v_cndmask_b32_e32 v8, v8, v10, vcc
	;; [unrolled: 2-line block ×4, first 2 shown]
	v_cvt_f32_u32_e32 v5, v8
	v_cmp_eq_u32_e32 vcc, 2, v30
	v_cndmask_b32_e32 v4, v4, v6, vcc
	v_mov_b32_e32 v6, 0x2f800000
	v_fmac_f32_e32 v6, 0x2f800000, v5
	v_cmp_gt_f32_e32 vcc, s64, v6
	v_cndmask_b32_e32 v5, 1.0, v35, vcc
	v_mul_f32_e32 v5, v6, v5
	v_log_f32_e32 v5, v5
	v_cmp_eq_u32_e64 s[0:1], 3, v30
	v_cndmask_b32_e64 v4, v4, v7, s[0:1]
	v_cvt_f32_u32_e32 v4, v4
	v_mul_f32_e32 v6, 0x3f317217, v5
	v_fma_f32 v7, v5, s65, -v6
	v_fmac_f32_e32 v7, 0x3377d1cf, v5
	v_add_f32_e32 v6, v6, v7
	v_cmp_lt_f32_e64 s[0:1], |v5|, s50
	v_cndmask_b32_e64 v5, v5, v6, s[0:1]
	v_cndmask_b32_e32 v6, 0, v36, vcc
	v_sub_f32_e32 v5, v5, v6
	v_mul_f32_e32 v5, -2.0, v5
	v_mul_f32_e32 v6, 0x4f800000, v5
	v_cmp_gt_f32_e32 vcc, s55, v5
	v_cndmask_b32_e32 v6, v5, v6, vcc
	v_sqrt_f32_e32 v5, v6
	v_mov_b32_e32 v7, 0x30c90fdb
	v_fmac_f32_e32 v7, 0x30c90fdb, v4
	v_mov_b32_e32 v60, 1
	v_add_u32_e32 v4, -1, v5
	v_fma_f32 v8, -v4, v5, v6
	v_cmp_ge_f32_e64 s[0:1], 0, v8
	v_add_u32_e32 v8, 1, v5
	v_cndmask_b32_e64 v4, v5, v4, s[0:1]
	v_fma_f32 v5, -v8, v5, v6
	v_cmp_lt_f32_e64 s[0:1], 0, v5
	v_cndmask_b32_e64 v8, v4, v8, s[0:1]
	v_mul_f32_e32 v4, 0.15915494, v7
	v_sin_f32_e32 v5, v4
	v_cos_f32_e32 v4, v4
	v_mul_f32_e32 v9, 0x37800000, v8
	v_cndmask_b32_e32 v7, v8, v9, vcc
	v_cmp_class_f32_e32 vcc, v6, v23
	v_cndmask_b32_e32 v6, v7, v6, vcc
	v_pk_mov_b32 v[8:9], v[12:13], v[12:13] op_sel:[0,1]
	v_pk_mul_f32 v[30:31], v[6:7], v[4:5] op_sel_hi:[0,1]
	v_pk_mov_b32 v[10:11], v[14:15], v[14:15] op_sel:[0,1]
	v_mov_b32_e32 v59, v58
.LBB130_35:                             ;   in Loop: Header=BB130_36 Depth=3
	s_or_b64 exec, exec, s[38:39]
	v_fma_f32 v12, v39, v31, 1.0
	v_cmp_nge_f32_e32 vcc, 0, v12
	s_or_b64 s[36:37], vcc, s[36:37]
	s_andn2_b64 exec, exec, s[36:37]
	s_cbranch_execz .LBB130_41
.LBB130_36:                             ;   Parent Loop BB130_4 Depth=1
                                        ;     Parent Loop BB130_33 Depth=2
                                        ; =>    This Inner Loop Header: Depth=3
	v_cmp_eq_u32_e32 vcc, 0, v60
	v_mov_b32_e32 v60, 0
	v_mov_b32_e32 v31, v30
	s_and_saveexec_b64 s[38:39], vcc
	s_cbranch_execz .LBB130_35
; %bb.37:                               ;   in Loop: Header=BB130_36 Depth=3
	v_add_u32_e32 v30, 1, v59
	v_pk_mov_b32 v[4:5], v[8:9], v[8:9] op_sel:[0,1]
	v_cmp_eq_u32_e32 vcc, 4, v30
	v_pk_mov_b32 v[6:7], v[10:11], v[10:11] op_sel:[0,1]
	s_and_saveexec_b64 s[0:1], vcc
	s_cbranch_execz .LBB130_39
; %bb.38:                               ;   in Loop: Header=BB130_36 Depth=3
	v_add_co_u32_e32 v0, vcc, 1, v0
	v_cndmask_b32_e64 v4, 0, 1, vcc
	v_addc_co_u32_e32 v1, vcc, 0, v1, vcc
	v_cmp_eq_u32_e32 vcc, 0, v1
	v_cndmask_b32_e32 v4, 0, v4, vcc
	v_add_u32_e32 v2, v4, v2
	v_cmp_eq_u32_e32 vcc, 0, v2
	v_cndmask_b32_e32 v4, 0, v4, vcc
	v_add_u32_e32 v3, v4, v3
	v_mad_u64_u32 v[4:5], s[40:41], v0, s46, 0
	v_mad_u64_u32 v[6:7], s[40:41], v2, s33, 0
	v_xor_b32_e32 v7, v7, v28
	v_xor_b32_e32 v5, v5, v29
	v_xor_b32_e32 v7, v1, v7
	v_xor_b32_e32 v5, v3, v5
	v_mad_u64_u32 v[12:13], s[40:41], v7, s46, 0
	v_mad_u64_u32 v[14:15], s[40:41], v5, s33, 0
	v_xor_b32_e32 v5, v15, v6
	v_xor_b32_e32 v4, v13, v4
	v_xor_b32_e32 v5, v41, v5
	v_xor_b32_e32 v6, v42, v4
	;; [unrolled: 6-line block ×9, first 2 shown]
	v_mad_u64_u32 v[12:13], s[40:41], v5, s46, 0
	v_mad_u64_u32 v[14:15], s[40:41], v7, s33, 0
	v_xor_b32_e32 v4, v15, v4
	v_xor_b32_e32 v5, v13, v6
	v_mov_b32_e32 v30, 0
	v_xor_b32_e32 v4, v17, v4
	v_xor_b32_e32 v6, v19, v5
	v_mov_b32_e32 v5, v14
	v_mov_b32_e32 v7, v12
.LBB130_39:                             ;   in Loop: Header=BB130_36 Depth=3
	s_or_b64 exec, exec, s[0:1]
	v_add_u32_e32 v58, 1, v30
	v_pk_mov_b32 v[14:15], v[6:7], v[6:7] op_sel:[0,1]
	v_cmp_eq_u32_e32 vcc, 4, v58
	v_pk_mov_b32 v[12:13], v[4:5], v[4:5] op_sel:[0,1]
	s_and_saveexec_b64 s[0:1], vcc
	s_cbranch_execz .LBB130_34
; %bb.40:                               ;   in Loop: Header=BB130_36 Depth=3
	v_add_co_u32_e32 v0, vcc, 1, v0
	v_cndmask_b32_e64 v12, 0, 1, vcc
	v_addc_co_u32_e32 v1, vcc, 0, v1, vcc
	v_cmp_eq_u32_e32 vcc, 0, v1
	v_cndmask_b32_e32 v12, 0, v12, vcc
	v_add_u32_e32 v2, v12, v2
	v_cmp_eq_u32_e32 vcc, 0, v2
	v_cndmask_b32_e32 v12, 0, v12, vcc
	v_add_u32_e32 v3, v12, v3
	v_mad_u64_u32 v[12:13], s[40:41], v0, s46, 0
	v_mad_u64_u32 v[14:15], s[40:41], v2, s33, 0
	v_xor_b32_e32 v15, v15, v28
	v_xor_b32_e32 v13, v13, v29
	v_xor_b32_e32 v15, v1, v15
	v_xor_b32_e32 v13, v3, v13
	v_mad_u64_u32 v[60:61], s[40:41], v15, s46, 0
	v_mad_u64_u32 v[62:63], s[40:41], v13, s33, 0
	v_xor_b32_e32 v13, v63, v14
	v_xor_b32_e32 v12, v61, v12
	v_xor_b32_e32 v13, v41, v13
	v_xor_b32_e32 v14, v42, v12
	;; [unrolled: 6-line block ×9, first 2 shown]
	v_mad_u64_u32 v[60:61], s[40:41], v13, s46, 0
	v_mad_u64_u32 v[62:63], s[40:41], v15, s33, 0
	v_xor_b32_e32 v12, v63, v12
	v_xor_b32_e32 v13, v61, v14
	v_mov_b32_e32 v58, 0
	v_xor_b32_e32 v12, v17, v12
	v_xor_b32_e32 v14, v19, v13
	v_mov_b32_e32 v13, v62
	v_mov_b32_e32 v15, v60
	s_branch .LBB130_34
.LBB130_41:                             ;   in Loop: Header=BB130_33 Depth=2
	s_or_b64 exec, exec, s[36:37]
	v_add_u32_e32 v58, 1, v59
	v_pk_mov_b32 v[4:5], v[8:9], v[8:9] op_sel:[0,1]
	v_cmp_eq_u32_e32 vcc, 4, v58
	v_pk_mov_b32 v[6:7], v[10:11], v[10:11] op_sel:[0,1]
	s_and_saveexec_b64 s[0:1], vcc
	s_cbranch_execz .LBB130_43
; %bb.42:                               ;   in Loop: Header=BB130_33 Depth=2
	v_add_co_u32_e32 v0, vcc, 1, v0
	v_cndmask_b32_e64 v4, 0, 1, vcc
	v_addc_co_u32_e32 v1, vcc, 0, v1, vcc
	v_cmp_eq_u32_e32 vcc, 0, v1
	v_cndmask_b32_e32 v4, 0, v4, vcc
	v_add_u32_e32 v2, v4, v2
	v_cmp_eq_u32_e32 vcc, 0, v2
	v_cndmask_b32_e32 v4, 0, v4, vcc
	v_add_u32_e32 v3, v4, v3
	v_mad_u64_u32 v[4:5], s[36:37], v0, s46, 0
	v_mad_u64_u32 v[6:7], s[36:37], v2, s33, 0
	v_xor_b32_e32 v7, v7, v28
	v_xor_b32_e32 v5, v5, v29
	v_xor_b32_e32 v7, v1, v7
	v_xor_b32_e32 v5, v3, v5
	v_mad_u64_u32 v[14:15], s[36:37], v7, s46, 0
	v_mad_u64_u32 v[62:63], s[36:37], v5, s33, 0
	v_xor_b32_e32 v5, v63, v6
	v_xor_b32_e32 v4, v15, v4
	v_xor_b32_e32 v5, v41, v5
	v_xor_b32_e32 v6, v42, v4
	;; [unrolled: 6-line block ×9, first 2 shown]
	v_mad_u64_u32 v[14:15], s[36:37], v5, s46, 0
	v_mad_u64_u32 v[62:63], s[36:37], v7, s33, 0
	v_xor_b32_e32 v4, v63, v4
	v_xor_b32_e32 v5, v15, v6
	v_mov_b32_e32 v58, 0
	v_xor_b32_e32 v4, v17, v4
	v_xor_b32_e32 v6, v19, v5
	v_mov_b32_e32 v5, v62
	v_mov_b32_e32 v7, v14
.LBB130_43:                             ;   in Loop: Header=BB130_33 Depth=2
	s_or_b64 exec, exec, s[0:1]
	v_cmp_eq_u32_e32 vcc, 1, v59
	v_cndmask_b32_e32 v8, v8, v9, vcc
	v_cmp_eq_u32_e32 vcc, 2, v59
	v_cndmask_b32_e32 v8, v8, v10, vcc
	v_cmp_eq_u32_e32 vcc, 3, v59
	v_cndmask_b32_e32 v8, v8, v11, vcc
	v_cvt_f32_u32_e32 v9, v8
	v_mov_b32_e32 v10, 0x2f800000
	v_mul_f32_e32 v8, v12, v12
	v_mul_f32_e32 v8, v12, v8
	v_fmac_f32_e32 v10, 0x2f800000, v9
	v_mul_f32_e32 v9, v31, v31
	v_mul_f32_e32 v11, 0xbd0793de, v9
	v_sub_f32_e32 v10, 1.0, v10
	v_fma_f32 v11, v9, v11, 1.0
	v_cmp_nlt_f32_e32 vcc, v10, v11
                                        ; implicit-def: $sgpr0_sgpr1
	s_and_saveexec_b64 s[36:37], vcc
	s_xor_b64 s[36:37], exec, s[36:37]
	s_cbranch_execz .LBB130_47
; %bb.44:                               ;   in Loop: Header=BB130_33 Depth=2
	v_cmp_gt_f32_e32 vcc, s64, v10
	v_cndmask_b32_e32 v11, 1.0, v35, vcc
	v_mul_f32_e32 v10, v10, v11
	v_log_f32_e32 v10, v10
	v_mul_f32_e32 v11, 0x3f317217, v10
	v_fma_f32 v12, v10, s65, -v11
	v_fmac_f32_e32 v12, 0x3377d1cf, v10
	v_add_f32_e32 v11, v11, v12
	v_cmp_lt_f32_e64 s[0:1], |v10|, s50
	v_cndmask_b32_e64 v10, v10, v11, s[0:1]
	v_cmp_gt_f32_e64 s[0:1], s64, v8
	v_cndmask_b32_e64 v11, 1.0, v35, s[0:1]
	v_mul_f32_e32 v11, v8, v11
	v_log_f32_e32 v11, v11
	v_cndmask_b32_e32 v12, 0, v36, vcc
	v_sub_f32_e32 v10, v10, v12
	v_sub_f32_e32 v12, 1.0, v8
	v_mul_f32_e32 v13, 0x3f317217, v11
	v_fma_f32 v14, v11, s65, -v13
	v_fmac_f32_e32 v14, 0x3377d1cf, v11
	v_add_f32_e32 v13, v13, v14
	v_cmp_lt_f32_e64 vcc, |v11|, s50
	v_cndmask_b32_e32 v11, v11, v13, vcc
	v_cndmask_b32_e64 v13, 0, v36, s[0:1]
	v_sub_f32_e32 v11, v11, v13
	v_add_f32_e32 v11, v12, v11
	v_mul_f32_e32 v11, v38, v11
	v_fmac_f32_e32 v11, 0.5, v9
	v_cmp_lt_f32_e32 vcc, v10, v11
	s_mov_b64 s[0:1], -1
	s_and_saveexec_b64 s[38:39], vcc
; %bb.45:                               ;   in Loop: Header=BB130_33 Depth=2
	v_mul_f32_e32 v44, v40, v8
	s_xor_b64 s[0:1], exec, -1
; %bb.46:                               ;   in Loop: Header=BB130_33 Depth=2
	s_or_b64 exec, exec, s[38:39]
	s_and_b64 s[0:1], s[0:1], exec
                                        ; implicit-def: $vgpr8
.LBB130_47:                             ;   in Loop: Header=BB130_33 Depth=2
	s_andn2_saveexec_b64 s[36:37], s[36:37]
	s_cbranch_execz .LBB130_32
; %bb.48:                               ;   in Loop: Header=BB130_33 Depth=2
	v_mul_f32_e32 v44, v40, v8
	s_andn2_b64 s[0:1], s[0:1], exec
	s_branch .LBB130_32
.LBB130_49:
	s_endpgm
	.section	.rodata,"a",@progbits
	.p2align	6, 0x0
	.amdhsa_kernel _ZN2at4cuda12_GLOBAL__N_121kernelPointwiseApply2IZN12_GLOBAL__N_117gamma_cuda_kernelIfEEvRKNS_10TensorBaseES7_NS_15PhiloxCudaStateEEUlRfRKfE_ffmLin1ELin1ELi1ELi256ELi2EEEvNS0_6detail10TensorInfoIT0_T2_EENSE_IT1_SG_EESG_T_
		.amdhsa_group_segment_fixed_size 0
		.amdhsa_private_segment_fixed_size 0
		.amdhsa_kernarg_size 1128
		.amdhsa_user_sgpr_count 6
		.amdhsa_user_sgpr_private_segment_buffer 1
		.amdhsa_user_sgpr_dispatch_ptr 0
		.amdhsa_user_sgpr_queue_ptr 0
		.amdhsa_user_sgpr_kernarg_segment_ptr 1
		.amdhsa_user_sgpr_dispatch_id 0
		.amdhsa_user_sgpr_flat_scratch_init 0
		.amdhsa_user_sgpr_kernarg_preload_length 0
		.amdhsa_user_sgpr_kernarg_preload_offset 0
		.amdhsa_user_sgpr_private_segment_size 0
		.amdhsa_uses_dynamic_stack 0
		.amdhsa_system_sgpr_private_segment_wavefront_offset 0
		.amdhsa_system_sgpr_workgroup_id_x 1
		.amdhsa_system_sgpr_workgroup_id_y 0
		.amdhsa_system_sgpr_workgroup_id_z 0
		.amdhsa_system_sgpr_workgroup_info 0
		.amdhsa_system_vgpr_workitem_id 0
		.amdhsa_next_free_vgpr 64
		.amdhsa_next_free_sgpr 74
		.amdhsa_accum_offset 64
		.amdhsa_reserve_vcc 1
		.amdhsa_reserve_flat_scratch 0
		.amdhsa_float_round_mode_32 0
		.amdhsa_float_round_mode_16_64 0
		.amdhsa_float_denorm_mode_32 3
		.amdhsa_float_denorm_mode_16_64 3
		.amdhsa_dx10_clamp 1
		.amdhsa_ieee_mode 1
		.amdhsa_fp16_overflow 0
		.amdhsa_tg_split 0
		.amdhsa_exception_fp_ieee_invalid_op 0
		.amdhsa_exception_fp_denorm_src 0
		.amdhsa_exception_fp_ieee_div_zero 0
		.amdhsa_exception_fp_ieee_overflow 0
		.amdhsa_exception_fp_ieee_underflow 0
		.amdhsa_exception_fp_ieee_inexact 0
		.amdhsa_exception_int_div_zero 0
	.end_amdhsa_kernel
	.section	.text._ZN2at4cuda12_GLOBAL__N_121kernelPointwiseApply2IZN12_GLOBAL__N_117gamma_cuda_kernelIfEEvRKNS_10TensorBaseES7_NS_15PhiloxCudaStateEEUlRfRKfE_ffmLin1ELin1ELi1ELi256ELi2EEEvNS0_6detail10TensorInfoIT0_T2_EENSE_IT1_SG_EESG_T_,"axG",@progbits,_ZN2at4cuda12_GLOBAL__N_121kernelPointwiseApply2IZN12_GLOBAL__N_117gamma_cuda_kernelIfEEvRKNS_10TensorBaseES7_NS_15PhiloxCudaStateEEUlRfRKfE_ffmLin1ELin1ELi1ELi256ELi2EEEvNS0_6detail10TensorInfoIT0_T2_EENSE_IT1_SG_EESG_T_,comdat
.Lfunc_end130:
	.size	_ZN2at4cuda12_GLOBAL__N_121kernelPointwiseApply2IZN12_GLOBAL__N_117gamma_cuda_kernelIfEEvRKNS_10TensorBaseES7_NS_15PhiloxCudaStateEEUlRfRKfE_ffmLin1ELin1ELi1ELi256ELi2EEEvNS0_6detail10TensorInfoIT0_T2_EENSE_IT1_SG_EESG_T_, .Lfunc_end130-_ZN2at4cuda12_GLOBAL__N_121kernelPointwiseApply2IZN12_GLOBAL__N_117gamma_cuda_kernelIfEEvRKNS_10TensorBaseES7_NS_15PhiloxCudaStateEEUlRfRKfE_ffmLin1ELin1ELi1ELi256ELi2EEEvNS0_6detail10TensorInfoIT0_T2_EENSE_IT1_SG_EESG_T_
                                        ; -- End function
	.section	.AMDGPU.csdata,"",@progbits
; Kernel info:
; codeLenInByte = 7008
; NumSgprs: 78
; NumVgprs: 64
; NumAgprs: 0
; TotalNumVgprs: 64
; ScratchSize: 0
; MemoryBound: 0
; FloatMode: 240
; IeeeMode: 1
; LDSByteSize: 0 bytes/workgroup (compile time only)
; SGPRBlocks: 9
; VGPRBlocks: 7
; NumSGPRsForWavesPerEU: 78
; NumVGPRsForWavesPerEU: 64
; AccumOffset: 64
; Occupancy: 8
; WaveLimiterHint : 1
; COMPUTE_PGM_RSRC2:SCRATCH_EN: 0
; COMPUTE_PGM_RSRC2:USER_SGPR: 6
; COMPUTE_PGM_RSRC2:TRAP_HANDLER: 0
; COMPUTE_PGM_RSRC2:TGID_X_EN: 1
; COMPUTE_PGM_RSRC2:TGID_Y_EN: 0
; COMPUTE_PGM_RSRC2:TGID_Z_EN: 0
; COMPUTE_PGM_RSRC2:TIDIG_COMP_CNT: 0
; COMPUTE_PGM_RSRC3_GFX90A:ACCUM_OFFSET: 15
; COMPUTE_PGM_RSRC3_GFX90A:TG_SPLIT: 0
	.section	.text._ZN2at4cuda12_GLOBAL__N_121kernelPointwiseApply2IZN12_GLOBAL__N_117gamma_cuda_kernelIN3c104HalfEEEvRKNS_10TensorBaseES9_NS_15PhiloxCudaStateEEUlRS6_RKS6_E_S6_S6_jLi1ELi1ELi1ELi256ELi2EEEvNS0_6detail10TensorInfoIT0_T2_EENSG_IT1_SI_EESI_T_,"axG",@progbits,_ZN2at4cuda12_GLOBAL__N_121kernelPointwiseApply2IZN12_GLOBAL__N_117gamma_cuda_kernelIN3c104HalfEEEvRKNS_10TensorBaseES9_NS_15PhiloxCudaStateEEUlRS6_RKS6_E_S6_S6_jLi1ELi1ELi1ELi256ELi2EEEvNS0_6detail10TensorInfoIT0_T2_EENSG_IT1_SI_EESI_T_,comdat
	.globl	_ZN2at4cuda12_GLOBAL__N_121kernelPointwiseApply2IZN12_GLOBAL__N_117gamma_cuda_kernelIN3c104HalfEEEvRKNS_10TensorBaseES9_NS_15PhiloxCudaStateEEUlRS6_RKS6_E_S6_S6_jLi1ELi1ELi1ELi256ELi2EEEvNS0_6detail10TensorInfoIT0_T2_EENSG_IT1_SI_EESI_T_ ; -- Begin function _ZN2at4cuda12_GLOBAL__N_121kernelPointwiseApply2IZN12_GLOBAL__N_117gamma_cuda_kernelIN3c104HalfEEEvRKNS_10TensorBaseES9_NS_15PhiloxCudaStateEEUlRS6_RKS6_E_S6_S6_jLi1ELi1ELi1ELi256ELi2EEEvNS0_6detail10TensorInfoIT0_T2_EENSG_IT1_SI_EESI_T_
	.p2align	8
	.type	_ZN2at4cuda12_GLOBAL__N_121kernelPointwiseApply2IZN12_GLOBAL__N_117gamma_cuda_kernelIN3c104HalfEEEvRKNS_10TensorBaseES9_NS_15PhiloxCudaStateEEUlRS6_RKS6_E_S6_S6_jLi1ELi1ELi1ELi256ELi2EEEvNS0_6detail10TensorInfoIT0_T2_EENSG_IT1_SI_EESI_T_,@function
_ZN2at4cuda12_GLOBAL__N_121kernelPointwiseApply2IZN12_GLOBAL__N_117gamma_cuda_kernelIN3c104HalfEEEvRKNS_10TensorBaseES9_NS_15PhiloxCudaStateEEUlRS6_RKS6_E_S6_S6_jLi1ELi1ELi1ELi256ELi2EEEvNS0_6detail10TensorInfoIT0_T2_EENSG_IT1_SI_EESI_T_: ; @_ZN2at4cuda12_GLOBAL__N_121kernelPointwiseApply2IZN12_GLOBAL__N_117gamma_cuda_kernelIN3c104HalfEEEvRKNS_10TensorBaseES9_NS_15PhiloxCudaStateEEUlRS6_RKS6_E_S6_S6_jLi1ELi1ELi1ELi256ELi2EEEvNS0_6detail10TensorInfoIT0_T2_EENSG_IT1_SI_EESI_T_
; %bb.0:
	s_load_dword s2, s[4:5], 0x1e4
	s_load_dword s30, s[4:5], 0x1b0
	s_add_u32 s0, s4, 0x1d8
	s_addc_u32 s1, s5, 0
	s_waitcnt lgkmcnt(0)
	s_and_b32 s2, s2, 0xffff
	s_mul_i32 s6, s6, s2
	v_add_u32_e32 v2, s6, v0
	v_cmp_gt_u32_e32 vcc, s30, v2
	s_and_saveexec_b64 s[6:7], vcc
	s_cbranch_execz .LBB131_30
; %bb.1:
	s_load_dword s3, s[4:5], 0x1d0
	s_load_dwordx2 s[10:11], s[4:5], 0x0
	s_load_dword s31, s[4:5], 0x6c
	s_load_dwordx2 s[16:17], s[4:5], 0xd8
	s_load_dword s33, s[4:5], 0x144
	s_load_dwordx2 s[18:19], s[4:5], 0x1c8
	s_load_dwordx4 s[12:15], s[4:5], 0x1b8
	s_load_dword s35, s[0:1], 0x0
	s_mov_b32 s34, 0xcd9e8d57
	s_waitcnt lgkmcnt(0)
	s_bitcmp1_b32 s3, 0
	v_mad_u64_u32 v[20:21], s[0:1], v2, s34, 0
	s_cselect_b64 s[0:1], -1, 0
	v_cndmask_b32_e64 v0, 0, 1, s[0:1]
	v_mov_b32_e32 v3, 0
	v_mov_b32_e32 v22, v21
	s_mul_i32 s35, s35, s2
	s_mov_b64 s[20:21], 0
	v_mov_b32_e32 v21, s17
	v_cmp_ne_u32_e64 s[0:1], 1, v0
	s_mov_b32 s17, 0xd2511f53
	s_mov_b32 s36, 0x9e3779b9
	;; [unrolled: 1-line block ×11, first 2 shown]
	v_mov_b32_e32 v23, 0x3ecccdef
	s_mov_b32 s46, 0x3f317218
	s_movk_i32 s47, 0x204
	s_mov_b32 s48, 0x7f800000
	s_mov_b32 s49, 0x42b17218
	;; [unrolled: 1-line block ×4, first 2 shown]
	s_brev_b32 s52, -2
	s_mov_b32 s53, 0xf800000
	v_mov_b32_e32 v26, 0x260
	s_mov_b32 s54, 0x646e171e
	s_mov_b32 s55, 0x5384540f
	;; [unrolled: 1-line block ×5, first 2 shown]
	s_movk_i32 s59, 0x400
	s_mov_b32 s60, 0xa9066899
	s_mov_b32 s61, 0xb54cda56
	;; [unrolled: 1-line block ×4, first 2 shown]
	v_mov_b32_e32 v27, 0x37000000
	v_mov_b32_e32 v28, 0x7f800000
	;; [unrolled: 1-line block ×7, first 2 shown]
	s_branch .LBB131_4
.LBB131_2:                              ;   in Loop: Header=BB131_4 Depth=1
	s_or_b64 exec, exec, s[4:5]
.LBB131_3:                              ;   in Loop: Header=BB131_4 Depth=1
	s_or_b64 exec, exec, s[6:7]
	v_mul_lo_u32 v1, v33, s31
	v_cndmask_b32_e64 v4, 0, v1, s[2:3]
	v_mov_b32_e32 v5, v3
	v_lshlrev_b64 v[4:5], 1, v[4:5]
	v_mov_b32_e32 v1, s11
	v_add_co_u32_e32 v4, vcc, s10, v4
	v_addc_co_u32_e32 v5, vcc, v1, v5, vcc
	v_cmp_ngt_f16_e32 vcc, s59, v0
	v_add_u32_e32 v33, s35, v33
	v_cndmask_b32_e32 v0, v32, v0, vcc
	v_cmp_le_u32_e32 vcc, s30, v33
	s_or_b64 s[20:21], vcc, s[20:21]
	global_store_short v[4:5], v0, off
	s_andn2_b64 exec, exec, s[20:21]
	s_cbranch_execz .LBB131_30
.LBB131_4:                              ; =>This Loop Header: Depth=1
                                        ;     Child Loop BB131_15 Depth 2
	v_sub_u32_e32 v0, s30, v33
	v_mul_lo_u32 v1, v33, s33
	v_cmp_lt_i32_e64 s[2:3], 0, v0
	v_cndmask_b32_e64 v0, 0, v1, s[2:3]
	v_mov_b32_e32 v1, v3
	v_lshlrev_b64 v[0:1], 1, v[0:1]
	v_add_co_u32_e32 v0, vcc, s16, v0
	v_addc_co_u32_e32 v1, vcc, v21, v1, vcc
	global_load_ushort v38, v[0:1], off
	s_and_b64 vcc, exec, s[0:1]
	v_pk_mov_b32 v[0:1], s[14:15], s[14:15] op_sel:[0,1]
	v_pk_mov_b32 v[24:25], s[12:13], s[12:13] op_sel:[0,1]
	s_cbranch_vccnz .LBB131_6
; %bb.5:                                ;   in Loop: Header=BB131_4 Depth=1
	v_pk_mov_b32 v[0:1], s[14:15], s[14:15] op_sel:[0,1]
	flat_load_dwordx2 v[0:1], v[0:1]
	v_pk_mov_b32 v[4:5], s[12:13], s[12:13] op_sel:[0,1]
	flat_load_dwordx2 v[24:25], v[4:5]
	v_mov_b32_e32 v4, s19
	s_waitcnt vmcnt(0) lgkmcnt(0)
	v_add_co_u32_e32 v0, vcc, s18, v0
	v_addc_co_u32_e32 v1, vcc, v1, v4, vcc
.LBB131_6:                              ;   in Loop: Header=BB131_4 Depth=1
	v_and_b32_e32 v36, 3, v0
	v_alignbit_b32 v0, v1, v0, 2
	v_mad_u64_u32 v[6:7], s[4:5], v0, s17, 0
	v_lshrrev_b32_e32 v1, 2, v1
	v_xor_b32_e32 v5, v7, v25
	v_xor_b32_e32 v7, v22, v24
	v_mov_b32_e32 v4, v25
	v_xor_b32_e32 v7, v7, v1
	v_mad_u64_u32 v[10:11], s[4:5], v5, s34, 0
	v_add_co_u32_e32 v40, vcc, s36, v24
	v_add_co_u32_e32 v39, vcc, s37, v4
	v_mad_u64_u32 v[8:9], s[4:5], v7, s17, 0
	v_xor_b32_e32 v5, v20, v11
	v_xor_b32_e32 v5, v5, v40
	v_xor_b32_e32 v7, v39, v9
	v_xor_b32_e32 v9, v7, v6
	v_add_co_u32_e32 v41, vcc, s39, v4
	v_mad_u64_u32 v[6:7], s[4:5], v5, s17, 0
	v_add_co_u32_e32 v42, vcc, s38, v24
	v_mad_u64_u32 v[12:13], s[4:5], v9, s34, 0
	v_xor_b32_e32 v7, v41, v7
	v_xor_b32_e32 v5, v42, v13
	v_xor_b32_e32 v7, v7, v8
	v_xor_b32_e32 v5, v5, v10
	v_add_co_u32_e32 v44, vcc, s40, v24
	v_mad_u64_u32 v[10:11], s[4:5], v7, s34, 0
	;; [unrolled: 8-line block ×7, first 2 shown]
	v_add_co_u32_e32 v54, vcc, s62, v24
	v_mad_u64_u32 v[6:7], s[4:5], v6, s34, 0
	v_xor_b32_e32 v5, v53, v5
	v_xor_b32_e32 v7, v54, v7
	;; [unrolled: 1-line block ×4, first 2 shown]
	v_mad_u64_u32 v[18:19], s[4:5], v5, s34, 0
	v_mad_u64_u32 v[16:17], s[4:5], v7, s17, 0
	v_xor_b32_e32 v5, v19, v6
	s_waitcnt vmcnt(0)
	v_cvt_f32_f16_e32 v19, v38
	v_add_u32_e32 v34, 0x8ff34781, v24
	v_add_u32_e32 v35, 0x96a522ad, v25
	v_xor_b32_e32 v4, v17, v4
	v_xor_b32_e32 v8, v34, v5
	;; [unrolled: 1-line block ×3, first 2 shown]
	v_pk_mov_b32 v[6:7], v[2:3], v[2:3] op_sel:[0,1]
	v_mov_b32_e32 v9, v18
	v_mov_b32_e32 v11, v16
	v_cmp_gt_f16_e32 vcc, 1.0, v38
	s_mov_b64 s[4:5], -1
	v_mov_b32_e32 v37, 1.0
	v_pk_mov_b32 v[4:5], v[0:1], v[0:1] op_sel:[0,1]
                                        ; implicit-def: $sgpr6
	s_and_saveexec_b64 s[22:23], vcc
	s_cbranch_execz .LBB131_12
; %bb.7:                                ;   in Loop: Header=BB131_4 Depth=1
	v_cmp_neq_f16_e32 vcc, 0, v38
	s_mov_b64 s[26:27], 0
	v_mov_b32_e32 v37, 1.0
                                        ; implicit-def: $vgpr4_vgpr5_vgpr6_vgpr7
	s_and_saveexec_b64 s[24:25], vcc
	s_cbranch_execz .LBB131_11
; %bb.8:                                ;   in Loop: Header=BB131_4 Depth=1
	v_add_u32_e32 v17, 1, v36
	v_pk_mov_b32 v[14:15], v[10:11], v[10:11] op_sel:[0,1]
	v_pk_mov_b32 v[6:7], v[2:3], v[2:3] op_sel:[0,1]
	v_cmp_eq_u32_e32 vcc, 4, v17
	v_pk_mov_b32 v[12:13], v[8:9], v[8:9] op_sel:[0,1]
	v_pk_mov_b32 v[4:5], v[0:1], v[0:1] op_sel:[0,1]
	s_and_saveexec_b64 s[4:5], vcc
	s_cbranch_execz .LBB131_10
; %bb.9:                                ;   in Loop: Header=BB131_4 Depth=1
	v_add_co_u32_e32 v4, vcc, 1, v0
	v_cndmask_b32_e64 v0, 0, 1, vcc
	v_addc_co_u32_e32 v5, vcc, 0, v1, vcc
	v_cmp_eq_u32_e32 vcc, 0, v5
	v_cndmask_b32_e32 v0, 0, v0, vcc
	v_add_u32_e32 v6, v0, v2
	v_cmp_eq_u32_e32 vcc, 0, v6
	v_cndmask_b32_e32 v7, 0, v0, vcc
	v_mad_u64_u32 v[0:1], s[6:7], v4, s17, 0
	v_mad_u64_u32 v[12:13], s[6:7], v6, s34, 0
	v_xor_b32_e32 v9, v13, v24
	v_xor_b32_e32 v1, v1, v25
	v_xor_b32_e32 v9, v5, v9
	v_xor_b32_e32 v1, v7, v1
	v_mad_u64_u32 v[14:15], s[6:7], v9, s17, 0
	v_mad_u64_u32 v[56:57], s[6:7], v1, s34, 0
	v_xor_b32_e32 v1, v40, v57
	v_xor_b32_e32 v9, v39, v15
	v_xor_b32_e32 v1, v1, v12
	v_xor_b32_e32 v9, v9, v0
	;; [unrolled: 6-line block ×9, first 2 shown]
	v_mad_u64_u32 v[40:41], s[6:7], v9, s17, 0
	v_mad_u64_u32 v[42:43], s[6:7], v1, s34, 0
	v_xor_b32_e32 v1, v43, v12
	v_xor_b32_e32 v0, v41, v0
	v_mov_b32_e32 v17, 0
	v_xor_b32_e32 v12, v34, v1
	v_xor_b32_e32 v14, v35, v0
	v_mov_b32_e32 v13, v42
	v_mov_b32_e32 v15, v40
.LBB131_10:                             ;   in Loop: Header=BB131_4 Depth=1
	s_or_b64 exec, exec, s[4:5]
	v_cmp_eq_u32_e32 vcc, 1, v36
	v_cndmask_b32_e32 v0, v8, v18, vcc
	v_cmp_eq_u32_e32 vcc, 2, v36
	v_cndmask_b32_e32 v0, v0, v10, vcc
	;; [unrolled: 2-line block ×3, first 2 shown]
	v_div_scale_f32 v1, s[4:5], v19, v19, 1.0
	v_cvt_f32_u32_e32 v0, v0
	v_rcp_f32_e32 v8, v1
	v_mov_b32_e32 v9, 0x2f800000
	s_mov_b64 s[26:27], exec
	v_fmac_f32_e32 v9, 0x2f800000, v0
	v_fma_f32 v0, -v1, v8, 1.0
	v_fmac_f32_e32 v8, v0, v8
	v_div_scale_f32 v0, vcc, 1.0, v19, 1.0
	v_sub_f32_e32 v46, 1.0, v9
	v_mul_f32_e32 v9, v0, v8
	v_fma_f32 v10, -v1, v9, v0
	v_fmac_f32_e32 v9, v10, v8
	v_fma_f32 v0, -v1, v9, v0
	v_div_fmas_f32 v0, v0, v8, v9
	v_div_fixup_f32 v47, v0, v19, 1.0
	v_cmp_eq_f32_e32 vcc, 1.0, v46
	v_cndmask_b32_e64 v48, v47, 1.0, vcc
	v_cmp_eq_f32_e64 s[4:5], 0, v48
	v_cndmask_b32_e64 v49, |v46|, 1.0, s[4:5]
	v_frexp_mant_f32_e32 v0, v49
	v_cmp_gt_f32_e64 s[6:7], s45, v0
	v_cndmask_b32_e64 v1, 1.0, 2.0, s[6:7]
	v_mul_f32_e32 v0, v0, v1
	v_add_f32_e32 v9, 1.0, v0
	v_rcp_f32_e32 v16, v9
	v_add_f32_e32 v1, -1.0, v9
	v_sub_f32_e32 v11, v0, v1
	v_add_f32_e32 v1, -1.0, v0
	v_mul_f32_e32 v36, v1, v16
	v_mul_f32_e32 v8, v9, v36
	v_fma_f32 v10, v36, v9, -v8
	v_fmac_f32_e32 v10, v36, v11
	v_add_f32_e32 v0, v8, v10
	v_sub_f32_e32 v9, v1, v0
	v_pk_add_f32 v[18:19], v[0:1], v[8:9] neg_lo:[0,1] neg_hi:[0,1]
	v_mov_b32_e32 v11, v0
	v_pk_add_f32 v[0:1], v[18:19], v[10:11] neg_lo:[0,1] neg_hi:[0,1]
	v_add_f32_e32 v0, v0, v1
	v_add_f32_e32 v0, v9, v0
	v_mul_f32_e32 v1, v16, v0
	v_add_f32_e32 v0, v36, v1
	v_sub_f32_e32 v8, v0, v36
	v_sub_f32_e32 v16, v1, v8
	v_mul_f32_e32 v1, v0, v0
	v_fma_f32 v9, v0, v0, -v1
	v_add_f32_e32 v8, v16, v16
	v_fmac_f32_e32 v9, v0, v8
	v_add_f32_e32 v8, v1, v9
	v_mov_b32_e32 v10, 0x3e91f4c4
	v_fmac_f32_e32 v10, 0x3e76c4e1, v8
	v_fma_f32 v10, v8, v10, v23
	v_sub_f32_e32 v1, v8, v1
	v_sub_f32_e32 v39, v9, v1
	v_mul_f32_e32 v1, v8, v10
	v_fma_f32 v9, v8, v10, -v1
	v_fmac_f32_e32 v9, v39, v10
	v_add_f32_e32 v10, v1, v9
	v_add_f32_e32 v11, 0x3f2aaaaa, v10
	v_sub_f32_e32 v1, v10, v1
	v_sub_f32_e32 v1, v9, v1
	v_add_f32_e32 v9, 0xbf2aaaaa, v11
	v_add_f32_e32 v1, 0x31739010, v1
	v_sub_f32_e32 v9, v10, v9
	v_pk_mul_f32 v[18:19], v[0:1], v[8:9]
	v_fma_f32 v10, v8, v0, -v18
	v_pk_add_f32 v[36:37], v[0:1], v[8:9]
	v_fmac_f32_e32 v10, v8, v16
	v_mov_b32_e32 v19, v37
	v_fmac_f32_e32 v10, v39, v0
	v_pk_add_f32 v[8:9], v[18:19], v[10:11]
	v_sub_f32_e32 v1, v8, v18
	v_sub_f32_e32 v1, v10, v1
	;; [unrolled: 1-line block ×3, first 2 shown]
	v_add_f32_e32 v36, v37, v10
	v_mov_b32_e32 v10, v9
	v_pk_mul_f32 v[10:11], v[8:9], v[10:11]
	v_cvt_f64_f32_e32 v[18:19], v49
	v_frexp_exp_i32_f64_e32 v11, v[18:19]
	v_subbrev_co_u32_e64 v11, s[6:7], 0, v11, s[6:7]
	v_cvt_f32_i32_e32 v11, v11
	v_fma_f32 v18, v8, v9, -v10
	v_fmac_f32_e32 v18, v8, v36
	v_fmac_f32_e32 v18, v1, v9
	v_mul_f32_e32 v8, 0x3f317218, v11
	v_fma_f32 v36, v11, s46, -v8
	v_fmac_f32_e32 v36, 0xb102e308, v11
	v_ldexp_f32 v37, v0, 1
	v_add_f32_e32 v9, v10, v18
	v_pk_add_f32 v[0:1], v[8:9], v[36:37]
	v_mov_b32_e32 v40, v9
	v_mov_b32_e32 v41, v1
	;; [unrolled: 1-line block ×3, first 2 shown]
	v_pk_add_f32 v[10:11], v[40:41], v[10:11] neg_lo:[0,1] neg_hi:[0,1]
	v_mov_b32_e32 v19, v9
	v_ldexp_f32 v16, v16, 1
	v_pk_add_f32 v[10:11], v[18:19], v[10:11] neg_lo:[0,1] neg_hi:[0,1]
	v_add_f32_e32 v9, v16, v10
	v_add_f32_e32 v9, v9, v11
	v_pk_add_f32 v[10:11], v[0:1], v[8:9] neg_lo:[0,1] neg_hi:[0,1]
	v_pk_add_f32 v[18:19], v[0:1], v[8:9]
	v_mov_b32_e32 v40, v10
	v_mov_b32_e32 v41, v19
	;; [unrolled: 1-line block ×3, first 2 shown]
	v_pk_add_f32 v[40:41], v[36:37], v[40:41]
	v_mov_b32_e32 v8, v41
	v_pk_add_f32 v[42:43], v[8:9], v[0:1] neg_lo:[0,1] neg_hi:[0,1]
	v_mov_b32_e32 v39, v42
	v_mov_b32_e32 v40, v19
	;; [unrolled: 1-line block ×4, first 2 shown]
	v_pk_add_f32 v[10:11], v[36:37], v[10:11] neg_lo:[0,1] neg_hi:[0,1]
	v_pk_add_f32 v[44:45], v[18:19], v[38:39] neg_lo:[0,1] neg_hi:[0,1]
	;; [unrolled: 1-line block ×3, first 2 shown]
	v_mov_b32_e32 v36, v9
	v_pk_add_f32 v[0:1], v[36:37], v[0:1] neg_lo:[0,1] neg_hi:[0,1]
	v_mov_b32_e32 v44, v10
	v_pk_add_f32 v[18:19], v[44:45], v[0:1]
	v_mov_b32_e32 v16, v19
	v_pk_add_f32 v[36:37], v[18:19], v[16:17]
	v_pk_add_f32 v[8:9], v[8:9], v[36:37]
	v_mov_b32_e32 v11, v41
	v_mov_b32_e32 v19, v8
	v_pk_add_f32 v[40:41], v[18:19], v[10:11] neg_lo:[0,1] neg_hi:[0,1]
	v_mov_b32_e32 v1, v36
	v_sub_f32_e32 v9, v18, v40
	v_pk_add_f32 v[0:1], v[0:1], v[40:41] neg_lo:[0,1] neg_hi:[0,1]
	v_sub_f32_e32 v9, v10, v9
	v_add_f32_e32 v0, v0, v9
	v_add_f32_e32 v0, v0, v1
	;; [unrolled: 1-line block ×3, first 2 shown]
	v_sub_f32_e32 v8, v1, v8
	v_sub_f32_e32 v0, v0, v8
	v_mul_f32_e32 v8, v48, v1
	v_fma_f32 v1, v48, v1, -v8
	v_fmac_f32_e32 v1, v48, v0
	v_add_f32_e32 v0, v8, v1
	v_cmp_class_f32_e64 s[6:7], v8, s47
	v_sub_f32_e32 v9, v0, v8
	v_cndmask_b32_e64 v0, v0, v8, s[6:7]
	v_cmp_eq_f32_e64 s[6:7], s49, v0
	v_cndmask_b32_e64 v8, 0, v27, s[6:7]
	v_sub_f32_e32 v1, v1, v9
	v_sub_f32_e32 v9, v0, v8
	v_mul_f32_e32 v10, 0x3fb8aa3b, v9
	v_fma_f32 v11, v9, s50, -v10
	v_rndne_f32_e32 v16, v10
	v_fmac_f32_e32 v11, 0x32a5705f, v9
	v_sub_f32_e32 v10, v10, v16
	v_add_f32_e32 v10, v10, v11
	v_exp_f32_e32 v10, v10
	v_cvt_i32_f32_e32 v11, v16
	v_cmp_neq_f32_e64 s[6:7], |v0|, s48
	v_cndmask_b32_e64 v0, 0, v1, s[6:7]
	v_cmp_ngt_f32_e64 s[6:7], s51, v9
	v_ldexp_f32 v1, v10, v11
	v_cndmask_b32_e64 v1, 0, v1, s[6:7]
	v_cmp_nlt_f32_e64 s[6:7], s49, v9
	v_add_f32_e32 v0, v8, v0
	v_cndmask_b32_e64 v1, v28, v1, s[6:7]
	v_fma_f32 v0, v1, v0, v1
	v_cmp_class_f32_e64 s[6:7], v1, s47
	v_trunc_f32_e32 v8, v48
	v_cndmask_b32_e64 v0, v0, v1, s[6:7]
	v_cndmask_b32_e64 v1, v46, 1.0, s[4:5]
	v_cmp_eq_f32_e64 s[4:5], v8, v48
	v_mul_f32_e32 v8, 0.5, v48
	v_trunc_f32_e32 v9, v8
	v_cmp_neq_f32_e64 s[6:7], v9, v8
	s_and_b64 s[6:7], s[4:5], s[6:7]
	v_cndmask_b32_e64 v8, 1.0, v1, s[6:7]
	v_bfi_b32 v0, s52, v0, v8
	v_cndmask_b32_e64 v8, v29, v0, s[4:5]
	v_cmp_gt_f32_e64 s[4:5], 0, v1
	v_cndmask_b32_e64 v0, v0, v8, s[4:5]
	v_cndmask_b32_e64 v8, |v47|, 1.0, vcc
	v_cmp_neq_f32_e32 vcc, v48, v8
	v_cmp_gt_f32_e64 s[4:5], 1.0, v49
	s_xor_b64 s[4:5], vcc, s[4:5]
	v_cndmask_b32_e64 v9, v8, 0, s[4:5]
	v_cmp_eq_f32_e64 s[4:5], 0, v1
	v_cmp_gt_f32_e64 s[8:9], 0, v48
	v_cmp_eq_f32_e32 vcc, 1.0, v49
	s_xor_b64 s[8:9], s[8:9], s[4:5]
	v_cndmask_b32_e32 v9, v9, v49, vcc
	v_cmp_eq_f32_e32 vcc, s48, v8
	v_cndmask_b32_e64 v8, v28, 0, s[8:9]
	v_cndmask_b32_e64 v1, 0, v1, s[6:7]
	v_bfi_b32 v1, s52, v8, v1
	v_add_f16_e32 v8, 1.0, v38
	v_cvt_f32_f16_e32 v19, v8
	v_cndmask_b32_e32 v0, v0, v9, vcc
	v_cmp_eq_f32_e32 vcc, s48, v49
	s_or_b64 vcc, vcc, s[4:5]
	v_pk_mov_b32 v[8:9], v[12:13], v[12:13] op_sel:[0,1]
	v_cndmask_b32_e32 v37, v0, v1, vcc
	v_pk_mov_b32 v[10:11], v[14:15], v[14:15] op_sel:[0,1]
	v_mov_b32_e32 v36, v17
.LBB131_11:                             ;   in Loop: Header=BB131_4 Depth=1
	s_or_b64 exec, exec, s[24:25]
	s_mov_b32 s6, 0
	s_orn2_b64 s[4:5], s[26:27], exec
.LBB131_12:                             ;   in Loop: Header=BB131_4 Depth=1
	s_or_b64 exec, exec, s[22:23]
	v_mov_b32_e32 v0, s6
	s_and_saveexec_b64 s[6:7], s[4:5]
	s_cbranch_execz .LBB131_3
; %bb.13:                               ;   in Loop: Header=BB131_4 Depth=1
	v_add_f32_e32 v38, 0xbeaaaaab, v19
	v_mul_f32_e32 v0, 0x41100000, v38
	v_mul_f32_e32 v1, 0x4f800000, v0
	v_cmp_gt_f32_e32 vcc, s53, v0
	v_cndmask_b32_e32 v0, v0, v1, vcc
	v_sqrt_f32_e32 v1, v0
	v_add_u32_e32 v40, 0x9e3779b9, v24
	v_add_u32_e32 v41, 0xbb67ae85, v25
	;; [unrolled: 1-line block ×3, first 2 shown]
	v_add_u32_e32 v12, -1, v1
	v_fma_f32 v14, -v12, v1, v0
	v_add_u32_e32 v13, 1, v1
	v_cmp_ge_f32_e64 s[4:5], 0, v14
	v_cndmask_b32_e64 v12, v1, v12, s[4:5]
	v_fma_f32 v1, -v13, v1, v0
	v_cmp_lt_f32_e64 s[4:5], 0, v1
	v_cndmask_b32_e64 v1, v12, v13, s[4:5]
	v_mul_f32_e32 v12, 0x37800000, v1
	v_cndmask_b32_e32 v1, v1, v12, vcc
	v_cmp_class_f32_e32 vcc, v0, v26
	v_cndmask_b32_e32 v0, v1, v0, vcc
	v_div_scale_f32 v1, s[4:5], v0, v0, 1.0
	v_rcp_f32_e32 v12, v1
	v_add_u32_e32 v43, 0x76cf5d0a, v25
	v_add_u32_e32 v44, 0xdaa66d2b, v24
	v_add_u32_e32 v45, 0x32370b8f, v25
	v_fma_f32 v13, -v1, v12, 1.0
	v_fmac_f32_e32 v12, v13, v12
	v_div_scale_f32 v13, vcc, 1.0, v0, 1.0
	v_mul_f32_e32 v14, v13, v12
	v_fma_f32 v15, -v1, v14, v13
	v_fmac_f32_e32 v14, v15, v12
	v_fma_f32 v1, -v1, v14, v13
	v_div_fmas_f32 v1, v1, v12, v14
	v_div_fixup_f32 v39, v1, v0, 1.0
	v_add_u32_e32 v46, 0x78dde6e4, v24
	v_add_u32_e32 v47, 0xed9eba14, v25
	;; [unrolled: 1-line block ×10, first 2 shown]
	s_mov_b64 s[8:9], 0
	v_mov_b32_e32 v56, 0
	s_mov_b64 s[26:27], 0
                                        ; implicit-def: $sgpr22_sgpr23
                                        ; implicit-def: $sgpr24_sgpr25
                                        ; implicit-def: $vgpr0
	s_branch .LBB131_15
.LBB131_14:                             ;   in Loop: Header=BB131_15 Depth=2
	s_or_b64 exec, exec, s[26:27]
	s_and_b64 s[4:5], exec, s[4:5]
	s_or_b64 s[8:9], s[4:5], s[8:9]
	s_andn2_b64 s[4:5], s[22:23], exec
	s_and_b64 s[22:23], s[24:25], exec
	v_pk_mov_b32 v[8:9], v[12:13], v[12:13] op_sel:[0,1]
	s_or_b64 s[22:23], s[4:5], s[22:23]
	s_mov_b64 s[26:27], 0
	v_mov_b32_e32 v36, v16
	v_pk_mov_b32 v[10:11], v[14:15], v[14:15] op_sel:[0,1]
	s_andn2_b64 exec, exec, s[8:9]
	s_cbranch_execz .LBB131_26
.LBB131_15:                             ;   Parent Loop BB131_4 Depth=1
                                        ; =>  This Inner Loop Header: Depth=2
	v_cmp_eq_u32_e32 vcc, 0, v56
	v_mov_b32_e32 v1, v0
	v_mov_b32_e32 v56, 0
	s_and_saveexec_b64 s[28:29], vcc
	s_cbranch_execz .LBB131_21
; %bb.16:                               ;   in Loop: Header=BB131_15 Depth=2
	v_add_u32_e32 v0, 1, v36
	v_pk_mov_b32 v[14:15], v[10:11], v[10:11] op_sel:[0,1]
	v_cmp_eq_u32_e32 vcc, 4, v0
	v_pk_mov_b32 v[12:13], v[8:9], v[8:9] op_sel:[0,1]
	s_and_saveexec_b64 s[4:5], vcc
	s_cbranch_execz .LBB131_18
; %bb.17:                               ;   in Loop: Header=BB131_15 Depth=2
	v_add_co_u32_e32 v4, vcc, 1, v4
	v_cndmask_b32_e64 v1, 0, 1, vcc
	v_addc_co_u32_e32 v5, vcc, 0, v5, vcc
	v_cmp_eq_u32_e32 vcc, 0, v5
	v_cndmask_b32_e32 v1, 0, v1, vcc
	v_add_u32_e32 v6, v1, v6
	v_cmp_eq_u32_e32 vcc, 0, v6
	v_cndmask_b32_e32 v1, 0, v1, vcc
	v_mad_u64_u32 v[12:13], s[64:65], v4, s17, 0
	v_mad_u64_u32 v[14:15], s[64:65], v6, s34, 0
	v_add_u32_e32 v7, v1, v7
	v_xor_b32_e32 v1, v15, v24
	v_xor_b32_e32 v13, v13, v25
	v_xor_b32_e32 v1, v5, v1
	v_xor_b32_e32 v13, v7, v13
	v_mad_u64_u32 v[16:17], s[64:65], v1, s17, 0
	v_mad_u64_u32 v[18:19], s[64:65], v13, s34, 0
	v_xor_b32_e32 v1, v19, v14
	v_xor_b32_e32 v12, v17, v12
	v_xor_b32_e32 v1, v40, v1
	v_xor_b32_e32 v14, v41, v12
	v_mad_u64_u32 v[12:13], s[64:65], v1, s17, 0
	v_mad_u64_u32 v[14:15], s[64:65], v14, s34, 0
	;; [unrolled: 6-line block ×9, first 2 shown]
	v_xor_b32_e32 v1, v19, v12
	v_xor_b32_e32 v12, v34, v1
	;; [unrolled: 1-line block ×3, first 2 shown]
	v_mov_b32_e32 v0, 0
	v_xor_b32_e32 v14, v35, v1
	v_mov_b32_e32 v13, v18
	v_mov_b32_e32 v15, v16
.LBB131_18:                             ;   in Loop: Header=BB131_15 Depth=2
	s_or_b64 exec, exec, s[4:5]
	v_add_u32_e32 v57, 1, v0
	v_pk_mov_b32 v[18:19], v[14:15], v[14:15] op_sel:[0,1]
	v_cmp_eq_u32_e32 vcc, 4, v57
	v_pk_mov_b32 v[16:17], v[12:13], v[12:13] op_sel:[0,1]
	s_and_saveexec_b64 s[4:5], vcc
	s_cbranch_execz .LBB131_20
; %bb.19:                               ;   in Loop: Header=BB131_15 Depth=2
	v_add_co_u32_e32 v4, vcc, 1, v4
	v_cndmask_b32_e64 v1, 0, 1, vcc
	v_addc_co_u32_e32 v5, vcc, 0, v5, vcc
	v_cmp_eq_u32_e32 vcc, 0, v5
	v_cndmask_b32_e32 v1, 0, v1, vcc
	v_add_u32_e32 v6, v1, v6
	v_cmp_eq_u32_e32 vcc, 0, v6
	v_cndmask_b32_e32 v1, 0, v1, vcc
	v_mad_u64_u32 v[16:17], s[64:65], v4, s17, 0
	v_mad_u64_u32 v[18:19], s[64:65], v6, s34, 0
	v_add_u32_e32 v7, v1, v7
	v_xor_b32_e32 v1, v19, v24
	v_xor_b32_e32 v17, v17, v25
	v_xor_b32_e32 v1, v5, v1
	v_xor_b32_e32 v17, v7, v17
	v_mad_u64_u32 v[58:59], s[64:65], v1, s17, 0
	v_mad_u64_u32 v[60:61], s[64:65], v17, s34, 0
	v_xor_b32_e32 v1, v61, v18
	v_xor_b32_e32 v16, v59, v16
	v_xor_b32_e32 v1, v40, v1
	v_xor_b32_e32 v18, v41, v16
	v_mad_u64_u32 v[16:17], s[64:65], v1, s17, 0
	v_mad_u64_u32 v[18:19], s[64:65], v18, s34, 0
	;; [unrolled: 6-line block ×9, first 2 shown]
	v_xor_b32_e32 v1, v61, v16
	v_xor_b32_e32 v16, v34, v1
	;; [unrolled: 1-line block ×3, first 2 shown]
	v_mov_b32_e32 v57, 0
	v_xor_b32_e32 v18, v35, v1
	v_mov_b32_e32 v17, v60
	v_mov_b32_e32 v19, v58
.LBB131_20:                             ;   in Loop: Header=BB131_15 Depth=2
	s_or_b64 exec, exec, s[4:5]
	v_cmp_eq_u32_e32 vcc, 1, v36
	v_cndmask_b32_e32 v1, v8, v9, vcc
	v_cmp_eq_u32_e32 vcc, 2, v36
	v_cndmask_b32_e32 v1, v1, v10, vcc
	v_cmp_eq_u32_e32 vcc, 3, v36
	v_cndmask_b32_e32 v1, v1, v11, vcc
	v_cvt_f32_u32_e32 v1, v1
	v_cmp_eq_u32_e32 vcc, 1, v0
	v_mov_b32_e32 v9, 0x2f800000
	v_cndmask_b32_e32 v8, v12, v13, vcc
	v_cmp_eq_u32_e32 vcc, 2, v0
	v_fmac_f32_e32 v9, 0x2f800000, v1
	v_cndmask_b32_e32 v8, v8, v14, vcc
	v_cmp_gt_f32_e32 vcc, s57, v9
	v_cndmask_b32_e32 v1, 1.0, v30, vcc
	v_mul_f32_e32 v1, v9, v1
	v_log_f32_e32 v1, v1
	v_cmp_eq_u32_e64 s[4:5], 3, v0
	v_cndmask_b32_e64 v0, v8, v15, s[4:5]
	v_cvt_f32_u32_e32 v0, v0
	v_mul_f32_e32 v8, 0x3f317217, v1
	v_fma_f32 v9, v1, s58, -v8
	v_fmac_f32_e32 v9, 0x3377d1cf, v1
	v_add_f32_e32 v8, v8, v9
	v_cmp_lt_f32_e64 s[4:5], |v1|, s48
	v_cndmask_b32_e64 v1, v1, v8, s[4:5]
	v_cndmask_b32_e32 v8, 0, v31, vcc
	v_sub_f32_e32 v1, v1, v8
	v_mul_f32_e32 v1, -2.0, v1
	v_mul_f32_e32 v8, 0x4f800000, v1
	v_cmp_gt_f32_e32 vcc, s53, v1
	v_cndmask_b32_e32 v8, v1, v8, vcc
	v_sqrt_f32_e32 v1, v8
	v_mov_b32_e32 v9, 0x30c90fdb
	v_fmac_f32_e32 v9, 0x30c90fdb, v0
	v_mov_b32_e32 v56, 1
	v_add_u32_e32 v0, -1, v1
	v_fma_f32 v10, -v0, v1, v8
	v_cmp_ge_f32_e64 s[4:5], 0, v10
	v_add_u32_e32 v10, 1, v1
	v_cndmask_b32_e64 v0, v1, v0, s[4:5]
	v_fma_f32 v1, -v10, v1, v8
	v_cmp_lt_f32_e64 s[4:5], 0, v1
	v_cndmask_b32_e64 v10, v0, v10, s[4:5]
	v_mul_f32_e32 v0, 0.15915494, v9
	v_sin_f32_e32 v1, v0
	v_cos_f32_e32 v0, v0
	v_mul_f32_e32 v11, 0x37800000, v10
	v_cndmask_b32_e32 v9, v10, v11, vcc
	v_cmp_class_f32_e32 vcc, v8, v26
	v_cndmask_b32_e32 v8, v9, v8, vcc
	v_pk_mul_f32 v[0:1], v[8:9], v[0:1] op_sel_hi:[0,1]
	v_pk_mov_b32 v[8:9], v[16:17], v[16:17] op_sel:[0,1]
	v_pk_mov_b32 v[10:11], v[18:19], v[18:19] op_sel:[0,1]
	v_mov_b32_e32 v36, v57
.LBB131_21:                             ;   in Loop: Header=BB131_15 Depth=2
	s_or_b64 exec, exec, s[28:29]
	v_fma_f32 v17, v39, v1, 1.0
	v_cmp_nge_f32_e32 vcc, 0, v17
	s_or_b64 s[26:27], vcc, s[26:27]
	s_andn2_b64 exec, exec, s[26:27]
	s_cbranch_execnz .LBB131_15
; %bb.22:                               ;   in Loop: Header=BB131_15 Depth=2
	s_or_b64 exec, exec, s[26:27]
	v_add_u32_e32 v16, 1, v36
	v_pk_mov_b32 v[14:15], v[10:11], v[10:11] op_sel:[0,1]
	v_cmp_eq_u32_e32 vcc, 4, v16
	v_pk_mov_b32 v[12:13], v[8:9], v[8:9] op_sel:[0,1]
	s_and_saveexec_b64 s[4:5], vcc
	s_cbranch_execz .LBB131_24
; %bb.23:                               ;   in Loop: Header=BB131_15 Depth=2
	v_add_co_u32_e32 v4, vcc, 1, v4
	v_cndmask_b32_e64 v12, 0, 1, vcc
	v_addc_co_u32_e32 v5, vcc, 0, v5, vcc
	v_cmp_eq_u32_e32 vcc, 0, v5
	v_cndmask_b32_e32 v12, 0, v12, vcc
	v_add_u32_e32 v6, v12, v6
	v_cmp_eq_u32_e32 vcc, 0, v6
	v_cndmask_b32_e32 v12, 0, v12, vcc
	v_add_u32_e32 v7, v12, v7
	v_mad_u64_u32 v[12:13], s[26:27], v4, s17, 0
	v_mad_u64_u32 v[14:15], s[26:27], v6, s34, 0
	v_xor_b32_e32 v15, v15, v24
	v_xor_b32_e32 v13, v13, v25
	v_xor_b32_e32 v15, v5, v15
	v_xor_b32_e32 v13, v7, v13
	v_mad_u64_u32 v[18:19], s[26:27], v15, s17, 0
	v_mad_u64_u32 v[58:59], s[26:27], v13, s34, 0
	v_xor_b32_e32 v13, v59, v14
	v_xor_b32_e32 v12, v19, v12
	v_xor_b32_e32 v13, v40, v13
	v_xor_b32_e32 v14, v41, v12
	;; [unrolled: 6-line block ×9, first 2 shown]
	v_mad_u64_u32 v[18:19], s[26:27], v13, s17, 0
	v_mad_u64_u32 v[58:59], s[26:27], v15, s34, 0
	v_xor_b32_e32 v12, v59, v12
	v_xor_b32_e32 v13, v19, v14
	v_mov_b32_e32 v16, 0
	v_xor_b32_e32 v12, v34, v12
	v_xor_b32_e32 v14, v35, v13
	v_mov_b32_e32 v13, v58
	v_mov_b32_e32 v15, v18
.LBB131_24:                             ;   in Loop: Header=BB131_15 Depth=2
	s_or_b64 exec, exec, s[4:5]
	v_cmp_eq_u32_e32 vcc, 1, v36
	v_cndmask_b32_e32 v8, v8, v9, vcc
	v_cmp_eq_u32_e32 vcc, 2, v36
	v_cndmask_b32_e32 v8, v8, v10, vcc
	;; [unrolled: 2-line block ×3, first 2 shown]
	v_cvt_f32_u32_e32 v8, v8
	v_mul_f32_e32 v9, v17, v17
	v_mul_f32_e32 v17, v17, v9
	v_mov_b32_e32 v9, 0x2f800000
	v_fmac_f32_e32 v9, 0x2f800000, v8
	v_mul_f32_e32 v1, v1, v1
	v_sub_f32_e32 v8, 1.0, v9
	v_mul_f32_e32 v9, 0xbd0793de, v1
	v_fma_f32 v9, v1, v9, 1.0
	v_cmp_nlt_f32_e32 vcc, v8, v9
	s_mov_b64 s[4:5], -1
	s_or_b64 s[24:25], s[24:25], exec
	s_and_saveexec_b64 s[26:27], vcc
	s_cbranch_execz .LBB131_14
; %bb.25:                               ;   in Loop: Header=BB131_15 Depth=2
	v_cmp_gt_f32_e32 vcc, s57, v8
	v_cndmask_b32_e32 v9, 1.0, v30, vcc
	v_mul_f32_e32 v8, v8, v9
	v_log_f32_e32 v8, v8
	s_andn2_b64 s[24:25], s[24:25], exec
	v_mul_f32_e32 v9, 0x3f317217, v8
	v_fma_f32 v10, v8, s58, -v9
	v_fmac_f32_e32 v10, 0x3377d1cf, v8
	v_add_f32_e32 v9, v9, v10
	v_cmp_lt_f32_e64 s[4:5], |v8|, s48
	v_cndmask_b32_e64 v8, v8, v9, s[4:5]
	v_cmp_gt_f32_e64 s[4:5], s57, v17
	v_cndmask_b32_e64 v9, 1.0, v30, s[4:5]
	v_mul_f32_e32 v9, v17, v9
	v_log_f32_e32 v9, v9
	v_cndmask_b32_e32 v10, 0, v31, vcc
	v_sub_f32_e32 v8, v8, v10
	v_sub_f32_e32 v10, 1.0, v17
	v_mul_f32_e32 v11, 0x3f317217, v9
	v_fma_f32 v18, v9, s58, -v11
	v_fmac_f32_e32 v18, 0x3377d1cf, v9
	v_add_f32_e32 v11, v11, v18
	v_cmp_lt_f32_e64 vcc, |v9|, s48
	v_cndmask_b32_e32 v9, v9, v11, vcc
	v_cndmask_b32_e64 v11, 0, v31, s[4:5]
	v_sub_f32_e32 v9, v9, v11
	v_add_f32_e32 v9, v10, v9
	v_mul_f32_e32 v9, v38, v9
	v_fmac_f32_e32 v9, 0.5, v1
	v_cmp_lt_f32_e32 vcc, v8, v9
	s_orn2_b64 s[4:5], vcc, exec
	s_branch .LBB131_14
.LBB131_26:                             ;   in Loop: Header=BB131_4 Depth=1
	s_or_b64 exec, exec, s[8:9]
	s_xor_b64 s[4:5], s[22:23], -1
	v_mul_f32_e32 v1, v37, v38
                                        ; implicit-def: $vgpr0
	s_and_saveexec_b64 s[8:9], s[4:5]
	s_xor_b64 s[4:5], exec, s[8:9]
; %bb.27:                               ;   in Loop: Header=BB131_4 Depth=1
	v_fma_mixlo_f16 v0, v1, v17, 0
                                        ; implicit-def: $vgpr1
; %bb.28:                               ;   in Loop: Header=BB131_4 Depth=1
	s_andn2_saveexec_b64 s[4:5], s[4:5]
	s_cbranch_execz .LBB131_2
; %bb.29:                               ;   in Loop: Header=BB131_4 Depth=1
	v_fma_mixlo_f16 v0, v1, v17, 0
	s_branch .LBB131_2
.LBB131_30:
	s_endpgm
	.section	.rodata,"a",@progbits
	.p2align	6, 0x0
	.amdhsa_kernel _ZN2at4cuda12_GLOBAL__N_121kernelPointwiseApply2IZN12_GLOBAL__N_117gamma_cuda_kernelIN3c104HalfEEEvRKNS_10TensorBaseES9_NS_15PhiloxCudaStateEEUlRS6_RKS6_E_S6_S6_jLi1ELi1ELi1ELi256ELi2EEEvNS0_6detail10TensorInfoIT0_T2_EENSG_IT1_SI_EESI_T_
		.amdhsa_group_segment_fixed_size 0
		.amdhsa_private_segment_fixed_size 0
		.amdhsa_kernarg_size 728
		.amdhsa_user_sgpr_count 6
		.amdhsa_user_sgpr_private_segment_buffer 1
		.amdhsa_user_sgpr_dispatch_ptr 0
		.amdhsa_user_sgpr_queue_ptr 0
		.amdhsa_user_sgpr_kernarg_segment_ptr 1
		.amdhsa_user_sgpr_dispatch_id 0
		.amdhsa_user_sgpr_flat_scratch_init 0
		.amdhsa_user_sgpr_kernarg_preload_length 0
		.amdhsa_user_sgpr_kernarg_preload_offset 0
		.amdhsa_user_sgpr_private_segment_size 0
		.amdhsa_uses_dynamic_stack 0
		.amdhsa_system_sgpr_private_segment_wavefront_offset 0
		.amdhsa_system_sgpr_workgroup_id_x 1
		.amdhsa_system_sgpr_workgroup_id_y 0
		.amdhsa_system_sgpr_workgroup_id_z 0
		.amdhsa_system_sgpr_workgroup_info 0
		.amdhsa_system_vgpr_workitem_id 0
		.amdhsa_next_free_vgpr 62
		.amdhsa_next_free_sgpr 66
		.amdhsa_accum_offset 64
		.amdhsa_reserve_vcc 1
		.amdhsa_reserve_flat_scratch 0
		.amdhsa_float_round_mode_32 0
		.amdhsa_float_round_mode_16_64 0
		.amdhsa_float_denorm_mode_32 3
		.amdhsa_float_denorm_mode_16_64 3
		.amdhsa_dx10_clamp 1
		.amdhsa_ieee_mode 1
		.amdhsa_fp16_overflow 0
		.amdhsa_tg_split 0
		.amdhsa_exception_fp_ieee_invalid_op 0
		.amdhsa_exception_fp_denorm_src 0
		.amdhsa_exception_fp_ieee_div_zero 0
		.amdhsa_exception_fp_ieee_overflow 0
		.amdhsa_exception_fp_ieee_underflow 0
		.amdhsa_exception_fp_ieee_inexact 0
		.amdhsa_exception_int_div_zero 0
	.end_amdhsa_kernel
	.section	.text._ZN2at4cuda12_GLOBAL__N_121kernelPointwiseApply2IZN12_GLOBAL__N_117gamma_cuda_kernelIN3c104HalfEEEvRKNS_10TensorBaseES9_NS_15PhiloxCudaStateEEUlRS6_RKS6_E_S6_S6_jLi1ELi1ELi1ELi256ELi2EEEvNS0_6detail10TensorInfoIT0_T2_EENSG_IT1_SI_EESI_T_,"axG",@progbits,_ZN2at4cuda12_GLOBAL__N_121kernelPointwiseApply2IZN12_GLOBAL__N_117gamma_cuda_kernelIN3c104HalfEEEvRKNS_10TensorBaseES9_NS_15PhiloxCudaStateEEUlRS6_RKS6_E_S6_S6_jLi1ELi1ELi1ELi256ELi2EEEvNS0_6detail10TensorInfoIT0_T2_EENSG_IT1_SI_EESI_T_,comdat
.Lfunc_end131:
	.size	_ZN2at4cuda12_GLOBAL__N_121kernelPointwiseApply2IZN12_GLOBAL__N_117gamma_cuda_kernelIN3c104HalfEEEvRKNS_10TensorBaseES9_NS_15PhiloxCudaStateEEUlRS6_RKS6_E_S6_S6_jLi1ELi1ELi1ELi256ELi2EEEvNS0_6detail10TensorInfoIT0_T2_EENSG_IT1_SI_EESI_T_, .Lfunc_end131-_ZN2at4cuda12_GLOBAL__N_121kernelPointwiseApply2IZN12_GLOBAL__N_117gamma_cuda_kernelIN3c104HalfEEEvRKNS_10TensorBaseES9_NS_15PhiloxCudaStateEEUlRS6_RKS6_E_S6_S6_jLi1ELi1ELi1ELi256ELi2EEEvNS0_6detail10TensorInfoIT0_T2_EENSG_IT1_SI_EESI_T_
                                        ; -- End function
	.section	.AMDGPU.csdata,"",@progbits
; Kernel info:
; codeLenInByte = 5084
; NumSgprs: 70
; NumVgprs: 62
; NumAgprs: 0
; TotalNumVgprs: 62
; ScratchSize: 0
; MemoryBound: 0
; FloatMode: 240
; IeeeMode: 1
; LDSByteSize: 0 bytes/workgroup (compile time only)
; SGPRBlocks: 8
; VGPRBlocks: 7
; NumSGPRsForWavesPerEU: 70
; NumVGPRsForWavesPerEU: 62
; AccumOffset: 64
; Occupancy: 8
; WaveLimiterHint : 1
; COMPUTE_PGM_RSRC2:SCRATCH_EN: 0
; COMPUTE_PGM_RSRC2:USER_SGPR: 6
; COMPUTE_PGM_RSRC2:TRAP_HANDLER: 0
; COMPUTE_PGM_RSRC2:TGID_X_EN: 1
; COMPUTE_PGM_RSRC2:TGID_Y_EN: 0
; COMPUTE_PGM_RSRC2:TGID_Z_EN: 0
; COMPUTE_PGM_RSRC2:TIDIG_COMP_CNT: 0
; COMPUTE_PGM_RSRC3_GFX90A:ACCUM_OFFSET: 15
; COMPUTE_PGM_RSRC3_GFX90A:TG_SPLIT: 0
	.section	.text._ZN2at4cuda12_GLOBAL__N_121kernelPointwiseApply2IZN12_GLOBAL__N_117gamma_cuda_kernelIN3c104HalfEEEvRKNS_10TensorBaseES9_NS_15PhiloxCudaStateEEUlRS6_RKS6_E_S6_S6_jLi1ELi2ELi1ELi256ELi2EEEvNS0_6detail10TensorInfoIT0_T2_EENSG_IT1_SI_EESI_T_,"axG",@progbits,_ZN2at4cuda12_GLOBAL__N_121kernelPointwiseApply2IZN12_GLOBAL__N_117gamma_cuda_kernelIN3c104HalfEEEvRKNS_10TensorBaseES9_NS_15PhiloxCudaStateEEUlRS6_RKS6_E_S6_S6_jLi1ELi2ELi1ELi256ELi2EEEvNS0_6detail10TensorInfoIT0_T2_EENSG_IT1_SI_EESI_T_,comdat
	.globl	_ZN2at4cuda12_GLOBAL__N_121kernelPointwiseApply2IZN12_GLOBAL__N_117gamma_cuda_kernelIN3c104HalfEEEvRKNS_10TensorBaseES9_NS_15PhiloxCudaStateEEUlRS6_RKS6_E_S6_S6_jLi1ELi2ELi1ELi256ELi2EEEvNS0_6detail10TensorInfoIT0_T2_EENSG_IT1_SI_EESI_T_ ; -- Begin function _ZN2at4cuda12_GLOBAL__N_121kernelPointwiseApply2IZN12_GLOBAL__N_117gamma_cuda_kernelIN3c104HalfEEEvRKNS_10TensorBaseES9_NS_15PhiloxCudaStateEEUlRS6_RKS6_E_S6_S6_jLi1ELi2ELi1ELi256ELi2EEEvNS0_6detail10TensorInfoIT0_T2_EENSG_IT1_SI_EESI_T_
	.p2align	8
	.type	_ZN2at4cuda12_GLOBAL__N_121kernelPointwiseApply2IZN12_GLOBAL__N_117gamma_cuda_kernelIN3c104HalfEEEvRKNS_10TensorBaseES9_NS_15PhiloxCudaStateEEUlRS6_RKS6_E_S6_S6_jLi1ELi2ELi1ELi256ELi2EEEvNS0_6detail10TensorInfoIT0_T2_EENSG_IT1_SI_EESI_T_,@function
_ZN2at4cuda12_GLOBAL__N_121kernelPointwiseApply2IZN12_GLOBAL__N_117gamma_cuda_kernelIN3c104HalfEEEvRKNS_10TensorBaseES9_NS_15PhiloxCudaStateEEUlRS6_RKS6_E_S6_S6_jLi1ELi2ELi1ELi256ELi2EEEvNS0_6detail10TensorInfoIT0_T2_EENSG_IT1_SI_EESI_T_: ; @_ZN2at4cuda12_GLOBAL__N_121kernelPointwiseApply2IZN12_GLOBAL__N_117gamma_cuda_kernelIN3c104HalfEEEvRKNS_10TensorBaseES9_NS_15PhiloxCudaStateEEUlRS6_RKS6_E_S6_S6_jLi1ELi2ELi1ELi256ELi2EEEvNS0_6detail10TensorInfoIT0_T2_EENSG_IT1_SI_EESI_T_
; %bb.0:
	s_load_dword s2, s[4:5], 0x1e4
	s_load_dword s30, s[4:5], 0x1b0
	s_add_u32 s0, s4, 0x1d8
	s_addc_u32 s1, s5, 0
	s_waitcnt lgkmcnt(0)
	s_and_b32 s2, s2, 0xffff
	s_mul_i32 s6, s6, s2
	v_add_u32_e32 v2, s6, v0
	v_cmp_gt_u32_e32 vcc, s30, v2
	s_and_saveexec_b64 s[6:7], vcc
	s_cbranch_execz .LBB132_32
; %bb.1:
	s_load_dwordx2 s[12:13], s[4:5], 0x0
	s_load_dword s31, s[4:5], 0x6c
	s_load_dwordx2 s[14:15], s[4:5], 0xd8
	s_load_dword s33, s[4:5], 0xe4
	;; [unrolled: 2-line block ×3, first 2 shown]
	s_load_dwordx2 s[18:19], s[4:5], 0x144
	s_load_dwordx4 s[8:11], s[4:5], 0x1b8
	s_waitcnt lgkmcnt(0)
	v_cvt_f32_u32_e32 v0, s33
	s_load_dword s35, s[0:1], 0x0
	s_mov_b32 s34, 0xcd9e8d57
	s_bitcmp1_b32 s3, 0
	v_rcp_iflag_f32_e32 v0, v0
	v_mad_u64_u32 v[20:21], s[0:1], v2, s34, 0
	s_waitcnt lgkmcnt(0)
	s_mul_i32 s35, s35, s2
	v_mul_f32_e32 v0, 0x4f7ffffe, v0
	v_cvt_u32_f32_e32 v0, v0
	s_cselect_b64 s[0:1], -1, 0
	s_sub_i32 s2, 0, s33
	v_mov_b32_e32 v22, v21
	v_mul_lo_u32 v1, s2, v0
	v_mul_hi_u32 v1, v0, v1
	v_add_u32_e32 v21, v0, v1
	v_cndmask_b32_e64 v0, 0, 1, s[0:1]
	v_mov_b32_e32 v3, 0
	s_mov_b64 s[20:21], 0
	v_mov_b32_e32 v23, s15
	v_cmp_ne_u32_e64 s[0:1], 1, v0
	s_mov_b32 s15, 0xd2511f53
	s_mov_b32 s36, 0x9e3779b9
	;; [unrolled: 1-line block ×9, first 2 shown]
	v_mov_b32_e32 v28, 0x3ecccdef
	s_mov_b32 s44, 0x3f317218
	s_movk_i32 s45, 0x204
	s_mov_b32 s46, 0x7f800000
	s_mov_b32 s47, 0x42b17218
	;; [unrolled: 1-line block ×4, first 2 shown]
	s_brev_b32 s50, -2
	s_mov_b32 s51, 0xf800000
	v_mov_b32_e32 v29, 0x260
	s_mov_b32 s52, 0x1715609d
	s_mov_b32 s53, 0x646e171e
	s_mov_b32 s54, 0x5384540f
	s_mov_b32 s55, 0x1fd5c5a3
	s_mov_b32 s56, 0x800000
	s_mov_b32 s57, 0x3f317217
	s_movk_i32 s58, 0x400
	s_mov_b32 s59, 0xed9eba14
	s_mov_b32 s60, 0xa9066899
	;; [unrolled: 1-line block ×5, first 2 shown]
	v_mov_b32_e32 v30, 0x37000000
	v_mov_b32_e32 v31, 0x7f800000
	;; [unrolled: 1-line block ×7, first 2 shown]
	s_branch .LBB132_4
.LBB132_2:                              ;   in Loop: Header=BB132_4 Depth=1
	s_or_b64 exec, exec, s[2:3]
.LBB132_3:                              ;   in Loop: Header=BB132_4 Depth=1
	s_or_b64 exec, exec, s[4:5]
	v_lshlrev_b64 v[4:5], 1, v[24:25]
	v_mov_b32_e32 v1, s13
	v_add_co_u32_e32 v4, vcc, s12, v4
	v_addc_co_u32_e32 v5, vcc, v1, v5, vcc
	v_cmp_ngt_f16_e32 vcc, s58, v0
	v_add_u32_e32 v36, s35, v36
	v_cndmask_b32_e32 v0, v35, v0, vcc
	v_cmp_le_u32_e32 vcc, s30, v36
	s_or_b64 s[20:21], vcc, s[20:21]
	global_store_short v[4:5], v0, off
	s_andn2_b64 exec, exec, s[20:21]
	s_cbranch_execz .LBB132_32
.LBB132_4:                              ; =>This Loop Header: Depth=1
                                        ;     Child Loop BB132_17 Depth 2
	v_sub_u32_e32 v0, s30, v36
	v_pk_mov_b32 v[24:25], 0, 0
	v_cmp_lt_i32_e32 vcc, 0, v0
	v_pk_mov_b32 v[0:1], v[24:25], v[24:25] op_sel:[0,1]
	s_and_saveexec_b64 s[2:3], vcc
	s_cbranch_execz .LBB132_6
; %bb.5:                                ;   in Loop: Header=BB132_4 Depth=1
	v_mul_hi_u32 v0, v36, v21
	v_mul_lo_u32 v1, v0, s33
	v_sub_u32_e32 v1, v36, v1
	v_add_u32_e32 v4, 1, v0
	v_cmp_le_u32_e32 vcc, s33, v1
	v_cndmask_b32_e32 v0, v0, v4, vcc
	v_subrev_u32_e32 v4, s33, v1
	v_cndmask_b32_e32 v1, v1, v4, vcc
	v_add_u32_e32 v4, 1, v0
	v_cmp_le_u32_e32 vcc, s33, v1
	v_cndmask_b32_e32 v1, v0, v4, vcc
	v_mul_lo_u32 v0, v1, s33
	v_sub_u32_e32 v0, v36, v0
	v_mul_lo_u32 v0, v0, s19
	v_mad_u64_u32 v[0:1], s[4:5], v1, s18, v[0:1]
	v_mul_lo_u32 v24, v36, s31
	v_mov_b32_e32 v25, v3
	v_mov_b32_e32 v1, v3
.LBB132_6:                              ;   in Loop: Header=BB132_4 Depth=1
	s_or_b64 exec, exec, s[2:3]
	v_lshlrev_b64 v[0:1], 1, v[0:1]
	v_add_co_u32_e32 v0, vcc, s14, v0
	v_addc_co_u32_e32 v1, vcc, v23, v1, vcc
	global_load_ushort v41, v[0:1], off
	s_and_b64 vcc, exec, s[0:1]
	v_pk_mov_b32 v[0:1], s[10:11], s[10:11] op_sel:[0,1]
	v_pk_mov_b32 v[26:27], s[8:9], s[8:9] op_sel:[0,1]
	s_cbranch_vccnz .LBB132_8
; %bb.7:                                ;   in Loop: Header=BB132_4 Depth=1
	v_pk_mov_b32 v[0:1], s[10:11], s[10:11] op_sel:[0,1]
	flat_load_dwordx2 v[0:1], v[0:1]
	v_pk_mov_b32 v[4:5], s[8:9], s[8:9] op_sel:[0,1]
	flat_load_dwordx2 v[26:27], v[4:5]
	v_mov_b32_e32 v4, s17
	s_waitcnt vmcnt(0) lgkmcnt(0)
	v_add_co_u32_e32 v0, vcc, s16, v0
	v_addc_co_u32_e32 v1, vcc, v1, v4, vcc
.LBB132_8:                              ;   in Loop: Header=BB132_4 Depth=1
	v_and_b32_e32 v39, 3, v0
	v_alignbit_b32 v0, v1, v0, 2
	v_mad_u64_u32 v[6:7], s[2:3], v0, s15, 0
	v_lshrrev_b32_e32 v1, 2, v1
	v_xor_b32_e32 v5, v7, v27
	v_xor_b32_e32 v7, v22, v26
	v_mov_b32_e32 v4, v27
	v_xor_b32_e32 v7, v7, v1
	v_mad_u64_u32 v[10:11], s[2:3], v5, s34, 0
	v_add_co_u32_e32 v43, vcc, s36, v26
	v_add_co_u32_e32 v42, vcc, s37, v4
	v_mad_u64_u32 v[8:9], s[2:3], v7, s15, 0
	v_xor_b32_e32 v5, v20, v11
	v_xor_b32_e32 v5, v5, v43
	v_xor_b32_e32 v7, v42, v9
	v_xor_b32_e32 v9, v7, v6
	v_add_co_u32_e32 v44, vcc, s39, v4
	v_mad_u64_u32 v[6:7], s[2:3], v5, s15, 0
	v_add_co_u32_e32 v45, vcc, s38, v26
	v_mad_u64_u32 v[12:13], s[2:3], v9, s34, 0
	v_xor_b32_e32 v7, v44, v7
	v_xor_b32_e32 v5, v45, v13
	v_xor_b32_e32 v7, v7, v8
	v_xor_b32_e32 v5, v5, v10
	v_add_co_u32_e32 v47, vcc, s40, v26
	v_mad_u64_u32 v[10:11], s[2:3], v7, s34, 0
	;; [unrolled: 8-line block ×7, first 2 shown]
	v_add_co_u32_e32 v57, vcc, s62, v26
	v_mad_u64_u32 v[6:7], s[2:3], v6, s34, 0
	v_xor_b32_e32 v5, v56, v5
	v_xor_b32_e32 v7, v57, v7
	;; [unrolled: 1-line block ×4, first 2 shown]
	v_mad_u64_u32 v[18:19], s[2:3], v5, s34, 0
	v_mad_u64_u32 v[16:17], s[2:3], v7, s15, 0
	v_xor_b32_e32 v5, v19, v6
	s_waitcnt vmcnt(0)
	v_cvt_f32_f16_e32 v19, v41
	v_add_u32_e32 v37, 0x8ff34781, v26
	v_add_u32_e32 v38, 0x96a522ad, v27
	v_xor_b32_e32 v4, v17, v4
	v_xor_b32_e32 v8, v37, v5
	;; [unrolled: 1-line block ×3, first 2 shown]
	v_pk_mov_b32 v[6:7], v[2:3], v[2:3] op_sel:[0,1]
	v_mov_b32_e32 v9, v18
	v_mov_b32_e32 v11, v16
	v_cmp_gt_f16_e32 vcc, 1.0, v41
	s_mov_b64 s[2:3], -1
	v_mov_b32_e32 v40, 1.0
	v_pk_mov_b32 v[4:5], v[0:1], v[0:1] op_sel:[0,1]
                                        ; implicit-def: $sgpr4
	s_and_saveexec_b64 s[22:23], vcc
	s_cbranch_execz .LBB132_14
; %bb.9:                                ;   in Loop: Header=BB132_4 Depth=1
	v_cmp_neq_f16_e32 vcc, 0, v41
	s_mov_b64 s[26:27], 0
	v_mov_b32_e32 v40, 1.0
                                        ; implicit-def: $vgpr4_vgpr5_vgpr6_vgpr7
	s_and_saveexec_b64 s[24:25], vcc
	s_cbranch_execz .LBB132_13
; %bb.10:                               ;   in Loop: Header=BB132_4 Depth=1
	v_add_u32_e32 v17, 1, v39
	v_pk_mov_b32 v[14:15], v[10:11], v[10:11] op_sel:[0,1]
	v_pk_mov_b32 v[6:7], v[2:3], v[2:3] op_sel:[0,1]
	v_cmp_eq_u32_e32 vcc, 4, v17
	v_pk_mov_b32 v[12:13], v[8:9], v[8:9] op_sel:[0,1]
	v_pk_mov_b32 v[4:5], v[0:1], v[0:1] op_sel:[0,1]
	s_and_saveexec_b64 s[2:3], vcc
	s_cbranch_execz .LBB132_12
; %bb.11:                               ;   in Loop: Header=BB132_4 Depth=1
	v_add_co_u32_e32 v4, vcc, 1, v0
	v_cndmask_b32_e64 v0, 0, 1, vcc
	v_addc_co_u32_e32 v5, vcc, 0, v1, vcc
	v_cmp_eq_u32_e32 vcc, 0, v5
	v_cndmask_b32_e32 v0, 0, v0, vcc
	v_add_u32_e32 v6, v0, v2
	v_cmp_eq_u32_e32 vcc, 0, v6
	v_cndmask_b32_e32 v7, 0, v0, vcc
	v_mad_u64_u32 v[0:1], s[4:5], v4, s15, 0
	v_mad_u64_u32 v[12:13], s[4:5], v6, s34, 0
	v_xor_b32_e32 v9, v13, v26
	v_xor_b32_e32 v1, v1, v27
	v_xor_b32_e32 v9, v5, v9
	v_xor_b32_e32 v1, v7, v1
	v_mad_u64_u32 v[14:15], s[4:5], v9, s15, 0
	v_mad_u64_u32 v[58:59], s[4:5], v1, s34, 0
	v_xor_b32_e32 v1, v43, v59
	v_xor_b32_e32 v9, v42, v15
	v_xor_b32_e32 v1, v1, v12
	v_xor_b32_e32 v9, v9, v0
	v_mad_u64_u32 v[0:1], s[4:5], v1, s15, 0
	v_mad_u64_u32 v[12:13], s[4:5], v9, s34, 0
	v_xor_b32_e32 v9, v45, v13
	v_xor_b32_e32 v1, v44, v1
	v_xor_b32_e32 v9, v9, v58
	v_xor_b32_e32 v1, v1, v14
	v_mad_u64_u32 v[14:15], s[4:5], v9, s15, 0
	v_mad_u64_u32 v[42:43], s[4:5], v1, s34, 0
	v_xor_b32_e32 v1, v47, v43
	v_xor_b32_e32 v9, v46, v15
	v_xor_b32_e32 v1, v1, v12
	v_xor_b32_e32 v9, v9, v0
	v_mad_u64_u32 v[0:1], s[4:5], v1, s15, 0
	v_mad_u64_u32 v[12:13], s[4:5], v9, s34, 0
	v_xor_b32_e32 v9, v49, v13
	v_xor_b32_e32 v1, v48, v1
	v_xor_b32_e32 v9, v9, v42
	v_xor_b32_e32 v1, v1, v14
	v_mad_u64_u32 v[14:15], s[4:5], v9, s15, 0
	v_mad_u64_u32 v[42:43], s[4:5], v1, s34, 0
	v_xor_b32_e32 v1, v51, v43
	v_xor_b32_e32 v9, v50, v15
	v_xor_b32_e32 v1, v1, v12
	v_xor_b32_e32 v9, v9, v0
	v_mad_u64_u32 v[0:1], s[4:5], v1, s15, 0
	v_mad_u64_u32 v[12:13], s[4:5], v9, s34, 0
	v_xor_b32_e32 v9, v53, v13
	v_xor_b32_e32 v1, v52, v1
	v_xor_b32_e32 v9, v9, v42
	v_xor_b32_e32 v1, v1, v14
	v_mad_u64_u32 v[14:15], s[4:5], v9, s15, 0
	v_mad_u64_u32 v[42:43], s[4:5], v1, s34, 0
	v_xor_b32_e32 v1, v55, v43
	v_xor_b32_e32 v9, v54, v15
	v_xor_b32_e32 v1, v1, v12
	v_xor_b32_e32 v9, v9, v0
	v_mad_u64_u32 v[0:1], s[4:5], v1, s15, 0
	v_mad_u64_u32 v[12:13], s[4:5], v9, s34, 0
	v_xor_b32_e32 v9, v57, v13
	v_xor_b32_e32 v1, v56, v1
	v_xor_b32_e32 v9, v9, v42
	v_xor_b32_e32 v1, v1, v14
	v_mad_u64_u32 v[42:43], s[4:5], v9, s15, 0
	v_mad_u64_u32 v[44:45], s[4:5], v1, s34, 0
	v_xor_b32_e32 v1, v45, v12
	v_xor_b32_e32 v0, v43, v0
	v_mov_b32_e32 v17, 0
	v_xor_b32_e32 v12, v37, v1
	v_xor_b32_e32 v14, v38, v0
	v_mov_b32_e32 v13, v44
	v_mov_b32_e32 v15, v42
.LBB132_12:                             ;   in Loop: Header=BB132_4 Depth=1
	s_or_b64 exec, exec, s[2:3]
	v_cmp_eq_u32_e32 vcc, 1, v39
	v_cndmask_b32_e32 v0, v8, v18, vcc
	v_cmp_eq_u32_e32 vcc, 2, v39
	v_cndmask_b32_e32 v0, v0, v10, vcc
	;; [unrolled: 2-line block ×3, first 2 shown]
	v_div_scale_f32 v1, s[2:3], v19, v19, 1.0
	v_cvt_f32_u32_e32 v0, v0
	v_rcp_f32_e32 v8, v1
	v_mov_b32_e32 v9, 0x2f800000
	s_mov_b64 s[26:27], exec
	v_fmac_f32_e32 v9, 0x2f800000, v0
	v_fma_f32 v0, -v1, v8, 1.0
	v_fmac_f32_e32 v8, v0, v8
	v_div_scale_f32 v0, vcc, 1.0, v19, 1.0
	v_sub_f32_e32 v40, 1.0, v9
	v_mul_f32_e32 v9, v0, v8
	v_fma_f32 v10, -v1, v9, v0
	v_fmac_f32_e32 v9, v10, v8
	v_fma_f32 v0, -v1, v9, v0
	v_div_fmas_f32 v0, v0, v8, v9
	v_div_fixup_f32 v50, v0, v19, 1.0
	v_cmp_eq_f32_e32 vcc, 1.0, v40
	v_cndmask_b32_e64 v51, v50, 1.0, vcc
	v_cmp_eq_f32_e64 s[2:3], 0, v51
	v_cndmask_b32_e64 v52, |v40|, 1.0, s[2:3]
	v_frexp_mant_f32_e32 v0, v52
	v_cmp_gt_f32_e64 s[4:5], s43, v0
	v_cndmask_b32_e64 v1, 1.0, 2.0, s[4:5]
	v_mul_f32_e32 v0, v0, v1
	v_add_f32_e32 v9, 1.0, v0
	v_rcp_f32_e32 v16, v9
	v_add_f32_e32 v1, -1.0, v9
	v_sub_f32_e32 v11, v0, v1
	v_add_f32_e32 v1, -1.0, v0
	v_mul_f32_e32 v39, v1, v16
	v_mul_f32_e32 v8, v9, v39
	v_fma_f32 v10, v39, v9, -v8
	v_fmac_f32_e32 v10, v39, v11
	v_add_f32_e32 v0, v8, v10
	v_sub_f32_e32 v9, v1, v0
	v_pk_add_f32 v[18:19], v[0:1], v[8:9] neg_lo:[0,1] neg_hi:[0,1]
	v_mov_b32_e32 v11, v0
	v_pk_add_f32 v[0:1], v[18:19], v[10:11] neg_lo:[0,1] neg_hi:[0,1]
	v_add_f32_e32 v0, v0, v1
	v_add_f32_e32 v0, v9, v0
	v_mul_f32_e32 v1, v16, v0
	v_add_f32_e32 v0, v39, v1
	v_sub_f32_e32 v8, v0, v39
	v_sub_f32_e32 v16, v1, v8
	v_mul_f32_e32 v1, v0, v0
	v_fma_f32 v9, v0, v0, -v1
	v_add_f32_e32 v8, v16, v16
	v_fmac_f32_e32 v9, v0, v8
	v_add_f32_e32 v8, v1, v9
	v_mov_b32_e32 v10, 0x3e91f4c4
	v_fmac_f32_e32 v10, 0x3e76c4e1, v8
	v_fma_f32 v10, v8, v10, v28
	v_sub_f32_e32 v1, v8, v1
	v_sub_f32_e32 v39, v9, v1
	v_mul_f32_e32 v1, v8, v10
	v_fma_f32 v9, v8, v10, -v1
	v_fmac_f32_e32 v9, v39, v10
	v_add_f32_e32 v10, v1, v9
	v_add_f32_e32 v11, 0x3f2aaaaa, v10
	v_sub_f32_e32 v1, v10, v1
	v_sub_f32_e32 v1, v9, v1
	v_add_f32_e32 v9, 0xbf2aaaaa, v11
	v_add_f32_e32 v1, 0x31739010, v1
	v_sub_f32_e32 v9, v10, v9
	v_pk_mul_f32 v[18:19], v[0:1], v[8:9]
	v_fma_f32 v10, v8, v0, -v18
	v_pk_add_f32 v[42:43], v[0:1], v[8:9]
	v_fmac_f32_e32 v10, v8, v16
	v_mov_b32_e32 v19, v43
	v_fmac_f32_e32 v10, v39, v0
	v_pk_add_f32 v[8:9], v[18:19], v[10:11]
	v_sub_f32_e32 v1, v8, v18
	v_sub_f32_e32 v1, v10, v1
	;; [unrolled: 1-line block ×3, first 2 shown]
	v_add_f32_e32 v39, v43, v10
	v_mov_b32_e32 v10, v9
	v_pk_mul_f32 v[10:11], v[8:9], v[10:11]
	v_cvt_f64_f32_e32 v[18:19], v52
	v_frexp_exp_i32_f64_e32 v11, v[18:19]
	v_subbrev_co_u32_e64 v11, s[4:5], 0, v11, s[4:5]
	v_cvt_f32_i32_e32 v11, v11
	v_fma_f32 v18, v8, v9, -v10
	v_fmac_f32_e32 v18, v8, v39
	v_fmac_f32_e32 v18, v1, v9
	v_mul_f32_e32 v8, 0x3f317218, v11
	v_fma_f32 v42, v11, s44, -v8
	v_fmac_f32_e32 v42, 0xb102e308, v11
	v_ldexp_f32 v43, v0, 1
	v_add_f32_e32 v9, v10, v18
	v_pk_add_f32 v[0:1], v[8:9], v[42:43]
	v_mov_b32_e32 v44, v9
	v_mov_b32_e32 v45, v1
	;; [unrolled: 1-line block ×3, first 2 shown]
	v_pk_add_f32 v[10:11], v[44:45], v[10:11] neg_lo:[0,1] neg_hi:[0,1]
	v_mov_b32_e32 v19, v9
	v_ldexp_f32 v16, v16, 1
	v_pk_add_f32 v[10:11], v[18:19], v[10:11] neg_lo:[0,1] neg_hi:[0,1]
	v_add_f32_e32 v9, v16, v10
	v_add_f32_e32 v9, v9, v11
	v_pk_add_f32 v[10:11], v[0:1], v[8:9] neg_lo:[0,1] neg_hi:[0,1]
	v_pk_add_f32 v[18:19], v[0:1], v[8:9]
	v_mov_b32_e32 v44, v10
	v_mov_b32_e32 v45, v19
	;; [unrolled: 1-line block ×3, first 2 shown]
	v_pk_add_f32 v[44:45], v[42:43], v[44:45]
	v_mov_b32_e32 v8, v45
	v_pk_add_f32 v[46:47], v[8:9], v[0:1] neg_lo:[0,1] neg_hi:[0,1]
	v_mov_b32_e32 v39, v46
	v_mov_b32_e32 v44, v19
	;; [unrolled: 1-line block ×4, first 2 shown]
	v_pk_add_f32 v[10:11], v[42:43], v[10:11] neg_lo:[0,1] neg_hi:[0,1]
	v_pk_add_f32 v[48:49], v[18:19], v[38:39] neg_lo:[0,1] neg_hi:[0,1]
	;; [unrolled: 1-line block ×3, first 2 shown]
	v_mov_b32_e32 v42, v9
	v_pk_add_f32 v[0:1], v[42:43], v[0:1] neg_lo:[0,1] neg_hi:[0,1]
	v_mov_b32_e32 v48, v10
	v_pk_add_f32 v[18:19], v[48:49], v[0:1]
	v_mov_b32_e32 v16, v19
	v_pk_add_f32 v[42:43], v[18:19], v[16:17]
	v_pk_add_f32 v[8:9], v[8:9], v[42:43]
	v_mov_b32_e32 v11, v45
	v_mov_b32_e32 v19, v8
	v_pk_add_f32 v[44:45], v[18:19], v[10:11] neg_lo:[0,1] neg_hi:[0,1]
	v_mov_b32_e32 v1, v42
	v_sub_f32_e32 v9, v18, v44
	v_pk_add_f32 v[0:1], v[0:1], v[44:45] neg_lo:[0,1] neg_hi:[0,1]
	v_sub_f32_e32 v9, v10, v9
	v_add_f32_e32 v0, v0, v9
	v_add_f32_e32 v0, v0, v1
	;; [unrolled: 1-line block ×3, first 2 shown]
	v_sub_f32_e32 v8, v1, v8
	v_sub_f32_e32 v0, v0, v8
	v_mul_f32_e32 v8, v51, v1
	v_fma_f32 v1, v51, v1, -v8
	v_fmac_f32_e32 v1, v51, v0
	v_add_f32_e32 v0, v8, v1
	v_cmp_class_f32_e64 s[4:5], v8, s45
	v_sub_f32_e32 v9, v0, v8
	v_cndmask_b32_e64 v0, v0, v8, s[4:5]
	v_cmp_eq_f32_e64 s[4:5], s47, v0
	v_cndmask_b32_e64 v8, 0, v30, s[4:5]
	v_sub_f32_e32 v1, v1, v9
	v_sub_f32_e32 v9, v0, v8
	v_mul_f32_e32 v10, 0x3fb8aa3b, v9
	v_fma_f32 v11, v9, s48, -v10
	v_rndne_f32_e32 v16, v10
	v_fmac_f32_e32 v11, 0x32a5705f, v9
	v_sub_f32_e32 v10, v10, v16
	v_add_f32_e32 v10, v10, v11
	v_exp_f32_e32 v10, v10
	v_cvt_i32_f32_e32 v11, v16
	v_cmp_neq_f32_e64 s[4:5], |v0|, s46
	v_cndmask_b32_e64 v0, 0, v1, s[4:5]
	v_cmp_ngt_f32_e64 s[4:5], s49, v9
	v_ldexp_f32 v1, v10, v11
	v_cndmask_b32_e64 v1, 0, v1, s[4:5]
	v_cmp_nlt_f32_e64 s[4:5], s47, v9
	v_add_f32_e32 v0, v8, v0
	v_cndmask_b32_e64 v1, v31, v1, s[4:5]
	v_fma_f32 v0, v1, v0, v1
	v_cmp_class_f32_e64 s[4:5], v1, s45
	v_trunc_f32_e32 v8, v51
	v_cndmask_b32_e64 v0, v0, v1, s[4:5]
	v_cndmask_b32_e64 v1, v40, 1.0, s[2:3]
	v_cmp_eq_f32_e64 s[2:3], v8, v51
	v_mul_f32_e32 v8, 0.5, v51
	v_trunc_f32_e32 v9, v8
	v_cmp_neq_f32_e64 s[4:5], v9, v8
	s_and_b64 s[4:5], s[2:3], s[4:5]
	v_cndmask_b32_e64 v8, 1.0, v1, s[4:5]
	v_bfi_b32 v0, s50, v0, v8
	v_cndmask_b32_e64 v8, v32, v0, s[2:3]
	v_cmp_gt_f32_e64 s[2:3], 0, v1
	v_cndmask_b32_e64 v0, v0, v8, s[2:3]
	v_cndmask_b32_e64 v8, |v50|, 1.0, vcc
	v_cmp_neq_f32_e32 vcc, v51, v8
	v_cmp_gt_f32_e64 s[2:3], 1.0, v52
	s_xor_b64 s[2:3], vcc, s[2:3]
	v_cndmask_b32_e64 v9, v8, 0, s[2:3]
	v_cmp_eq_f32_e64 s[2:3], 0, v1
	v_cmp_gt_f32_e64 s[6:7], 0, v51
	v_cmp_eq_f32_e32 vcc, 1.0, v52
	s_xor_b64 s[6:7], s[6:7], s[2:3]
	v_cndmask_b32_e32 v9, v9, v52, vcc
	v_cmp_eq_f32_e32 vcc, s46, v8
	v_cndmask_b32_e64 v8, v31, 0, s[6:7]
	v_cndmask_b32_e64 v1, 0, v1, s[4:5]
	v_bfi_b32 v1, s50, v8, v1
	v_add_f16_e32 v8, 1.0, v41
	v_cvt_f32_f16_e32 v19, v8
	v_cndmask_b32_e32 v0, v0, v9, vcc
	v_cmp_eq_f32_e32 vcc, s46, v52
	s_or_b64 vcc, vcc, s[2:3]
	v_pk_mov_b32 v[8:9], v[12:13], v[12:13] op_sel:[0,1]
	v_cndmask_b32_e32 v40, v0, v1, vcc
	v_pk_mov_b32 v[10:11], v[14:15], v[14:15] op_sel:[0,1]
	v_mov_b32_e32 v39, v17
.LBB132_13:                             ;   in Loop: Header=BB132_4 Depth=1
	s_or_b64 exec, exec, s[24:25]
	s_mov_b32 s4, 0
	s_orn2_b64 s[2:3], s[26:27], exec
.LBB132_14:                             ;   in Loop: Header=BB132_4 Depth=1
	s_or_b64 exec, exec, s[22:23]
	v_mov_b32_e32 v0, s4
	s_and_saveexec_b64 s[4:5], s[2:3]
	s_cbranch_execz .LBB132_3
; %bb.15:                               ;   in Loop: Header=BB132_4 Depth=1
	v_add_f32_e32 v41, 0xbeaaaaab, v19
	v_mul_f32_e32 v0, 0x41100000, v41
	v_mul_f32_e32 v1, 0x4f800000, v0
	v_cmp_gt_f32_e32 vcc, s51, v0
	v_cndmask_b32_e32 v0, v0, v1, vcc
	v_sqrt_f32_e32 v1, v0
	v_add_u32_e32 v43, 0x9e3779b9, v26
	v_add_u32_e32 v44, 0xbb67ae85, v27
	;; [unrolled: 1-line block ×3, first 2 shown]
	v_add_u32_e32 v12, -1, v1
	v_fma_f32 v14, -v12, v1, v0
	v_add_u32_e32 v13, 1, v1
	v_cmp_ge_f32_e64 s[2:3], 0, v14
	v_cndmask_b32_e64 v12, v1, v12, s[2:3]
	v_fma_f32 v1, -v13, v1, v0
	v_cmp_lt_f32_e64 s[2:3], 0, v1
	v_cndmask_b32_e64 v1, v12, v13, s[2:3]
	v_mul_f32_e32 v12, 0x37800000, v1
	v_cndmask_b32_e32 v1, v1, v12, vcc
	v_cmp_class_f32_e32 vcc, v0, v29
	v_cndmask_b32_e32 v0, v1, v0, vcc
	v_div_scale_f32 v1, s[2:3], v0, v0, 1.0
	v_rcp_f32_e32 v12, v1
	v_add_u32_e32 v46, 0x76cf5d0a, v27
	v_add_u32_e32 v47, 0xdaa66d2b, v26
	;; [unrolled: 1-line block ×3, first 2 shown]
	v_fma_f32 v13, -v1, v12, 1.0
	v_fmac_f32_e32 v12, v13, v12
	v_div_scale_f32 v13, vcc, 1.0, v0, 1.0
	v_mul_f32_e32 v14, v13, v12
	v_fma_f32 v15, -v1, v14, v13
	v_fmac_f32_e32 v14, v15, v12
	v_fma_f32 v1, -v1, v14, v13
	v_div_fmas_f32 v1, v1, v12, v14
	v_div_fixup_f32 v42, v1, v0, 1.0
	v_add_u32_e32 v49, 0x78dde6e4, v26
	v_add_u32_e32 v50, 0xed9eba14, v27
	;; [unrolled: 1-line block ×10, first 2 shown]
	s_mov_b64 s[6:7], 0
	v_mov_b32_e32 v59, 0
	s_mov_b64 s[26:27], 0
                                        ; implicit-def: $sgpr22_sgpr23
                                        ; implicit-def: $sgpr24_sgpr25
                                        ; implicit-def: $vgpr0
	s_branch .LBB132_17
.LBB132_16:                             ;   in Loop: Header=BB132_17 Depth=2
	s_or_b64 exec, exec, s[26:27]
	s_and_b64 s[2:3], exec, s[2:3]
	s_or_b64 s[6:7], s[2:3], s[6:7]
	s_andn2_b64 s[2:3], s[22:23], exec
	s_and_b64 s[22:23], s[24:25], exec
	v_pk_mov_b32 v[8:9], v[12:13], v[12:13] op_sel:[0,1]
	s_or_b64 s[22:23], s[2:3], s[22:23]
	s_mov_b64 s[26:27], 0
	v_mov_b32_e32 v39, v16
	v_pk_mov_b32 v[10:11], v[14:15], v[14:15] op_sel:[0,1]
	s_andn2_b64 exec, exec, s[6:7]
	s_cbranch_execz .LBB132_28
.LBB132_17:                             ;   Parent Loop BB132_4 Depth=1
                                        ; =>  This Inner Loop Header: Depth=2
	v_cmp_eq_u32_e32 vcc, 0, v59
	v_mov_b32_e32 v1, v0
	v_mov_b32_e32 v59, 0
	s_and_saveexec_b64 s[28:29], vcc
	s_cbranch_execz .LBB132_23
; %bb.18:                               ;   in Loop: Header=BB132_17 Depth=2
	v_add_u32_e32 v0, 1, v39
	v_pk_mov_b32 v[14:15], v[10:11], v[10:11] op_sel:[0,1]
	v_cmp_eq_u32_e32 vcc, 4, v0
	v_pk_mov_b32 v[12:13], v[8:9], v[8:9] op_sel:[0,1]
	s_and_saveexec_b64 s[2:3], vcc
	s_cbranch_execz .LBB132_20
; %bb.19:                               ;   in Loop: Header=BB132_17 Depth=2
	v_add_co_u32_e32 v4, vcc, 1, v4
	v_cndmask_b32_e64 v1, 0, 1, vcc
	v_addc_co_u32_e32 v5, vcc, 0, v5, vcc
	v_cmp_eq_u32_e32 vcc, 0, v5
	v_cndmask_b32_e32 v1, 0, v1, vcc
	v_add_u32_e32 v6, v1, v6
	v_cmp_eq_u32_e32 vcc, 0, v6
	v_cndmask_b32_e32 v1, 0, v1, vcc
	v_mad_u64_u32 v[12:13], s[64:65], v4, s15, 0
	v_mad_u64_u32 v[14:15], s[64:65], v6, s34, 0
	v_add_u32_e32 v7, v1, v7
	v_xor_b32_e32 v1, v15, v26
	v_xor_b32_e32 v13, v13, v27
	v_xor_b32_e32 v1, v5, v1
	v_xor_b32_e32 v13, v7, v13
	v_mad_u64_u32 v[16:17], s[64:65], v1, s15, 0
	v_mad_u64_u32 v[18:19], s[64:65], v13, s34, 0
	v_xor_b32_e32 v1, v19, v14
	v_xor_b32_e32 v12, v17, v12
	v_xor_b32_e32 v1, v43, v1
	v_xor_b32_e32 v14, v44, v12
	v_mad_u64_u32 v[12:13], s[64:65], v1, s15, 0
	v_mad_u64_u32 v[14:15], s[64:65], v14, s34, 0
	;; [unrolled: 6-line block ×9, first 2 shown]
	v_xor_b32_e32 v1, v19, v12
	v_xor_b32_e32 v12, v37, v1
	;; [unrolled: 1-line block ×3, first 2 shown]
	v_mov_b32_e32 v0, 0
	v_xor_b32_e32 v14, v38, v1
	v_mov_b32_e32 v13, v18
	v_mov_b32_e32 v15, v16
.LBB132_20:                             ;   in Loop: Header=BB132_17 Depth=2
	s_or_b64 exec, exec, s[2:3]
	v_add_u32_e32 v60, 1, v0
	v_pk_mov_b32 v[18:19], v[14:15], v[14:15] op_sel:[0,1]
	v_cmp_eq_u32_e32 vcc, 4, v60
	v_pk_mov_b32 v[16:17], v[12:13], v[12:13] op_sel:[0,1]
	s_and_saveexec_b64 s[2:3], vcc
	s_cbranch_execz .LBB132_22
; %bb.21:                               ;   in Loop: Header=BB132_17 Depth=2
	v_add_co_u32_e32 v4, vcc, 1, v4
	v_cndmask_b32_e64 v1, 0, 1, vcc
	v_addc_co_u32_e32 v5, vcc, 0, v5, vcc
	v_cmp_eq_u32_e32 vcc, 0, v5
	v_cndmask_b32_e32 v1, 0, v1, vcc
	v_add_u32_e32 v6, v1, v6
	v_cmp_eq_u32_e32 vcc, 0, v6
	v_cndmask_b32_e32 v1, 0, v1, vcc
	v_mad_u64_u32 v[16:17], s[64:65], v4, s15, 0
	v_mad_u64_u32 v[18:19], s[64:65], v6, s34, 0
	v_add_u32_e32 v7, v1, v7
	v_xor_b32_e32 v1, v19, v26
	v_xor_b32_e32 v17, v17, v27
	v_xor_b32_e32 v1, v5, v1
	v_xor_b32_e32 v17, v7, v17
	v_mad_u64_u32 v[62:63], s[64:65], v1, s15, 0
	v_mad_u64_u32 v[64:65], s[64:65], v17, s34, 0
	v_xor_b32_e32 v1, v65, v18
	v_xor_b32_e32 v16, v63, v16
	v_xor_b32_e32 v1, v43, v1
	v_xor_b32_e32 v18, v44, v16
	v_mad_u64_u32 v[16:17], s[64:65], v1, s15, 0
	v_mad_u64_u32 v[18:19], s[64:65], v18, s34, 0
	;; [unrolled: 6-line block ×9, first 2 shown]
	v_xor_b32_e32 v1, v65, v16
	v_xor_b32_e32 v16, v37, v1
	;; [unrolled: 1-line block ×3, first 2 shown]
	v_mov_b32_e32 v60, 0
	v_xor_b32_e32 v18, v38, v1
	v_mov_b32_e32 v17, v64
	v_mov_b32_e32 v19, v62
.LBB132_22:                             ;   in Loop: Header=BB132_17 Depth=2
	s_or_b64 exec, exec, s[2:3]
	v_cmp_eq_u32_e32 vcc, 1, v39
	v_cndmask_b32_e32 v1, v8, v9, vcc
	v_cmp_eq_u32_e32 vcc, 2, v39
	v_cndmask_b32_e32 v1, v1, v10, vcc
	;; [unrolled: 2-line block ×3, first 2 shown]
	v_cvt_f32_u32_e32 v1, v1
	v_cmp_eq_u32_e32 vcc, 1, v0
	v_mov_b32_e32 v9, 0x2f800000
	v_cndmask_b32_e32 v8, v12, v13, vcc
	v_cmp_eq_u32_e32 vcc, 2, v0
	v_fmac_f32_e32 v9, 0x2f800000, v1
	v_cndmask_b32_e32 v8, v8, v14, vcc
	v_cmp_gt_f32_e32 vcc, s56, v9
	v_cndmask_b32_e32 v1, 1.0, v33, vcc
	v_mul_f32_e32 v1, v9, v1
	v_log_f32_e32 v1, v1
	v_cmp_eq_u32_e64 s[2:3], 3, v0
	v_cndmask_b32_e64 v0, v8, v15, s[2:3]
	v_cvt_f32_u32_e32 v0, v0
	v_mul_f32_e32 v8, 0x3f317217, v1
	v_fma_f32 v9, v1, s57, -v8
	v_fmac_f32_e32 v9, 0x3377d1cf, v1
	v_add_f32_e32 v8, v8, v9
	v_cmp_lt_f32_e64 s[2:3], |v1|, s46
	v_cndmask_b32_e64 v1, v1, v8, s[2:3]
	v_cndmask_b32_e32 v8, 0, v34, vcc
	v_sub_f32_e32 v1, v1, v8
	v_mul_f32_e32 v1, -2.0, v1
	v_mul_f32_e32 v8, 0x4f800000, v1
	v_cmp_gt_f32_e32 vcc, s51, v1
	v_cndmask_b32_e32 v8, v1, v8, vcc
	v_sqrt_f32_e32 v1, v8
	v_mov_b32_e32 v9, 0x30c90fdb
	v_fmac_f32_e32 v9, 0x30c90fdb, v0
	v_mov_b32_e32 v59, 1
	v_add_u32_e32 v0, -1, v1
	v_fma_f32 v10, -v0, v1, v8
	v_cmp_ge_f32_e64 s[2:3], 0, v10
	v_add_u32_e32 v10, 1, v1
	v_cndmask_b32_e64 v0, v1, v0, s[2:3]
	v_fma_f32 v1, -v10, v1, v8
	v_cmp_lt_f32_e64 s[2:3], 0, v1
	v_cndmask_b32_e64 v10, v0, v10, s[2:3]
	v_mul_f32_e32 v0, 0.15915494, v9
	v_sin_f32_e32 v1, v0
	v_cos_f32_e32 v0, v0
	v_mul_f32_e32 v11, 0x37800000, v10
	v_cndmask_b32_e32 v9, v10, v11, vcc
	v_cmp_class_f32_e32 vcc, v8, v29
	v_cndmask_b32_e32 v8, v9, v8, vcc
	v_pk_mul_f32 v[0:1], v[8:9], v[0:1] op_sel_hi:[0,1]
	v_pk_mov_b32 v[8:9], v[16:17], v[16:17] op_sel:[0,1]
	v_pk_mov_b32 v[10:11], v[18:19], v[18:19] op_sel:[0,1]
	v_mov_b32_e32 v39, v60
.LBB132_23:                             ;   in Loop: Header=BB132_17 Depth=2
	s_or_b64 exec, exec, s[28:29]
	v_fma_f32 v17, v42, v1, 1.0
	v_cmp_nge_f32_e32 vcc, 0, v17
	s_or_b64 s[26:27], vcc, s[26:27]
	s_andn2_b64 exec, exec, s[26:27]
	s_cbranch_execnz .LBB132_17
; %bb.24:                               ;   in Loop: Header=BB132_17 Depth=2
	s_or_b64 exec, exec, s[26:27]
	v_add_u32_e32 v16, 1, v39
	v_pk_mov_b32 v[14:15], v[10:11], v[10:11] op_sel:[0,1]
	v_cmp_eq_u32_e32 vcc, 4, v16
	v_pk_mov_b32 v[12:13], v[8:9], v[8:9] op_sel:[0,1]
	s_and_saveexec_b64 s[2:3], vcc
	s_cbranch_execz .LBB132_26
; %bb.25:                               ;   in Loop: Header=BB132_17 Depth=2
	v_add_co_u32_e32 v4, vcc, 1, v4
	v_cndmask_b32_e64 v12, 0, 1, vcc
	v_addc_co_u32_e32 v5, vcc, 0, v5, vcc
	v_cmp_eq_u32_e32 vcc, 0, v5
	v_cndmask_b32_e32 v12, 0, v12, vcc
	v_add_u32_e32 v6, v12, v6
	v_cmp_eq_u32_e32 vcc, 0, v6
	v_cndmask_b32_e32 v12, 0, v12, vcc
	v_add_u32_e32 v7, v12, v7
	v_mad_u64_u32 v[12:13], s[26:27], v4, s15, 0
	v_mad_u64_u32 v[14:15], s[26:27], v6, s34, 0
	v_xor_b32_e32 v15, v15, v26
	v_xor_b32_e32 v13, v13, v27
	v_xor_b32_e32 v15, v5, v15
	v_xor_b32_e32 v13, v7, v13
	v_mad_u64_u32 v[18:19], s[26:27], v15, s15, 0
	v_mad_u64_u32 v[60:61], s[26:27], v13, s34, 0
	v_xor_b32_e32 v13, v61, v14
	v_xor_b32_e32 v12, v19, v12
	v_xor_b32_e32 v13, v43, v13
	v_xor_b32_e32 v14, v44, v12
	;; [unrolled: 6-line block ×9, first 2 shown]
	v_mad_u64_u32 v[18:19], s[26:27], v13, s15, 0
	v_mad_u64_u32 v[60:61], s[26:27], v15, s34, 0
	v_xor_b32_e32 v12, v61, v12
	v_xor_b32_e32 v13, v19, v14
	v_mov_b32_e32 v16, 0
	v_xor_b32_e32 v12, v37, v12
	v_xor_b32_e32 v14, v38, v13
	v_mov_b32_e32 v13, v60
	v_mov_b32_e32 v15, v18
.LBB132_26:                             ;   in Loop: Header=BB132_17 Depth=2
	s_or_b64 exec, exec, s[2:3]
	v_cmp_eq_u32_e32 vcc, 1, v39
	v_cndmask_b32_e32 v8, v8, v9, vcc
	v_cmp_eq_u32_e32 vcc, 2, v39
	v_cndmask_b32_e32 v8, v8, v10, vcc
	;; [unrolled: 2-line block ×3, first 2 shown]
	v_cvt_f32_u32_e32 v8, v8
	v_mul_f32_e32 v9, v17, v17
	v_mul_f32_e32 v17, v17, v9
	v_mov_b32_e32 v9, 0x2f800000
	v_fmac_f32_e32 v9, 0x2f800000, v8
	v_mul_f32_e32 v1, v1, v1
	v_sub_f32_e32 v8, 1.0, v9
	v_mul_f32_e32 v9, 0xbd0793de, v1
	v_fma_f32 v9, v1, v9, 1.0
	v_cmp_nlt_f32_e32 vcc, v8, v9
	s_mov_b64 s[2:3], -1
	s_or_b64 s[24:25], s[24:25], exec
	s_and_saveexec_b64 s[26:27], vcc
	s_cbranch_execz .LBB132_16
; %bb.27:                               ;   in Loop: Header=BB132_17 Depth=2
	v_cmp_gt_f32_e32 vcc, s56, v8
	v_cndmask_b32_e32 v9, 1.0, v33, vcc
	v_mul_f32_e32 v8, v8, v9
	v_log_f32_e32 v8, v8
	s_andn2_b64 s[24:25], s[24:25], exec
	v_mul_f32_e32 v9, 0x3f317217, v8
	v_fma_f32 v10, v8, s57, -v9
	v_fmac_f32_e32 v10, 0x3377d1cf, v8
	v_add_f32_e32 v9, v9, v10
	v_cmp_lt_f32_e64 s[2:3], |v8|, s46
	v_cndmask_b32_e64 v8, v8, v9, s[2:3]
	v_cmp_gt_f32_e64 s[2:3], s56, v17
	v_cndmask_b32_e64 v9, 1.0, v33, s[2:3]
	v_mul_f32_e32 v9, v17, v9
	v_log_f32_e32 v9, v9
	v_cndmask_b32_e32 v10, 0, v34, vcc
	v_sub_f32_e32 v8, v8, v10
	v_sub_f32_e32 v10, 1.0, v17
	v_mul_f32_e32 v11, 0x3f317217, v9
	v_fma_f32 v18, v9, s57, -v11
	v_fmac_f32_e32 v18, 0x3377d1cf, v9
	v_add_f32_e32 v11, v11, v18
	v_cmp_lt_f32_e64 vcc, |v9|, s46
	v_cndmask_b32_e32 v9, v9, v11, vcc
	v_cndmask_b32_e64 v11, 0, v34, s[2:3]
	v_sub_f32_e32 v9, v9, v11
	v_add_f32_e32 v9, v10, v9
	v_mul_f32_e32 v9, v41, v9
	v_fmac_f32_e32 v9, 0.5, v1
	v_cmp_lt_f32_e32 vcc, v8, v9
	s_orn2_b64 s[2:3], vcc, exec
	s_branch .LBB132_16
.LBB132_28:                             ;   in Loop: Header=BB132_4 Depth=1
	s_or_b64 exec, exec, s[6:7]
	s_xor_b64 s[2:3], s[22:23], -1
	v_mul_f32_e32 v1, v40, v41
                                        ; implicit-def: $vgpr0
	s_and_saveexec_b64 s[6:7], s[2:3]
	s_xor_b64 s[2:3], exec, s[6:7]
; %bb.29:                               ;   in Loop: Header=BB132_4 Depth=1
	v_fma_mixlo_f16 v0, v1, v17, 0
                                        ; implicit-def: $vgpr1
; %bb.30:                               ;   in Loop: Header=BB132_4 Depth=1
	s_andn2_saveexec_b64 s[2:3], s[2:3]
	s_cbranch_execz .LBB132_2
; %bb.31:                               ;   in Loop: Header=BB132_4 Depth=1
	v_fma_mixlo_f16 v0, v1, v17, 0
	s_branch .LBB132_2
.LBB132_32:
	s_endpgm
	.section	.rodata,"a",@progbits
	.p2align	6, 0x0
	.amdhsa_kernel _ZN2at4cuda12_GLOBAL__N_121kernelPointwiseApply2IZN12_GLOBAL__N_117gamma_cuda_kernelIN3c104HalfEEEvRKNS_10TensorBaseES9_NS_15PhiloxCudaStateEEUlRS6_RKS6_E_S6_S6_jLi1ELi2ELi1ELi256ELi2EEEvNS0_6detail10TensorInfoIT0_T2_EENSG_IT1_SI_EESI_T_
		.amdhsa_group_segment_fixed_size 0
		.amdhsa_private_segment_fixed_size 0
		.amdhsa_kernarg_size 728
		.amdhsa_user_sgpr_count 6
		.amdhsa_user_sgpr_private_segment_buffer 1
		.amdhsa_user_sgpr_dispatch_ptr 0
		.amdhsa_user_sgpr_queue_ptr 0
		.amdhsa_user_sgpr_kernarg_segment_ptr 1
		.amdhsa_user_sgpr_dispatch_id 0
		.amdhsa_user_sgpr_flat_scratch_init 0
		.amdhsa_user_sgpr_kernarg_preload_length 0
		.amdhsa_user_sgpr_kernarg_preload_offset 0
		.amdhsa_user_sgpr_private_segment_size 0
		.amdhsa_uses_dynamic_stack 0
		.amdhsa_system_sgpr_private_segment_wavefront_offset 0
		.amdhsa_system_sgpr_workgroup_id_x 1
		.amdhsa_system_sgpr_workgroup_id_y 0
		.amdhsa_system_sgpr_workgroup_id_z 0
		.amdhsa_system_sgpr_workgroup_info 0
		.amdhsa_system_vgpr_workitem_id 0
		.amdhsa_next_free_vgpr 66
		.amdhsa_next_free_sgpr 66
		.amdhsa_accum_offset 68
		.amdhsa_reserve_vcc 1
		.amdhsa_reserve_flat_scratch 0
		.amdhsa_float_round_mode_32 0
		.amdhsa_float_round_mode_16_64 0
		.amdhsa_float_denorm_mode_32 3
		.amdhsa_float_denorm_mode_16_64 3
		.amdhsa_dx10_clamp 1
		.amdhsa_ieee_mode 1
		.amdhsa_fp16_overflow 0
		.amdhsa_tg_split 0
		.amdhsa_exception_fp_ieee_invalid_op 0
		.amdhsa_exception_fp_denorm_src 0
		.amdhsa_exception_fp_ieee_div_zero 0
		.amdhsa_exception_fp_ieee_overflow 0
		.amdhsa_exception_fp_ieee_underflow 0
		.amdhsa_exception_fp_ieee_inexact 0
		.amdhsa_exception_int_div_zero 0
	.end_amdhsa_kernel
	.section	.text._ZN2at4cuda12_GLOBAL__N_121kernelPointwiseApply2IZN12_GLOBAL__N_117gamma_cuda_kernelIN3c104HalfEEEvRKNS_10TensorBaseES9_NS_15PhiloxCudaStateEEUlRS6_RKS6_E_S6_S6_jLi1ELi2ELi1ELi256ELi2EEEvNS0_6detail10TensorInfoIT0_T2_EENSG_IT1_SI_EESI_T_,"axG",@progbits,_ZN2at4cuda12_GLOBAL__N_121kernelPointwiseApply2IZN12_GLOBAL__N_117gamma_cuda_kernelIN3c104HalfEEEvRKNS_10TensorBaseES9_NS_15PhiloxCudaStateEEUlRS6_RKS6_E_S6_S6_jLi1ELi2ELi1ELi256ELi2EEEvNS0_6detail10TensorInfoIT0_T2_EENSG_IT1_SI_EESI_T_,comdat
.Lfunc_end132:
	.size	_ZN2at4cuda12_GLOBAL__N_121kernelPointwiseApply2IZN12_GLOBAL__N_117gamma_cuda_kernelIN3c104HalfEEEvRKNS_10TensorBaseES9_NS_15PhiloxCudaStateEEUlRS6_RKS6_E_S6_S6_jLi1ELi2ELi1ELi256ELi2EEEvNS0_6detail10TensorInfoIT0_T2_EENSG_IT1_SI_EESI_T_, .Lfunc_end132-_ZN2at4cuda12_GLOBAL__N_121kernelPointwiseApply2IZN12_GLOBAL__N_117gamma_cuda_kernelIN3c104HalfEEEvRKNS_10TensorBaseES9_NS_15PhiloxCudaStateEEUlRS6_RKS6_E_S6_S6_jLi1ELi2ELi1ELi256ELi2EEEvNS0_6detail10TensorInfoIT0_T2_EENSG_IT1_SI_EESI_T_
                                        ; -- End function
	.section	.AMDGPU.csdata,"",@progbits
; Kernel info:
; codeLenInByte = 5220
; NumSgprs: 70
; NumVgprs: 66
; NumAgprs: 0
; TotalNumVgprs: 66
; ScratchSize: 0
; MemoryBound: 0
; FloatMode: 240
; IeeeMode: 1
; LDSByteSize: 0 bytes/workgroup (compile time only)
; SGPRBlocks: 8
; VGPRBlocks: 8
; NumSGPRsForWavesPerEU: 70
; NumVGPRsForWavesPerEU: 66
; AccumOffset: 68
; Occupancy: 7
; WaveLimiterHint : 1
; COMPUTE_PGM_RSRC2:SCRATCH_EN: 0
; COMPUTE_PGM_RSRC2:USER_SGPR: 6
; COMPUTE_PGM_RSRC2:TRAP_HANDLER: 0
; COMPUTE_PGM_RSRC2:TGID_X_EN: 1
; COMPUTE_PGM_RSRC2:TGID_Y_EN: 0
; COMPUTE_PGM_RSRC2:TGID_Z_EN: 0
; COMPUTE_PGM_RSRC2:TIDIG_COMP_CNT: 0
; COMPUTE_PGM_RSRC3_GFX90A:ACCUM_OFFSET: 16
; COMPUTE_PGM_RSRC3_GFX90A:TG_SPLIT: 0
	.section	.text._ZN2at4cuda12_GLOBAL__N_121kernelPointwiseApply2IZN12_GLOBAL__N_117gamma_cuda_kernelIN3c104HalfEEEvRKNS_10TensorBaseES9_NS_15PhiloxCudaStateEEUlRS6_RKS6_E_S6_S6_jLi1ELin1ELi1ELi256ELi2EEEvNS0_6detail10TensorInfoIT0_T2_EENSG_IT1_SI_EESI_T_,"axG",@progbits,_ZN2at4cuda12_GLOBAL__N_121kernelPointwiseApply2IZN12_GLOBAL__N_117gamma_cuda_kernelIN3c104HalfEEEvRKNS_10TensorBaseES9_NS_15PhiloxCudaStateEEUlRS6_RKS6_E_S6_S6_jLi1ELin1ELi1ELi256ELi2EEEvNS0_6detail10TensorInfoIT0_T2_EENSG_IT1_SI_EESI_T_,comdat
	.globl	_ZN2at4cuda12_GLOBAL__N_121kernelPointwiseApply2IZN12_GLOBAL__N_117gamma_cuda_kernelIN3c104HalfEEEvRKNS_10TensorBaseES9_NS_15PhiloxCudaStateEEUlRS6_RKS6_E_S6_S6_jLi1ELin1ELi1ELi256ELi2EEEvNS0_6detail10TensorInfoIT0_T2_EENSG_IT1_SI_EESI_T_ ; -- Begin function _ZN2at4cuda12_GLOBAL__N_121kernelPointwiseApply2IZN12_GLOBAL__N_117gamma_cuda_kernelIN3c104HalfEEEvRKNS_10TensorBaseES9_NS_15PhiloxCudaStateEEUlRS6_RKS6_E_S6_S6_jLi1ELin1ELi1ELi256ELi2EEEvNS0_6detail10TensorInfoIT0_T2_EENSG_IT1_SI_EESI_T_
	.p2align	8
	.type	_ZN2at4cuda12_GLOBAL__N_121kernelPointwiseApply2IZN12_GLOBAL__N_117gamma_cuda_kernelIN3c104HalfEEEvRKNS_10TensorBaseES9_NS_15PhiloxCudaStateEEUlRS6_RKS6_E_S6_S6_jLi1ELin1ELi1ELi256ELi2EEEvNS0_6detail10TensorInfoIT0_T2_EENSG_IT1_SI_EESI_T_,@function
_ZN2at4cuda12_GLOBAL__N_121kernelPointwiseApply2IZN12_GLOBAL__N_117gamma_cuda_kernelIN3c104HalfEEEvRKNS_10TensorBaseES9_NS_15PhiloxCudaStateEEUlRS6_RKS6_E_S6_S6_jLi1ELin1ELi1ELi256ELi2EEEvNS0_6detail10TensorInfoIT0_T2_EENSG_IT1_SI_EESI_T_: ; @_ZN2at4cuda12_GLOBAL__N_121kernelPointwiseApply2IZN12_GLOBAL__N_117gamma_cuda_kernelIN3c104HalfEEEvRKNS_10TensorBaseES9_NS_15PhiloxCudaStateEEUlRS6_RKS6_E_S6_S6_jLi1ELin1ELi1ELi256ELi2EEEvNS0_6detail10TensorInfoIT0_T2_EENSG_IT1_SI_EESI_T_
; %bb.0:
	s_load_dword s2, s[4:5], 0x1e4
	s_load_dword s33, s[4:5], 0x1b0
	s_add_u32 s0, s4, 0x1d8
	s_addc_u32 s1, s5, 0
	s_waitcnt lgkmcnt(0)
	s_and_b32 s2, s2, 0xffff
	s_mul_i32 s6, s6, s2
	v_add_u32_e32 v2, s6, v0
	v_cmp_gt_u32_e32 vcc, s33, v2
	s_and_saveexec_b64 s[6:7], vcc
	s_cbranch_execz .LBB133_35
; %bb.1:
	s_load_dwordx4 s[12:15], s[4:5], 0x1b8
	s_load_dword s3, s[4:5], 0x1a8
	s_load_dwordx2 s[10:11], s[4:5], 0x0
	s_load_dword s34, s[4:5], 0x6c
	s_load_dword s37, s[0:1], 0x0
	s_load_dwordx2 s[16:17], s[4:5], 0x1c8
	s_load_dword s6, s[4:5], 0x1d0
	s_add_u32 s8, s4, 0xd8
	s_addc_u32 s9, s5, 0
	s_waitcnt lgkmcnt(0)
	s_cmp_gt_i32 s3, 1
	s_cselect_b64 s[0:1], -1, 0
	s_bitcmp1_b32 s6, 0
	s_load_dword s35, s[4:5], 0x144
	s_load_dwordx2 s[18:19], s[4:5], 0xd8
	s_cselect_b64 s[4:5], -1, 0
	s_mul_i32 s37, s37, s2
	s_add_i32 s38, s3, 1
	s_add_i32 s2, s3, -1
	s_mov_b32 s3, 0
	s_lshl_b64 s[2:3], s[2:3], 2
	s_add_u32 s2, s2, s8
	s_mov_b32 s36, 0xcd9e8d57
	s_addc_u32 s3, s3, s9
	v_cndmask_b32_e64 v0, 0, 1, s[0:1]
	v_mad_u64_u32 v[20:21], s[6:7], v2, s36, 0
	s_add_u32 s20, s2, 8
	v_cmp_ne_u32_e64 s[0:1], 1, v0
	v_cndmask_b32_e64 v0, 0, 1, s[4:5]
	v_mov_b32_e32 v3, 0
	v_mov_b32_e32 v22, v21
	s_addc_u32 s21, s3, 0
	s_mov_b64 s[22:23], 0
	s_waitcnt lgkmcnt(0)
	v_mov_b32_e32 v21, s19
	v_cmp_ne_u32_e64 s[2:3], 1, v0
	s_mov_b32 s19, 0xd2511f53
	s_mov_b32 s39, 0x3f2aaaab
	v_mov_b32_e32 v23, 0x3ecccdef
	s_mov_b32 s40, 0x3f317218
	s_movk_i32 s41, 0x204
	s_mov_b32 s42, 0x7f800000
	s_mov_b32 s43, 0x42b17218
	;; [unrolled: 1-line block ×4, first 2 shown]
	s_brev_b32 s46, -2
	s_mov_b32 s47, 0xf800000
	v_mov_b32_e32 v28, 0x260
	s_mov_b32 s48, 0x3c6ef372
	s_mov_b32 s49, 0x76cf5d0a
	;; [unrolled: 1-line block ×10, first 2 shown]
	s_movk_i32 s58, 0x400
	s_mov_b32 s59, 0xbb67ae85
	s_mov_b32 s60, 0xdaa66d2b
	;; [unrolled: 1-line block ×7, first 2 shown]
	v_mov_b32_e32 v29, 0x37000000
	v_mov_b32_e32 v30, 0x7f800000
	;; [unrolled: 1-line block ×7, first 2 shown]
	s_branch .LBB133_4
.LBB133_2:                              ;   in Loop: Header=BB133_4 Depth=1
	s_or_b64 exec, exec, s[4:5]
.LBB133_3:                              ;   in Loop: Header=BB133_4 Depth=1
	s_or_b64 exec, exec, s[6:7]
	v_lshlrev_b64 v[4:5], 1, v[24:25]
	v_mov_b32_e32 v1, s11
	v_add_co_u32_e32 v4, vcc, s10, v4
	v_addc_co_u32_e32 v5, vcc, v1, v5, vcc
	v_cmp_ngt_f16_e32 vcc, s58, v0
	v_add_u32_e32 v35, s37, v35
	v_cndmask_b32_e32 v0, v34, v0, vcc
	v_cmp_le_u32_e32 vcc, s33, v35
	s_or_b64 s[22:23], vcc, s[22:23]
	global_store_short v[4:5], v0, off
	s_andn2_b64 exec, exec, s[22:23]
	s_cbranch_execz .LBB133_35
.LBB133_4:                              ; =>This Loop Header: Depth=1
                                        ;     Child Loop BB133_7 Depth 2
                                        ;     Child Loop BB133_20 Depth 2
	v_sub_u32_e32 v0, s33, v35
	v_cmp_lt_i32_e32 vcc, 0, v0
	v_pk_mov_b32 v[0:1], 0, 0
	v_pk_mov_b32 v[24:25], v[0:1], v[0:1] op_sel:[0,1]
	s_and_saveexec_b64 s[4:5], vcc
	s_cbranch_execz .LBB133_9
; %bb.5:                                ;   in Loop: Header=BB133_4 Depth=1
	s_and_b64 vcc, exec, s[0:1]
	v_mov_b32_e32 v0, 0
	v_mov_b32_e32 v4, v35
	s_cbranch_vccnz .LBB133_8
; %bb.6:                                ;   in Loop: Header=BB133_4 Depth=1
	v_mov_b32_e32 v0, 0
	s_mov_b64 s[6:7], s[20:21]
	s_mov_b32 s8, s38
	v_mov_b32_e32 v4, v35
.LBB133_7:                              ;   Parent Loop BB133_4 Depth=1
                                        ; =>  This Inner Loop Header: Depth=2
	s_load_dword s9, s[6:7], 0x0
	s_load_dword s24, s[6:7], 0x64
	v_mov_b32_e32 v1, v4
	s_add_i32 s8, s8, -1
	s_waitcnt lgkmcnt(0)
	v_cvt_f32_u32_e32 v4, s9
	s_sub_i32 s25, 0, s9
	s_add_u32 s6, s6, -4
	s_addc_u32 s7, s7, -1
	v_rcp_iflag_f32_e32 v4, v4
	s_cmp_gt_u32 s8, 2
	v_mul_f32_e32 v4, 0x4f7ffffe, v4
	v_cvt_u32_f32_e32 v4, v4
	v_mul_lo_u32 v5, s25, v4
	v_mul_hi_u32 v5, v4, v5
	v_add_u32_e32 v4, v4, v5
	v_mul_hi_u32 v4, v1, v4
	v_mul_lo_u32 v5, v4, s9
	v_sub_u32_e32 v5, v1, v5
	v_add_u32_e32 v6, 1, v4
	v_cmp_le_u32_e32 vcc, s9, v5
	v_cndmask_b32_e32 v4, v4, v6, vcc
	v_subrev_u32_e32 v6, s9, v5
	v_cndmask_b32_e32 v5, v5, v6, vcc
	v_add_u32_e32 v6, 1, v4
	v_cmp_le_u32_e32 vcc, s9, v5
	v_cndmask_b32_e32 v4, v4, v6, vcc
	v_mul_lo_u32 v5, v4, s9
	v_sub_u32_e32 v1, v1, v5
	v_mad_u64_u32 v[0:1], s[24:25], s24, v1, v[0:1]
	s_cbranch_scc1 .LBB133_7
.LBB133_8:                              ;   in Loop: Header=BB133_4 Depth=1
	v_mad_u64_u32 v[0:1], s[6:7], s35, v4, v[0:1]
	v_mul_lo_u32 v24, v35, s34
	v_mov_b32_e32 v25, v3
	v_mov_b32_e32 v1, v3
.LBB133_9:                              ;   in Loop: Header=BB133_4 Depth=1
	s_or_b64 exec, exec, s[4:5]
	v_lshlrev_b64 v[0:1], 1, v[0:1]
	v_add_co_u32_e32 v0, vcc, s18, v0
	v_addc_co_u32_e32 v1, vcc, v21, v1, vcc
	global_load_ushort v40, v[0:1], off
	s_and_b64 vcc, exec, s[2:3]
	v_pk_mov_b32 v[0:1], s[14:15], s[14:15] op_sel:[0,1]
	v_pk_mov_b32 v[26:27], s[12:13], s[12:13] op_sel:[0,1]
	s_cbranch_vccnz .LBB133_11
; %bb.10:                               ;   in Loop: Header=BB133_4 Depth=1
	v_pk_mov_b32 v[0:1], s[14:15], s[14:15] op_sel:[0,1]
	flat_load_dwordx2 v[0:1], v[0:1]
	v_pk_mov_b32 v[4:5], s[12:13], s[12:13] op_sel:[0,1]
	flat_load_dwordx2 v[26:27], v[4:5]
	v_mov_b32_e32 v4, s17
	s_waitcnt vmcnt(0) lgkmcnt(0)
	v_add_co_u32_e32 v0, vcc, s16, v0
	v_addc_co_u32_e32 v1, vcc, v1, v4, vcc
.LBB133_11:                             ;   in Loop: Header=BB133_4 Depth=1
	v_and_b32_e32 v38, 3, v0
	v_alignbit_b32 v0, v1, v0, 2
	v_mad_u64_u32 v[6:7], s[4:5], v0, s19, 0
	v_lshrrev_b32_e32 v1, 2, v1
	v_xor_b32_e32 v5, v7, v27
	v_xor_b32_e32 v7, v22, v26
	v_mov_b32_e32 v4, v27
	v_xor_b32_e32 v7, v7, v1
	v_mad_u64_u32 v[10:11], s[4:5], v5, s36, 0
	v_add_co_u32_e32 v42, vcc, 0x9e3779b9, v26
	v_add_co_u32_e32 v41, vcc, s59, v4
	v_mad_u64_u32 v[8:9], s[4:5], v7, s19, 0
	v_xor_b32_e32 v5, v20, v11
	v_xor_b32_e32 v5, v5, v42
	v_xor_b32_e32 v7, v41, v9
	v_xor_b32_e32 v9, v7, v6
	v_add_co_u32_e32 v43, vcc, s49, v4
	v_mad_u64_u32 v[6:7], s[4:5], v5, s19, 0
	v_add_co_u32_e32 v44, vcc, s48, v26
	v_mad_u64_u32 v[12:13], s[4:5], v9, s36, 0
	v_xor_b32_e32 v7, v43, v7
	v_xor_b32_e32 v5, v44, v13
	v_xor_b32_e32 v7, v7, v8
	v_xor_b32_e32 v5, v5, v10
	v_add_co_u32_e32 v46, vcc, s60, v26
	v_mad_u64_u32 v[10:11], s[4:5], v7, s36, 0
	;; [unrolled: 8-line block ×7, first 2 shown]
	v_add_co_u32_e32 v56, vcc, s64, v26
	v_mad_u64_u32 v[6:7], s[4:5], v6, s36, 0
	v_xor_b32_e32 v5, v55, v5
	v_xor_b32_e32 v7, v56, v7
	;; [unrolled: 1-line block ×4, first 2 shown]
	v_mad_u64_u32 v[18:19], s[4:5], v5, s36, 0
	v_mad_u64_u32 v[16:17], s[4:5], v7, s19, 0
	v_xor_b32_e32 v5, v19, v6
	s_waitcnt vmcnt(0)
	v_cvt_f32_f16_e32 v19, v40
	v_add_u32_e32 v36, 0x8ff34781, v26
	v_add_u32_e32 v37, 0x96a522ad, v27
	v_xor_b32_e32 v4, v17, v4
	v_xor_b32_e32 v8, v36, v5
	v_xor_b32_e32 v10, v37, v4
	v_pk_mov_b32 v[6:7], v[2:3], v[2:3] op_sel:[0,1]
	v_mov_b32_e32 v9, v18
	v_mov_b32_e32 v11, v16
	v_cmp_gt_f16_e32 vcc, 1.0, v40
	s_mov_b64 s[4:5], -1
	v_mov_b32_e32 v39, 1.0
	v_pk_mov_b32 v[4:5], v[0:1], v[0:1] op_sel:[0,1]
                                        ; implicit-def: $sgpr6
	s_and_saveexec_b64 s[24:25], vcc
	s_cbranch_execz .LBB133_17
; %bb.12:                               ;   in Loop: Header=BB133_4 Depth=1
	v_cmp_neq_f16_e32 vcc, 0, v40
	s_mov_b64 s[28:29], 0
	v_mov_b32_e32 v39, 1.0
                                        ; implicit-def: $vgpr4_vgpr5_vgpr6_vgpr7
	s_and_saveexec_b64 s[26:27], vcc
	s_cbranch_execz .LBB133_16
; %bb.13:                               ;   in Loop: Header=BB133_4 Depth=1
	v_add_u32_e32 v17, 1, v38
	v_pk_mov_b32 v[14:15], v[10:11], v[10:11] op_sel:[0,1]
	v_pk_mov_b32 v[6:7], v[2:3], v[2:3] op_sel:[0,1]
	v_cmp_eq_u32_e32 vcc, 4, v17
	v_pk_mov_b32 v[12:13], v[8:9], v[8:9] op_sel:[0,1]
	v_pk_mov_b32 v[4:5], v[0:1], v[0:1] op_sel:[0,1]
	s_and_saveexec_b64 s[4:5], vcc
	s_cbranch_execz .LBB133_15
; %bb.14:                               ;   in Loop: Header=BB133_4 Depth=1
	v_add_co_u32_e32 v4, vcc, 1, v0
	v_cndmask_b32_e64 v0, 0, 1, vcc
	v_addc_co_u32_e32 v5, vcc, 0, v1, vcc
	v_cmp_eq_u32_e32 vcc, 0, v5
	v_cndmask_b32_e32 v0, 0, v0, vcc
	v_add_u32_e32 v6, v0, v2
	v_cmp_eq_u32_e32 vcc, 0, v6
	v_cndmask_b32_e32 v7, 0, v0, vcc
	v_mad_u64_u32 v[0:1], s[6:7], v4, s19, 0
	v_mad_u64_u32 v[12:13], s[6:7], v6, s36, 0
	v_xor_b32_e32 v9, v13, v26
	v_xor_b32_e32 v1, v1, v27
	v_xor_b32_e32 v9, v5, v9
	v_xor_b32_e32 v1, v7, v1
	v_mad_u64_u32 v[14:15], s[6:7], v9, s19, 0
	v_mad_u64_u32 v[58:59], s[6:7], v1, s36, 0
	v_xor_b32_e32 v1, v42, v59
	v_xor_b32_e32 v9, v41, v15
	v_xor_b32_e32 v1, v1, v12
	v_xor_b32_e32 v9, v9, v0
	;; [unrolled: 6-line block ×9, first 2 shown]
	v_mad_u64_u32 v[42:43], s[6:7], v9, s19, 0
	v_mad_u64_u32 v[44:45], s[6:7], v1, s36, 0
	v_xor_b32_e32 v1, v45, v12
	v_xor_b32_e32 v0, v43, v0
	v_mov_b32_e32 v17, 0
	v_xor_b32_e32 v12, v36, v1
	v_xor_b32_e32 v14, v37, v0
	v_mov_b32_e32 v13, v44
	v_mov_b32_e32 v15, v42
.LBB133_15:                             ;   in Loop: Header=BB133_4 Depth=1
	s_or_b64 exec, exec, s[4:5]
	v_cmp_eq_u32_e32 vcc, 1, v38
	v_cndmask_b32_e32 v0, v8, v18, vcc
	v_cmp_eq_u32_e32 vcc, 2, v38
	v_cndmask_b32_e32 v0, v0, v10, vcc
	;; [unrolled: 2-line block ×3, first 2 shown]
	v_div_scale_f32 v1, s[4:5], v19, v19, 1.0
	v_cvt_f32_u32_e32 v0, v0
	v_rcp_f32_e32 v8, v1
	v_mov_b32_e32 v9, 0x2f800000
	s_mov_b64 s[28:29], exec
	v_fmac_f32_e32 v9, 0x2f800000, v0
	v_fma_f32 v0, -v1, v8, 1.0
	v_fmac_f32_e32 v8, v0, v8
	v_div_scale_f32 v0, vcc, 1.0, v19, 1.0
	v_sub_f32_e32 v48, 1.0, v9
	v_mul_f32_e32 v9, v0, v8
	v_fma_f32 v10, -v1, v9, v0
	v_fmac_f32_e32 v9, v10, v8
	v_fma_f32 v0, -v1, v9, v0
	v_div_fmas_f32 v0, v0, v8, v9
	v_div_fixup_f32 v49, v0, v19, 1.0
	v_cmp_eq_f32_e32 vcc, 1.0, v48
	v_cndmask_b32_e64 v50, v49, 1.0, vcc
	v_cmp_eq_f32_e64 s[4:5], 0, v50
	v_cndmask_b32_e64 v51, |v48|, 1.0, s[4:5]
	v_frexp_mant_f32_e32 v0, v51
	v_cmp_gt_f32_e64 s[6:7], s39, v0
	v_cndmask_b32_e64 v1, 1.0, 2.0, s[6:7]
	v_mul_f32_e32 v0, v0, v1
	v_add_f32_e32 v9, 1.0, v0
	v_rcp_f32_e32 v16, v9
	v_add_f32_e32 v1, -1.0, v9
	v_sub_f32_e32 v11, v0, v1
	v_add_f32_e32 v1, -1.0, v0
	v_mul_f32_e32 v38, v1, v16
	v_mul_f32_e32 v8, v9, v38
	v_fma_f32 v10, v38, v9, -v8
	v_fmac_f32_e32 v10, v38, v11
	v_add_f32_e32 v0, v8, v10
	v_sub_f32_e32 v9, v1, v0
	v_pk_add_f32 v[18:19], v[0:1], v[8:9] neg_lo:[0,1] neg_hi:[0,1]
	v_mov_b32_e32 v11, v0
	v_pk_add_f32 v[0:1], v[18:19], v[10:11] neg_lo:[0,1] neg_hi:[0,1]
	v_add_f32_e32 v0, v0, v1
	v_add_f32_e32 v0, v9, v0
	v_mul_f32_e32 v1, v16, v0
	v_add_f32_e32 v0, v38, v1
	v_sub_f32_e32 v8, v0, v38
	v_sub_f32_e32 v16, v1, v8
	v_mul_f32_e32 v1, v0, v0
	v_fma_f32 v9, v0, v0, -v1
	v_add_f32_e32 v8, v16, v16
	v_fmac_f32_e32 v9, v0, v8
	v_add_f32_e32 v8, v1, v9
	v_mov_b32_e32 v10, 0x3e91f4c4
	v_fmac_f32_e32 v10, 0x3e76c4e1, v8
	v_fma_f32 v10, v8, v10, v23
	v_sub_f32_e32 v1, v8, v1
	v_sub_f32_e32 v41, v9, v1
	v_mul_f32_e32 v1, v8, v10
	v_fma_f32 v9, v8, v10, -v1
	v_fmac_f32_e32 v9, v41, v10
	v_add_f32_e32 v10, v1, v9
	v_add_f32_e32 v11, 0x3f2aaaaa, v10
	v_sub_f32_e32 v1, v10, v1
	v_sub_f32_e32 v1, v9, v1
	v_add_f32_e32 v9, 0xbf2aaaaa, v11
	v_add_f32_e32 v1, 0x31739010, v1
	v_sub_f32_e32 v9, v10, v9
	v_pk_mul_f32 v[18:19], v[0:1], v[8:9]
	v_fma_f32 v10, v8, v0, -v18
	v_pk_add_f32 v[38:39], v[0:1], v[8:9]
	v_fmac_f32_e32 v10, v8, v16
	v_mov_b32_e32 v19, v39
	v_fmac_f32_e32 v10, v41, v0
	v_pk_add_f32 v[8:9], v[18:19], v[10:11]
	v_sub_f32_e32 v1, v8, v18
	v_sub_f32_e32 v1, v10, v1
	;; [unrolled: 1-line block ×3, first 2 shown]
	v_add_f32_e32 v38, v39, v10
	v_mov_b32_e32 v10, v9
	v_pk_mul_f32 v[10:11], v[8:9], v[10:11]
	v_cvt_f64_f32_e32 v[18:19], v51
	v_frexp_exp_i32_f64_e32 v11, v[18:19]
	v_subbrev_co_u32_e64 v11, s[6:7], 0, v11, s[6:7]
	v_cvt_f32_i32_e32 v11, v11
	v_fma_f32 v18, v8, v9, -v10
	v_fmac_f32_e32 v18, v8, v38
	v_fmac_f32_e32 v18, v1, v9
	v_mul_f32_e32 v8, 0x3f317218, v11
	v_fma_f32 v38, v11, s40, -v8
	v_fmac_f32_e32 v38, 0xb102e308, v11
	v_ldexp_f32 v39, v0, 1
	v_add_f32_e32 v9, v10, v18
	v_pk_add_f32 v[0:1], v[8:9], v[38:39]
	v_mov_b32_e32 v42, v9
	v_mov_b32_e32 v43, v1
	;; [unrolled: 1-line block ×3, first 2 shown]
	v_pk_add_f32 v[10:11], v[42:43], v[10:11] neg_lo:[0,1] neg_hi:[0,1]
	v_mov_b32_e32 v19, v9
	v_ldexp_f32 v16, v16, 1
	v_pk_add_f32 v[10:11], v[18:19], v[10:11] neg_lo:[0,1] neg_hi:[0,1]
	v_add_f32_e32 v9, v16, v10
	v_add_f32_e32 v9, v9, v11
	v_pk_add_f32 v[10:11], v[0:1], v[8:9] neg_lo:[0,1] neg_hi:[0,1]
	v_pk_add_f32 v[18:19], v[0:1], v[8:9]
	v_mov_b32_e32 v42, v10
	v_mov_b32_e32 v43, v19
	;; [unrolled: 1-line block ×3, first 2 shown]
	v_pk_add_f32 v[42:43], v[38:39], v[42:43]
	v_mov_b32_e32 v8, v43
	v_pk_add_f32 v[44:45], v[8:9], v[0:1] neg_lo:[0,1] neg_hi:[0,1]
	v_mov_b32_e32 v41, v44
	v_mov_b32_e32 v42, v19
	;; [unrolled: 1-line block ×4, first 2 shown]
	v_pk_add_f32 v[10:11], v[38:39], v[10:11] neg_lo:[0,1] neg_hi:[0,1]
	v_pk_add_f32 v[46:47], v[18:19], v[40:41] neg_lo:[0,1] neg_hi:[0,1]
	;; [unrolled: 1-line block ×3, first 2 shown]
	v_mov_b32_e32 v38, v9
	v_pk_add_f32 v[0:1], v[38:39], v[0:1] neg_lo:[0,1] neg_hi:[0,1]
	v_mov_b32_e32 v46, v10
	v_pk_add_f32 v[18:19], v[46:47], v[0:1]
	v_mov_b32_e32 v16, v19
	v_pk_add_f32 v[38:39], v[18:19], v[16:17]
	v_pk_add_f32 v[8:9], v[8:9], v[38:39]
	v_mov_b32_e32 v11, v43
	v_mov_b32_e32 v19, v8
	v_pk_add_f32 v[42:43], v[18:19], v[10:11] neg_lo:[0,1] neg_hi:[0,1]
	v_mov_b32_e32 v1, v38
	v_sub_f32_e32 v9, v18, v42
	v_pk_add_f32 v[0:1], v[0:1], v[42:43] neg_lo:[0,1] neg_hi:[0,1]
	v_sub_f32_e32 v9, v10, v9
	v_add_f32_e32 v0, v0, v9
	v_add_f32_e32 v0, v0, v1
	;; [unrolled: 1-line block ×3, first 2 shown]
	v_sub_f32_e32 v8, v1, v8
	v_sub_f32_e32 v0, v0, v8
	v_mul_f32_e32 v8, v50, v1
	v_fma_f32 v1, v50, v1, -v8
	v_fmac_f32_e32 v1, v50, v0
	v_add_f32_e32 v0, v8, v1
	v_cmp_class_f32_e64 s[6:7], v8, s41
	v_sub_f32_e32 v9, v0, v8
	v_cndmask_b32_e64 v0, v0, v8, s[6:7]
	v_cmp_eq_f32_e64 s[6:7], s43, v0
	v_cndmask_b32_e64 v8, 0, v29, s[6:7]
	v_sub_f32_e32 v1, v1, v9
	v_sub_f32_e32 v9, v0, v8
	v_mul_f32_e32 v10, 0x3fb8aa3b, v9
	v_fma_f32 v11, v9, s44, -v10
	v_rndne_f32_e32 v16, v10
	v_fmac_f32_e32 v11, 0x32a5705f, v9
	v_sub_f32_e32 v10, v10, v16
	v_add_f32_e32 v10, v10, v11
	v_exp_f32_e32 v10, v10
	v_cvt_i32_f32_e32 v11, v16
	v_cmp_neq_f32_e64 s[6:7], |v0|, s42
	v_cndmask_b32_e64 v0, 0, v1, s[6:7]
	v_cmp_ngt_f32_e64 s[6:7], s45, v9
	v_ldexp_f32 v1, v10, v11
	v_cndmask_b32_e64 v1, 0, v1, s[6:7]
	v_cmp_nlt_f32_e64 s[6:7], s43, v9
	v_add_f32_e32 v0, v8, v0
	v_cndmask_b32_e64 v1, v30, v1, s[6:7]
	v_fma_f32 v0, v1, v0, v1
	v_cmp_class_f32_e64 s[6:7], v1, s41
	v_trunc_f32_e32 v8, v50
	v_cndmask_b32_e64 v0, v0, v1, s[6:7]
	v_cndmask_b32_e64 v1, v48, 1.0, s[4:5]
	v_cmp_eq_f32_e64 s[4:5], v8, v50
	v_mul_f32_e32 v8, 0.5, v50
	v_trunc_f32_e32 v9, v8
	v_cmp_neq_f32_e64 s[6:7], v9, v8
	s_and_b64 s[6:7], s[4:5], s[6:7]
	v_cndmask_b32_e64 v8, 1.0, v1, s[6:7]
	v_bfi_b32 v0, s46, v0, v8
	v_cndmask_b32_e64 v8, v31, v0, s[4:5]
	v_cmp_gt_f32_e64 s[4:5], 0, v1
	v_cndmask_b32_e64 v0, v0, v8, s[4:5]
	v_cndmask_b32_e64 v8, |v49|, 1.0, vcc
	v_cmp_neq_f32_e32 vcc, v50, v8
	v_cmp_gt_f32_e64 s[4:5], 1.0, v51
	s_xor_b64 s[4:5], vcc, s[4:5]
	v_cndmask_b32_e64 v9, v8, 0, s[4:5]
	v_cmp_eq_f32_e64 s[4:5], 0, v1
	v_cmp_gt_f32_e64 s[8:9], 0, v50
	v_cmp_eq_f32_e32 vcc, 1.0, v51
	s_xor_b64 s[8:9], s[8:9], s[4:5]
	v_cndmask_b32_e32 v9, v9, v51, vcc
	v_cmp_eq_f32_e32 vcc, s42, v8
	v_cndmask_b32_e64 v8, v30, 0, s[8:9]
	v_cndmask_b32_e64 v1, 0, v1, s[6:7]
	v_bfi_b32 v1, s46, v8, v1
	v_add_f16_e32 v8, 1.0, v40
	v_cvt_f32_f16_e32 v19, v8
	v_cndmask_b32_e32 v0, v0, v9, vcc
	v_cmp_eq_f32_e32 vcc, s42, v51
	s_or_b64 vcc, vcc, s[4:5]
	v_pk_mov_b32 v[8:9], v[12:13], v[12:13] op_sel:[0,1]
	v_cndmask_b32_e32 v39, v0, v1, vcc
	v_pk_mov_b32 v[10:11], v[14:15], v[14:15] op_sel:[0,1]
	v_mov_b32_e32 v38, v17
.LBB133_16:                             ;   in Loop: Header=BB133_4 Depth=1
	s_or_b64 exec, exec, s[26:27]
	s_mov_b32 s6, 0
	s_orn2_b64 s[4:5], s[28:29], exec
.LBB133_17:                             ;   in Loop: Header=BB133_4 Depth=1
	s_or_b64 exec, exec, s[24:25]
	v_mov_b32_e32 v0, s6
	s_and_saveexec_b64 s[6:7], s[4:5]
	s_cbranch_execz .LBB133_3
; %bb.18:                               ;   in Loop: Header=BB133_4 Depth=1
	v_add_f32_e32 v40, 0xbeaaaaab, v19
	v_mul_f32_e32 v0, 0x41100000, v40
	v_mul_f32_e32 v1, 0x4f800000, v0
	v_cmp_gt_f32_e32 vcc, s47, v0
	v_cndmask_b32_e32 v0, v0, v1, vcc
	v_sqrt_f32_e32 v1, v0
	v_add_u32_e32 v42, 0x9e3779b9, v26
	v_add_u32_e32 v43, 0xbb67ae85, v27
	;; [unrolled: 1-line block ×3, first 2 shown]
	v_add_u32_e32 v12, -1, v1
	v_fma_f32 v14, -v12, v1, v0
	v_add_u32_e32 v13, 1, v1
	v_cmp_ge_f32_e64 s[4:5], 0, v14
	v_cndmask_b32_e64 v12, v1, v12, s[4:5]
	v_fma_f32 v1, -v13, v1, v0
	v_cmp_lt_f32_e64 s[4:5], 0, v1
	v_cndmask_b32_e64 v1, v12, v13, s[4:5]
	v_mul_f32_e32 v12, 0x37800000, v1
	v_cndmask_b32_e32 v1, v1, v12, vcc
	v_cmp_class_f32_e32 vcc, v0, v28
	v_cndmask_b32_e32 v0, v1, v0, vcc
	v_div_scale_f32 v1, s[4:5], v0, v0, 1.0
	v_rcp_f32_e32 v12, v1
	v_add_u32_e32 v45, 0x76cf5d0a, v27
	v_add_u32_e32 v46, 0xdaa66d2b, v26
	;; [unrolled: 1-line block ×3, first 2 shown]
	v_fma_f32 v13, -v1, v12, 1.0
	v_fmac_f32_e32 v12, v13, v12
	v_div_scale_f32 v13, vcc, 1.0, v0, 1.0
	v_mul_f32_e32 v14, v13, v12
	v_fma_f32 v15, -v1, v14, v13
	v_fmac_f32_e32 v14, v15, v12
	v_fma_f32 v1, -v1, v14, v13
	v_div_fmas_f32 v1, v1, v12, v14
	v_div_fixup_f32 v41, v1, v0, 1.0
	v_add_u32_e32 v48, 0x78dde6e4, v26
	v_add_u32_e32 v49, 0xed9eba14, v27
	;; [unrolled: 1-line block ×10, first 2 shown]
	s_mov_b64 s[8:9], 0
	v_mov_b32_e32 v58, 0
	s_mov_b64 s[28:29], 0
                                        ; implicit-def: $sgpr24_sgpr25
                                        ; implicit-def: $sgpr26_sgpr27
                                        ; implicit-def: $vgpr0
	s_branch .LBB133_20
.LBB133_19:                             ;   in Loop: Header=BB133_20 Depth=2
	s_or_b64 exec, exec, s[28:29]
	s_and_b64 s[4:5], exec, s[4:5]
	s_or_b64 s[8:9], s[4:5], s[8:9]
	s_andn2_b64 s[4:5], s[24:25], exec
	s_and_b64 s[24:25], s[26:27], exec
	v_pk_mov_b32 v[8:9], v[12:13], v[12:13] op_sel:[0,1]
	s_or_b64 s[24:25], s[4:5], s[24:25]
	s_mov_b64 s[28:29], 0
	v_mov_b32_e32 v38, v16
	v_pk_mov_b32 v[10:11], v[14:15], v[14:15] op_sel:[0,1]
	s_andn2_b64 exec, exec, s[8:9]
	s_cbranch_execz .LBB133_31
.LBB133_20:                             ;   Parent Loop BB133_4 Depth=1
                                        ; =>  This Inner Loop Header: Depth=2
	v_cmp_eq_u32_e32 vcc, 0, v58
	v_mov_b32_e32 v1, v0
	v_mov_b32_e32 v58, 0
	s_and_saveexec_b64 s[30:31], vcc
	s_cbranch_execz .LBB133_26
; %bb.21:                               ;   in Loop: Header=BB133_20 Depth=2
	v_add_u32_e32 v0, 1, v38
	v_pk_mov_b32 v[14:15], v[10:11], v[10:11] op_sel:[0,1]
	v_cmp_eq_u32_e32 vcc, 4, v0
	v_pk_mov_b32 v[12:13], v[8:9], v[8:9] op_sel:[0,1]
	s_and_saveexec_b64 s[4:5], vcc
	s_cbranch_execz .LBB133_23
; %bb.22:                               ;   in Loop: Header=BB133_20 Depth=2
	v_add_co_u32_e32 v4, vcc, 1, v4
	v_cndmask_b32_e64 v1, 0, 1, vcc
	v_addc_co_u32_e32 v5, vcc, 0, v5, vcc
	v_cmp_eq_u32_e32 vcc, 0, v5
	v_cndmask_b32_e32 v1, 0, v1, vcc
	v_add_u32_e32 v6, v1, v6
	v_cmp_eq_u32_e32 vcc, 0, v6
	v_cndmask_b32_e32 v1, 0, v1, vcc
	v_mad_u64_u32 v[12:13], s[66:67], v4, s19, 0
	v_mad_u64_u32 v[14:15], s[66:67], v6, s36, 0
	v_add_u32_e32 v7, v1, v7
	v_xor_b32_e32 v1, v15, v26
	v_xor_b32_e32 v13, v13, v27
	v_xor_b32_e32 v1, v5, v1
	v_xor_b32_e32 v13, v7, v13
	v_mad_u64_u32 v[16:17], s[66:67], v1, s19, 0
	v_mad_u64_u32 v[18:19], s[66:67], v13, s36, 0
	v_xor_b32_e32 v1, v19, v14
	v_xor_b32_e32 v12, v17, v12
	v_xor_b32_e32 v1, v42, v1
	v_xor_b32_e32 v14, v43, v12
	v_mad_u64_u32 v[12:13], s[66:67], v1, s19, 0
	v_mad_u64_u32 v[14:15], s[66:67], v14, s36, 0
	;; [unrolled: 6-line block ×9, first 2 shown]
	v_xor_b32_e32 v1, v19, v12
	v_xor_b32_e32 v12, v36, v1
	;; [unrolled: 1-line block ×3, first 2 shown]
	v_mov_b32_e32 v0, 0
	v_xor_b32_e32 v14, v37, v1
	v_mov_b32_e32 v13, v18
	v_mov_b32_e32 v15, v16
.LBB133_23:                             ;   in Loop: Header=BB133_20 Depth=2
	s_or_b64 exec, exec, s[4:5]
	v_add_u32_e32 v59, 1, v0
	v_pk_mov_b32 v[18:19], v[14:15], v[14:15] op_sel:[0,1]
	v_cmp_eq_u32_e32 vcc, 4, v59
	v_pk_mov_b32 v[16:17], v[12:13], v[12:13] op_sel:[0,1]
	s_and_saveexec_b64 s[4:5], vcc
	s_cbranch_execz .LBB133_25
; %bb.24:                               ;   in Loop: Header=BB133_20 Depth=2
	v_add_co_u32_e32 v4, vcc, 1, v4
	v_cndmask_b32_e64 v1, 0, 1, vcc
	v_addc_co_u32_e32 v5, vcc, 0, v5, vcc
	v_cmp_eq_u32_e32 vcc, 0, v5
	v_cndmask_b32_e32 v1, 0, v1, vcc
	v_add_u32_e32 v6, v1, v6
	v_cmp_eq_u32_e32 vcc, 0, v6
	v_cndmask_b32_e32 v1, 0, v1, vcc
	v_mad_u64_u32 v[16:17], s[66:67], v4, s19, 0
	v_mad_u64_u32 v[18:19], s[66:67], v6, s36, 0
	v_add_u32_e32 v7, v1, v7
	v_xor_b32_e32 v1, v19, v26
	v_xor_b32_e32 v17, v17, v27
	v_xor_b32_e32 v1, v5, v1
	v_xor_b32_e32 v17, v7, v17
	v_mad_u64_u32 v[60:61], s[66:67], v1, s19, 0
	v_mad_u64_u32 v[62:63], s[66:67], v17, s36, 0
	v_xor_b32_e32 v1, v63, v18
	v_xor_b32_e32 v16, v61, v16
	v_xor_b32_e32 v1, v42, v1
	v_xor_b32_e32 v18, v43, v16
	v_mad_u64_u32 v[16:17], s[66:67], v1, s19, 0
	v_mad_u64_u32 v[18:19], s[66:67], v18, s36, 0
	;; [unrolled: 6-line block ×9, first 2 shown]
	v_xor_b32_e32 v1, v63, v16
	v_xor_b32_e32 v16, v36, v1
	;; [unrolled: 1-line block ×3, first 2 shown]
	v_mov_b32_e32 v59, 0
	v_xor_b32_e32 v18, v37, v1
	v_mov_b32_e32 v17, v62
	v_mov_b32_e32 v19, v60
.LBB133_25:                             ;   in Loop: Header=BB133_20 Depth=2
	s_or_b64 exec, exec, s[4:5]
	v_cmp_eq_u32_e32 vcc, 1, v38
	v_cndmask_b32_e32 v1, v8, v9, vcc
	v_cmp_eq_u32_e32 vcc, 2, v38
	v_cndmask_b32_e32 v1, v1, v10, vcc
	;; [unrolled: 2-line block ×3, first 2 shown]
	v_cvt_f32_u32_e32 v1, v1
	v_cmp_eq_u32_e32 vcc, 1, v0
	v_mov_b32_e32 v9, 0x2f800000
	v_cndmask_b32_e32 v8, v12, v13, vcc
	v_cmp_eq_u32_e32 vcc, 2, v0
	v_fmac_f32_e32 v9, 0x2f800000, v1
	v_cndmask_b32_e32 v8, v8, v14, vcc
	v_cmp_gt_f32_e32 vcc, s56, v9
	v_cndmask_b32_e32 v1, 1.0, v32, vcc
	v_mul_f32_e32 v1, v9, v1
	v_log_f32_e32 v1, v1
	v_cmp_eq_u32_e64 s[4:5], 3, v0
	v_cndmask_b32_e64 v0, v8, v15, s[4:5]
	v_cvt_f32_u32_e32 v0, v0
	v_mul_f32_e32 v8, 0x3f317217, v1
	v_fma_f32 v9, v1, s57, -v8
	v_fmac_f32_e32 v9, 0x3377d1cf, v1
	v_add_f32_e32 v8, v8, v9
	v_cmp_lt_f32_e64 s[4:5], |v1|, s42
	v_cndmask_b32_e64 v1, v1, v8, s[4:5]
	v_cndmask_b32_e32 v8, 0, v33, vcc
	v_sub_f32_e32 v1, v1, v8
	v_mul_f32_e32 v1, -2.0, v1
	v_mul_f32_e32 v8, 0x4f800000, v1
	v_cmp_gt_f32_e32 vcc, s47, v1
	v_cndmask_b32_e32 v8, v1, v8, vcc
	v_sqrt_f32_e32 v1, v8
	v_mov_b32_e32 v9, 0x30c90fdb
	v_fmac_f32_e32 v9, 0x30c90fdb, v0
	v_mov_b32_e32 v58, 1
	v_add_u32_e32 v0, -1, v1
	v_fma_f32 v10, -v0, v1, v8
	v_cmp_ge_f32_e64 s[4:5], 0, v10
	v_add_u32_e32 v10, 1, v1
	v_cndmask_b32_e64 v0, v1, v0, s[4:5]
	v_fma_f32 v1, -v10, v1, v8
	v_cmp_lt_f32_e64 s[4:5], 0, v1
	v_cndmask_b32_e64 v10, v0, v10, s[4:5]
	v_mul_f32_e32 v0, 0.15915494, v9
	v_sin_f32_e32 v1, v0
	v_cos_f32_e32 v0, v0
	v_mul_f32_e32 v11, 0x37800000, v10
	v_cndmask_b32_e32 v9, v10, v11, vcc
	v_cmp_class_f32_e32 vcc, v8, v28
	v_cndmask_b32_e32 v8, v9, v8, vcc
	v_pk_mul_f32 v[0:1], v[8:9], v[0:1] op_sel_hi:[0,1]
	v_pk_mov_b32 v[8:9], v[16:17], v[16:17] op_sel:[0,1]
	v_pk_mov_b32 v[10:11], v[18:19], v[18:19] op_sel:[0,1]
	v_mov_b32_e32 v38, v59
.LBB133_26:                             ;   in Loop: Header=BB133_20 Depth=2
	s_or_b64 exec, exec, s[30:31]
	v_fma_f32 v17, v41, v1, 1.0
	v_cmp_nge_f32_e32 vcc, 0, v17
	s_or_b64 s[28:29], vcc, s[28:29]
	s_andn2_b64 exec, exec, s[28:29]
	s_cbranch_execnz .LBB133_20
; %bb.27:                               ;   in Loop: Header=BB133_20 Depth=2
	s_or_b64 exec, exec, s[28:29]
	v_add_u32_e32 v16, 1, v38
	v_pk_mov_b32 v[14:15], v[10:11], v[10:11] op_sel:[0,1]
	v_cmp_eq_u32_e32 vcc, 4, v16
	v_pk_mov_b32 v[12:13], v[8:9], v[8:9] op_sel:[0,1]
	s_and_saveexec_b64 s[4:5], vcc
	s_cbranch_execz .LBB133_29
; %bb.28:                               ;   in Loop: Header=BB133_20 Depth=2
	v_add_co_u32_e32 v4, vcc, 1, v4
	v_cndmask_b32_e64 v12, 0, 1, vcc
	v_addc_co_u32_e32 v5, vcc, 0, v5, vcc
	v_cmp_eq_u32_e32 vcc, 0, v5
	v_cndmask_b32_e32 v12, 0, v12, vcc
	v_add_u32_e32 v6, v12, v6
	v_cmp_eq_u32_e32 vcc, 0, v6
	v_cndmask_b32_e32 v12, 0, v12, vcc
	v_add_u32_e32 v7, v12, v7
	v_mad_u64_u32 v[12:13], s[28:29], v4, s19, 0
	v_mad_u64_u32 v[14:15], s[28:29], v6, s36, 0
	v_xor_b32_e32 v15, v15, v26
	v_xor_b32_e32 v13, v13, v27
	v_xor_b32_e32 v15, v5, v15
	v_xor_b32_e32 v13, v7, v13
	v_mad_u64_u32 v[18:19], s[28:29], v15, s19, 0
	v_mad_u64_u32 v[60:61], s[28:29], v13, s36, 0
	v_xor_b32_e32 v13, v61, v14
	v_xor_b32_e32 v12, v19, v12
	v_xor_b32_e32 v13, v42, v13
	v_xor_b32_e32 v14, v43, v12
	;; [unrolled: 6-line block ×9, first 2 shown]
	v_mad_u64_u32 v[18:19], s[28:29], v13, s19, 0
	v_mad_u64_u32 v[60:61], s[28:29], v15, s36, 0
	v_xor_b32_e32 v12, v61, v12
	v_xor_b32_e32 v13, v19, v14
	v_mov_b32_e32 v16, 0
	v_xor_b32_e32 v12, v36, v12
	v_xor_b32_e32 v14, v37, v13
	v_mov_b32_e32 v13, v60
	v_mov_b32_e32 v15, v18
.LBB133_29:                             ;   in Loop: Header=BB133_20 Depth=2
	s_or_b64 exec, exec, s[4:5]
	v_cmp_eq_u32_e32 vcc, 1, v38
	v_cndmask_b32_e32 v8, v8, v9, vcc
	v_cmp_eq_u32_e32 vcc, 2, v38
	v_cndmask_b32_e32 v8, v8, v10, vcc
	;; [unrolled: 2-line block ×3, first 2 shown]
	v_cvt_f32_u32_e32 v8, v8
	v_mul_f32_e32 v9, v17, v17
	v_mul_f32_e32 v17, v17, v9
	v_mov_b32_e32 v9, 0x2f800000
	v_fmac_f32_e32 v9, 0x2f800000, v8
	v_mul_f32_e32 v1, v1, v1
	v_sub_f32_e32 v8, 1.0, v9
	v_mul_f32_e32 v9, 0xbd0793de, v1
	v_fma_f32 v9, v1, v9, 1.0
	v_cmp_nlt_f32_e32 vcc, v8, v9
	s_mov_b64 s[4:5], -1
	s_or_b64 s[26:27], s[26:27], exec
	s_and_saveexec_b64 s[28:29], vcc
	s_cbranch_execz .LBB133_19
; %bb.30:                               ;   in Loop: Header=BB133_20 Depth=2
	v_cmp_gt_f32_e32 vcc, s56, v8
	v_cndmask_b32_e32 v9, 1.0, v32, vcc
	v_mul_f32_e32 v8, v8, v9
	v_log_f32_e32 v8, v8
	s_andn2_b64 s[26:27], s[26:27], exec
	v_mul_f32_e32 v9, 0x3f317217, v8
	v_fma_f32 v10, v8, s57, -v9
	v_fmac_f32_e32 v10, 0x3377d1cf, v8
	v_add_f32_e32 v9, v9, v10
	v_cmp_lt_f32_e64 s[4:5], |v8|, s42
	v_cndmask_b32_e64 v8, v8, v9, s[4:5]
	v_cmp_gt_f32_e64 s[4:5], s56, v17
	v_cndmask_b32_e64 v9, 1.0, v32, s[4:5]
	v_mul_f32_e32 v9, v17, v9
	v_log_f32_e32 v9, v9
	v_cndmask_b32_e32 v10, 0, v33, vcc
	v_sub_f32_e32 v8, v8, v10
	v_sub_f32_e32 v10, 1.0, v17
	v_mul_f32_e32 v11, 0x3f317217, v9
	v_fma_f32 v18, v9, s57, -v11
	v_fmac_f32_e32 v18, 0x3377d1cf, v9
	v_add_f32_e32 v11, v11, v18
	v_cmp_lt_f32_e64 vcc, |v9|, s42
	v_cndmask_b32_e32 v9, v9, v11, vcc
	v_cndmask_b32_e64 v11, 0, v33, s[4:5]
	v_sub_f32_e32 v9, v9, v11
	v_add_f32_e32 v9, v10, v9
	v_mul_f32_e32 v9, v40, v9
	v_fmac_f32_e32 v9, 0.5, v1
	v_cmp_lt_f32_e32 vcc, v8, v9
	s_orn2_b64 s[4:5], vcc, exec
	s_branch .LBB133_19
.LBB133_31:                             ;   in Loop: Header=BB133_4 Depth=1
	s_or_b64 exec, exec, s[8:9]
	s_xor_b64 s[4:5], s[24:25], -1
	v_mul_f32_e32 v1, v39, v40
                                        ; implicit-def: $vgpr0
	s_and_saveexec_b64 s[8:9], s[4:5]
	s_xor_b64 s[4:5], exec, s[8:9]
; %bb.32:                               ;   in Loop: Header=BB133_4 Depth=1
	v_fma_mixlo_f16 v0, v1, v17, 0
                                        ; implicit-def: $vgpr1
; %bb.33:                               ;   in Loop: Header=BB133_4 Depth=1
	s_andn2_saveexec_b64 s[4:5], s[4:5]
	s_cbranch_execz .LBB133_2
; %bb.34:                               ;   in Loop: Header=BB133_4 Depth=1
	v_fma_mixlo_f16 v0, v1, v17, 0
	s_branch .LBB133_2
.LBB133_35:
	s_endpgm
	.section	.rodata,"a",@progbits
	.p2align	6, 0x0
	.amdhsa_kernel _ZN2at4cuda12_GLOBAL__N_121kernelPointwiseApply2IZN12_GLOBAL__N_117gamma_cuda_kernelIN3c104HalfEEEvRKNS_10TensorBaseES9_NS_15PhiloxCudaStateEEUlRS6_RKS6_E_S6_S6_jLi1ELin1ELi1ELi256ELi2EEEvNS0_6detail10TensorInfoIT0_T2_EENSG_IT1_SI_EESI_T_
		.amdhsa_group_segment_fixed_size 0
		.amdhsa_private_segment_fixed_size 0
		.amdhsa_kernarg_size 728
		.amdhsa_user_sgpr_count 6
		.amdhsa_user_sgpr_private_segment_buffer 1
		.amdhsa_user_sgpr_dispatch_ptr 0
		.amdhsa_user_sgpr_queue_ptr 0
		.amdhsa_user_sgpr_kernarg_segment_ptr 1
		.amdhsa_user_sgpr_dispatch_id 0
		.amdhsa_user_sgpr_flat_scratch_init 0
		.amdhsa_user_sgpr_kernarg_preload_length 0
		.amdhsa_user_sgpr_kernarg_preload_offset 0
		.amdhsa_user_sgpr_private_segment_size 0
		.amdhsa_uses_dynamic_stack 0
		.amdhsa_system_sgpr_private_segment_wavefront_offset 0
		.amdhsa_system_sgpr_workgroup_id_x 1
		.amdhsa_system_sgpr_workgroup_id_y 0
		.amdhsa_system_sgpr_workgroup_id_z 0
		.amdhsa_system_sgpr_workgroup_info 0
		.amdhsa_system_vgpr_workitem_id 0
		.amdhsa_next_free_vgpr 64
		.amdhsa_next_free_sgpr 68
		.amdhsa_accum_offset 64
		.amdhsa_reserve_vcc 1
		.amdhsa_reserve_flat_scratch 0
		.amdhsa_float_round_mode_32 0
		.amdhsa_float_round_mode_16_64 0
		.amdhsa_float_denorm_mode_32 3
		.amdhsa_float_denorm_mode_16_64 3
		.amdhsa_dx10_clamp 1
		.amdhsa_ieee_mode 1
		.amdhsa_fp16_overflow 0
		.amdhsa_tg_split 0
		.amdhsa_exception_fp_ieee_invalid_op 0
		.amdhsa_exception_fp_denorm_src 0
		.amdhsa_exception_fp_ieee_div_zero 0
		.amdhsa_exception_fp_ieee_overflow 0
		.amdhsa_exception_fp_ieee_underflow 0
		.amdhsa_exception_fp_ieee_inexact 0
		.amdhsa_exception_int_div_zero 0
	.end_amdhsa_kernel
	.section	.text._ZN2at4cuda12_GLOBAL__N_121kernelPointwiseApply2IZN12_GLOBAL__N_117gamma_cuda_kernelIN3c104HalfEEEvRKNS_10TensorBaseES9_NS_15PhiloxCudaStateEEUlRS6_RKS6_E_S6_S6_jLi1ELin1ELi1ELi256ELi2EEEvNS0_6detail10TensorInfoIT0_T2_EENSG_IT1_SI_EESI_T_,"axG",@progbits,_ZN2at4cuda12_GLOBAL__N_121kernelPointwiseApply2IZN12_GLOBAL__N_117gamma_cuda_kernelIN3c104HalfEEEvRKNS_10TensorBaseES9_NS_15PhiloxCudaStateEEUlRS6_RKS6_E_S6_S6_jLi1ELin1ELi1ELi256ELi2EEEvNS0_6detail10TensorInfoIT0_T2_EENSG_IT1_SI_EESI_T_,comdat
.Lfunc_end133:
	.size	_ZN2at4cuda12_GLOBAL__N_121kernelPointwiseApply2IZN12_GLOBAL__N_117gamma_cuda_kernelIN3c104HalfEEEvRKNS_10TensorBaseES9_NS_15PhiloxCudaStateEEUlRS6_RKS6_E_S6_S6_jLi1ELin1ELi1ELi256ELi2EEEvNS0_6detail10TensorInfoIT0_T2_EENSG_IT1_SI_EESI_T_, .Lfunc_end133-_ZN2at4cuda12_GLOBAL__N_121kernelPointwiseApply2IZN12_GLOBAL__N_117gamma_cuda_kernelIN3c104HalfEEEvRKNS_10TensorBaseES9_NS_15PhiloxCudaStateEEUlRS6_RKS6_E_S6_S6_jLi1ELin1ELi1ELi256ELi2EEEvNS0_6detail10TensorInfoIT0_T2_EENSG_IT1_SI_EESI_T_
                                        ; -- End function
	.section	.AMDGPU.csdata,"",@progbits
; Kernel info:
; codeLenInByte = 5360
; NumSgprs: 72
; NumVgprs: 64
; NumAgprs: 0
; TotalNumVgprs: 64
; ScratchSize: 0
; MemoryBound: 0
; FloatMode: 240
; IeeeMode: 1
; LDSByteSize: 0 bytes/workgroup (compile time only)
; SGPRBlocks: 8
; VGPRBlocks: 7
; NumSGPRsForWavesPerEU: 72
; NumVGPRsForWavesPerEU: 64
; AccumOffset: 64
; Occupancy: 8
; WaveLimiterHint : 1
; COMPUTE_PGM_RSRC2:SCRATCH_EN: 0
; COMPUTE_PGM_RSRC2:USER_SGPR: 6
; COMPUTE_PGM_RSRC2:TRAP_HANDLER: 0
; COMPUTE_PGM_RSRC2:TGID_X_EN: 1
; COMPUTE_PGM_RSRC2:TGID_Y_EN: 0
; COMPUTE_PGM_RSRC2:TGID_Z_EN: 0
; COMPUTE_PGM_RSRC2:TIDIG_COMP_CNT: 0
; COMPUTE_PGM_RSRC3_GFX90A:ACCUM_OFFSET: 15
; COMPUTE_PGM_RSRC3_GFX90A:TG_SPLIT: 0
	.section	.text._ZN2at4cuda12_GLOBAL__N_121kernelPointwiseApply2IZN12_GLOBAL__N_117gamma_cuda_kernelIN3c104HalfEEEvRKNS_10TensorBaseES9_NS_15PhiloxCudaStateEEUlRS6_RKS6_E_S6_S6_jLi2ELi1ELi1ELi256ELi2EEEvNS0_6detail10TensorInfoIT0_T2_EENSG_IT1_SI_EESI_T_,"axG",@progbits,_ZN2at4cuda12_GLOBAL__N_121kernelPointwiseApply2IZN12_GLOBAL__N_117gamma_cuda_kernelIN3c104HalfEEEvRKNS_10TensorBaseES9_NS_15PhiloxCudaStateEEUlRS6_RKS6_E_S6_S6_jLi2ELi1ELi1ELi256ELi2EEEvNS0_6detail10TensorInfoIT0_T2_EENSG_IT1_SI_EESI_T_,comdat
	.globl	_ZN2at4cuda12_GLOBAL__N_121kernelPointwiseApply2IZN12_GLOBAL__N_117gamma_cuda_kernelIN3c104HalfEEEvRKNS_10TensorBaseES9_NS_15PhiloxCudaStateEEUlRS6_RKS6_E_S6_S6_jLi2ELi1ELi1ELi256ELi2EEEvNS0_6detail10TensorInfoIT0_T2_EENSG_IT1_SI_EESI_T_ ; -- Begin function _ZN2at4cuda12_GLOBAL__N_121kernelPointwiseApply2IZN12_GLOBAL__N_117gamma_cuda_kernelIN3c104HalfEEEvRKNS_10TensorBaseES9_NS_15PhiloxCudaStateEEUlRS6_RKS6_E_S6_S6_jLi2ELi1ELi1ELi256ELi2EEEvNS0_6detail10TensorInfoIT0_T2_EENSG_IT1_SI_EESI_T_
	.p2align	8
	.type	_ZN2at4cuda12_GLOBAL__N_121kernelPointwiseApply2IZN12_GLOBAL__N_117gamma_cuda_kernelIN3c104HalfEEEvRKNS_10TensorBaseES9_NS_15PhiloxCudaStateEEUlRS6_RKS6_E_S6_S6_jLi2ELi1ELi1ELi256ELi2EEEvNS0_6detail10TensorInfoIT0_T2_EENSG_IT1_SI_EESI_T_,@function
_ZN2at4cuda12_GLOBAL__N_121kernelPointwiseApply2IZN12_GLOBAL__N_117gamma_cuda_kernelIN3c104HalfEEEvRKNS_10TensorBaseES9_NS_15PhiloxCudaStateEEUlRS6_RKS6_E_S6_S6_jLi2ELi1ELi1ELi256ELi2EEEvNS0_6detail10TensorInfoIT0_T2_EENSG_IT1_SI_EESI_T_: ; @_ZN2at4cuda12_GLOBAL__N_121kernelPointwiseApply2IZN12_GLOBAL__N_117gamma_cuda_kernelIN3c104HalfEEEvRKNS_10TensorBaseES9_NS_15PhiloxCudaStateEEUlRS6_RKS6_E_S6_S6_jLi2ELi1ELi1ELi256ELi2EEEvNS0_6detail10TensorInfoIT0_T2_EENSG_IT1_SI_EESI_T_
; %bb.0:
	s_load_dword s2, s[4:5], 0x1e4
	s_load_dword s30, s[4:5], 0x1b0
	s_add_u32 s0, s4, 0x1d8
	s_addc_u32 s1, s5, 0
	s_waitcnt lgkmcnt(0)
	s_and_b32 s2, s2, 0xffff
	s_mul_i32 s6, s6, s2
	v_add_u32_e32 v2, s6, v0
	v_cmp_gt_u32_e32 vcc, s30, v2
	s_and_saveexec_b64 s[6:7], vcc
	s_cbranch_execz .LBB134_32
; %bb.1:
	s_load_dwordx2 s[12:13], s[4:5], 0x0
	s_load_dword s31, s[4:5], 0xc
	s_load_dwordx2 s[14:15], s[4:5], 0x6c
	s_load_dwordx2 s[16:17], s[4:5], 0xd8
	;; [unrolled: 1-line block ×3, first 2 shown]
	s_load_dword s3, s[4:5], 0x1d0
	s_load_dword s33, s[4:5], 0x144
	s_load_dwordx4 s[8:11], s[4:5], 0x1b8
	s_waitcnt lgkmcnt(0)
	v_cvt_f32_u32_e32 v0, s31
	s_load_dword s35, s[0:1], 0x0
	s_mov_b32 s34, 0xcd9e8d57
	s_bitcmp1_b32 s3, 0
	v_rcp_iflag_f32_e32 v0, v0
	v_mad_u64_u32 v[20:21], s[0:1], v2, s34, 0
	s_waitcnt lgkmcnt(0)
	s_mul_i32 s35, s35, s2
	v_mul_f32_e32 v0, 0x4f7ffffe, v0
	v_cvt_u32_f32_e32 v0, v0
	s_cselect_b64 s[0:1], -1, 0
	s_sub_i32 s2, 0, s31
	v_mov_b32_e32 v22, v21
	v_mul_lo_u32 v1, s2, v0
	v_mul_hi_u32 v1, v0, v1
	v_add_u32_e32 v21, v0, v1
	v_cndmask_b32_e64 v0, 0, 1, s[0:1]
	v_mov_b32_e32 v3, 0
	s_mov_b64 s[20:21], 0
	v_mov_b32_e32 v23, s17
	v_cmp_ne_u32_e64 s[0:1], 1, v0
	s_mov_b32 s17, 0xd2511f53
	s_mov_b32 s36, 0x9e3779b9
	;; [unrolled: 1-line block ×8, first 2 shown]
	v_mov_b32_e32 v28, 0x3ecccdef
	s_mov_b32 s43, 0x3f317218
	s_movk_i32 s44, 0x204
	s_mov_b32 s45, 0x7f800000
	s_mov_b32 s46, 0x42b17218
	;; [unrolled: 1-line block ×4, first 2 shown]
	s_brev_b32 s49, -2
	s_mov_b32 s50, 0xf800000
	v_mov_b32_e32 v29, 0x260
	s_mov_b32 s51, 0x78dde6e4
	s_mov_b32 s52, 0x1715609d
	s_mov_b32 s53, 0x646e171e
	s_mov_b32 s54, 0x5384540f
	s_mov_b32 s55, 0x1fd5c5a3
	s_mov_b32 s56, 0x800000
	s_mov_b32 s57, 0x3f317217
	s_movk_i32 s58, 0x400
	s_mov_b32 s59, 0xed9eba14
	s_mov_b32 s60, 0xa9066899
	;; [unrolled: 1-line block ×5, first 2 shown]
	v_mov_b32_e32 v30, 0x37000000
	v_mov_b32_e32 v31, 0x7f800000
	;; [unrolled: 1-line block ×7, first 2 shown]
	s_branch .LBB134_4
.LBB134_2:                              ;   in Loop: Header=BB134_4 Depth=1
	s_or_b64 exec, exec, s[2:3]
.LBB134_3:                              ;   in Loop: Header=BB134_4 Depth=1
	s_or_b64 exec, exec, s[4:5]
	v_lshlrev_b64 v[4:5], 1, v[24:25]
	v_mov_b32_e32 v1, s13
	v_add_co_u32_e32 v4, vcc, s12, v4
	v_addc_co_u32_e32 v5, vcc, v1, v5, vcc
	v_cmp_ngt_f16_e32 vcc, s58, v0
	v_add_u32_e32 v36, s35, v36
	v_cndmask_b32_e32 v0, v35, v0, vcc
	v_cmp_le_u32_e32 vcc, s30, v36
	s_or_b64 s[20:21], vcc, s[20:21]
	global_store_short v[4:5], v0, off
	s_andn2_b64 exec, exec, s[20:21]
	s_cbranch_execz .LBB134_32
.LBB134_4:                              ; =>This Loop Header: Depth=1
                                        ;     Child Loop BB134_17 Depth 2
	v_sub_u32_e32 v0, s30, v36
	v_cmp_lt_i32_e32 vcc, 0, v0
	v_pk_mov_b32 v[24:25], 0, 0
	s_and_saveexec_b64 s[4:5], vcc
	s_cbranch_execz .LBB134_6
; %bb.5:                                ;   in Loop: Header=BB134_4 Depth=1
	v_mul_hi_u32 v0, v36, v21
	v_mul_lo_u32 v1, v0, s31
	v_sub_u32_e32 v1, v36, v1
	v_add_u32_e32 v4, 1, v0
	v_cmp_le_u32_e64 s[2:3], s31, v1
	v_cndmask_b32_e64 v0, v0, v4, s[2:3]
	v_subrev_u32_e32 v4, s31, v1
	v_cndmask_b32_e64 v1, v1, v4, s[2:3]
	v_add_u32_e32 v4, 1, v0
	v_cmp_le_u32_e64 s[2:3], s31, v1
	v_cndmask_b32_e64 v1, v0, v4, s[2:3]
	v_mul_lo_u32 v0, v1, s31
	v_sub_u32_e32 v0, v36, v0
	v_mul_lo_u32 v0, v0, s15
	v_mad_u64_u32 v[24:25], s[2:3], v1, s14, v[0:1]
	v_mov_b32_e32 v25, v3
.LBB134_6:                              ;   in Loop: Header=BB134_4 Depth=1
	s_or_b64 exec, exec, s[4:5]
	v_mul_lo_u32 v0, v36, s33
	v_cndmask_b32_e32 v0, 0, v0, vcc
	v_mov_b32_e32 v1, v3
	v_lshlrev_b64 v[0:1], 1, v[0:1]
	v_add_co_u32_e32 v0, vcc, s16, v0
	v_addc_co_u32_e32 v1, vcc, v23, v1, vcc
	global_load_ushort v41, v[0:1], off
	s_and_b64 vcc, exec, s[0:1]
	v_pk_mov_b32 v[0:1], s[10:11], s[10:11] op_sel:[0,1]
	v_pk_mov_b32 v[26:27], s[8:9], s[8:9] op_sel:[0,1]
	s_cbranch_vccnz .LBB134_8
; %bb.7:                                ;   in Loop: Header=BB134_4 Depth=1
	v_pk_mov_b32 v[0:1], s[10:11], s[10:11] op_sel:[0,1]
	flat_load_dwordx2 v[0:1], v[0:1]
	v_pk_mov_b32 v[4:5], s[8:9], s[8:9] op_sel:[0,1]
	flat_load_dwordx2 v[26:27], v[4:5]
	v_mov_b32_e32 v4, s19
	s_waitcnt vmcnt(0) lgkmcnt(0)
	v_add_co_u32_e32 v0, vcc, s18, v0
	v_addc_co_u32_e32 v1, vcc, v1, v4, vcc
.LBB134_8:                              ;   in Loop: Header=BB134_4 Depth=1
	v_and_b32_e32 v39, 3, v0
	v_alignbit_b32 v0, v1, v0, 2
	v_mad_u64_u32 v[6:7], s[2:3], v0, s17, 0
	v_lshrrev_b32_e32 v1, 2, v1
	v_xor_b32_e32 v5, v7, v27
	v_xor_b32_e32 v7, v22, v26
	v_mov_b32_e32 v4, v27
	v_xor_b32_e32 v7, v7, v1
	v_mad_u64_u32 v[10:11], s[2:3], v5, s34, 0
	v_add_co_u32_e32 v43, vcc, s36, v26
	v_add_co_u32_e32 v42, vcc, s37, v4
	v_mad_u64_u32 v[8:9], s[2:3], v7, s17, 0
	v_xor_b32_e32 v5, v20, v11
	v_xor_b32_e32 v5, v5, v43
	v_xor_b32_e32 v7, v42, v9
	v_xor_b32_e32 v9, v7, v6
	v_add_co_u32_e32 v44, vcc, s39, v4
	v_mad_u64_u32 v[6:7], s[2:3], v5, s17, 0
	v_add_co_u32_e32 v45, vcc, s38, v26
	v_mad_u64_u32 v[12:13], s[2:3], v9, s34, 0
	v_xor_b32_e32 v7, v44, v7
	v_xor_b32_e32 v5, v45, v13
	v_xor_b32_e32 v7, v7, v8
	v_xor_b32_e32 v5, v5, v10
	v_add_co_u32_e32 v47, vcc, s40, v26
	v_mad_u64_u32 v[10:11], s[2:3], v7, s34, 0
	;; [unrolled: 8-line block ×7, first 2 shown]
	v_add_co_u32_e32 v57, vcc, s62, v26
	v_mad_u64_u32 v[6:7], s[2:3], v6, s34, 0
	v_xor_b32_e32 v5, v56, v5
	v_xor_b32_e32 v7, v57, v7
	;; [unrolled: 1-line block ×4, first 2 shown]
	v_mad_u64_u32 v[18:19], s[2:3], v5, s34, 0
	v_mad_u64_u32 v[16:17], s[2:3], v7, s17, 0
	v_xor_b32_e32 v5, v19, v6
	s_waitcnt vmcnt(0)
	v_cvt_f32_f16_e32 v19, v41
	v_add_u32_e32 v37, 0x8ff34781, v26
	v_add_u32_e32 v38, 0x96a522ad, v27
	v_xor_b32_e32 v4, v17, v4
	v_xor_b32_e32 v8, v37, v5
	;; [unrolled: 1-line block ×3, first 2 shown]
	v_pk_mov_b32 v[6:7], v[2:3], v[2:3] op_sel:[0,1]
	v_mov_b32_e32 v9, v18
	v_mov_b32_e32 v11, v16
	v_cmp_gt_f16_e32 vcc, 1.0, v41
	s_mov_b64 s[2:3], -1
	v_mov_b32_e32 v40, 1.0
	v_pk_mov_b32 v[4:5], v[0:1], v[0:1] op_sel:[0,1]
                                        ; implicit-def: $sgpr4
	s_and_saveexec_b64 s[22:23], vcc
	s_cbranch_execz .LBB134_14
; %bb.9:                                ;   in Loop: Header=BB134_4 Depth=1
	v_cmp_neq_f16_e32 vcc, 0, v41
	s_mov_b64 s[26:27], 0
	v_mov_b32_e32 v40, 1.0
                                        ; implicit-def: $vgpr4_vgpr5_vgpr6_vgpr7
	s_and_saveexec_b64 s[24:25], vcc
	s_cbranch_execz .LBB134_13
; %bb.10:                               ;   in Loop: Header=BB134_4 Depth=1
	v_add_u32_e32 v17, 1, v39
	v_pk_mov_b32 v[14:15], v[10:11], v[10:11] op_sel:[0,1]
	v_pk_mov_b32 v[6:7], v[2:3], v[2:3] op_sel:[0,1]
	v_cmp_eq_u32_e32 vcc, 4, v17
	v_pk_mov_b32 v[12:13], v[8:9], v[8:9] op_sel:[0,1]
	v_pk_mov_b32 v[4:5], v[0:1], v[0:1] op_sel:[0,1]
	s_and_saveexec_b64 s[2:3], vcc
	s_cbranch_execz .LBB134_12
; %bb.11:                               ;   in Loop: Header=BB134_4 Depth=1
	v_add_co_u32_e32 v4, vcc, 1, v0
	v_cndmask_b32_e64 v0, 0, 1, vcc
	v_addc_co_u32_e32 v5, vcc, 0, v1, vcc
	v_cmp_eq_u32_e32 vcc, 0, v5
	v_cndmask_b32_e32 v0, 0, v0, vcc
	v_add_u32_e32 v6, v0, v2
	v_cmp_eq_u32_e32 vcc, 0, v6
	v_cndmask_b32_e32 v7, 0, v0, vcc
	v_mad_u64_u32 v[0:1], s[4:5], v4, s17, 0
	v_mad_u64_u32 v[12:13], s[4:5], v6, s34, 0
	v_xor_b32_e32 v9, v13, v26
	v_xor_b32_e32 v1, v1, v27
	v_xor_b32_e32 v9, v5, v9
	v_xor_b32_e32 v1, v7, v1
	v_mad_u64_u32 v[14:15], s[4:5], v9, s17, 0
	v_mad_u64_u32 v[58:59], s[4:5], v1, s34, 0
	v_xor_b32_e32 v1, v43, v59
	v_xor_b32_e32 v9, v42, v15
	v_xor_b32_e32 v1, v1, v12
	v_xor_b32_e32 v9, v9, v0
	;; [unrolled: 6-line block ×9, first 2 shown]
	v_mad_u64_u32 v[42:43], s[4:5], v9, s17, 0
	v_mad_u64_u32 v[44:45], s[4:5], v1, s34, 0
	v_xor_b32_e32 v1, v45, v12
	v_xor_b32_e32 v0, v43, v0
	v_mov_b32_e32 v17, 0
	v_xor_b32_e32 v12, v37, v1
	v_xor_b32_e32 v14, v38, v0
	v_mov_b32_e32 v13, v44
	v_mov_b32_e32 v15, v42
.LBB134_12:                             ;   in Loop: Header=BB134_4 Depth=1
	s_or_b64 exec, exec, s[2:3]
	v_cmp_eq_u32_e32 vcc, 1, v39
	v_cndmask_b32_e32 v0, v8, v18, vcc
	v_cmp_eq_u32_e32 vcc, 2, v39
	v_cndmask_b32_e32 v0, v0, v10, vcc
	;; [unrolled: 2-line block ×3, first 2 shown]
	v_div_scale_f32 v1, s[2:3], v19, v19, 1.0
	v_cvt_f32_u32_e32 v0, v0
	v_rcp_f32_e32 v8, v1
	v_mov_b32_e32 v9, 0x2f800000
	s_mov_b64 s[26:27], exec
	v_fmac_f32_e32 v9, 0x2f800000, v0
	v_fma_f32 v0, -v1, v8, 1.0
	v_fmac_f32_e32 v8, v0, v8
	v_div_scale_f32 v0, vcc, 1.0, v19, 1.0
	v_sub_f32_e32 v40, 1.0, v9
	v_mul_f32_e32 v9, v0, v8
	v_fma_f32 v10, -v1, v9, v0
	v_fmac_f32_e32 v9, v10, v8
	v_fma_f32 v0, -v1, v9, v0
	v_div_fmas_f32 v0, v0, v8, v9
	v_div_fixup_f32 v50, v0, v19, 1.0
	v_cmp_eq_f32_e32 vcc, 1.0, v40
	v_cndmask_b32_e64 v51, v50, 1.0, vcc
	v_cmp_eq_f32_e64 s[2:3], 0, v51
	v_cndmask_b32_e64 v52, |v40|, 1.0, s[2:3]
	v_frexp_mant_f32_e32 v0, v52
	v_cmp_gt_f32_e64 s[4:5], s42, v0
	v_cndmask_b32_e64 v1, 1.0, 2.0, s[4:5]
	v_mul_f32_e32 v0, v0, v1
	v_add_f32_e32 v9, 1.0, v0
	v_rcp_f32_e32 v16, v9
	v_add_f32_e32 v1, -1.0, v9
	v_sub_f32_e32 v11, v0, v1
	v_add_f32_e32 v1, -1.0, v0
	v_mul_f32_e32 v39, v1, v16
	v_mul_f32_e32 v8, v9, v39
	v_fma_f32 v10, v39, v9, -v8
	v_fmac_f32_e32 v10, v39, v11
	v_add_f32_e32 v0, v8, v10
	v_sub_f32_e32 v9, v1, v0
	v_pk_add_f32 v[18:19], v[0:1], v[8:9] neg_lo:[0,1] neg_hi:[0,1]
	v_mov_b32_e32 v11, v0
	v_pk_add_f32 v[0:1], v[18:19], v[10:11] neg_lo:[0,1] neg_hi:[0,1]
	v_add_f32_e32 v0, v0, v1
	v_add_f32_e32 v0, v9, v0
	v_mul_f32_e32 v1, v16, v0
	v_add_f32_e32 v0, v39, v1
	v_sub_f32_e32 v8, v0, v39
	v_sub_f32_e32 v16, v1, v8
	v_mul_f32_e32 v1, v0, v0
	v_fma_f32 v9, v0, v0, -v1
	v_add_f32_e32 v8, v16, v16
	v_fmac_f32_e32 v9, v0, v8
	v_add_f32_e32 v8, v1, v9
	v_mov_b32_e32 v10, 0x3e91f4c4
	v_fmac_f32_e32 v10, 0x3e76c4e1, v8
	v_fma_f32 v10, v8, v10, v28
	v_sub_f32_e32 v1, v8, v1
	v_sub_f32_e32 v39, v9, v1
	v_mul_f32_e32 v1, v8, v10
	v_fma_f32 v9, v8, v10, -v1
	v_fmac_f32_e32 v9, v39, v10
	v_add_f32_e32 v10, v1, v9
	v_add_f32_e32 v11, 0x3f2aaaaa, v10
	v_sub_f32_e32 v1, v10, v1
	v_sub_f32_e32 v1, v9, v1
	v_add_f32_e32 v9, 0xbf2aaaaa, v11
	v_add_f32_e32 v1, 0x31739010, v1
	v_sub_f32_e32 v9, v10, v9
	v_pk_mul_f32 v[18:19], v[0:1], v[8:9]
	v_fma_f32 v10, v8, v0, -v18
	v_pk_add_f32 v[42:43], v[0:1], v[8:9]
	v_fmac_f32_e32 v10, v8, v16
	v_mov_b32_e32 v19, v43
	v_fmac_f32_e32 v10, v39, v0
	v_pk_add_f32 v[8:9], v[18:19], v[10:11]
	v_sub_f32_e32 v1, v8, v18
	v_sub_f32_e32 v1, v10, v1
	;; [unrolled: 1-line block ×3, first 2 shown]
	v_add_f32_e32 v39, v43, v10
	v_mov_b32_e32 v10, v9
	v_pk_mul_f32 v[10:11], v[8:9], v[10:11]
	v_cvt_f64_f32_e32 v[18:19], v52
	v_frexp_exp_i32_f64_e32 v11, v[18:19]
	v_subbrev_co_u32_e64 v11, s[4:5], 0, v11, s[4:5]
	v_cvt_f32_i32_e32 v11, v11
	v_fma_f32 v18, v8, v9, -v10
	v_fmac_f32_e32 v18, v8, v39
	v_fmac_f32_e32 v18, v1, v9
	v_mul_f32_e32 v8, 0x3f317218, v11
	v_fma_f32 v42, v11, s43, -v8
	v_fmac_f32_e32 v42, 0xb102e308, v11
	v_ldexp_f32 v43, v0, 1
	v_add_f32_e32 v9, v10, v18
	v_pk_add_f32 v[0:1], v[8:9], v[42:43]
	v_mov_b32_e32 v44, v9
	v_mov_b32_e32 v45, v1
	;; [unrolled: 1-line block ×3, first 2 shown]
	v_pk_add_f32 v[10:11], v[44:45], v[10:11] neg_lo:[0,1] neg_hi:[0,1]
	v_mov_b32_e32 v19, v9
	v_ldexp_f32 v16, v16, 1
	v_pk_add_f32 v[10:11], v[18:19], v[10:11] neg_lo:[0,1] neg_hi:[0,1]
	v_add_f32_e32 v9, v16, v10
	v_add_f32_e32 v9, v9, v11
	v_pk_add_f32 v[10:11], v[0:1], v[8:9] neg_lo:[0,1] neg_hi:[0,1]
	v_pk_add_f32 v[18:19], v[0:1], v[8:9]
	v_mov_b32_e32 v44, v10
	v_mov_b32_e32 v45, v19
	;; [unrolled: 1-line block ×3, first 2 shown]
	v_pk_add_f32 v[44:45], v[42:43], v[44:45]
	v_mov_b32_e32 v8, v45
	v_pk_add_f32 v[46:47], v[8:9], v[0:1] neg_lo:[0,1] neg_hi:[0,1]
	v_mov_b32_e32 v39, v46
	v_mov_b32_e32 v44, v19
	;; [unrolled: 1-line block ×4, first 2 shown]
	v_pk_add_f32 v[10:11], v[42:43], v[10:11] neg_lo:[0,1] neg_hi:[0,1]
	v_pk_add_f32 v[48:49], v[18:19], v[38:39] neg_lo:[0,1] neg_hi:[0,1]
	;; [unrolled: 1-line block ×3, first 2 shown]
	v_mov_b32_e32 v42, v9
	v_pk_add_f32 v[0:1], v[42:43], v[0:1] neg_lo:[0,1] neg_hi:[0,1]
	v_mov_b32_e32 v48, v10
	v_pk_add_f32 v[18:19], v[48:49], v[0:1]
	v_mov_b32_e32 v16, v19
	v_pk_add_f32 v[42:43], v[18:19], v[16:17]
	v_pk_add_f32 v[8:9], v[8:9], v[42:43]
	v_mov_b32_e32 v11, v45
	v_mov_b32_e32 v19, v8
	v_pk_add_f32 v[44:45], v[18:19], v[10:11] neg_lo:[0,1] neg_hi:[0,1]
	v_mov_b32_e32 v1, v42
	v_sub_f32_e32 v9, v18, v44
	v_pk_add_f32 v[0:1], v[0:1], v[44:45] neg_lo:[0,1] neg_hi:[0,1]
	v_sub_f32_e32 v9, v10, v9
	v_add_f32_e32 v0, v0, v9
	v_add_f32_e32 v0, v0, v1
	;; [unrolled: 1-line block ×3, first 2 shown]
	v_sub_f32_e32 v8, v1, v8
	v_sub_f32_e32 v0, v0, v8
	v_mul_f32_e32 v8, v51, v1
	v_fma_f32 v1, v51, v1, -v8
	v_fmac_f32_e32 v1, v51, v0
	v_add_f32_e32 v0, v8, v1
	v_cmp_class_f32_e64 s[4:5], v8, s44
	v_sub_f32_e32 v9, v0, v8
	v_cndmask_b32_e64 v0, v0, v8, s[4:5]
	v_cmp_eq_f32_e64 s[4:5], s46, v0
	v_cndmask_b32_e64 v8, 0, v30, s[4:5]
	v_sub_f32_e32 v1, v1, v9
	v_sub_f32_e32 v9, v0, v8
	v_mul_f32_e32 v10, 0x3fb8aa3b, v9
	v_fma_f32 v11, v9, s47, -v10
	v_rndne_f32_e32 v16, v10
	v_fmac_f32_e32 v11, 0x32a5705f, v9
	v_sub_f32_e32 v10, v10, v16
	v_add_f32_e32 v10, v10, v11
	v_exp_f32_e32 v10, v10
	v_cvt_i32_f32_e32 v11, v16
	v_cmp_neq_f32_e64 s[4:5], |v0|, s45
	v_cndmask_b32_e64 v0, 0, v1, s[4:5]
	v_cmp_ngt_f32_e64 s[4:5], s48, v9
	v_ldexp_f32 v1, v10, v11
	v_cndmask_b32_e64 v1, 0, v1, s[4:5]
	v_cmp_nlt_f32_e64 s[4:5], s46, v9
	v_add_f32_e32 v0, v8, v0
	v_cndmask_b32_e64 v1, v31, v1, s[4:5]
	v_fma_f32 v0, v1, v0, v1
	v_cmp_class_f32_e64 s[4:5], v1, s44
	v_trunc_f32_e32 v8, v51
	v_cndmask_b32_e64 v0, v0, v1, s[4:5]
	v_cndmask_b32_e64 v1, v40, 1.0, s[2:3]
	v_cmp_eq_f32_e64 s[2:3], v8, v51
	v_mul_f32_e32 v8, 0.5, v51
	v_trunc_f32_e32 v9, v8
	v_cmp_neq_f32_e64 s[4:5], v9, v8
	s_and_b64 s[4:5], s[2:3], s[4:5]
	v_cndmask_b32_e64 v8, 1.0, v1, s[4:5]
	v_bfi_b32 v0, s49, v0, v8
	v_cndmask_b32_e64 v8, v32, v0, s[2:3]
	v_cmp_gt_f32_e64 s[2:3], 0, v1
	v_cndmask_b32_e64 v0, v0, v8, s[2:3]
	v_cndmask_b32_e64 v8, |v50|, 1.0, vcc
	v_cmp_neq_f32_e32 vcc, v51, v8
	v_cmp_gt_f32_e64 s[2:3], 1.0, v52
	s_xor_b64 s[2:3], vcc, s[2:3]
	v_cndmask_b32_e64 v9, v8, 0, s[2:3]
	v_cmp_eq_f32_e64 s[2:3], 0, v1
	v_cmp_gt_f32_e64 s[6:7], 0, v51
	v_cmp_eq_f32_e32 vcc, 1.0, v52
	s_xor_b64 s[6:7], s[6:7], s[2:3]
	v_cndmask_b32_e32 v9, v9, v52, vcc
	v_cmp_eq_f32_e32 vcc, s45, v8
	v_cndmask_b32_e64 v8, v31, 0, s[6:7]
	v_cndmask_b32_e64 v1, 0, v1, s[4:5]
	v_bfi_b32 v1, s49, v8, v1
	v_add_f16_e32 v8, 1.0, v41
	v_cvt_f32_f16_e32 v19, v8
	v_cndmask_b32_e32 v0, v0, v9, vcc
	v_cmp_eq_f32_e32 vcc, s45, v52
	s_or_b64 vcc, vcc, s[2:3]
	v_pk_mov_b32 v[8:9], v[12:13], v[12:13] op_sel:[0,1]
	v_cndmask_b32_e32 v40, v0, v1, vcc
	v_pk_mov_b32 v[10:11], v[14:15], v[14:15] op_sel:[0,1]
	v_mov_b32_e32 v39, v17
.LBB134_13:                             ;   in Loop: Header=BB134_4 Depth=1
	s_or_b64 exec, exec, s[24:25]
	s_mov_b32 s4, 0
	s_orn2_b64 s[2:3], s[26:27], exec
.LBB134_14:                             ;   in Loop: Header=BB134_4 Depth=1
	s_or_b64 exec, exec, s[22:23]
	v_mov_b32_e32 v0, s4
	s_and_saveexec_b64 s[4:5], s[2:3]
	s_cbranch_execz .LBB134_3
; %bb.15:                               ;   in Loop: Header=BB134_4 Depth=1
	v_add_f32_e32 v41, 0xbeaaaaab, v19
	v_mul_f32_e32 v0, 0x41100000, v41
	v_mul_f32_e32 v1, 0x4f800000, v0
	v_cmp_gt_f32_e32 vcc, s50, v0
	v_cndmask_b32_e32 v0, v0, v1, vcc
	v_sqrt_f32_e32 v1, v0
	v_add_u32_e32 v43, 0x9e3779b9, v26
	v_add_u32_e32 v44, 0xbb67ae85, v27
	;; [unrolled: 1-line block ×3, first 2 shown]
	v_add_u32_e32 v12, -1, v1
	v_fma_f32 v14, -v12, v1, v0
	v_add_u32_e32 v13, 1, v1
	v_cmp_ge_f32_e64 s[2:3], 0, v14
	v_cndmask_b32_e64 v12, v1, v12, s[2:3]
	v_fma_f32 v1, -v13, v1, v0
	v_cmp_lt_f32_e64 s[2:3], 0, v1
	v_cndmask_b32_e64 v1, v12, v13, s[2:3]
	v_mul_f32_e32 v12, 0x37800000, v1
	v_cndmask_b32_e32 v1, v1, v12, vcc
	v_cmp_class_f32_e32 vcc, v0, v29
	v_cndmask_b32_e32 v0, v1, v0, vcc
	v_div_scale_f32 v1, s[2:3], v0, v0, 1.0
	v_rcp_f32_e32 v12, v1
	v_add_u32_e32 v46, 0x76cf5d0a, v27
	v_add_u32_e32 v47, 0xdaa66d2b, v26
	;; [unrolled: 1-line block ×3, first 2 shown]
	v_fma_f32 v13, -v1, v12, 1.0
	v_fmac_f32_e32 v12, v13, v12
	v_div_scale_f32 v13, vcc, 1.0, v0, 1.0
	v_mul_f32_e32 v14, v13, v12
	v_fma_f32 v15, -v1, v14, v13
	v_fmac_f32_e32 v14, v15, v12
	v_fma_f32 v1, -v1, v14, v13
	v_div_fmas_f32 v1, v1, v12, v14
	v_div_fixup_f32 v42, v1, v0, 1.0
	v_add_u32_e32 v49, 0x78dde6e4, v26
	v_add_u32_e32 v50, 0xed9eba14, v27
	;; [unrolled: 1-line block ×10, first 2 shown]
	s_mov_b64 s[6:7], 0
	v_mov_b32_e32 v59, 0
	s_mov_b64 s[26:27], 0
                                        ; implicit-def: $sgpr22_sgpr23
                                        ; implicit-def: $sgpr24_sgpr25
                                        ; implicit-def: $vgpr0
	s_branch .LBB134_17
.LBB134_16:                             ;   in Loop: Header=BB134_17 Depth=2
	s_or_b64 exec, exec, s[26:27]
	s_and_b64 s[2:3], exec, s[2:3]
	s_or_b64 s[6:7], s[2:3], s[6:7]
	s_andn2_b64 s[2:3], s[22:23], exec
	s_and_b64 s[22:23], s[24:25], exec
	v_pk_mov_b32 v[8:9], v[12:13], v[12:13] op_sel:[0,1]
	s_or_b64 s[22:23], s[2:3], s[22:23]
	s_mov_b64 s[26:27], 0
	v_mov_b32_e32 v39, v16
	v_pk_mov_b32 v[10:11], v[14:15], v[14:15] op_sel:[0,1]
	s_andn2_b64 exec, exec, s[6:7]
	s_cbranch_execz .LBB134_28
.LBB134_17:                             ;   Parent Loop BB134_4 Depth=1
                                        ; =>  This Inner Loop Header: Depth=2
	v_cmp_eq_u32_e32 vcc, 0, v59
	v_mov_b32_e32 v1, v0
	v_mov_b32_e32 v59, 0
	s_and_saveexec_b64 s[28:29], vcc
	s_cbranch_execz .LBB134_23
; %bb.18:                               ;   in Loop: Header=BB134_17 Depth=2
	v_add_u32_e32 v0, 1, v39
	v_pk_mov_b32 v[14:15], v[10:11], v[10:11] op_sel:[0,1]
	v_cmp_eq_u32_e32 vcc, 4, v0
	v_pk_mov_b32 v[12:13], v[8:9], v[8:9] op_sel:[0,1]
	s_and_saveexec_b64 s[2:3], vcc
	s_cbranch_execz .LBB134_20
; %bb.19:                               ;   in Loop: Header=BB134_17 Depth=2
	v_add_co_u32_e32 v4, vcc, 1, v4
	v_cndmask_b32_e64 v1, 0, 1, vcc
	v_addc_co_u32_e32 v5, vcc, 0, v5, vcc
	v_cmp_eq_u32_e32 vcc, 0, v5
	v_cndmask_b32_e32 v1, 0, v1, vcc
	v_add_u32_e32 v6, v1, v6
	v_cmp_eq_u32_e32 vcc, 0, v6
	v_cndmask_b32_e32 v1, 0, v1, vcc
	v_mad_u64_u32 v[12:13], s[64:65], v4, s17, 0
	v_mad_u64_u32 v[14:15], s[64:65], v6, s34, 0
	v_add_u32_e32 v7, v1, v7
	v_xor_b32_e32 v1, v15, v26
	v_xor_b32_e32 v13, v13, v27
	v_xor_b32_e32 v1, v5, v1
	v_xor_b32_e32 v13, v7, v13
	v_mad_u64_u32 v[16:17], s[64:65], v1, s17, 0
	v_mad_u64_u32 v[18:19], s[64:65], v13, s34, 0
	v_xor_b32_e32 v1, v19, v14
	v_xor_b32_e32 v12, v17, v12
	v_xor_b32_e32 v1, v43, v1
	v_xor_b32_e32 v14, v44, v12
	v_mad_u64_u32 v[12:13], s[64:65], v1, s17, 0
	v_mad_u64_u32 v[14:15], s[64:65], v14, s34, 0
	;; [unrolled: 6-line block ×9, first 2 shown]
	v_xor_b32_e32 v1, v19, v12
	v_xor_b32_e32 v12, v37, v1
	;; [unrolled: 1-line block ×3, first 2 shown]
	v_mov_b32_e32 v0, 0
	v_xor_b32_e32 v14, v38, v1
	v_mov_b32_e32 v13, v18
	v_mov_b32_e32 v15, v16
.LBB134_20:                             ;   in Loop: Header=BB134_17 Depth=2
	s_or_b64 exec, exec, s[2:3]
	v_add_u32_e32 v60, 1, v0
	v_pk_mov_b32 v[18:19], v[14:15], v[14:15] op_sel:[0,1]
	v_cmp_eq_u32_e32 vcc, 4, v60
	v_pk_mov_b32 v[16:17], v[12:13], v[12:13] op_sel:[0,1]
	s_and_saveexec_b64 s[2:3], vcc
	s_cbranch_execz .LBB134_22
; %bb.21:                               ;   in Loop: Header=BB134_17 Depth=2
	v_add_co_u32_e32 v4, vcc, 1, v4
	v_cndmask_b32_e64 v1, 0, 1, vcc
	v_addc_co_u32_e32 v5, vcc, 0, v5, vcc
	v_cmp_eq_u32_e32 vcc, 0, v5
	v_cndmask_b32_e32 v1, 0, v1, vcc
	v_add_u32_e32 v6, v1, v6
	v_cmp_eq_u32_e32 vcc, 0, v6
	v_cndmask_b32_e32 v1, 0, v1, vcc
	v_mad_u64_u32 v[16:17], s[64:65], v4, s17, 0
	v_mad_u64_u32 v[18:19], s[64:65], v6, s34, 0
	v_add_u32_e32 v7, v1, v7
	v_xor_b32_e32 v1, v19, v26
	v_xor_b32_e32 v17, v17, v27
	v_xor_b32_e32 v1, v5, v1
	v_xor_b32_e32 v17, v7, v17
	v_mad_u64_u32 v[62:63], s[64:65], v1, s17, 0
	v_mad_u64_u32 v[64:65], s[64:65], v17, s34, 0
	v_xor_b32_e32 v1, v65, v18
	v_xor_b32_e32 v16, v63, v16
	v_xor_b32_e32 v1, v43, v1
	v_xor_b32_e32 v18, v44, v16
	v_mad_u64_u32 v[16:17], s[64:65], v1, s17, 0
	v_mad_u64_u32 v[18:19], s[64:65], v18, s34, 0
	;; [unrolled: 6-line block ×9, first 2 shown]
	v_xor_b32_e32 v1, v65, v16
	v_xor_b32_e32 v16, v37, v1
	;; [unrolled: 1-line block ×3, first 2 shown]
	v_mov_b32_e32 v60, 0
	v_xor_b32_e32 v18, v38, v1
	v_mov_b32_e32 v17, v64
	v_mov_b32_e32 v19, v62
.LBB134_22:                             ;   in Loop: Header=BB134_17 Depth=2
	s_or_b64 exec, exec, s[2:3]
	v_cmp_eq_u32_e32 vcc, 1, v39
	v_cndmask_b32_e32 v1, v8, v9, vcc
	v_cmp_eq_u32_e32 vcc, 2, v39
	v_cndmask_b32_e32 v1, v1, v10, vcc
	;; [unrolled: 2-line block ×3, first 2 shown]
	v_cvt_f32_u32_e32 v1, v1
	v_cmp_eq_u32_e32 vcc, 1, v0
	v_mov_b32_e32 v9, 0x2f800000
	v_cndmask_b32_e32 v8, v12, v13, vcc
	v_cmp_eq_u32_e32 vcc, 2, v0
	v_fmac_f32_e32 v9, 0x2f800000, v1
	v_cndmask_b32_e32 v8, v8, v14, vcc
	v_cmp_gt_f32_e32 vcc, s56, v9
	v_cndmask_b32_e32 v1, 1.0, v33, vcc
	v_mul_f32_e32 v1, v9, v1
	v_log_f32_e32 v1, v1
	v_cmp_eq_u32_e64 s[2:3], 3, v0
	v_cndmask_b32_e64 v0, v8, v15, s[2:3]
	v_cvt_f32_u32_e32 v0, v0
	v_mul_f32_e32 v8, 0x3f317217, v1
	v_fma_f32 v9, v1, s57, -v8
	v_fmac_f32_e32 v9, 0x3377d1cf, v1
	v_add_f32_e32 v8, v8, v9
	v_cmp_lt_f32_e64 s[2:3], |v1|, s45
	v_cndmask_b32_e64 v1, v1, v8, s[2:3]
	v_cndmask_b32_e32 v8, 0, v34, vcc
	v_sub_f32_e32 v1, v1, v8
	v_mul_f32_e32 v1, -2.0, v1
	v_mul_f32_e32 v8, 0x4f800000, v1
	v_cmp_gt_f32_e32 vcc, s50, v1
	v_cndmask_b32_e32 v8, v1, v8, vcc
	v_sqrt_f32_e32 v1, v8
	v_mov_b32_e32 v9, 0x30c90fdb
	v_fmac_f32_e32 v9, 0x30c90fdb, v0
	v_mov_b32_e32 v59, 1
	v_add_u32_e32 v0, -1, v1
	v_fma_f32 v10, -v0, v1, v8
	v_cmp_ge_f32_e64 s[2:3], 0, v10
	v_add_u32_e32 v10, 1, v1
	v_cndmask_b32_e64 v0, v1, v0, s[2:3]
	v_fma_f32 v1, -v10, v1, v8
	v_cmp_lt_f32_e64 s[2:3], 0, v1
	v_cndmask_b32_e64 v10, v0, v10, s[2:3]
	v_mul_f32_e32 v0, 0.15915494, v9
	v_sin_f32_e32 v1, v0
	v_cos_f32_e32 v0, v0
	v_mul_f32_e32 v11, 0x37800000, v10
	v_cndmask_b32_e32 v9, v10, v11, vcc
	v_cmp_class_f32_e32 vcc, v8, v29
	v_cndmask_b32_e32 v8, v9, v8, vcc
	v_pk_mul_f32 v[0:1], v[8:9], v[0:1] op_sel_hi:[0,1]
	v_pk_mov_b32 v[8:9], v[16:17], v[16:17] op_sel:[0,1]
	v_pk_mov_b32 v[10:11], v[18:19], v[18:19] op_sel:[0,1]
	v_mov_b32_e32 v39, v60
.LBB134_23:                             ;   in Loop: Header=BB134_17 Depth=2
	s_or_b64 exec, exec, s[28:29]
	v_fma_f32 v17, v42, v1, 1.0
	v_cmp_nge_f32_e32 vcc, 0, v17
	s_or_b64 s[26:27], vcc, s[26:27]
	s_andn2_b64 exec, exec, s[26:27]
	s_cbranch_execnz .LBB134_17
; %bb.24:                               ;   in Loop: Header=BB134_17 Depth=2
	s_or_b64 exec, exec, s[26:27]
	v_add_u32_e32 v16, 1, v39
	v_pk_mov_b32 v[14:15], v[10:11], v[10:11] op_sel:[0,1]
	v_cmp_eq_u32_e32 vcc, 4, v16
	v_pk_mov_b32 v[12:13], v[8:9], v[8:9] op_sel:[0,1]
	s_and_saveexec_b64 s[2:3], vcc
	s_cbranch_execz .LBB134_26
; %bb.25:                               ;   in Loop: Header=BB134_17 Depth=2
	v_add_co_u32_e32 v4, vcc, 1, v4
	v_cndmask_b32_e64 v12, 0, 1, vcc
	v_addc_co_u32_e32 v5, vcc, 0, v5, vcc
	v_cmp_eq_u32_e32 vcc, 0, v5
	v_cndmask_b32_e32 v12, 0, v12, vcc
	v_add_u32_e32 v6, v12, v6
	v_cmp_eq_u32_e32 vcc, 0, v6
	v_cndmask_b32_e32 v12, 0, v12, vcc
	v_add_u32_e32 v7, v12, v7
	v_mad_u64_u32 v[12:13], s[26:27], v4, s17, 0
	v_mad_u64_u32 v[14:15], s[26:27], v6, s34, 0
	v_xor_b32_e32 v15, v15, v26
	v_xor_b32_e32 v13, v13, v27
	v_xor_b32_e32 v15, v5, v15
	v_xor_b32_e32 v13, v7, v13
	v_mad_u64_u32 v[18:19], s[26:27], v15, s17, 0
	v_mad_u64_u32 v[60:61], s[26:27], v13, s34, 0
	v_xor_b32_e32 v13, v61, v14
	v_xor_b32_e32 v12, v19, v12
	v_xor_b32_e32 v13, v43, v13
	v_xor_b32_e32 v14, v44, v12
	;; [unrolled: 6-line block ×9, first 2 shown]
	v_mad_u64_u32 v[18:19], s[26:27], v13, s17, 0
	v_mad_u64_u32 v[60:61], s[26:27], v15, s34, 0
	v_xor_b32_e32 v12, v61, v12
	v_xor_b32_e32 v13, v19, v14
	v_mov_b32_e32 v16, 0
	v_xor_b32_e32 v12, v37, v12
	v_xor_b32_e32 v14, v38, v13
	v_mov_b32_e32 v13, v60
	v_mov_b32_e32 v15, v18
.LBB134_26:                             ;   in Loop: Header=BB134_17 Depth=2
	s_or_b64 exec, exec, s[2:3]
	v_cmp_eq_u32_e32 vcc, 1, v39
	v_cndmask_b32_e32 v8, v8, v9, vcc
	v_cmp_eq_u32_e32 vcc, 2, v39
	v_cndmask_b32_e32 v8, v8, v10, vcc
	;; [unrolled: 2-line block ×3, first 2 shown]
	v_cvt_f32_u32_e32 v8, v8
	v_mul_f32_e32 v9, v17, v17
	v_mul_f32_e32 v17, v17, v9
	v_mov_b32_e32 v9, 0x2f800000
	v_fmac_f32_e32 v9, 0x2f800000, v8
	v_mul_f32_e32 v1, v1, v1
	v_sub_f32_e32 v8, 1.0, v9
	v_mul_f32_e32 v9, 0xbd0793de, v1
	v_fma_f32 v9, v1, v9, 1.0
	v_cmp_nlt_f32_e32 vcc, v8, v9
	s_mov_b64 s[2:3], -1
	s_or_b64 s[24:25], s[24:25], exec
	s_and_saveexec_b64 s[26:27], vcc
	s_cbranch_execz .LBB134_16
; %bb.27:                               ;   in Loop: Header=BB134_17 Depth=2
	v_cmp_gt_f32_e32 vcc, s56, v8
	v_cndmask_b32_e32 v9, 1.0, v33, vcc
	v_mul_f32_e32 v8, v8, v9
	v_log_f32_e32 v8, v8
	s_andn2_b64 s[24:25], s[24:25], exec
	v_mul_f32_e32 v9, 0x3f317217, v8
	v_fma_f32 v10, v8, s57, -v9
	v_fmac_f32_e32 v10, 0x3377d1cf, v8
	v_add_f32_e32 v9, v9, v10
	v_cmp_lt_f32_e64 s[2:3], |v8|, s45
	v_cndmask_b32_e64 v8, v8, v9, s[2:3]
	v_cmp_gt_f32_e64 s[2:3], s56, v17
	v_cndmask_b32_e64 v9, 1.0, v33, s[2:3]
	v_mul_f32_e32 v9, v17, v9
	v_log_f32_e32 v9, v9
	v_cndmask_b32_e32 v10, 0, v34, vcc
	v_sub_f32_e32 v8, v8, v10
	v_sub_f32_e32 v10, 1.0, v17
	v_mul_f32_e32 v11, 0x3f317217, v9
	v_fma_f32 v18, v9, s57, -v11
	v_fmac_f32_e32 v18, 0x3377d1cf, v9
	v_add_f32_e32 v11, v11, v18
	v_cmp_lt_f32_e64 vcc, |v9|, s45
	v_cndmask_b32_e32 v9, v9, v11, vcc
	v_cndmask_b32_e64 v11, 0, v34, s[2:3]
	v_sub_f32_e32 v9, v9, v11
	v_add_f32_e32 v9, v10, v9
	v_mul_f32_e32 v9, v41, v9
	v_fmac_f32_e32 v9, 0.5, v1
	v_cmp_lt_f32_e32 vcc, v8, v9
	s_orn2_b64 s[2:3], vcc, exec
	s_branch .LBB134_16
.LBB134_28:                             ;   in Loop: Header=BB134_4 Depth=1
	s_or_b64 exec, exec, s[6:7]
	s_xor_b64 s[2:3], s[22:23], -1
	v_mul_f32_e32 v1, v40, v41
                                        ; implicit-def: $vgpr0
	s_and_saveexec_b64 s[6:7], s[2:3]
	s_xor_b64 s[2:3], exec, s[6:7]
; %bb.29:                               ;   in Loop: Header=BB134_4 Depth=1
	v_fma_mixlo_f16 v0, v1, v17, 0
                                        ; implicit-def: $vgpr1
; %bb.30:                               ;   in Loop: Header=BB134_4 Depth=1
	s_andn2_saveexec_b64 s[2:3], s[2:3]
	s_cbranch_execz .LBB134_2
; %bb.31:                               ;   in Loop: Header=BB134_4 Depth=1
	v_fma_mixlo_f16 v0, v1, v17, 0
	s_branch .LBB134_2
.LBB134_32:
	s_endpgm
	.section	.rodata,"a",@progbits
	.p2align	6, 0x0
	.amdhsa_kernel _ZN2at4cuda12_GLOBAL__N_121kernelPointwiseApply2IZN12_GLOBAL__N_117gamma_cuda_kernelIN3c104HalfEEEvRKNS_10TensorBaseES9_NS_15PhiloxCudaStateEEUlRS6_RKS6_E_S6_S6_jLi2ELi1ELi1ELi256ELi2EEEvNS0_6detail10TensorInfoIT0_T2_EENSG_IT1_SI_EESI_T_
		.amdhsa_group_segment_fixed_size 0
		.amdhsa_private_segment_fixed_size 0
		.amdhsa_kernarg_size 728
		.amdhsa_user_sgpr_count 6
		.amdhsa_user_sgpr_private_segment_buffer 1
		.amdhsa_user_sgpr_dispatch_ptr 0
		.amdhsa_user_sgpr_queue_ptr 0
		.amdhsa_user_sgpr_kernarg_segment_ptr 1
		.amdhsa_user_sgpr_dispatch_id 0
		.amdhsa_user_sgpr_flat_scratch_init 0
		.amdhsa_user_sgpr_kernarg_preload_length 0
		.amdhsa_user_sgpr_kernarg_preload_offset 0
		.amdhsa_user_sgpr_private_segment_size 0
		.amdhsa_uses_dynamic_stack 0
		.amdhsa_system_sgpr_private_segment_wavefront_offset 0
		.amdhsa_system_sgpr_workgroup_id_x 1
		.amdhsa_system_sgpr_workgroup_id_y 0
		.amdhsa_system_sgpr_workgroup_id_z 0
		.amdhsa_system_sgpr_workgroup_info 0
		.amdhsa_system_vgpr_workitem_id 0
		.amdhsa_next_free_vgpr 66
		.amdhsa_next_free_sgpr 66
		.amdhsa_accum_offset 68
		.amdhsa_reserve_vcc 1
		.amdhsa_reserve_flat_scratch 0
		.amdhsa_float_round_mode_32 0
		.amdhsa_float_round_mode_16_64 0
		.amdhsa_float_denorm_mode_32 3
		.amdhsa_float_denorm_mode_16_64 3
		.amdhsa_dx10_clamp 1
		.amdhsa_ieee_mode 1
		.amdhsa_fp16_overflow 0
		.amdhsa_tg_split 0
		.amdhsa_exception_fp_ieee_invalid_op 0
		.amdhsa_exception_fp_denorm_src 0
		.amdhsa_exception_fp_ieee_div_zero 0
		.amdhsa_exception_fp_ieee_overflow 0
		.amdhsa_exception_fp_ieee_underflow 0
		.amdhsa_exception_fp_ieee_inexact 0
		.amdhsa_exception_int_div_zero 0
	.end_amdhsa_kernel
	.section	.text._ZN2at4cuda12_GLOBAL__N_121kernelPointwiseApply2IZN12_GLOBAL__N_117gamma_cuda_kernelIN3c104HalfEEEvRKNS_10TensorBaseES9_NS_15PhiloxCudaStateEEUlRS6_RKS6_E_S6_S6_jLi2ELi1ELi1ELi256ELi2EEEvNS0_6detail10TensorInfoIT0_T2_EENSG_IT1_SI_EESI_T_,"axG",@progbits,_ZN2at4cuda12_GLOBAL__N_121kernelPointwiseApply2IZN12_GLOBAL__N_117gamma_cuda_kernelIN3c104HalfEEEvRKNS_10TensorBaseES9_NS_15PhiloxCudaStateEEUlRS6_RKS6_E_S6_S6_jLi2ELi1ELi1ELi256ELi2EEEvNS0_6detail10TensorInfoIT0_T2_EENSG_IT1_SI_EESI_T_,comdat
.Lfunc_end134:
	.size	_ZN2at4cuda12_GLOBAL__N_121kernelPointwiseApply2IZN12_GLOBAL__N_117gamma_cuda_kernelIN3c104HalfEEEvRKNS_10TensorBaseES9_NS_15PhiloxCudaStateEEUlRS6_RKS6_E_S6_S6_jLi2ELi1ELi1ELi256ELi2EEEvNS0_6detail10TensorInfoIT0_T2_EENSG_IT1_SI_EESI_T_, .Lfunc_end134-_ZN2at4cuda12_GLOBAL__N_121kernelPointwiseApply2IZN12_GLOBAL__N_117gamma_cuda_kernelIN3c104HalfEEEvRKNS_10TensorBaseES9_NS_15PhiloxCudaStateEEUlRS6_RKS6_E_S6_S6_jLi2ELi1ELi1ELi256ELi2EEEvNS0_6detail10TensorInfoIT0_T2_EENSG_IT1_SI_EESI_T_
                                        ; -- End function
	.section	.AMDGPU.csdata,"",@progbits
; Kernel info:
; codeLenInByte = 5236
; NumSgprs: 70
; NumVgprs: 66
; NumAgprs: 0
; TotalNumVgprs: 66
; ScratchSize: 0
; MemoryBound: 0
; FloatMode: 240
; IeeeMode: 1
; LDSByteSize: 0 bytes/workgroup (compile time only)
; SGPRBlocks: 8
; VGPRBlocks: 8
; NumSGPRsForWavesPerEU: 70
; NumVGPRsForWavesPerEU: 66
; AccumOffset: 68
; Occupancy: 7
; WaveLimiterHint : 1
; COMPUTE_PGM_RSRC2:SCRATCH_EN: 0
; COMPUTE_PGM_RSRC2:USER_SGPR: 6
; COMPUTE_PGM_RSRC2:TRAP_HANDLER: 0
; COMPUTE_PGM_RSRC2:TGID_X_EN: 1
; COMPUTE_PGM_RSRC2:TGID_Y_EN: 0
; COMPUTE_PGM_RSRC2:TGID_Z_EN: 0
; COMPUTE_PGM_RSRC2:TIDIG_COMP_CNT: 0
; COMPUTE_PGM_RSRC3_GFX90A:ACCUM_OFFSET: 16
; COMPUTE_PGM_RSRC3_GFX90A:TG_SPLIT: 0
	.section	.text._ZN2at4cuda12_GLOBAL__N_121kernelPointwiseApply2IZN12_GLOBAL__N_117gamma_cuda_kernelIN3c104HalfEEEvRKNS_10TensorBaseES9_NS_15PhiloxCudaStateEEUlRS6_RKS6_E_S6_S6_jLi2ELi2ELi1ELi256ELi2EEEvNS0_6detail10TensorInfoIT0_T2_EENSG_IT1_SI_EESI_T_,"axG",@progbits,_ZN2at4cuda12_GLOBAL__N_121kernelPointwiseApply2IZN12_GLOBAL__N_117gamma_cuda_kernelIN3c104HalfEEEvRKNS_10TensorBaseES9_NS_15PhiloxCudaStateEEUlRS6_RKS6_E_S6_S6_jLi2ELi2ELi1ELi256ELi2EEEvNS0_6detail10TensorInfoIT0_T2_EENSG_IT1_SI_EESI_T_,comdat
	.globl	_ZN2at4cuda12_GLOBAL__N_121kernelPointwiseApply2IZN12_GLOBAL__N_117gamma_cuda_kernelIN3c104HalfEEEvRKNS_10TensorBaseES9_NS_15PhiloxCudaStateEEUlRS6_RKS6_E_S6_S6_jLi2ELi2ELi1ELi256ELi2EEEvNS0_6detail10TensorInfoIT0_T2_EENSG_IT1_SI_EESI_T_ ; -- Begin function _ZN2at4cuda12_GLOBAL__N_121kernelPointwiseApply2IZN12_GLOBAL__N_117gamma_cuda_kernelIN3c104HalfEEEvRKNS_10TensorBaseES9_NS_15PhiloxCudaStateEEUlRS6_RKS6_E_S6_S6_jLi2ELi2ELi1ELi256ELi2EEEvNS0_6detail10TensorInfoIT0_T2_EENSG_IT1_SI_EESI_T_
	.p2align	8
	.type	_ZN2at4cuda12_GLOBAL__N_121kernelPointwiseApply2IZN12_GLOBAL__N_117gamma_cuda_kernelIN3c104HalfEEEvRKNS_10TensorBaseES9_NS_15PhiloxCudaStateEEUlRS6_RKS6_E_S6_S6_jLi2ELi2ELi1ELi256ELi2EEEvNS0_6detail10TensorInfoIT0_T2_EENSG_IT1_SI_EESI_T_,@function
_ZN2at4cuda12_GLOBAL__N_121kernelPointwiseApply2IZN12_GLOBAL__N_117gamma_cuda_kernelIN3c104HalfEEEvRKNS_10TensorBaseES9_NS_15PhiloxCudaStateEEUlRS6_RKS6_E_S6_S6_jLi2ELi2ELi1ELi256ELi2EEEvNS0_6detail10TensorInfoIT0_T2_EENSG_IT1_SI_EESI_T_: ; @_ZN2at4cuda12_GLOBAL__N_121kernelPointwiseApply2IZN12_GLOBAL__N_117gamma_cuda_kernelIN3c104HalfEEEvRKNS_10TensorBaseES9_NS_15PhiloxCudaStateEEUlRS6_RKS6_E_S6_S6_jLi2ELi2ELi1ELi256ELi2EEEvNS0_6detail10TensorInfoIT0_T2_EENSG_IT1_SI_EESI_T_
; %bb.0:
	s_load_dword s2, s[4:5], 0x1e4
	s_load_dword s33, s[4:5], 0x1b0
	s_add_u32 s0, s4, 0x1d8
	s_addc_u32 s1, s5, 0
	s_waitcnt lgkmcnt(0)
	s_and_b32 s2, s2, 0xffff
	s_mul_i32 s6, s6, s2
	v_add_u32_e32 v2, s6, v0
	v_cmp_gt_u32_e32 vcc, s33, v2
	s_and_saveexec_b64 s[6:7], vcc
	s_cbranch_execz .LBB135_34
; %bb.1:
	s_load_dwordx2 s[12:13], s[4:5], 0x0
	s_load_dword s34, s[4:5], 0xc
	s_load_dwordx2 s[14:15], s[4:5], 0x6c
	s_load_dwordx2 s[16:17], s[4:5], 0xd8
	s_load_dword s3, s[4:5], 0x1d0
	s_load_dword s35, s[4:5], 0xe4
	s_load_dwordx2 s[18:19], s[4:5], 0x144
	s_load_dwordx2 s[20:21], s[4:5], 0x1c8
	s_load_dwordx4 s[8:11], s[4:5], 0x1b8
	s_load_dword s37, s[0:1], 0x0
	s_waitcnt lgkmcnt(0)
	v_cvt_f32_u32_e32 v0, s34
	v_cvt_f32_u32_e32 v1, s35
	s_mov_b32 s36, 0xcd9e8d57
	s_bitcmp1_b32 s3, 0
	v_rcp_iflag_f32_e32 v0, v0
	v_rcp_iflag_f32_e32 v1, v1
	v_mad_u64_u32 v[20:21], s[0:1], v2, s36, 0
	v_mul_f32_e32 v0, 0x4f7ffffe, v0
	v_cvt_u32_f32_e32 v0, v0
	v_mul_f32_e32 v1, 0x4f7ffffe, v1
	v_cvt_u32_f32_e32 v1, v1
	s_mul_i32 s37, s37, s2
	s_cselect_b64 s[0:1], -1, 0
	s_sub_i32 s2, 0, s34
	v_mul_lo_u32 v4, s2, v0
	v_mul_hi_u32 v4, v0, v4
	s_sub_i32 s2, 0, s35
	v_mov_b32_e32 v22, v21
	v_add_u32_e32 v21, v0, v4
	v_mul_lo_u32 v0, s2, v1
	v_mul_hi_u32 v0, v1, v0
	v_add_u32_e32 v23, v1, v0
	v_cndmask_b32_e64 v0, 0, 1, s[0:1]
	v_mov_b32_e32 v3, 0
	s_mov_b64 s[22:23], 0
	v_mov_b32_e32 v28, s17
	v_cmp_ne_u32_e64 s[0:1], 1, v0
	s_mov_b32 s17, 0xd2511f53
	s_mov_b32 s38, 0x9e3779b9
	;; [unrolled: 1-line block ×6, first 2 shown]
	v_mov_b32_e32 v29, 0x3ecccdef
	s_mov_b32 s43, 0x3f317218
	s_movk_i32 s44, 0x204
	s_mov_b32 s45, 0x7f800000
	s_mov_b32 s46, 0x42b17218
	;; [unrolled: 1-line block ×4, first 2 shown]
	s_brev_b32 s49, -2
	s_mov_b32 s50, 0xf800000
	v_mov_b32_e32 v30, 0x260
	s_mov_b32 s51, 0x32370b8f
	s_mov_b32 s52, 0x78dde6e4
	;; [unrolled: 1-line block ×8, first 2 shown]
	s_movk_i32 s59, 0x400
	s_mov_b32 s60, 0xdaa66d2b
	s_mov_b32 s61, 0xed9eba14
	;; [unrolled: 1-line block ×6, first 2 shown]
	v_mov_b32_e32 v31, 0x37000000
	v_mov_b32_e32 v32, 0x7f800000
	;; [unrolled: 1-line block ×7, first 2 shown]
	s_branch .LBB135_4
.LBB135_2:                              ;   in Loop: Header=BB135_4 Depth=1
	s_or_b64 exec, exec, s[2:3]
.LBB135_3:                              ;   in Loop: Header=BB135_4 Depth=1
	s_or_b64 exec, exec, s[4:5]
	v_lshlrev_b64 v[4:5], 1, v[24:25]
	v_mov_b32_e32 v1, s13
	v_add_co_u32_e32 v4, vcc, s12, v4
	v_addc_co_u32_e32 v5, vcc, v1, v5, vcc
	v_cmp_ngt_f16_e32 vcc, s59, v0
	v_add_u32_e32 v37, s37, v37
	v_cndmask_b32_e32 v0, v36, v0, vcc
	v_cmp_le_u32_e32 vcc, s33, v37
	s_or_b64 s[22:23], vcc, s[22:23]
	global_store_short v[4:5], v0, off
	s_andn2_b64 exec, exec, s[22:23]
	s_cbranch_execz .LBB135_34
.LBB135_4:                              ; =>This Loop Header: Depth=1
                                        ;     Child Loop BB135_19 Depth 2
	v_sub_u32_e32 v0, s33, v37
	v_cmp_lt_i32_e32 vcc, 0, v0
	v_pk_mov_b32 v[0:1], 0, 0
	v_pk_mov_b32 v[24:25], v[0:1], v[0:1] op_sel:[0,1]
	s_and_saveexec_b64 s[4:5], vcc
	s_cbranch_execz .LBB135_6
; %bb.5:                                ;   in Loop: Header=BB135_4 Depth=1
	v_mul_hi_u32 v4, v37, v21
	v_mul_lo_u32 v5, v4, s34
	v_sub_u32_e32 v5, v37, v5
	v_add_u32_e32 v6, 1, v4
	v_cmp_le_u32_e64 s[2:3], s34, v5
	v_cndmask_b32_e64 v4, v4, v6, s[2:3]
	v_subrev_u32_e32 v6, s34, v5
	v_cndmask_b32_e64 v5, v5, v6, s[2:3]
	v_add_u32_e32 v6, 1, v4
	v_cmp_le_u32_e64 s[2:3], s34, v5
	v_cndmask_b32_e64 v5, v4, v6, s[2:3]
	v_mul_lo_u32 v4, v5, s34
	v_sub_u32_e32 v4, v37, v4
	v_mul_lo_u32 v4, v4, s15
	v_mad_u64_u32 v[24:25], s[2:3], v5, s14, v[4:5]
	v_mov_b32_e32 v25, v3
.LBB135_6:                              ;   in Loop: Header=BB135_4 Depth=1
	s_or_b64 exec, exec, s[4:5]
	s_and_saveexec_b64 s[2:3], vcc
	s_cbranch_execz .LBB135_8
; %bb.7:                                ;   in Loop: Header=BB135_4 Depth=1
	v_mul_hi_u32 v0, v37, v23
	v_mul_lo_u32 v1, v0, s35
	v_sub_u32_e32 v1, v37, v1
	v_add_u32_e32 v4, 1, v0
	v_cmp_le_u32_e32 vcc, s35, v1
	v_cndmask_b32_e32 v0, v0, v4, vcc
	v_subrev_u32_e32 v4, s35, v1
	v_cndmask_b32_e32 v1, v1, v4, vcc
	v_add_u32_e32 v4, 1, v0
	v_cmp_le_u32_e32 vcc, s35, v1
	v_cndmask_b32_e32 v1, v0, v4, vcc
	v_mul_lo_u32 v0, v1, s35
	v_sub_u32_e32 v0, v37, v0
	v_mul_lo_u32 v0, v0, s19
	v_mad_u64_u32 v[0:1], s[4:5], v1, s18, v[0:1]
	v_mov_b32_e32 v1, v3
.LBB135_8:                              ;   in Loop: Header=BB135_4 Depth=1
	s_or_b64 exec, exec, s[2:3]
	v_lshlrev_b64 v[0:1], 1, v[0:1]
	v_add_co_u32_e32 v0, vcc, s16, v0
	v_addc_co_u32_e32 v1, vcc, v28, v1, vcc
	global_load_ushort v42, v[0:1], off
	s_and_b64 vcc, exec, s[0:1]
	v_pk_mov_b32 v[0:1], s[10:11], s[10:11] op_sel:[0,1]
	v_pk_mov_b32 v[26:27], s[8:9], s[8:9] op_sel:[0,1]
	s_cbranch_vccnz .LBB135_10
; %bb.9:                                ;   in Loop: Header=BB135_4 Depth=1
	v_pk_mov_b32 v[0:1], s[10:11], s[10:11] op_sel:[0,1]
	flat_load_dwordx2 v[0:1], v[0:1]
	v_pk_mov_b32 v[4:5], s[8:9], s[8:9] op_sel:[0,1]
	flat_load_dwordx2 v[26:27], v[4:5]
	v_mov_b32_e32 v4, s21
	s_waitcnt vmcnt(0) lgkmcnt(0)
	v_add_co_u32_e32 v0, vcc, s20, v0
	v_addc_co_u32_e32 v1, vcc, v1, v4, vcc
.LBB135_10:                             ;   in Loop: Header=BB135_4 Depth=1
	v_and_b32_e32 v40, 3, v0
	v_alignbit_b32 v0, v1, v0, 2
	v_mad_u64_u32 v[6:7], s[2:3], v0, s17, 0
	v_lshrrev_b32_e32 v1, 2, v1
	v_xor_b32_e32 v5, v7, v27
	v_xor_b32_e32 v7, v22, v26
	v_mov_b32_e32 v4, v27
	v_xor_b32_e32 v7, v7, v1
	v_mad_u64_u32 v[10:11], s[2:3], v5, s36, 0
	v_add_co_u32_e32 v44, vcc, s38, v26
	v_add_co_u32_e32 v43, vcc, s39, v4
	v_mad_u64_u32 v[8:9], s[2:3], v7, s17, 0
	v_xor_b32_e32 v5, v20, v11
	v_xor_b32_e32 v5, v5, v44
	v_xor_b32_e32 v7, v43, v9
	v_xor_b32_e32 v9, v7, v6
	v_add_co_u32_e32 v45, vcc, s41, v4
	v_mad_u64_u32 v[6:7], s[2:3], v5, s17, 0
	v_add_co_u32_e32 v46, vcc, s40, v26
	v_mad_u64_u32 v[12:13], s[2:3], v9, s36, 0
	v_xor_b32_e32 v7, v45, v7
	v_xor_b32_e32 v5, v46, v13
	v_xor_b32_e32 v7, v7, v8
	v_xor_b32_e32 v5, v5, v10
	v_add_co_u32_e32 v48, vcc, s60, v26
	v_mad_u64_u32 v[10:11], s[2:3], v7, s36, 0
	;; [unrolled: 8-line block ×7, first 2 shown]
	v_add_co_u32_e32 v58, vcc, s64, v26
	v_mad_u64_u32 v[6:7], s[2:3], v6, s36, 0
	v_xor_b32_e32 v5, v57, v5
	v_xor_b32_e32 v7, v58, v7
	;; [unrolled: 1-line block ×4, first 2 shown]
	v_mad_u64_u32 v[18:19], s[2:3], v5, s36, 0
	v_mad_u64_u32 v[16:17], s[2:3], v7, s17, 0
	v_xor_b32_e32 v5, v19, v6
	s_waitcnt vmcnt(0)
	v_cvt_f32_f16_e32 v19, v42
	v_add_u32_e32 v38, 0x8ff34781, v26
	v_add_u32_e32 v39, 0x96a522ad, v27
	v_xor_b32_e32 v4, v17, v4
	v_xor_b32_e32 v8, v38, v5
	;; [unrolled: 1-line block ×3, first 2 shown]
	v_pk_mov_b32 v[6:7], v[2:3], v[2:3] op_sel:[0,1]
	v_mov_b32_e32 v9, v18
	v_mov_b32_e32 v11, v16
	v_cmp_gt_f16_e32 vcc, 1.0, v42
	s_mov_b64 s[2:3], -1
	v_mov_b32_e32 v41, 1.0
	v_pk_mov_b32 v[4:5], v[0:1], v[0:1] op_sel:[0,1]
                                        ; implicit-def: $sgpr4
	s_and_saveexec_b64 s[24:25], vcc
	s_cbranch_execz .LBB135_16
; %bb.11:                               ;   in Loop: Header=BB135_4 Depth=1
	v_cmp_neq_f16_e32 vcc, 0, v42
	s_mov_b64 s[28:29], 0
	v_mov_b32_e32 v41, 1.0
                                        ; implicit-def: $vgpr4_vgpr5_vgpr6_vgpr7
	s_and_saveexec_b64 s[26:27], vcc
	s_cbranch_execz .LBB135_15
; %bb.12:                               ;   in Loop: Header=BB135_4 Depth=1
	v_add_u32_e32 v17, 1, v40
	v_pk_mov_b32 v[14:15], v[10:11], v[10:11] op_sel:[0,1]
	v_pk_mov_b32 v[6:7], v[2:3], v[2:3] op_sel:[0,1]
	v_cmp_eq_u32_e32 vcc, 4, v17
	v_pk_mov_b32 v[12:13], v[8:9], v[8:9] op_sel:[0,1]
	v_pk_mov_b32 v[4:5], v[0:1], v[0:1] op_sel:[0,1]
	s_and_saveexec_b64 s[2:3], vcc
	s_cbranch_execz .LBB135_14
; %bb.13:                               ;   in Loop: Header=BB135_4 Depth=1
	v_add_co_u32_e32 v4, vcc, 1, v0
	v_cndmask_b32_e64 v0, 0, 1, vcc
	v_addc_co_u32_e32 v5, vcc, 0, v1, vcc
	v_cmp_eq_u32_e32 vcc, 0, v5
	v_cndmask_b32_e32 v0, 0, v0, vcc
	v_add_u32_e32 v6, v0, v2
	v_cmp_eq_u32_e32 vcc, 0, v6
	v_cndmask_b32_e32 v7, 0, v0, vcc
	v_mad_u64_u32 v[0:1], s[4:5], v4, s17, 0
	v_mad_u64_u32 v[12:13], s[4:5], v6, s36, 0
	v_xor_b32_e32 v9, v13, v26
	v_xor_b32_e32 v1, v1, v27
	v_xor_b32_e32 v9, v5, v9
	v_xor_b32_e32 v1, v7, v1
	v_mad_u64_u32 v[14:15], s[4:5], v9, s17, 0
	v_mad_u64_u32 v[60:61], s[4:5], v1, s36, 0
	v_xor_b32_e32 v1, v44, v61
	v_xor_b32_e32 v9, v43, v15
	v_xor_b32_e32 v1, v1, v12
	v_xor_b32_e32 v9, v9, v0
	;; [unrolled: 6-line block ×9, first 2 shown]
	v_mad_u64_u32 v[44:45], s[4:5], v9, s17, 0
	v_mad_u64_u32 v[46:47], s[4:5], v1, s36, 0
	v_xor_b32_e32 v1, v47, v12
	v_xor_b32_e32 v0, v45, v0
	v_mov_b32_e32 v17, 0
	v_xor_b32_e32 v12, v38, v1
	v_xor_b32_e32 v14, v39, v0
	v_mov_b32_e32 v13, v46
	v_mov_b32_e32 v15, v44
.LBB135_14:                             ;   in Loop: Header=BB135_4 Depth=1
	s_or_b64 exec, exec, s[2:3]
	v_cmp_eq_u32_e32 vcc, 1, v40
	v_cndmask_b32_e32 v0, v8, v18, vcc
	v_cmp_eq_u32_e32 vcc, 2, v40
	v_cndmask_b32_e32 v0, v0, v10, vcc
	;; [unrolled: 2-line block ×3, first 2 shown]
	v_div_scale_f32 v1, s[2:3], v19, v19, 1.0
	v_cvt_f32_u32_e32 v0, v0
	v_rcp_f32_e32 v8, v1
	v_mov_b32_e32 v9, 0x2f800000
	s_mov_b64 s[28:29], exec
	v_fmac_f32_e32 v9, 0x2f800000, v0
	v_fma_f32 v0, -v1, v8, 1.0
	v_fmac_f32_e32 v8, v0, v8
	v_div_scale_f32 v0, vcc, 1.0, v19, 1.0
	v_sub_f32_e32 v50, 1.0, v9
	v_mul_f32_e32 v9, v0, v8
	v_fma_f32 v10, -v1, v9, v0
	v_fmac_f32_e32 v9, v10, v8
	v_fma_f32 v0, -v1, v9, v0
	v_div_fmas_f32 v0, v0, v8, v9
	v_div_fixup_f32 v51, v0, v19, 1.0
	v_cmp_eq_f32_e32 vcc, 1.0, v50
	v_cndmask_b32_e64 v52, v51, 1.0, vcc
	v_cmp_eq_f32_e64 s[2:3], 0, v52
	v_cndmask_b32_e64 v53, |v50|, 1.0, s[2:3]
	v_frexp_mant_f32_e32 v0, v53
	v_cmp_gt_f32_e64 s[4:5], s42, v0
	v_cndmask_b32_e64 v1, 1.0, 2.0, s[4:5]
	v_mul_f32_e32 v0, v0, v1
	v_add_f32_e32 v9, 1.0, v0
	v_rcp_f32_e32 v16, v9
	v_add_f32_e32 v1, -1.0, v9
	v_sub_f32_e32 v11, v0, v1
	v_add_f32_e32 v1, -1.0, v0
	v_mul_f32_e32 v40, v1, v16
	v_mul_f32_e32 v8, v9, v40
	v_fma_f32 v10, v40, v9, -v8
	v_fmac_f32_e32 v10, v40, v11
	v_add_f32_e32 v0, v8, v10
	v_sub_f32_e32 v9, v1, v0
	v_pk_add_f32 v[18:19], v[0:1], v[8:9] neg_lo:[0,1] neg_hi:[0,1]
	v_mov_b32_e32 v11, v0
	v_pk_add_f32 v[0:1], v[18:19], v[10:11] neg_lo:[0,1] neg_hi:[0,1]
	v_add_f32_e32 v0, v0, v1
	v_add_f32_e32 v0, v9, v0
	v_mul_f32_e32 v1, v16, v0
	v_add_f32_e32 v0, v40, v1
	v_sub_f32_e32 v8, v0, v40
	v_sub_f32_e32 v16, v1, v8
	v_mul_f32_e32 v1, v0, v0
	v_fma_f32 v9, v0, v0, -v1
	v_add_f32_e32 v8, v16, v16
	v_fmac_f32_e32 v9, v0, v8
	v_add_f32_e32 v8, v1, v9
	v_mov_b32_e32 v10, 0x3e91f4c4
	v_fmac_f32_e32 v10, 0x3e76c4e1, v8
	v_fma_f32 v10, v8, v10, v29
	v_sub_f32_e32 v1, v8, v1
	v_sub_f32_e32 v43, v9, v1
	v_mul_f32_e32 v1, v8, v10
	v_fma_f32 v9, v8, v10, -v1
	v_fmac_f32_e32 v9, v43, v10
	v_add_f32_e32 v10, v1, v9
	v_add_f32_e32 v11, 0x3f2aaaaa, v10
	v_sub_f32_e32 v1, v10, v1
	v_sub_f32_e32 v1, v9, v1
	v_add_f32_e32 v9, 0xbf2aaaaa, v11
	v_add_f32_e32 v1, 0x31739010, v1
	v_sub_f32_e32 v9, v10, v9
	v_pk_mul_f32 v[18:19], v[0:1], v[8:9]
	v_fma_f32 v10, v8, v0, -v18
	v_pk_add_f32 v[40:41], v[0:1], v[8:9]
	v_fmac_f32_e32 v10, v8, v16
	v_mov_b32_e32 v19, v41
	v_fmac_f32_e32 v10, v43, v0
	v_pk_add_f32 v[8:9], v[18:19], v[10:11]
	v_sub_f32_e32 v1, v8, v18
	v_sub_f32_e32 v1, v10, v1
	;; [unrolled: 1-line block ×3, first 2 shown]
	v_add_f32_e32 v40, v41, v10
	v_mov_b32_e32 v10, v9
	v_pk_mul_f32 v[10:11], v[8:9], v[10:11]
	v_cvt_f64_f32_e32 v[18:19], v53
	v_frexp_exp_i32_f64_e32 v11, v[18:19]
	v_subbrev_co_u32_e64 v11, s[4:5], 0, v11, s[4:5]
	v_cvt_f32_i32_e32 v11, v11
	v_fma_f32 v18, v8, v9, -v10
	v_fmac_f32_e32 v18, v8, v40
	v_fmac_f32_e32 v18, v1, v9
	v_mul_f32_e32 v8, 0x3f317218, v11
	v_fma_f32 v40, v11, s43, -v8
	v_fmac_f32_e32 v40, 0xb102e308, v11
	v_ldexp_f32 v41, v0, 1
	v_add_f32_e32 v9, v10, v18
	v_pk_add_f32 v[0:1], v[8:9], v[40:41]
	v_mov_b32_e32 v44, v9
	v_mov_b32_e32 v45, v1
	v_mov_b32_e32 v11, v41
	v_pk_add_f32 v[10:11], v[44:45], v[10:11] neg_lo:[0,1] neg_hi:[0,1]
	v_mov_b32_e32 v19, v9
	v_ldexp_f32 v16, v16, 1
	v_pk_add_f32 v[10:11], v[18:19], v[10:11] neg_lo:[0,1] neg_hi:[0,1]
	v_add_f32_e32 v9, v16, v10
	v_add_f32_e32 v9, v9, v11
	v_pk_add_f32 v[10:11], v[0:1], v[8:9] neg_lo:[0,1] neg_hi:[0,1]
	v_pk_add_f32 v[18:19], v[0:1], v[8:9]
	v_mov_b32_e32 v44, v10
	v_mov_b32_e32 v45, v19
	;; [unrolled: 1-line block ×3, first 2 shown]
	v_pk_add_f32 v[44:45], v[40:41], v[44:45]
	v_mov_b32_e32 v8, v45
	v_pk_add_f32 v[46:47], v[8:9], v[0:1] neg_lo:[0,1] neg_hi:[0,1]
	v_mov_b32_e32 v43, v46
	v_mov_b32_e32 v44, v19
	;; [unrolled: 1-line block ×4, first 2 shown]
	v_pk_add_f32 v[10:11], v[40:41], v[10:11] neg_lo:[0,1] neg_hi:[0,1]
	v_pk_add_f32 v[48:49], v[18:19], v[42:43] neg_lo:[0,1] neg_hi:[0,1]
	;; [unrolled: 1-line block ×3, first 2 shown]
	v_mov_b32_e32 v40, v9
	v_pk_add_f32 v[0:1], v[40:41], v[0:1] neg_lo:[0,1] neg_hi:[0,1]
	v_mov_b32_e32 v48, v10
	v_pk_add_f32 v[18:19], v[48:49], v[0:1]
	v_mov_b32_e32 v16, v19
	v_pk_add_f32 v[40:41], v[18:19], v[16:17]
	v_pk_add_f32 v[8:9], v[8:9], v[40:41]
	v_mov_b32_e32 v11, v45
	v_mov_b32_e32 v19, v8
	v_pk_add_f32 v[44:45], v[18:19], v[10:11] neg_lo:[0,1] neg_hi:[0,1]
	v_mov_b32_e32 v1, v40
	v_sub_f32_e32 v9, v18, v44
	v_pk_add_f32 v[0:1], v[0:1], v[44:45] neg_lo:[0,1] neg_hi:[0,1]
	v_sub_f32_e32 v9, v10, v9
	v_add_f32_e32 v0, v0, v9
	v_add_f32_e32 v0, v0, v1
	;; [unrolled: 1-line block ×3, first 2 shown]
	v_sub_f32_e32 v8, v1, v8
	v_sub_f32_e32 v0, v0, v8
	v_mul_f32_e32 v8, v52, v1
	v_fma_f32 v1, v52, v1, -v8
	v_fmac_f32_e32 v1, v52, v0
	v_add_f32_e32 v0, v8, v1
	v_cmp_class_f32_e64 s[4:5], v8, s44
	v_sub_f32_e32 v9, v0, v8
	v_cndmask_b32_e64 v0, v0, v8, s[4:5]
	v_cmp_eq_f32_e64 s[4:5], s46, v0
	v_cndmask_b32_e64 v8, 0, v31, s[4:5]
	v_sub_f32_e32 v1, v1, v9
	v_sub_f32_e32 v9, v0, v8
	v_mul_f32_e32 v10, 0x3fb8aa3b, v9
	v_fma_f32 v11, v9, s47, -v10
	v_rndne_f32_e32 v16, v10
	v_fmac_f32_e32 v11, 0x32a5705f, v9
	v_sub_f32_e32 v10, v10, v16
	v_add_f32_e32 v10, v10, v11
	v_exp_f32_e32 v10, v10
	v_cvt_i32_f32_e32 v11, v16
	v_cmp_neq_f32_e64 s[4:5], |v0|, s45
	v_cndmask_b32_e64 v0, 0, v1, s[4:5]
	v_cmp_ngt_f32_e64 s[4:5], s48, v9
	v_ldexp_f32 v1, v10, v11
	v_cndmask_b32_e64 v1, 0, v1, s[4:5]
	v_cmp_nlt_f32_e64 s[4:5], s46, v9
	v_add_f32_e32 v0, v8, v0
	v_cndmask_b32_e64 v1, v32, v1, s[4:5]
	v_fma_f32 v0, v1, v0, v1
	v_cmp_class_f32_e64 s[4:5], v1, s44
	v_trunc_f32_e32 v8, v52
	v_cndmask_b32_e64 v0, v0, v1, s[4:5]
	v_cndmask_b32_e64 v1, v50, 1.0, s[2:3]
	v_cmp_eq_f32_e64 s[2:3], v8, v52
	v_mul_f32_e32 v8, 0.5, v52
	v_trunc_f32_e32 v9, v8
	v_cmp_neq_f32_e64 s[4:5], v9, v8
	s_and_b64 s[4:5], s[2:3], s[4:5]
	v_cndmask_b32_e64 v8, 1.0, v1, s[4:5]
	v_bfi_b32 v0, s49, v0, v8
	v_cndmask_b32_e64 v8, v33, v0, s[2:3]
	v_cmp_gt_f32_e64 s[2:3], 0, v1
	v_cndmask_b32_e64 v0, v0, v8, s[2:3]
	v_cndmask_b32_e64 v8, |v51|, 1.0, vcc
	v_cmp_neq_f32_e32 vcc, v52, v8
	v_cmp_gt_f32_e64 s[2:3], 1.0, v53
	s_xor_b64 s[2:3], vcc, s[2:3]
	v_cndmask_b32_e64 v9, v8, 0, s[2:3]
	v_cmp_eq_f32_e64 s[2:3], 0, v1
	v_cmp_gt_f32_e64 s[6:7], 0, v52
	v_cmp_eq_f32_e32 vcc, 1.0, v53
	s_xor_b64 s[6:7], s[6:7], s[2:3]
	v_cndmask_b32_e32 v9, v9, v53, vcc
	v_cmp_eq_f32_e32 vcc, s45, v8
	v_cndmask_b32_e64 v8, v32, 0, s[6:7]
	v_cndmask_b32_e64 v1, 0, v1, s[4:5]
	v_bfi_b32 v1, s49, v8, v1
	v_add_f16_e32 v8, 1.0, v42
	v_cvt_f32_f16_e32 v19, v8
	v_cndmask_b32_e32 v0, v0, v9, vcc
	v_cmp_eq_f32_e32 vcc, s45, v53
	s_or_b64 vcc, vcc, s[2:3]
	v_pk_mov_b32 v[8:9], v[12:13], v[12:13] op_sel:[0,1]
	v_cndmask_b32_e32 v41, v0, v1, vcc
	v_pk_mov_b32 v[10:11], v[14:15], v[14:15] op_sel:[0,1]
	v_mov_b32_e32 v40, v17
.LBB135_15:                             ;   in Loop: Header=BB135_4 Depth=1
	s_or_b64 exec, exec, s[26:27]
	s_mov_b32 s4, 0
	s_orn2_b64 s[2:3], s[28:29], exec
.LBB135_16:                             ;   in Loop: Header=BB135_4 Depth=1
	s_or_b64 exec, exec, s[24:25]
	v_mov_b32_e32 v0, s4
	s_and_saveexec_b64 s[4:5], s[2:3]
	s_cbranch_execz .LBB135_3
; %bb.17:                               ;   in Loop: Header=BB135_4 Depth=1
	v_add_f32_e32 v42, 0xbeaaaaab, v19
	v_mul_f32_e32 v0, 0x41100000, v42
	v_mul_f32_e32 v1, 0x4f800000, v0
	v_cmp_gt_f32_e32 vcc, s50, v0
	v_cndmask_b32_e32 v0, v0, v1, vcc
	v_sqrt_f32_e32 v1, v0
	v_add_u32_e32 v44, 0x9e3779b9, v26
	v_add_u32_e32 v45, 0xbb67ae85, v27
	;; [unrolled: 1-line block ×3, first 2 shown]
	v_add_u32_e32 v12, -1, v1
	v_fma_f32 v14, -v12, v1, v0
	v_add_u32_e32 v13, 1, v1
	v_cmp_ge_f32_e64 s[2:3], 0, v14
	v_cndmask_b32_e64 v12, v1, v12, s[2:3]
	v_fma_f32 v1, -v13, v1, v0
	v_cmp_lt_f32_e64 s[2:3], 0, v1
	v_cndmask_b32_e64 v1, v12, v13, s[2:3]
	v_mul_f32_e32 v12, 0x37800000, v1
	v_cndmask_b32_e32 v1, v1, v12, vcc
	v_cmp_class_f32_e32 vcc, v0, v30
	v_cndmask_b32_e32 v0, v1, v0, vcc
	v_div_scale_f32 v1, s[2:3], v0, v0, 1.0
	v_rcp_f32_e32 v12, v1
	v_add_u32_e32 v47, 0x76cf5d0a, v27
	v_add_u32_e32 v48, 0xdaa66d2b, v26
	;; [unrolled: 1-line block ×3, first 2 shown]
	v_fma_f32 v13, -v1, v12, 1.0
	v_fmac_f32_e32 v12, v13, v12
	v_div_scale_f32 v13, vcc, 1.0, v0, 1.0
	v_mul_f32_e32 v14, v13, v12
	v_fma_f32 v15, -v1, v14, v13
	v_fmac_f32_e32 v14, v15, v12
	v_fma_f32 v1, -v1, v14, v13
	v_div_fmas_f32 v1, v1, v12, v14
	v_div_fixup_f32 v43, v1, v0, 1.0
	v_add_u32_e32 v50, 0x78dde6e4, v26
	v_add_u32_e32 v51, 0xed9eba14, v27
	;; [unrolled: 1-line block ×10, first 2 shown]
	s_mov_b64 s[6:7], 0
	v_mov_b32_e32 v60, 0
	s_mov_b64 s[28:29], 0
                                        ; implicit-def: $sgpr24_sgpr25
                                        ; implicit-def: $sgpr26_sgpr27
                                        ; implicit-def: $vgpr0
	s_branch .LBB135_19
.LBB135_18:                             ;   in Loop: Header=BB135_19 Depth=2
	s_or_b64 exec, exec, s[28:29]
	s_and_b64 s[2:3], exec, s[2:3]
	s_or_b64 s[6:7], s[2:3], s[6:7]
	s_andn2_b64 s[2:3], s[24:25], exec
	s_and_b64 s[24:25], s[26:27], exec
	v_pk_mov_b32 v[8:9], v[12:13], v[12:13] op_sel:[0,1]
	s_or_b64 s[24:25], s[2:3], s[24:25]
	s_mov_b64 s[28:29], 0
	v_mov_b32_e32 v40, v16
	v_pk_mov_b32 v[10:11], v[14:15], v[14:15] op_sel:[0,1]
	s_andn2_b64 exec, exec, s[6:7]
	s_cbranch_execz .LBB135_30
.LBB135_19:                             ;   Parent Loop BB135_4 Depth=1
                                        ; =>  This Inner Loop Header: Depth=2
	v_cmp_eq_u32_e32 vcc, 0, v60
	v_mov_b32_e32 v1, v0
	v_mov_b32_e32 v60, 0
	s_and_saveexec_b64 s[30:31], vcc
	s_cbranch_execz .LBB135_25
; %bb.20:                               ;   in Loop: Header=BB135_19 Depth=2
	v_add_u32_e32 v0, 1, v40
	v_pk_mov_b32 v[14:15], v[10:11], v[10:11] op_sel:[0,1]
	v_cmp_eq_u32_e32 vcc, 4, v0
	v_pk_mov_b32 v[12:13], v[8:9], v[8:9] op_sel:[0,1]
	s_and_saveexec_b64 s[2:3], vcc
	s_cbranch_execz .LBB135_22
; %bb.21:                               ;   in Loop: Header=BB135_19 Depth=2
	v_add_co_u32_e32 v4, vcc, 1, v4
	v_cndmask_b32_e64 v1, 0, 1, vcc
	v_addc_co_u32_e32 v5, vcc, 0, v5, vcc
	v_cmp_eq_u32_e32 vcc, 0, v5
	v_cndmask_b32_e32 v1, 0, v1, vcc
	v_add_u32_e32 v6, v1, v6
	v_cmp_eq_u32_e32 vcc, 0, v6
	v_cndmask_b32_e32 v1, 0, v1, vcc
	v_mad_u64_u32 v[12:13], s[66:67], v4, s17, 0
	v_mad_u64_u32 v[14:15], s[66:67], v6, s36, 0
	v_add_u32_e32 v7, v1, v7
	v_xor_b32_e32 v1, v15, v26
	v_xor_b32_e32 v13, v13, v27
	v_xor_b32_e32 v1, v5, v1
	v_xor_b32_e32 v13, v7, v13
	v_mad_u64_u32 v[16:17], s[66:67], v1, s17, 0
	v_mad_u64_u32 v[18:19], s[66:67], v13, s36, 0
	v_xor_b32_e32 v1, v19, v14
	v_xor_b32_e32 v12, v17, v12
	v_xor_b32_e32 v1, v44, v1
	v_xor_b32_e32 v14, v45, v12
	v_mad_u64_u32 v[12:13], s[66:67], v1, s17, 0
	v_mad_u64_u32 v[14:15], s[66:67], v14, s36, 0
	;; [unrolled: 6-line block ×9, first 2 shown]
	v_xor_b32_e32 v1, v19, v12
	v_xor_b32_e32 v12, v38, v1
	;; [unrolled: 1-line block ×3, first 2 shown]
	v_mov_b32_e32 v0, 0
	v_xor_b32_e32 v14, v39, v1
	v_mov_b32_e32 v13, v18
	v_mov_b32_e32 v15, v16
.LBB135_22:                             ;   in Loop: Header=BB135_19 Depth=2
	s_or_b64 exec, exec, s[2:3]
	v_add_u32_e32 v61, 1, v0
	v_pk_mov_b32 v[18:19], v[14:15], v[14:15] op_sel:[0,1]
	v_cmp_eq_u32_e32 vcc, 4, v61
	v_pk_mov_b32 v[16:17], v[12:13], v[12:13] op_sel:[0,1]
	s_and_saveexec_b64 s[2:3], vcc
	s_cbranch_execz .LBB135_24
; %bb.23:                               ;   in Loop: Header=BB135_19 Depth=2
	v_add_co_u32_e32 v4, vcc, 1, v4
	v_cndmask_b32_e64 v1, 0, 1, vcc
	v_addc_co_u32_e32 v5, vcc, 0, v5, vcc
	v_cmp_eq_u32_e32 vcc, 0, v5
	v_cndmask_b32_e32 v1, 0, v1, vcc
	v_add_u32_e32 v6, v1, v6
	v_cmp_eq_u32_e32 vcc, 0, v6
	v_cndmask_b32_e32 v1, 0, v1, vcc
	v_mad_u64_u32 v[16:17], s[66:67], v4, s17, 0
	v_mad_u64_u32 v[18:19], s[66:67], v6, s36, 0
	v_add_u32_e32 v7, v1, v7
	v_xor_b32_e32 v1, v19, v26
	v_xor_b32_e32 v17, v17, v27
	v_xor_b32_e32 v1, v5, v1
	v_xor_b32_e32 v17, v7, v17
	v_mad_u64_u32 v[62:63], s[66:67], v1, s17, 0
	v_mad_u64_u32 v[64:65], s[66:67], v17, s36, 0
	v_xor_b32_e32 v1, v65, v18
	v_xor_b32_e32 v16, v63, v16
	v_xor_b32_e32 v1, v44, v1
	v_xor_b32_e32 v18, v45, v16
	v_mad_u64_u32 v[16:17], s[66:67], v1, s17, 0
	v_mad_u64_u32 v[18:19], s[66:67], v18, s36, 0
	;; [unrolled: 6-line block ×9, first 2 shown]
	v_xor_b32_e32 v1, v65, v16
	v_xor_b32_e32 v16, v38, v1
	;; [unrolled: 1-line block ×3, first 2 shown]
	v_mov_b32_e32 v61, 0
	v_xor_b32_e32 v18, v39, v1
	v_mov_b32_e32 v17, v64
	v_mov_b32_e32 v19, v62
.LBB135_24:                             ;   in Loop: Header=BB135_19 Depth=2
	s_or_b64 exec, exec, s[2:3]
	v_cmp_eq_u32_e32 vcc, 1, v40
	v_cndmask_b32_e32 v1, v8, v9, vcc
	v_cmp_eq_u32_e32 vcc, 2, v40
	v_cndmask_b32_e32 v1, v1, v10, vcc
	;; [unrolled: 2-line block ×3, first 2 shown]
	v_cvt_f32_u32_e32 v1, v1
	v_cmp_eq_u32_e32 vcc, 1, v0
	v_mov_b32_e32 v9, 0x2f800000
	v_cndmask_b32_e32 v8, v12, v13, vcc
	v_cmp_eq_u32_e32 vcc, 2, v0
	v_fmac_f32_e32 v9, 0x2f800000, v1
	v_cndmask_b32_e32 v8, v8, v14, vcc
	v_cmp_gt_f32_e32 vcc, s57, v9
	v_cndmask_b32_e32 v1, 1.0, v34, vcc
	v_mul_f32_e32 v1, v9, v1
	v_log_f32_e32 v1, v1
	v_cmp_eq_u32_e64 s[2:3], 3, v0
	v_cndmask_b32_e64 v0, v8, v15, s[2:3]
	v_cvt_f32_u32_e32 v0, v0
	v_mul_f32_e32 v8, 0x3f317217, v1
	v_fma_f32 v9, v1, s58, -v8
	v_fmac_f32_e32 v9, 0x3377d1cf, v1
	v_add_f32_e32 v8, v8, v9
	v_cmp_lt_f32_e64 s[2:3], |v1|, s45
	v_cndmask_b32_e64 v1, v1, v8, s[2:3]
	v_cndmask_b32_e32 v8, 0, v35, vcc
	v_sub_f32_e32 v1, v1, v8
	v_mul_f32_e32 v1, -2.0, v1
	v_mul_f32_e32 v8, 0x4f800000, v1
	v_cmp_gt_f32_e32 vcc, s50, v1
	v_cndmask_b32_e32 v8, v1, v8, vcc
	v_sqrt_f32_e32 v1, v8
	v_mov_b32_e32 v9, 0x30c90fdb
	v_fmac_f32_e32 v9, 0x30c90fdb, v0
	v_mov_b32_e32 v60, 1
	v_add_u32_e32 v0, -1, v1
	v_fma_f32 v10, -v0, v1, v8
	v_cmp_ge_f32_e64 s[2:3], 0, v10
	v_add_u32_e32 v10, 1, v1
	v_cndmask_b32_e64 v0, v1, v0, s[2:3]
	v_fma_f32 v1, -v10, v1, v8
	v_cmp_lt_f32_e64 s[2:3], 0, v1
	v_cndmask_b32_e64 v10, v0, v10, s[2:3]
	v_mul_f32_e32 v0, 0.15915494, v9
	v_sin_f32_e32 v1, v0
	v_cos_f32_e32 v0, v0
	v_mul_f32_e32 v11, 0x37800000, v10
	v_cndmask_b32_e32 v9, v10, v11, vcc
	v_cmp_class_f32_e32 vcc, v8, v30
	v_cndmask_b32_e32 v8, v9, v8, vcc
	v_pk_mul_f32 v[0:1], v[8:9], v[0:1] op_sel_hi:[0,1]
	v_pk_mov_b32 v[8:9], v[16:17], v[16:17] op_sel:[0,1]
	v_pk_mov_b32 v[10:11], v[18:19], v[18:19] op_sel:[0,1]
	v_mov_b32_e32 v40, v61
.LBB135_25:                             ;   in Loop: Header=BB135_19 Depth=2
	s_or_b64 exec, exec, s[30:31]
	v_fma_f32 v17, v43, v1, 1.0
	v_cmp_nge_f32_e32 vcc, 0, v17
	s_or_b64 s[28:29], vcc, s[28:29]
	s_andn2_b64 exec, exec, s[28:29]
	s_cbranch_execnz .LBB135_19
; %bb.26:                               ;   in Loop: Header=BB135_19 Depth=2
	s_or_b64 exec, exec, s[28:29]
	v_add_u32_e32 v16, 1, v40
	v_pk_mov_b32 v[14:15], v[10:11], v[10:11] op_sel:[0,1]
	v_cmp_eq_u32_e32 vcc, 4, v16
	v_pk_mov_b32 v[12:13], v[8:9], v[8:9] op_sel:[0,1]
	s_and_saveexec_b64 s[2:3], vcc
	s_cbranch_execz .LBB135_28
; %bb.27:                               ;   in Loop: Header=BB135_19 Depth=2
	v_add_co_u32_e32 v4, vcc, 1, v4
	v_cndmask_b32_e64 v12, 0, 1, vcc
	v_addc_co_u32_e32 v5, vcc, 0, v5, vcc
	v_cmp_eq_u32_e32 vcc, 0, v5
	v_cndmask_b32_e32 v12, 0, v12, vcc
	v_add_u32_e32 v6, v12, v6
	v_cmp_eq_u32_e32 vcc, 0, v6
	v_cndmask_b32_e32 v12, 0, v12, vcc
	v_add_u32_e32 v7, v12, v7
	v_mad_u64_u32 v[12:13], s[28:29], v4, s17, 0
	v_mad_u64_u32 v[14:15], s[28:29], v6, s36, 0
	v_xor_b32_e32 v15, v15, v26
	v_xor_b32_e32 v13, v13, v27
	v_xor_b32_e32 v15, v5, v15
	v_xor_b32_e32 v13, v7, v13
	v_mad_u64_u32 v[18:19], s[28:29], v15, s17, 0
	v_mad_u64_u32 v[62:63], s[28:29], v13, s36, 0
	v_xor_b32_e32 v13, v63, v14
	v_xor_b32_e32 v12, v19, v12
	v_xor_b32_e32 v13, v44, v13
	v_xor_b32_e32 v14, v45, v12
	;; [unrolled: 6-line block ×9, first 2 shown]
	v_mad_u64_u32 v[18:19], s[28:29], v13, s17, 0
	v_mad_u64_u32 v[62:63], s[28:29], v15, s36, 0
	v_xor_b32_e32 v12, v63, v12
	v_xor_b32_e32 v13, v19, v14
	v_mov_b32_e32 v16, 0
	v_xor_b32_e32 v12, v38, v12
	v_xor_b32_e32 v14, v39, v13
	v_mov_b32_e32 v13, v62
	v_mov_b32_e32 v15, v18
.LBB135_28:                             ;   in Loop: Header=BB135_19 Depth=2
	s_or_b64 exec, exec, s[2:3]
	v_cmp_eq_u32_e32 vcc, 1, v40
	v_cndmask_b32_e32 v8, v8, v9, vcc
	v_cmp_eq_u32_e32 vcc, 2, v40
	v_cndmask_b32_e32 v8, v8, v10, vcc
	;; [unrolled: 2-line block ×3, first 2 shown]
	v_cvt_f32_u32_e32 v8, v8
	v_mul_f32_e32 v9, v17, v17
	v_mul_f32_e32 v17, v17, v9
	v_mov_b32_e32 v9, 0x2f800000
	v_fmac_f32_e32 v9, 0x2f800000, v8
	v_mul_f32_e32 v1, v1, v1
	v_sub_f32_e32 v8, 1.0, v9
	v_mul_f32_e32 v9, 0xbd0793de, v1
	v_fma_f32 v9, v1, v9, 1.0
	v_cmp_nlt_f32_e32 vcc, v8, v9
	s_mov_b64 s[2:3], -1
	s_or_b64 s[26:27], s[26:27], exec
	s_and_saveexec_b64 s[28:29], vcc
	s_cbranch_execz .LBB135_18
; %bb.29:                               ;   in Loop: Header=BB135_19 Depth=2
	v_cmp_gt_f32_e32 vcc, s57, v8
	v_cndmask_b32_e32 v9, 1.0, v34, vcc
	v_mul_f32_e32 v8, v8, v9
	v_log_f32_e32 v8, v8
	s_andn2_b64 s[26:27], s[26:27], exec
	v_mul_f32_e32 v9, 0x3f317217, v8
	v_fma_f32 v10, v8, s58, -v9
	v_fmac_f32_e32 v10, 0x3377d1cf, v8
	v_add_f32_e32 v9, v9, v10
	v_cmp_lt_f32_e64 s[2:3], |v8|, s45
	v_cndmask_b32_e64 v8, v8, v9, s[2:3]
	v_cmp_gt_f32_e64 s[2:3], s57, v17
	v_cndmask_b32_e64 v9, 1.0, v34, s[2:3]
	v_mul_f32_e32 v9, v17, v9
	v_log_f32_e32 v9, v9
	v_cndmask_b32_e32 v10, 0, v35, vcc
	v_sub_f32_e32 v8, v8, v10
	v_sub_f32_e32 v10, 1.0, v17
	v_mul_f32_e32 v11, 0x3f317217, v9
	v_fma_f32 v18, v9, s58, -v11
	v_fmac_f32_e32 v18, 0x3377d1cf, v9
	v_add_f32_e32 v11, v11, v18
	v_cmp_lt_f32_e64 vcc, |v9|, s45
	v_cndmask_b32_e32 v9, v9, v11, vcc
	v_cndmask_b32_e64 v11, 0, v35, s[2:3]
	v_sub_f32_e32 v9, v9, v11
	v_add_f32_e32 v9, v10, v9
	v_mul_f32_e32 v9, v42, v9
	v_fmac_f32_e32 v9, 0.5, v1
	v_cmp_lt_f32_e32 vcc, v8, v9
	s_orn2_b64 s[2:3], vcc, exec
	s_branch .LBB135_18
.LBB135_30:                             ;   in Loop: Header=BB135_4 Depth=1
	s_or_b64 exec, exec, s[6:7]
	s_xor_b64 s[2:3], s[24:25], -1
	v_mul_f32_e32 v1, v41, v42
                                        ; implicit-def: $vgpr0
	s_and_saveexec_b64 s[6:7], s[2:3]
	s_xor_b64 s[2:3], exec, s[6:7]
; %bb.31:                               ;   in Loop: Header=BB135_4 Depth=1
	v_fma_mixlo_f16 v0, v1, v17, 0
                                        ; implicit-def: $vgpr1
; %bb.32:                               ;   in Loop: Header=BB135_4 Depth=1
	s_andn2_saveexec_b64 s[2:3], s[2:3]
	s_cbranch_execz .LBB135_2
; %bb.33:                               ;   in Loop: Header=BB135_4 Depth=1
	v_fma_mixlo_f16 v0, v1, v17, 0
	s_branch .LBB135_2
.LBB135_34:
	s_endpgm
	.section	.rodata,"a",@progbits
	.p2align	6, 0x0
	.amdhsa_kernel _ZN2at4cuda12_GLOBAL__N_121kernelPointwiseApply2IZN12_GLOBAL__N_117gamma_cuda_kernelIN3c104HalfEEEvRKNS_10TensorBaseES9_NS_15PhiloxCudaStateEEUlRS6_RKS6_E_S6_S6_jLi2ELi2ELi1ELi256ELi2EEEvNS0_6detail10TensorInfoIT0_T2_EENSG_IT1_SI_EESI_T_
		.amdhsa_group_segment_fixed_size 0
		.amdhsa_private_segment_fixed_size 0
		.amdhsa_kernarg_size 728
		.amdhsa_user_sgpr_count 6
		.amdhsa_user_sgpr_private_segment_buffer 1
		.amdhsa_user_sgpr_dispatch_ptr 0
		.amdhsa_user_sgpr_queue_ptr 0
		.amdhsa_user_sgpr_kernarg_segment_ptr 1
		.amdhsa_user_sgpr_dispatch_id 0
		.amdhsa_user_sgpr_flat_scratch_init 0
		.amdhsa_user_sgpr_kernarg_preload_length 0
		.amdhsa_user_sgpr_kernarg_preload_offset 0
		.amdhsa_user_sgpr_private_segment_size 0
		.amdhsa_uses_dynamic_stack 0
		.amdhsa_system_sgpr_private_segment_wavefront_offset 0
		.amdhsa_system_sgpr_workgroup_id_x 1
		.amdhsa_system_sgpr_workgroup_id_y 0
		.amdhsa_system_sgpr_workgroup_id_z 0
		.amdhsa_system_sgpr_workgroup_info 0
		.amdhsa_system_vgpr_workitem_id 0
		.amdhsa_next_free_vgpr 66
		.amdhsa_next_free_sgpr 68
		.amdhsa_accum_offset 68
		.amdhsa_reserve_vcc 1
		.amdhsa_reserve_flat_scratch 0
		.amdhsa_float_round_mode_32 0
		.amdhsa_float_round_mode_16_64 0
		.amdhsa_float_denorm_mode_32 3
		.amdhsa_float_denorm_mode_16_64 3
		.amdhsa_dx10_clamp 1
		.amdhsa_ieee_mode 1
		.amdhsa_fp16_overflow 0
		.amdhsa_tg_split 0
		.amdhsa_exception_fp_ieee_invalid_op 0
		.amdhsa_exception_fp_denorm_src 0
		.amdhsa_exception_fp_ieee_div_zero 0
		.amdhsa_exception_fp_ieee_overflow 0
		.amdhsa_exception_fp_ieee_underflow 0
		.amdhsa_exception_fp_ieee_inexact 0
		.amdhsa_exception_int_div_zero 0
	.end_amdhsa_kernel
	.section	.text._ZN2at4cuda12_GLOBAL__N_121kernelPointwiseApply2IZN12_GLOBAL__N_117gamma_cuda_kernelIN3c104HalfEEEvRKNS_10TensorBaseES9_NS_15PhiloxCudaStateEEUlRS6_RKS6_E_S6_S6_jLi2ELi2ELi1ELi256ELi2EEEvNS0_6detail10TensorInfoIT0_T2_EENSG_IT1_SI_EESI_T_,"axG",@progbits,_ZN2at4cuda12_GLOBAL__N_121kernelPointwiseApply2IZN12_GLOBAL__N_117gamma_cuda_kernelIN3c104HalfEEEvRKNS_10TensorBaseES9_NS_15PhiloxCudaStateEEUlRS6_RKS6_E_S6_S6_jLi2ELi2ELi1ELi256ELi2EEEvNS0_6detail10TensorInfoIT0_T2_EENSG_IT1_SI_EESI_T_,comdat
.Lfunc_end135:
	.size	_ZN2at4cuda12_GLOBAL__N_121kernelPointwiseApply2IZN12_GLOBAL__N_117gamma_cuda_kernelIN3c104HalfEEEvRKNS_10TensorBaseES9_NS_15PhiloxCudaStateEEUlRS6_RKS6_E_S6_S6_jLi2ELi2ELi1ELi256ELi2EEEvNS0_6detail10TensorInfoIT0_T2_EENSG_IT1_SI_EESI_T_, .Lfunc_end135-_ZN2at4cuda12_GLOBAL__N_121kernelPointwiseApply2IZN12_GLOBAL__N_117gamma_cuda_kernelIN3c104HalfEEEvRKNS_10TensorBaseES9_NS_15PhiloxCudaStateEEUlRS6_RKS6_E_S6_S6_jLi2ELi2ELi1ELi256ELi2EEEvNS0_6detail10TensorInfoIT0_T2_EENSG_IT1_SI_EESI_T_
                                        ; -- End function
	.section	.AMDGPU.csdata,"",@progbits
; Kernel info:
; codeLenInByte = 5372
; NumSgprs: 72
; NumVgprs: 66
; NumAgprs: 0
; TotalNumVgprs: 66
; ScratchSize: 0
; MemoryBound: 0
; FloatMode: 240
; IeeeMode: 1
; LDSByteSize: 0 bytes/workgroup (compile time only)
; SGPRBlocks: 8
; VGPRBlocks: 8
; NumSGPRsForWavesPerEU: 72
; NumVGPRsForWavesPerEU: 66
; AccumOffset: 68
; Occupancy: 7
; WaveLimiterHint : 1
; COMPUTE_PGM_RSRC2:SCRATCH_EN: 0
; COMPUTE_PGM_RSRC2:USER_SGPR: 6
; COMPUTE_PGM_RSRC2:TRAP_HANDLER: 0
; COMPUTE_PGM_RSRC2:TGID_X_EN: 1
; COMPUTE_PGM_RSRC2:TGID_Y_EN: 0
; COMPUTE_PGM_RSRC2:TGID_Z_EN: 0
; COMPUTE_PGM_RSRC2:TIDIG_COMP_CNT: 0
; COMPUTE_PGM_RSRC3_GFX90A:ACCUM_OFFSET: 16
; COMPUTE_PGM_RSRC3_GFX90A:TG_SPLIT: 0
	.section	.text._ZN2at4cuda12_GLOBAL__N_121kernelPointwiseApply2IZN12_GLOBAL__N_117gamma_cuda_kernelIN3c104HalfEEEvRKNS_10TensorBaseES9_NS_15PhiloxCudaStateEEUlRS6_RKS6_E_S6_S6_jLi2ELin1ELi1ELi256ELi2EEEvNS0_6detail10TensorInfoIT0_T2_EENSG_IT1_SI_EESI_T_,"axG",@progbits,_ZN2at4cuda12_GLOBAL__N_121kernelPointwiseApply2IZN12_GLOBAL__N_117gamma_cuda_kernelIN3c104HalfEEEvRKNS_10TensorBaseES9_NS_15PhiloxCudaStateEEUlRS6_RKS6_E_S6_S6_jLi2ELin1ELi1ELi256ELi2EEEvNS0_6detail10TensorInfoIT0_T2_EENSG_IT1_SI_EESI_T_,comdat
	.globl	_ZN2at4cuda12_GLOBAL__N_121kernelPointwiseApply2IZN12_GLOBAL__N_117gamma_cuda_kernelIN3c104HalfEEEvRKNS_10TensorBaseES9_NS_15PhiloxCudaStateEEUlRS6_RKS6_E_S6_S6_jLi2ELin1ELi1ELi256ELi2EEEvNS0_6detail10TensorInfoIT0_T2_EENSG_IT1_SI_EESI_T_ ; -- Begin function _ZN2at4cuda12_GLOBAL__N_121kernelPointwiseApply2IZN12_GLOBAL__N_117gamma_cuda_kernelIN3c104HalfEEEvRKNS_10TensorBaseES9_NS_15PhiloxCudaStateEEUlRS6_RKS6_E_S6_S6_jLi2ELin1ELi1ELi256ELi2EEEvNS0_6detail10TensorInfoIT0_T2_EENSG_IT1_SI_EESI_T_
	.p2align	8
	.type	_ZN2at4cuda12_GLOBAL__N_121kernelPointwiseApply2IZN12_GLOBAL__N_117gamma_cuda_kernelIN3c104HalfEEEvRKNS_10TensorBaseES9_NS_15PhiloxCudaStateEEUlRS6_RKS6_E_S6_S6_jLi2ELin1ELi1ELi256ELi2EEEvNS0_6detail10TensorInfoIT0_T2_EENSG_IT1_SI_EESI_T_,@function
_ZN2at4cuda12_GLOBAL__N_121kernelPointwiseApply2IZN12_GLOBAL__N_117gamma_cuda_kernelIN3c104HalfEEEvRKNS_10TensorBaseES9_NS_15PhiloxCudaStateEEUlRS6_RKS6_E_S6_S6_jLi2ELin1ELi1ELi256ELi2EEEvNS0_6detail10TensorInfoIT0_T2_EENSG_IT1_SI_EESI_T_: ; @_ZN2at4cuda12_GLOBAL__N_121kernelPointwiseApply2IZN12_GLOBAL__N_117gamma_cuda_kernelIN3c104HalfEEEvRKNS_10TensorBaseES9_NS_15PhiloxCudaStateEEUlRS6_RKS6_E_S6_S6_jLi2ELin1ELi1ELi256ELi2EEEvNS0_6detail10TensorInfoIT0_T2_EENSG_IT1_SI_EESI_T_
; %bb.0:
	s_load_dword s2, s[4:5], 0x1e4
	s_load_dword s33, s[4:5], 0x1b0
	s_add_u32 s0, s4, 0x1d8
	s_addc_u32 s1, s5, 0
	s_waitcnt lgkmcnt(0)
	s_and_b32 s2, s2, 0xffff
	s_mul_i32 s6, s6, s2
	v_add_u32_e32 v2, s6, v0
	v_cmp_gt_u32_e32 vcc, s33, v2
	s_and_saveexec_b64 s[6:7], vcc
	s_cbranch_execz .LBB136_37
; %bb.1:
	s_load_dwordx2 s[12:13], s[4:5], 0x1c8
	s_load_dwordx4 s[8:11], s[4:5], 0x1b8
	s_load_dword s22, s[4:5], 0x1a8
	s_load_dwordx2 s[14:15], s[4:5], 0x0
	s_load_dword s36, s[4:5], 0xc
	s_load_dword s39, s[0:1], 0x0
	;; [unrolled: 1-line block ×4, first 2 shown]
	s_add_u32 s6, s4, 0xd8
	s_waitcnt lgkmcnt(0)
	v_cvt_f32_u32_e32 v0, s36
	s_addc_u32 s7, s5, 0
	s_cmp_gt_i32 s22, 1
	s_cselect_b64 s[0:1], -1, 0
	v_rcp_iflag_f32_e32 v0, v0
	s_bitcmp1_b32 s3, 0
	s_cselect_b64 s[20:21], -1, 0
	s_mul_i32 s39, s39, s2
	v_mul_f32_e32 v0, 0x4f7ffffe, v0
	v_cvt_u32_f32_e32 v0, v0
	s_sub_i32 s2, 0, s36
	s_load_dwordx2 s[16:17], s[4:5], 0x6c
	s_load_dwordx2 s[18:19], s[4:5], 0xd8
	s_mov_b32 s3, 0
	v_mul_lo_u32 v1, s2, v0
	s_add_i32 s2, s22, -1
	s_add_i32 s40, s22, 1
	s_lshl_b64 s[2:3], s[2:3], 2
	s_mov_b32 s38, 0xcd9e8d57
	s_add_u32 s2, s2, s6
	v_mad_u64_u32 v[20:21], s[4:5], v2, s38, 0
	v_mul_hi_u32 v1, v0, v1
	s_addc_u32 s3, s3, s7
	v_mov_b32_e32 v22, v21
	v_add_u32_e32 v21, v0, v1
	s_add_u32 s22, s2, 8
	v_cndmask_b32_e64 v0, 0, 1, s[0:1]
	v_mov_b32_e32 v3, 0
	s_addc_u32 s23, s3, 0
	s_mov_b64 s[24:25], 0
	v_cmp_ne_u32_e64 s[0:1], 1, v0
	s_waitcnt lgkmcnt(0)
	v_mov_b32_e32 v23, s19
	s_mov_b32 s19, 0xd2511f53
	s_mov_b32 s41, 0x3f2aaaab
	v_mov_b32_e32 v28, 0x3ecccdef
	s_mov_b32 s42, 0x3f317218
	s_movk_i32 s43, 0x204
	s_mov_b32 s44, 0x7f800000
	s_mov_b32 s45, 0x42b17218
	;; [unrolled: 1-line block ×4, first 2 shown]
	s_brev_b32 s48, -2
	s_mov_b32 s49, 0xf800000
	v_mov_b32_e32 v29, 0x260
	s_mov_b32 s50, 0x3c6ef372
	s_mov_b32 s51, 0x76cf5d0a
	;; [unrolled: 1-line block ×10, first 2 shown]
	s_movk_i32 s60, 0x400
	s_mov_b32 s61, 0xbb67ae85
	s_mov_b32 s62, 0xdaa66d2b
	s_mov_b32 s63, 0xed9eba14
	s_mov_b32 s64, 0xa9066899
	s_mov_b32 s65, 0xb54cda56
	s_mov_b32 s66, 0xf1bbcdc8
	s_mov_b32 s67, 0xdb3d7428
	v_mov_b32_e32 v30, 0x37000000
	v_mov_b32_e32 v31, 0x7f800000
	;; [unrolled: 1-line block ×7, first 2 shown]
	s_branch .LBB136_4
.LBB136_2:                              ;   in Loop: Header=BB136_4 Depth=1
	s_or_b64 exec, exec, s[2:3]
.LBB136_3:                              ;   in Loop: Header=BB136_4 Depth=1
	s_or_b64 exec, exec, s[4:5]
	v_lshlrev_b64 v[4:5], 1, v[24:25]
	v_mov_b32_e32 v1, s15
	v_add_co_u32_e32 v4, vcc, s14, v4
	v_addc_co_u32_e32 v5, vcc, v1, v5, vcc
	v_cmp_ngt_f16_e32 vcc, s60, v0
	v_add_u32_e32 v36, s39, v36
	v_cndmask_b32_e32 v0, v35, v0, vcc
	v_cmp_le_u32_e32 vcc, s33, v36
	s_or_b64 s[24:25], vcc, s[24:25]
	global_store_short v[4:5], v0, off
	s_andn2_b64 exec, exec, s[24:25]
	s_cbranch_execz .LBB136_37
.LBB136_4:                              ; =>This Loop Header: Depth=1
                                        ;     Child Loop BB136_9 Depth 2
                                        ;     Child Loop BB136_22 Depth 2
	v_sub_u32_e32 v0, s33, v36
	v_cmp_lt_i32_e32 vcc, 0, v0
	v_pk_mov_b32 v[0:1], 0, 0
	v_pk_mov_b32 v[24:25], v[0:1], v[0:1] op_sel:[0,1]
	s_and_saveexec_b64 s[4:5], vcc
	s_cbranch_execz .LBB136_6
; %bb.5:                                ;   in Loop: Header=BB136_4 Depth=1
	v_mul_hi_u32 v4, v36, v21
	v_mul_lo_u32 v5, v4, s36
	v_sub_u32_e32 v5, v36, v5
	v_add_u32_e32 v6, 1, v4
	v_cmp_le_u32_e64 s[2:3], s36, v5
	v_cndmask_b32_e64 v4, v4, v6, s[2:3]
	v_subrev_u32_e32 v6, s36, v5
	v_cndmask_b32_e64 v5, v5, v6, s[2:3]
	v_add_u32_e32 v6, 1, v4
	v_cmp_le_u32_e64 s[2:3], s36, v5
	v_cndmask_b32_e64 v5, v4, v6, s[2:3]
	v_mul_lo_u32 v4, v5, s36
	v_sub_u32_e32 v4, v36, v4
	v_mul_lo_u32 v4, v4, s17
	v_mad_u64_u32 v[24:25], s[2:3], v5, s16, v[4:5]
	v_mov_b32_e32 v25, v3
.LBB136_6:                              ;   in Loop: Header=BB136_4 Depth=1
	s_or_b64 exec, exec, s[4:5]
	s_and_saveexec_b64 s[2:3], vcc
	s_cbranch_execz .LBB136_11
; %bb.7:                                ;   in Loop: Header=BB136_4 Depth=1
	s_and_b64 vcc, exec, s[0:1]
	v_mov_b32_e32 v0, 0
	v_mov_b32_e32 v4, v36
	s_cbranch_vccnz .LBB136_10
; %bb.8:                                ;   in Loop: Header=BB136_4 Depth=1
	v_mov_b32_e32 v0, 0
	s_mov_b64 s[4:5], s[22:23]
	s_mov_b32 s6, s40
	v_mov_b32_e32 v4, v36
.LBB136_9:                              ;   Parent Loop BB136_4 Depth=1
                                        ; =>  This Inner Loop Header: Depth=2
	s_load_dword s7, s[4:5], 0x0
	s_load_dword s26, s[4:5], 0x64
	v_mov_b32_e32 v1, v4
	s_add_i32 s6, s6, -1
	s_waitcnt lgkmcnt(0)
	v_cvt_f32_u32_e32 v4, s7
	s_sub_i32 s27, 0, s7
	s_add_u32 s4, s4, -4
	s_addc_u32 s5, s5, -1
	v_rcp_iflag_f32_e32 v4, v4
	s_cmp_gt_u32 s6, 2
	v_mul_f32_e32 v4, 0x4f7ffffe, v4
	v_cvt_u32_f32_e32 v4, v4
	v_mul_lo_u32 v5, s27, v4
	v_mul_hi_u32 v5, v4, v5
	v_add_u32_e32 v4, v4, v5
	v_mul_hi_u32 v4, v1, v4
	v_mul_lo_u32 v5, v4, s7
	v_sub_u32_e32 v5, v1, v5
	v_add_u32_e32 v6, 1, v4
	v_cmp_le_u32_e32 vcc, s7, v5
	v_cndmask_b32_e32 v4, v4, v6, vcc
	v_subrev_u32_e32 v6, s7, v5
	v_cndmask_b32_e32 v5, v5, v6, vcc
	v_add_u32_e32 v6, 1, v4
	v_cmp_le_u32_e32 vcc, s7, v5
	v_cndmask_b32_e32 v4, v4, v6, vcc
	v_mul_lo_u32 v5, v4, s7
	v_sub_u32_e32 v1, v1, v5
	v_mad_u64_u32 v[0:1], s[26:27], s26, v1, v[0:1]
	s_cbranch_scc1 .LBB136_9
.LBB136_10:                             ;   in Loop: Header=BB136_4 Depth=1
	v_mad_u64_u32 v[0:1], s[4:5], s37, v4, v[0:1]
	v_mov_b32_e32 v1, v3
.LBB136_11:                             ;   in Loop: Header=BB136_4 Depth=1
	s_or_b64 exec, exec, s[2:3]
	v_lshlrev_b64 v[0:1], 1, v[0:1]
	v_add_co_u32_e32 v0, vcc, s18, v0
	v_addc_co_u32_e32 v1, vcc, v23, v1, vcc
	global_load_ushort v41, v[0:1], off
	s_andn2_b64 vcc, exec, s[20:21]
	v_pk_mov_b32 v[0:1], s[10:11], s[10:11] op_sel:[0,1]
	v_pk_mov_b32 v[26:27], s[8:9], s[8:9] op_sel:[0,1]
	s_cbranch_vccnz .LBB136_13
; %bb.12:                               ;   in Loop: Header=BB136_4 Depth=1
	v_pk_mov_b32 v[0:1], s[10:11], s[10:11] op_sel:[0,1]
	flat_load_dwordx2 v[0:1], v[0:1]
	v_pk_mov_b32 v[4:5], s[8:9], s[8:9] op_sel:[0,1]
	flat_load_dwordx2 v[26:27], v[4:5]
	v_mov_b32_e32 v4, s13
	s_waitcnt vmcnt(0) lgkmcnt(0)
	v_add_co_u32_e32 v0, vcc, s12, v0
	v_addc_co_u32_e32 v1, vcc, v1, v4, vcc
.LBB136_13:                             ;   in Loop: Header=BB136_4 Depth=1
	v_and_b32_e32 v39, 3, v0
	v_alignbit_b32 v0, v1, v0, 2
	v_mad_u64_u32 v[6:7], s[2:3], v0, s19, 0
	v_lshrrev_b32_e32 v1, 2, v1
	v_xor_b32_e32 v5, v7, v27
	v_xor_b32_e32 v7, v22, v26
	v_mov_b32_e32 v4, v27
	v_xor_b32_e32 v7, v7, v1
	v_mad_u64_u32 v[10:11], s[2:3], v5, s38, 0
	v_add_co_u32_e32 v43, vcc, 0x9e3779b9, v26
	v_add_co_u32_e32 v42, vcc, s61, v4
	v_mad_u64_u32 v[8:9], s[2:3], v7, s19, 0
	v_xor_b32_e32 v5, v20, v11
	v_xor_b32_e32 v5, v5, v43
	v_xor_b32_e32 v7, v42, v9
	v_xor_b32_e32 v9, v7, v6
	v_add_co_u32_e32 v44, vcc, s51, v4
	v_mad_u64_u32 v[6:7], s[2:3], v5, s19, 0
	v_add_co_u32_e32 v45, vcc, s50, v26
	v_mad_u64_u32 v[12:13], s[2:3], v9, s38, 0
	v_xor_b32_e32 v7, v44, v7
	v_xor_b32_e32 v5, v45, v13
	v_xor_b32_e32 v7, v7, v8
	v_xor_b32_e32 v5, v5, v10
	v_add_co_u32_e32 v47, vcc, s62, v26
	v_mad_u64_u32 v[10:11], s[2:3], v7, s38, 0
	;; [unrolled: 8-line block ×7, first 2 shown]
	v_add_co_u32_e32 v57, vcc, s66, v26
	v_mad_u64_u32 v[6:7], s[2:3], v6, s38, 0
	v_xor_b32_e32 v5, v56, v5
	v_xor_b32_e32 v7, v57, v7
	;; [unrolled: 1-line block ×4, first 2 shown]
	v_mad_u64_u32 v[18:19], s[2:3], v5, s38, 0
	v_mad_u64_u32 v[16:17], s[2:3], v7, s19, 0
	v_xor_b32_e32 v5, v19, v6
	s_waitcnt vmcnt(0)
	v_cvt_f32_f16_e32 v19, v41
	v_add_u32_e32 v37, 0x8ff34781, v26
	v_add_u32_e32 v38, 0x96a522ad, v27
	v_xor_b32_e32 v4, v17, v4
	v_xor_b32_e32 v8, v37, v5
	;; [unrolled: 1-line block ×3, first 2 shown]
	v_pk_mov_b32 v[6:7], v[2:3], v[2:3] op_sel:[0,1]
	v_mov_b32_e32 v9, v18
	v_mov_b32_e32 v11, v16
	v_cmp_gt_f16_e32 vcc, 1.0, v41
	s_mov_b64 s[2:3], -1
	v_mov_b32_e32 v40, 1.0
	v_pk_mov_b32 v[4:5], v[0:1], v[0:1] op_sel:[0,1]
                                        ; implicit-def: $sgpr4
	s_and_saveexec_b64 s[26:27], vcc
	s_cbranch_execz .LBB136_19
; %bb.14:                               ;   in Loop: Header=BB136_4 Depth=1
	v_cmp_neq_f16_e32 vcc, 0, v41
	s_mov_b64 s[30:31], 0
	v_mov_b32_e32 v40, 1.0
                                        ; implicit-def: $vgpr4_vgpr5_vgpr6_vgpr7
	s_and_saveexec_b64 s[28:29], vcc
	s_cbranch_execz .LBB136_18
; %bb.15:                               ;   in Loop: Header=BB136_4 Depth=1
	v_add_u32_e32 v17, 1, v39
	v_pk_mov_b32 v[14:15], v[10:11], v[10:11] op_sel:[0,1]
	v_pk_mov_b32 v[6:7], v[2:3], v[2:3] op_sel:[0,1]
	v_cmp_eq_u32_e32 vcc, 4, v17
	v_pk_mov_b32 v[12:13], v[8:9], v[8:9] op_sel:[0,1]
	v_pk_mov_b32 v[4:5], v[0:1], v[0:1] op_sel:[0,1]
	s_and_saveexec_b64 s[2:3], vcc
	s_cbranch_execz .LBB136_17
; %bb.16:                               ;   in Loop: Header=BB136_4 Depth=1
	v_add_co_u32_e32 v4, vcc, 1, v0
	v_cndmask_b32_e64 v0, 0, 1, vcc
	v_addc_co_u32_e32 v5, vcc, 0, v1, vcc
	v_cmp_eq_u32_e32 vcc, 0, v5
	v_cndmask_b32_e32 v0, 0, v0, vcc
	v_add_u32_e32 v6, v0, v2
	v_cmp_eq_u32_e32 vcc, 0, v6
	v_cndmask_b32_e32 v7, 0, v0, vcc
	v_mad_u64_u32 v[0:1], s[4:5], v4, s19, 0
	v_mad_u64_u32 v[12:13], s[4:5], v6, s38, 0
	v_xor_b32_e32 v9, v13, v26
	v_xor_b32_e32 v1, v1, v27
	v_xor_b32_e32 v9, v5, v9
	v_xor_b32_e32 v1, v7, v1
	v_mad_u64_u32 v[14:15], s[4:5], v9, s19, 0
	v_mad_u64_u32 v[58:59], s[4:5], v1, s38, 0
	v_xor_b32_e32 v1, v43, v59
	v_xor_b32_e32 v9, v42, v15
	v_xor_b32_e32 v1, v1, v12
	v_xor_b32_e32 v9, v9, v0
	;; [unrolled: 6-line block ×9, first 2 shown]
	v_mad_u64_u32 v[42:43], s[4:5], v9, s19, 0
	v_mad_u64_u32 v[44:45], s[4:5], v1, s38, 0
	v_xor_b32_e32 v1, v45, v12
	v_xor_b32_e32 v0, v43, v0
	v_mov_b32_e32 v17, 0
	v_xor_b32_e32 v12, v37, v1
	v_xor_b32_e32 v14, v38, v0
	v_mov_b32_e32 v13, v44
	v_mov_b32_e32 v15, v42
.LBB136_17:                             ;   in Loop: Header=BB136_4 Depth=1
	s_or_b64 exec, exec, s[2:3]
	v_cmp_eq_u32_e32 vcc, 1, v39
	v_cndmask_b32_e32 v0, v8, v18, vcc
	v_cmp_eq_u32_e32 vcc, 2, v39
	v_cndmask_b32_e32 v0, v0, v10, vcc
	;; [unrolled: 2-line block ×3, first 2 shown]
	v_div_scale_f32 v1, s[2:3], v19, v19, 1.0
	v_cvt_f32_u32_e32 v0, v0
	v_rcp_f32_e32 v8, v1
	v_mov_b32_e32 v9, 0x2f800000
	s_mov_b64 s[30:31], exec
	v_fmac_f32_e32 v9, 0x2f800000, v0
	v_fma_f32 v0, -v1, v8, 1.0
	v_fmac_f32_e32 v8, v0, v8
	v_div_scale_f32 v0, vcc, 1.0, v19, 1.0
	v_sub_f32_e32 v40, 1.0, v9
	v_mul_f32_e32 v9, v0, v8
	v_fma_f32 v10, -v1, v9, v0
	v_fmac_f32_e32 v9, v10, v8
	v_fma_f32 v0, -v1, v9, v0
	v_div_fmas_f32 v0, v0, v8, v9
	v_div_fixup_f32 v50, v0, v19, 1.0
	v_cmp_eq_f32_e32 vcc, 1.0, v40
	v_cndmask_b32_e64 v51, v50, 1.0, vcc
	v_cmp_eq_f32_e64 s[2:3], 0, v51
	v_cndmask_b32_e64 v52, |v40|, 1.0, s[2:3]
	v_frexp_mant_f32_e32 v0, v52
	v_cmp_gt_f32_e64 s[4:5], s41, v0
	v_cndmask_b32_e64 v1, 1.0, 2.0, s[4:5]
	v_mul_f32_e32 v0, v0, v1
	v_add_f32_e32 v9, 1.0, v0
	v_rcp_f32_e32 v16, v9
	v_add_f32_e32 v1, -1.0, v9
	v_sub_f32_e32 v11, v0, v1
	v_add_f32_e32 v1, -1.0, v0
	v_mul_f32_e32 v39, v1, v16
	v_mul_f32_e32 v8, v9, v39
	v_fma_f32 v10, v39, v9, -v8
	v_fmac_f32_e32 v10, v39, v11
	v_add_f32_e32 v0, v8, v10
	v_sub_f32_e32 v9, v1, v0
	v_pk_add_f32 v[18:19], v[0:1], v[8:9] neg_lo:[0,1] neg_hi:[0,1]
	v_mov_b32_e32 v11, v0
	v_pk_add_f32 v[0:1], v[18:19], v[10:11] neg_lo:[0,1] neg_hi:[0,1]
	v_add_f32_e32 v0, v0, v1
	v_add_f32_e32 v0, v9, v0
	v_mul_f32_e32 v1, v16, v0
	v_add_f32_e32 v0, v39, v1
	v_sub_f32_e32 v8, v0, v39
	v_sub_f32_e32 v16, v1, v8
	v_mul_f32_e32 v1, v0, v0
	v_fma_f32 v9, v0, v0, -v1
	v_add_f32_e32 v8, v16, v16
	v_fmac_f32_e32 v9, v0, v8
	v_add_f32_e32 v8, v1, v9
	v_mov_b32_e32 v10, 0x3e91f4c4
	v_fmac_f32_e32 v10, 0x3e76c4e1, v8
	v_fma_f32 v10, v8, v10, v28
	v_sub_f32_e32 v1, v8, v1
	v_sub_f32_e32 v39, v9, v1
	v_mul_f32_e32 v1, v8, v10
	v_fma_f32 v9, v8, v10, -v1
	v_fmac_f32_e32 v9, v39, v10
	v_add_f32_e32 v10, v1, v9
	v_add_f32_e32 v11, 0x3f2aaaaa, v10
	v_sub_f32_e32 v1, v10, v1
	v_sub_f32_e32 v1, v9, v1
	v_add_f32_e32 v9, 0xbf2aaaaa, v11
	v_add_f32_e32 v1, 0x31739010, v1
	v_sub_f32_e32 v9, v10, v9
	v_pk_mul_f32 v[18:19], v[0:1], v[8:9]
	v_fma_f32 v10, v8, v0, -v18
	v_pk_add_f32 v[42:43], v[0:1], v[8:9]
	v_fmac_f32_e32 v10, v8, v16
	v_mov_b32_e32 v19, v43
	v_fmac_f32_e32 v10, v39, v0
	v_pk_add_f32 v[8:9], v[18:19], v[10:11]
	v_sub_f32_e32 v1, v8, v18
	v_sub_f32_e32 v1, v10, v1
	;; [unrolled: 1-line block ×3, first 2 shown]
	v_add_f32_e32 v39, v43, v10
	v_mov_b32_e32 v10, v9
	v_pk_mul_f32 v[10:11], v[8:9], v[10:11]
	v_cvt_f64_f32_e32 v[18:19], v52
	v_frexp_exp_i32_f64_e32 v11, v[18:19]
	v_subbrev_co_u32_e64 v11, s[4:5], 0, v11, s[4:5]
	v_cvt_f32_i32_e32 v11, v11
	v_fma_f32 v18, v8, v9, -v10
	v_fmac_f32_e32 v18, v8, v39
	v_fmac_f32_e32 v18, v1, v9
	v_mul_f32_e32 v8, 0x3f317218, v11
	v_fma_f32 v42, v11, s42, -v8
	v_fmac_f32_e32 v42, 0xb102e308, v11
	v_ldexp_f32 v43, v0, 1
	v_add_f32_e32 v9, v10, v18
	v_pk_add_f32 v[0:1], v[8:9], v[42:43]
	v_mov_b32_e32 v44, v9
	v_mov_b32_e32 v45, v1
	;; [unrolled: 1-line block ×3, first 2 shown]
	v_pk_add_f32 v[10:11], v[44:45], v[10:11] neg_lo:[0,1] neg_hi:[0,1]
	v_mov_b32_e32 v19, v9
	v_ldexp_f32 v16, v16, 1
	v_pk_add_f32 v[10:11], v[18:19], v[10:11] neg_lo:[0,1] neg_hi:[0,1]
	v_add_f32_e32 v9, v16, v10
	v_add_f32_e32 v9, v9, v11
	v_pk_add_f32 v[10:11], v[0:1], v[8:9] neg_lo:[0,1] neg_hi:[0,1]
	v_pk_add_f32 v[18:19], v[0:1], v[8:9]
	v_mov_b32_e32 v44, v10
	v_mov_b32_e32 v45, v19
	;; [unrolled: 1-line block ×3, first 2 shown]
	v_pk_add_f32 v[44:45], v[42:43], v[44:45]
	v_mov_b32_e32 v8, v45
	v_pk_add_f32 v[46:47], v[8:9], v[0:1] neg_lo:[0,1] neg_hi:[0,1]
	v_mov_b32_e32 v39, v46
	v_mov_b32_e32 v44, v19
	;; [unrolled: 1-line block ×4, first 2 shown]
	v_pk_add_f32 v[10:11], v[42:43], v[10:11] neg_lo:[0,1] neg_hi:[0,1]
	v_pk_add_f32 v[48:49], v[18:19], v[38:39] neg_lo:[0,1] neg_hi:[0,1]
	;; [unrolled: 1-line block ×3, first 2 shown]
	v_mov_b32_e32 v42, v9
	v_pk_add_f32 v[0:1], v[42:43], v[0:1] neg_lo:[0,1] neg_hi:[0,1]
	v_mov_b32_e32 v48, v10
	v_pk_add_f32 v[18:19], v[48:49], v[0:1]
	v_mov_b32_e32 v16, v19
	v_pk_add_f32 v[42:43], v[18:19], v[16:17]
	v_pk_add_f32 v[8:9], v[8:9], v[42:43]
	v_mov_b32_e32 v11, v45
	v_mov_b32_e32 v19, v8
	v_pk_add_f32 v[44:45], v[18:19], v[10:11] neg_lo:[0,1] neg_hi:[0,1]
	v_mov_b32_e32 v1, v42
	v_sub_f32_e32 v9, v18, v44
	v_pk_add_f32 v[0:1], v[0:1], v[44:45] neg_lo:[0,1] neg_hi:[0,1]
	v_sub_f32_e32 v9, v10, v9
	v_add_f32_e32 v0, v0, v9
	v_add_f32_e32 v0, v0, v1
	;; [unrolled: 1-line block ×3, first 2 shown]
	v_sub_f32_e32 v8, v1, v8
	v_sub_f32_e32 v0, v0, v8
	v_mul_f32_e32 v8, v51, v1
	v_fma_f32 v1, v51, v1, -v8
	v_fmac_f32_e32 v1, v51, v0
	v_add_f32_e32 v0, v8, v1
	v_cmp_class_f32_e64 s[4:5], v8, s43
	v_sub_f32_e32 v9, v0, v8
	v_cndmask_b32_e64 v0, v0, v8, s[4:5]
	v_cmp_eq_f32_e64 s[4:5], s45, v0
	v_cndmask_b32_e64 v8, 0, v30, s[4:5]
	v_sub_f32_e32 v1, v1, v9
	v_sub_f32_e32 v9, v0, v8
	v_mul_f32_e32 v10, 0x3fb8aa3b, v9
	v_fma_f32 v11, v9, s46, -v10
	v_rndne_f32_e32 v16, v10
	v_fmac_f32_e32 v11, 0x32a5705f, v9
	v_sub_f32_e32 v10, v10, v16
	v_add_f32_e32 v10, v10, v11
	v_exp_f32_e32 v10, v10
	v_cvt_i32_f32_e32 v11, v16
	v_cmp_neq_f32_e64 s[4:5], |v0|, s44
	v_cndmask_b32_e64 v0, 0, v1, s[4:5]
	v_cmp_ngt_f32_e64 s[4:5], s47, v9
	v_ldexp_f32 v1, v10, v11
	v_cndmask_b32_e64 v1, 0, v1, s[4:5]
	v_cmp_nlt_f32_e64 s[4:5], s45, v9
	v_add_f32_e32 v0, v8, v0
	v_cndmask_b32_e64 v1, v31, v1, s[4:5]
	v_fma_f32 v0, v1, v0, v1
	v_cmp_class_f32_e64 s[4:5], v1, s43
	v_trunc_f32_e32 v8, v51
	v_cndmask_b32_e64 v0, v0, v1, s[4:5]
	v_cndmask_b32_e64 v1, v40, 1.0, s[2:3]
	v_cmp_eq_f32_e64 s[2:3], v8, v51
	v_mul_f32_e32 v8, 0.5, v51
	v_trunc_f32_e32 v9, v8
	v_cmp_neq_f32_e64 s[4:5], v9, v8
	s_and_b64 s[4:5], s[2:3], s[4:5]
	v_cndmask_b32_e64 v8, 1.0, v1, s[4:5]
	v_bfi_b32 v0, s48, v0, v8
	v_cndmask_b32_e64 v8, v32, v0, s[2:3]
	v_cmp_gt_f32_e64 s[2:3], 0, v1
	v_cndmask_b32_e64 v0, v0, v8, s[2:3]
	v_cndmask_b32_e64 v8, |v50|, 1.0, vcc
	v_cmp_neq_f32_e32 vcc, v51, v8
	v_cmp_gt_f32_e64 s[2:3], 1.0, v52
	s_xor_b64 s[2:3], vcc, s[2:3]
	v_cndmask_b32_e64 v9, v8, 0, s[2:3]
	v_cmp_eq_f32_e64 s[2:3], 0, v1
	v_cmp_gt_f32_e64 s[6:7], 0, v51
	v_cmp_eq_f32_e32 vcc, 1.0, v52
	s_xor_b64 s[6:7], s[6:7], s[2:3]
	v_cndmask_b32_e32 v9, v9, v52, vcc
	v_cmp_eq_f32_e32 vcc, s44, v8
	v_cndmask_b32_e64 v8, v31, 0, s[6:7]
	v_cndmask_b32_e64 v1, 0, v1, s[4:5]
	v_bfi_b32 v1, s48, v8, v1
	v_add_f16_e32 v8, 1.0, v41
	v_cvt_f32_f16_e32 v19, v8
	v_cndmask_b32_e32 v0, v0, v9, vcc
	v_cmp_eq_f32_e32 vcc, s44, v52
	s_or_b64 vcc, vcc, s[2:3]
	v_pk_mov_b32 v[8:9], v[12:13], v[12:13] op_sel:[0,1]
	v_cndmask_b32_e32 v40, v0, v1, vcc
	v_pk_mov_b32 v[10:11], v[14:15], v[14:15] op_sel:[0,1]
	v_mov_b32_e32 v39, v17
.LBB136_18:                             ;   in Loop: Header=BB136_4 Depth=1
	s_or_b64 exec, exec, s[28:29]
	s_mov_b32 s4, 0
	s_orn2_b64 s[2:3], s[30:31], exec
.LBB136_19:                             ;   in Loop: Header=BB136_4 Depth=1
	s_or_b64 exec, exec, s[26:27]
	v_mov_b32_e32 v0, s4
	s_and_saveexec_b64 s[4:5], s[2:3]
	s_cbranch_execz .LBB136_3
; %bb.20:                               ;   in Loop: Header=BB136_4 Depth=1
	v_add_f32_e32 v41, 0xbeaaaaab, v19
	v_mul_f32_e32 v0, 0x41100000, v41
	v_mul_f32_e32 v1, 0x4f800000, v0
	v_cmp_gt_f32_e32 vcc, s49, v0
	v_cndmask_b32_e32 v0, v0, v1, vcc
	v_sqrt_f32_e32 v1, v0
	v_add_u32_e32 v43, 0x9e3779b9, v26
	v_add_u32_e32 v44, 0xbb67ae85, v27
	v_add_u32_e32 v45, 0x3c6ef372, v26
	v_add_u32_e32 v12, -1, v1
	v_fma_f32 v14, -v12, v1, v0
	v_add_u32_e32 v13, 1, v1
	v_cmp_ge_f32_e64 s[2:3], 0, v14
	v_cndmask_b32_e64 v12, v1, v12, s[2:3]
	v_fma_f32 v1, -v13, v1, v0
	v_cmp_lt_f32_e64 s[2:3], 0, v1
	v_cndmask_b32_e64 v1, v12, v13, s[2:3]
	v_mul_f32_e32 v12, 0x37800000, v1
	v_cndmask_b32_e32 v1, v1, v12, vcc
	v_cmp_class_f32_e32 vcc, v0, v29
	v_cndmask_b32_e32 v0, v1, v0, vcc
	v_div_scale_f32 v1, s[2:3], v0, v0, 1.0
	v_rcp_f32_e32 v12, v1
	v_add_u32_e32 v46, 0x76cf5d0a, v27
	v_add_u32_e32 v47, 0xdaa66d2b, v26
	;; [unrolled: 1-line block ×3, first 2 shown]
	v_fma_f32 v13, -v1, v12, 1.0
	v_fmac_f32_e32 v12, v13, v12
	v_div_scale_f32 v13, vcc, 1.0, v0, 1.0
	v_mul_f32_e32 v14, v13, v12
	v_fma_f32 v15, -v1, v14, v13
	v_fmac_f32_e32 v14, v15, v12
	v_fma_f32 v1, -v1, v14, v13
	v_div_fmas_f32 v1, v1, v12, v14
	v_div_fixup_f32 v42, v1, v0, 1.0
	v_add_u32_e32 v49, 0x78dde6e4, v26
	v_add_u32_e32 v50, 0xed9eba14, v27
	;; [unrolled: 1-line block ×10, first 2 shown]
	s_mov_b64 s[6:7], 0
	v_mov_b32_e32 v59, 0
	s_mov_b64 s[30:31], 0
                                        ; implicit-def: $sgpr26_sgpr27
                                        ; implicit-def: $sgpr28_sgpr29
                                        ; implicit-def: $vgpr0
	s_branch .LBB136_22
.LBB136_21:                             ;   in Loop: Header=BB136_22 Depth=2
	s_or_b64 exec, exec, s[30:31]
	s_and_b64 s[2:3], exec, s[2:3]
	s_or_b64 s[6:7], s[2:3], s[6:7]
	s_andn2_b64 s[2:3], s[26:27], exec
	s_and_b64 s[26:27], s[28:29], exec
	v_pk_mov_b32 v[8:9], v[12:13], v[12:13] op_sel:[0,1]
	s_or_b64 s[26:27], s[2:3], s[26:27]
	s_mov_b64 s[30:31], 0
	v_mov_b32_e32 v39, v16
	v_pk_mov_b32 v[10:11], v[14:15], v[14:15] op_sel:[0,1]
	s_andn2_b64 exec, exec, s[6:7]
	s_cbranch_execz .LBB136_33
.LBB136_22:                             ;   Parent Loop BB136_4 Depth=1
                                        ; =>  This Inner Loop Header: Depth=2
	v_cmp_eq_u32_e32 vcc, 0, v59
	v_mov_b32_e32 v1, v0
	v_mov_b32_e32 v59, 0
	s_and_saveexec_b64 s[34:35], vcc
	s_cbranch_execz .LBB136_28
; %bb.23:                               ;   in Loop: Header=BB136_22 Depth=2
	v_add_u32_e32 v0, 1, v39
	v_pk_mov_b32 v[14:15], v[10:11], v[10:11] op_sel:[0,1]
	v_cmp_eq_u32_e32 vcc, 4, v0
	v_pk_mov_b32 v[12:13], v[8:9], v[8:9] op_sel:[0,1]
	s_and_saveexec_b64 s[2:3], vcc
	s_cbranch_execz .LBB136_25
; %bb.24:                               ;   in Loop: Header=BB136_22 Depth=2
	v_add_co_u32_e32 v4, vcc, 1, v4
	v_cndmask_b32_e64 v1, 0, 1, vcc
	v_addc_co_u32_e32 v5, vcc, 0, v5, vcc
	v_cmp_eq_u32_e32 vcc, 0, v5
	v_cndmask_b32_e32 v1, 0, v1, vcc
	v_add_u32_e32 v6, v1, v6
	v_cmp_eq_u32_e32 vcc, 0, v6
	v_cndmask_b32_e32 v1, 0, v1, vcc
	v_mad_u64_u32 v[12:13], s[68:69], v4, s19, 0
	v_mad_u64_u32 v[14:15], s[68:69], v6, s38, 0
	v_add_u32_e32 v7, v1, v7
	v_xor_b32_e32 v1, v15, v26
	v_xor_b32_e32 v13, v13, v27
	v_xor_b32_e32 v1, v5, v1
	v_xor_b32_e32 v13, v7, v13
	v_mad_u64_u32 v[16:17], s[68:69], v1, s19, 0
	v_mad_u64_u32 v[18:19], s[68:69], v13, s38, 0
	v_xor_b32_e32 v1, v19, v14
	v_xor_b32_e32 v12, v17, v12
	v_xor_b32_e32 v1, v43, v1
	v_xor_b32_e32 v14, v44, v12
	v_mad_u64_u32 v[12:13], s[68:69], v1, s19, 0
	v_mad_u64_u32 v[14:15], s[68:69], v14, s38, 0
	;; [unrolled: 6-line block ×9, first 2 shown]
	v_xor_b32_e32 v1, v19, v12
	v_xor_b32_e32 v12, v37, v1
	;; [unrolled: 1-line block ×3, first 2 shown]
	v_mov_b32_e32 v0, 0
	v_xor_b32_e32 v14, v38, v1
	v_mov_b32_e32 v13, v18
	v_mov_b32_e32 v15, v16
.LBB136_25:                             ;   in Loop: Header=BB136_22 Depth=2
	s_or_b64 exec, exec, s[2:3]
	v_add_u32_e32 v60, 1, v0
	v_pk_mov_b32 v[18:19], v[14:15], v[14:15] op_sel:[0,1]
	v_cmp_eq_u32_e32 vcc, 4, v60
	v_pk_mov_b32 v[16:17], v[12:13], v[12:13] op_sel:[0,1]
	s_and_saveexec_b64 s[2:3], vcc
	s_cbranch_execz .LBB136_27
; %bb.26:                               ;   in Loop: Header=BB136_22 Depth=2
	v_add_co_u32_e32 v4, vcc, 1, v4
	v_cndmask_b32_e64 v1, 0, 1, vcc
	v_addc_co_u32_e32 v5, vcc, 0, v5, vcc
	v_cmp_eq_u32_e32 vcc, 0, v5
	v_cndmask_b32_e32 v1, 0, v1, vcc
	v_add_u32_e32 v6, v1, v6
	v_cmp_eq_u32_e32 vcc, 0, v6
	v_cndmask_b32_e32 v1, 0, v1, vcc
	v_mad_u64_u32 v[16:17], s[68:69], v4, s19, 0
	v_mad_u64_u32 v[18:19], s[68:69], v6, s38, 0
	v_add_u32_e32 v7, v1, v7
	v_xor_b32_e32 v1, v19, v26
	v_xor_b32_e32 v17, v17, v27
	v_xor_b32_e32 v1, v5, v1
	v_xor_b32_e32 v17, v7, v17
	v_mad_u64_u32 v[62:63], s[68:69], v1, s19, 0
	v_mad_u64_u32 v[64:65], s[68:69], v17, s38, 0
	v_xor_b32_e32 v1, v65, v18
	v_xor_b32_e32 v16, v63, v16
	v_xor_b32_e32 v1, v43, v1
	v_xor_b32_e32 v18, v44, v16
	v_mad_u64_u32 v[16:17], s[68:69], v1, s19, 0
	v_mad_u64_u32 v[18:19], s[68:69], v18, s38, 0
	;; [unrolled: 6-line block ×9, first 2 shown]
	v_xor_b32_e32 v1, v65, v16
	v_xor_b32_e32 v16, v37, v1
	v_xor_b32_e32 v1, v63, v18
	v_mov_b32_e32 v60, 0
	v_xor_b32_e32 v18, v38, v1
	v_mov_b32_e32 v17, v64
	v_mov_b32_e32 v19, v62
.LBB136_27:                             ;   in Loop: Header=BB136_22 Depth=2
	s_or_b64 exec, exec, s[2:3]
	v_cmp_eq_u32_e32 vcc, 1, v39
	v_cndmask_b32_e32 v1, v8, v9, vcc
	v_cmp_eq_u32_e32 vcc, 2, v39
	v_cndmask_b32_e32 v1, v1, v10, vcc
	;; [unrolled: 2-line block ×3, first 2 shown]
	v_cvt_f32_u32_e32 v1, v1
	v_cmp_eq_u32_e32 vcc, 1, v0
	v_mov_b32_e32 v9, 0x2f800000
	v_cndmask_b32_e32 v8, v12, v13, vcc
	v_cmp_eq_u32_e32 vcc, 2, v0
	v_fmac_f32_e32 v9, 0x2f800000, v1
	v_cndmask_b32_e32 v8, v8, v14, vcc
	v_cmp_gt_f32_e32 vcc, s58, v9
	v_cndmask_b32_e32 v1, 1.0, v33, vcc
	v_mul_f32_e32 v1, v9, v1
	v_log_f32_e32 v1, v1
	v_cmp_eq_u32_e64 s[2:3], 3, v0
	v_cndmask_b32_e64 v0, v8, v15, s[2:3]
	v_cvt_f32_u32_e32 v0, v0
	v_mul_f32_e32 v8, 0x3f317217, v1
	v_fma_f32 v9, v1, s59, -v8
	v_fmac_f32_e32 v9, 0x3377d1cf, v1
	v_add_f32_e32 v8, v8, v9
	v_cmp_lt_f32_e64 s[2:3], |v1|, s44
	v_cndmask_b32_e64 v1, v1, v8, s[2:3]
	v_cndmask_b32_e32 v8, 0, v34, vcc
	v_sub_f32_e32 v1, v1, v8
	v_mul_f32_e32 v1, -2.0, v1
	v_mul_f32_e32 v8, 0x4f800000, v1
	v_cmp_gt_f32_e32 vcc, s49, v1
	v_cndmask_b32_e32 v8, v1, v8, vcc
	v_sqrt_f32_e32 v1, v8
	v_mov_b32_e32 v9, 0x30c90fdb
	v_fmac_f32_e32 v9, 0x30c90fdb, v0
	v_mov_b32_e32 v59, 1
	v_add_u32_e32 v0, -1, v1
	v_fma_f32 v10, -v0, v1, v8
	v_cmp_ge_f32_e64 s[2:3], 0, v10
	v_add_u32_e32 v10, 1, v1
	v_cndmask_b32_e64 v0, v1, v0, s[2:3]
	v_fma_f32 v1, -v10, v1, v8
	v_cmp_lt_f32_e64 s[2:3], 0, v1
	v_cndmask_b32_e64 v10, v0, v10, s[2:3]
	v_mul_f32_e32 v0, 0.15915494, v9
	v_sin_f32_e32 v1, v0
	v_cos_f32_e32 v0, v0
	v_mul_f32_e32 v11, 0x37800000, v10
	v_cndmask_b32_e32 v9, v10, v11, vcc
	v_cmp_class_f32_e32 vcc, v8, v29
	v_cndmask_b32_e32 v8, v9, v8, vcc
	v_pk_mul_f32 v[0:1], v[8:9], v[0:1] op_sel_hi:[0,1]
	v_pk_mov_b32 v[8:9], v[16:17], v[16:17] op_sel:[0,1]
	v_pk_mov_b32 v[10:11], v[18:19], v[18:19] op_sel:[0,1]
	v_mov_b32_e32 v39, v60
.LBB136_28:                             ;   in Loop: Header=BB136_22 Depth=2
	s_or_b64 exec, exec, s[34:35]
	v_fma_f32 v17, v42, v1, 1.0
	v_cmp_nge_f32_e32 vcc, 0, v17
	s_or_b64 s[30:31], vcc, s[30:31]
	s_andn2_b64 exec, exec, s[30:31]
	s_cbranch_execnz .LBB136_22
; %bb.29:                               ;   in Loop: Header=BB136_22 Depth=2
	s_or_b64 exec, exec, s[30:31]
	v_add_u32_e32 v16, 1, v39
	v_pk_mov_b32 v[14:15], v[10:11], v[10:11] op_sel:[0,1]
	v_cmp_eq_u32_e32 vcc, 4, v16
	v_pk_mov_b32 v[12:13], v[8:9], v[8:9] op_sel:[0,1]
	s_and_saveexec_b64 s[2:3], vcc
	s_cbranch_execz .LBB136_31
; %bb.30:                               ;   in Loop: Header=BB136_22 Depth=2
	v_add_co_u32_e32 v4, vcc, 1, v4
	v_cndmask_b32_e64 v12, 0, 1, vcc
	v_addc_co_u32_e32 v5, vcc, 0, v5, vcc
	v_cmp_eq_u32_e32 vcc, 0, v5
	v_cndmask_b32_e32 v12, 0, v12, vcc
	v_add_u32_e32 v6, v12, v6
	v_cmp_eq_u32_e32 vcc, 0, v6
	v_cndmask_b32_e32 v12, 0, v12, vcc
	v_add_u32_e32 v7, v12, v7
	v_mad_u64_u32 v[12:13], s[30:31], v4, s19, 0
	v_mad_u64_u32 v[14:15], s[30:31], v6, s38, 0
	v_xor_b32_e32 v15, v15, v26
	v_xor_b32_e32 v13, v13, v27
	v_xor_b32_e32 v15, v5, v15
	v_xor_b32_e32 v13, v7, v13
	v_mad_u64_u32 v[18:19], s[30:31], v15, s19, 0
	v_mad_u64_u32 v[60:61], s[30:31], v13, s38, 0
	v_xor_b32_e32 v13, v61, v14
	v_xor_b32_e32 v12, v19, v12
	v_xor_b32_e32 v13, v43, v13
	v_xor_b32_e32 v14, v44, v12
	;; [unrolled: 6-line block ×9, first 2 shown]
	v_mad_u64_u32 v[18:19], s[30:31], v13, s19, 0
	v_mad_u64_u32 v[60:61], s[30:31], v15, s38, 0
	v_xor_b32_e32 v12, v61, v12
	v_xor_b32_e32 v13, v19, v14
	v_mov_b32_e32 v16, 0
	v_xor_b32_e32 v12, v37, v12
	v_xor_b32_e32 v14, v38, v13
	v_mov_b32_e32 v13, v60
	v_mov_b32_e32 v15, v18
.LBB136_31:                             ;   in Loop: Header=BB136_22 Depth=2
	s_or_b64 exec, exec, s[2:3]
	v_cmp_eq_u32_e32 vcc, 1, v39
	v_cndmask_b32_e32 v8, v8, v9, vcc
	v_cmp_eq_u32_e32 vcc, 2, v39
	v_cndmask_b32_e32 v8, v8, v10, vcc
	;; [unrolled: 2-line block ×3, first 2 shown]
	v_cvt_f32_u32_e32 v8, v8
	v_mul_f32_e32 v9, v17, v17
	v_mul_f32_e32 v17, v17, v9
	v_mov_b32_e32 v9, 0x2f800000
	v_fmac_f32_e32 v9, 0x2f800000, v8
	v_mul_f32_e32 v1, v1, v1
	v_sub_f32_e32 v8, 1.0, v9
	v_mul_f32_e32 v9, 0xbd0793de, v1
	v_fma_f32 v9, v1, v9, 1.0
	v_cmp_nlt_f32_e32 vcc, v8, v9
	s_mov_b64 s[2:3], -1
	s_or_b64 s[28:29], s[28:29], exec
	s_and_saveexec_b64 s[30:31], vcc
	s_cbranch_execz .LBB136_21
; %bb.32:                               ;   in Loop: Header=BB136_22 Depth=2
	v_cmp_gt_f32_e32 vcc, s58, v8
	v_cndmask_b32_e32 v9, 1.0, v33, vcc
	v_mul_f32_e32 v8, v8, v9
	v_log_f32_e32 v8, v8
	s_andn2_b64 s[28:29], s[28:29], exec
	v_mul_f32_e32 v9, 0x3f317217, v8
	v_fma_f32 v10, v8, s59, -v9
	v_fmac_f32_e32 v10, 0x3377d1cf, v8
	v_add_f32_e32 v9, v9, v10
	v_cmp_lt_f32_e64 s[2:3], |v8|, s44
	v_cndmask_b32_e64 v8, v8, v9, s[2:3]
	v_cmp_gt_f32_e64 s[2:3], s58, v17
	v_cndmask_b32_e64 v9, 1.0, v33, s[2:3]
	v_mul_f32_e32 v9, v17, v9
	v_log_f32_e32 v9, v9
	v_cndmask_b32_e32 v10, 0, v34, vcc
	v_sub_f32_e32 v8, v8, v10
	v_sub_f32_e32 v10, 1.0, v17
	v_mul_f32_e32 v11, 0x3f317217, v9
	v_fma_f32 v18, v9, s59, -v11
	v_fmac_f32_e32 v18, 0x3377d1cf, v9
	v_add_f32_e32 v11, v11, v18
	v_cmp_lt_f32_e64 vcc, |v9|, s44
	v_cndmask_b32_e32 v9, v9, v11, vcc
	v_cndmask_b32_e64 v11, 0, v34, s[2:3]
	v_sub_f32_e32 v9, v9, v11
	v_add_f32_e32 v9, v10, v9
	v_mul_f32_e32 v9, v41, v9
	v_fmac_f32_e32 v9, 0.5, v1
	v_cmp_lt_f32_e32 vcc, v8, v9
	s_orn2_b64 s[2:3], vcc, exec
	s_branch .LBB136_21
.LBB136_33:                             ;   in Loop: Header=BB136_4 Depth=1
	s_or_b64 exec, exec, s[6:7]
	s_xor_b64 s[2:3], s[26:27], -1
	v_mul_f32_e32 v1, v40, v41
                                        ; implicit-def: $vgpr0
	s_and_saveexec_b64 s[6:7], s[2:3]
	s_xor_b64 s[2:3], exec, s[6:7]
; %bb.34:                               ;   in Loop: Header=BB136_4 Depth=1
	v_fma_mixlo_f16 v0, v1, v17, 0
                                        ; implicit-def: $vgpr1
; %bb.35:                               ;   in Loop: Header=BB136_4 Depth=1
	s_andn2_saveexec_b64 s[2:3], s[2:3]
	s_cbranch_execz .LBB136_2
; %bb.36:                               ;   in Loop: Header=BB136_4 Depth=1
	v_fma_mixlo_f16 v0, v1, v17, 0
	s_branch .LBB136_2
.LBB136_37:
	s_endpgm
	.section	.rodata,"a",@progbits
	.p2align	6, 0x0
	.amdhsa_kernel _ZN2at4cuda12_GLOBAL__N_121kernelPointwiseApply2IZN12_GLOBAL__N_117gamma_cuda_kernelIN3c104HalfEEEvRKNS_10TensorBaseES9_NS_15PhiloxCudaStateEEUlRS6_RKS6_E_S6_S6_jLi2ELin1ELi1ELi256ELi2EEEvNS0_6detail10TensorInfoIT0_T2_EENSG_IT1_SI_EESI_T_
		.amdhsa_group_segment_fixed_size 0
		.amdhsa_private_segment_fixed_size 0
		.amdhsa_kernarg_size 728
		.amdhsa_user_sgpr_count 6
		.amdhsa_user_sgpr_private_segment_buffer 1
		.amdhsa_user_sgpr_dispatch_ptr 0
		.amdhsa_user_sgpr_queue_ptr 0
		.amdhsa_user_sgpr_kernarg_segment_ptr 1
		.amdhsa_user_sgpr_dispatch_id 0
		.amdhsa_user_sgpr_flat_scratch_init 0
		.amdhsa_user_sgpr_kernarg_preload_length 0
		.amdhsa_user_sgpr_kernarg_preload_offset 0
		.amdhsa_user_sgpr_private_segment_size 0
		.amdhsa_uses_dynamic_stack 0
		.amdhsa_system_sgpr_private_segment_wavefront_offset 0
		.amdhsa_system_sgpr_workgroup_id_x 1
		.amdhsa_system_sgpr_workgroup_id_y 0
		.amdhsa_system_sgpr_workgroup_id_z 0
		.amdhsa_system_sgpr_workgroup_info 0
		.amdhsa_system_vgpr_workitem_id 0
		.amdhsa_next_free_vgpr 66
		.amdhsa_next_free_sgpr 70
		.amdhsa_accum_offset 68
		.amdhsa_reserve_vcc 1
		.amdhsa_reserve_flat_scratch 0
		.amdhsa_float_round_mode_32 0
		.amdhsa_float_round_mode_16_64 0
		.amdhsa_float_denorm_mode_32 3
		.amdhsa_float_denorm_mode_16_64 3
		.amdhsa_dx10_clamp 1
		.amdhsa_ieee_mode 1
		.amdhsa_fp16_overflow 0
		.amdhsa_tg_split 0
		.amdhsa_exception_fp_ieee_invalid_op 0
		.amdhsa_exception_fp_denorm_src 0
		.amdhsa_exception_fp_ieee_div_zero 0
		.amdhsa_exception_fp_ieee_overflow 0
		.amdhsa_exception_fp_ieee_underflow 0
		.amdhsa_exception_fp_ieee_inexact 0
		.amdhsa_exception_int_div_zero 0
	.end_amdhsa_kernel
	.section	.text._ZN2at4cuda12_GLOBAL__N_121kernelPointwiseApply2IZN12_GLOBAL__N_117gamma_cuda_kernelIN3c104HalfEEEvRKNS_10TensorBaseES9_NS_15PhiloxCudaStateEEUlRS6_RKS6_E_S6_S6_jLi2ELin1ELi1ELi256ELi2EEEvNS0_6detail10TensorInfoIT0_T2_EENSG_IT1_SI_EESI_T_,"axG",@progbits,_ZN2at4cuda12_GLOBAL__N_121kernelPointwiseApply2IZN12_GLOBAL__N_117gamma_cuda_kernelIN3c104HalfEEEvRKNS_10TensorBaseES9_NS_15PhiloxCudaStateEEUlRS6_RKS6_E_S6_S6_jLi2ELin1ELi1ELi256ELi2EEEvNS0_6detail10TensorInfoIT0_T2_EENSG_IT1_SI_EESI_T_,comdat
.Lfunc_end136:
	.size	_ZN2at4cuda12_GLOBAL__N_121kernelPointwiseApply2IZN12_GLOBAL__N_117gamma_cuda_kernelIN3c104HalfEEEvRKNS_10TensorBaseES9_NS_15PhiloxCudaStateEEUlRS6_RKS6_E_S6_S6_jLi2ELin1ELi1ELi256ELi2EEEvNS0_6detail10TensorInfoIT0_T2_EENSG_IT1_SI_EESI_T_, .Lfunc_end136-_ZN2at4cuda12_GLOBAL__N_121kernelPointwiseApply2IZN12_GLOBAL__N_117gamma_cuda_kernelIN3c104HalfEEEvRKNS_10TensorBaseES9_NS_15PhiloxCudaStateEEUlRS6_RKS6_E_S6_S6_jLi2ELin1ELi1ELi256ELi2EEEvNS0_6detail10TensorInfoIT0_T2_EENSG_IT1_SI_EESI_T_
                                        ; -- End function
	.section	.AMDGPU.csdata,"",@progbits
; Kernel info:
; codeLenInByte = 5500
; NumSgprs: 74
; NumVgprs: 66
; NumAgprs: 0
; TotalNumVgprs: 66
; ScratchSize: 0
; MemoryBound: 0
; FloatMode: 240
; IeeeMode: 1
; LDSByteSize: 0 bytes/workgroup (compile time only)
; SGPRBlocks: 9
; VGPRBlocks: 8
; NumSGPRsForWavesPerEU: 74
; NumVGPRsForWavesPerEU: 66
; AccumOffset: 68
; Occupancy: 7
; WaveLimiterHint : 1
; COMPUTE_PGM_RSRC2:SCRATCH_EN: 0
; COMPUTE_PGM_RSRC2:USER_SGPR: 6
; COMPUTE_PGM_RSRC2:TRAP_HANDLER: 0
; COMPUTE_PGM_RSRC2:TGID_X_EN: 1
; COMPUTE_PGM_RSRC2:TGID_Y_EN: 0
; COMPUTE_PGM_RSRC2:TGID_Z_EN: 0
; COMPUTE_PGM_RSRC2:TIDIG_COMP_CNT: 0
; COMPUTE_PGM_RSRC3_GFX90A:ACCUM_OFFSET: 16
; COMPUTE_PGM_RSRC3_GFX90A:TG_SPLIT: 0
	.section	.text._ZN2at4cuda12_GLOBAL__N_121kernelPointwiseApply2IZN12_GLOBAL__N_117gamma_cuda_kernelIN3c104HalfEEEvRKNS_10TensorBaseES9_NS_15PhiloxCudaStateEEUlRS6_RKS6_E_S6_S6_jLin1ELi1ELi1ELi256ELi2EEEvNS0_6detail10TensorInfoIT0_T2_EENSG_IT1_SI_EESI_T_,"axG",@progbits,_ZN2at4cuda12_GLOBAL__N_121kernelPointwiseApply2IZN12_GLOBAL__N_117gamma_cuda_kernelIN3c104HalfEEEvRKNS_10TensorBaseES9_NS_15PhiloxCudaStateEEUlRS6_RKS6_E_S6_S6_jLin1ELi1ELi1ELi256ELi2EEEvNS0_6detail10TensorInfoIT0_T2_EENSG_IT1_SI_EESI_T_,comdat
	.globl	_ZN2at4cuda12_GLOBAL__N_121kernelPointwiseApply2IZN12_GLOBAL__N_117gamma_cuda_kernelIN3c104HalfEEEvRKNS_10TensorBaseES9_NS_15PhiloxCudaStateEEUlRS6_RKS6_E_S6_S6_jLin1ELi1ELi1ELi256ELi2EEEvNS0_6detail10TensorInfoIT0_T2_EENSG_IT1_SI_EESI_T_ ; -- Begin function _ZN2at4cuda12_GLOBAL__N_121kernelPointwiseApply2IZN12_GLOBAL__N_117gamma_cuda_kernelIN3c104HalfEEEvRKNS_10TensorBaseES9_NS_15PhiloxCudaStateEEUlRS6_RKS6_E_S6_S6_jLin1ELi1ELi1ELi256ELi2EEEvNS0_6detail10TensorInfoIT0_T2_EENSG_IT1_SI_EESI_T_
	.p2align	8
	.type	_ZN2at4cuda12_GLOBAL__N_121kernelPointwiseApply2IZN12_GLOBAL__N_117gamma_cuda_kernelIN3c104HalfEEEvRKNS_10TensorBaseES9_NS_15PhiloxCudaStateEEUlRS6_RKS6_E_S6_S6_jLin1ELi1ELi1ELi256ELi2EEEvNS0_6detail10TensorInfoIT0_T2_EENSG_IT1_SI_EESI_T_,@function
_ZN2at4cuda12_GLOBAL__N_121kernelPointwiseApply2IZN12_GLOBAL__N_117gamma_cuda_kernelIN3c104HalfEEEvRKNS_10TensorBaseES9_NS_15PhiloxCudaStateEEUlRS6_RKS6_E_S6_S6_jLin1ELi1ELi1ELi256ELi2EEEvNS0_6detail10TensorInfoIT0_T2_EENSG_IT1_SI_EESI_T_: ; @_ZN2at4cuda12_GLOBAL__N_121kernelPointwiseApply2IZN12_GLOBAL__N_117gamma_cuda_kernelIN3c104HalfEEEvRKNS_10TensorBaseES9_NS_15PhiloxCudaStateEEUlRS6_RKS6_E_S6_S6_jLin1ELi1ELi1ELi256ELi2EEEvNS0_6detail10TensorInfoIT0_T2_EENSG_IT1_SI_EESI_T_
; %bb.0:
	s_load_dword s2, s[4:5], 0x1e4
	s_load_dword s33, s[4:5], 0x1b0
	s_add_u32 s0, s4, 0x1d8
	s_addc_u32 s1, s5, 0
	s_waitcnt lgkmcnt(0)
	s_and_b32 s2, s2, 0xffff
	s_mul_i32 s6, s6, s2
	v_add_u32_e32 v2, s6, v0
	v_cmp_gt_u32_e32 vcc, s33, v2
	s_and_saveexec_b64 s[6:7], vcc
	s_cbranch_execz .LBB137_35
; %bb.1:
	s_load_dword s34, s[4:5], 0x144
	s_load_dwordx4 s[12:15], s[4:5], 0x1b8
	s_load_dwordx2 s[10:11], s[4:5], 0xd8
	s_load_dword s3, s[4:5], 0xd0
	s_load_dword s37, s[0:1], 0x0
	s_load_dwordx2 s[16:17], s[4:5], 0x1c8
	s_load_dword s6, s[4:5], 0x1d0
	s_load_dword s35, s[4:5], 0x6c
	s_waitcnt lgkmcnt(0)
	s_cmp_gt_i32 s3, 1
	s_cselect_b64 s[0:1], -1, 0
	s_mul_i32 s37, s37, s2
	s_bitcmp1_b32 s6, 0
	s_cselect_b64 s[6:7], -1, 0
	s_add_i32 s38, s3, 1
	s_add_i32 s2, s3, -1
	s_mov_b32 s3, 0
	s_load_dwordx2 s[18:19], s[4:5], 0x0
	s_lshl_b64 s[2:3], s[2:3], 2
	s_add_u32 s2, s2, s4
	s_mov_b32 s36, 0xcd9e8d57
	s_addc_u32 s3, s3, s5
	v_cndmask_b32_e64 v0, 0, 1, s[0:1]
	v_mad_u64_u32 v[20:21], s[8:9], v2, s36, 0
	s_add_u32 s20, s2, 8
	v_cmp_ne_u32_e64 s[0:1], 1, v0
	v_cndmask_b32_e64 v0, 0, 1, s[6:7]
	v_mov_b32_e32 v3, 0
	v_mov_b32_e32 v22, v21
	s_addc_u32 s21, s3, 0
	s_mov_b64 s[22:23], 0
	v_mov_b32_e32 v21, s11
	v_cmp_ne_u32_e64 s[2:3], 1, v0
	s_mov_b32 s11, 0xd2511f53
	s_mov_b32 s39, 0x3f2aaaab
	v_mov_b32_e32 v23, 0x3ecccdef
	s_mov_b32 s40, 0x3f317218
	s_movk_i32 s41, 0x204
	s_mov_b32 s42, 0x7f800000
	s_mov_b32 s43, 0x42b17218
	;; [unrolled: 1-line block ×4, first 2 shown]
	s_brev_b32 s46, -2
	s_mov_b32 s47, 0xf800000
	v_mov_b32_e32 v28, 0x260
	s_mov_b32 s48, 0x3c6ef372
	s_mov_b32 s49, 0x76cf5d0a
	;; [unrolled: 1-line block ×10, first 2 shown]
	s_movk_i32 s58, 0x400
	s_mov_b32 s59, 0xbb67ae85
	s_mov_b32 s60, 0xdaa66d2b
	;; [unrolled: 1-line block ×7, first 2 shown]
	v_mov_b32_e32 v29, 0x37000000
	v_mov_b32_e32 v30, 0x7f800000
	;; [unrolled: 1-line block ×7, first 2 shown]
	s_branch .LBB137_4
.LBB137_2:                              ;   in Loop: Header=BB137_4 Depth=1
	s_or_b64 exec, exec, s[4:5]
.LBB137_3:                              ;   in Loop: Header=BB137_4 Depth=1
	s_or_b64 exec, exec, s[6:7]
	v_lshlrev_b64 v[4:5], 1, v[24:25]
	s_waitcnt lgkmcnt(0)
	v_mov_b32_e32 v1, s19
	v_add_co_u32_e32 v4, vcc, s18, v4
	v_addc_co_u32_e32 v5, vcc, v1, v5, vcc
	v_cmp_ngt_f16_e32 vcc, s58, v0
	v_add_u32_e32 v35, s37, v35
	v_cndmask_b32_e32 v0, v34, v0, vcc
	v_cmp_le_u32_e32 vcc, s33, v35
	s_or_b64 s[22:23], vcc, s[22:23]
	global_store_short v[4:5], v0, off
	s_andn2_b64 exec, exec, s[22:23]
	s_cbranch_execz .LBB137_35
.LBB137_4:                              ; =>This Loop Header: Depth=1
                                        ;     Child Loop BB137_7 Depth 2
                                        ;     Child Loop BB137_20 Depth 2
	v_sub_u32_e32 v0, s33, v35
	v_cmp_lt_i32_e64 s[4:5], 0, v0
	v_pk_mov_b32 v[24:25], 0, 0
	s_and_saveexec_b64 s[6:7], s[4:5]
	s_cbranch_execz .LBB137_9
; %bb.5:                                ;   in Loop: Header=BB137_4 Depth=1
	s_and_b64 vcc, exec, s[0:1]
	v_mov_b32_e32 v0, 0
	v_mov_b32_e32 v4, v35
	s_cbranch_vccnz .LBB137_8
; %bb.6:                                ;   in Loop: Header=BB137_4 Depth=1
	v_mov_b32_e32 v0, 0
	s_mov_b64 s[8:9], s[20:21]
	s_mov_b32 s24, s38
	v_mov_b32_e32 v4, v35
.LBB137_7:                              ;   Parent Loop BB137_4 Depth=1
                                        ; =>  This Inner Loop Header: Depth=2
	s_load_dword s25, s[8:9], 0x0
	s_load_dword s26, s[8:9], 0x64
	v_mov_b32_e32 v1, v4
	s_add_i32 s24, s24, -1
	s_waitcnt lgkmcnt(0)
	v_cvt_f32_u32_e32 v4, s25
	s_sub_i32 s27, 0, s25
	s_add_u32 s8, s8, -4
	s_addc_u32 s9, s9, -1
	v_rcp_iflag_f32_e32 v4, v4
	s_cmp_gt_u32 s24, 2
	v_mul_f32_e32 v4, 0x4f7ffffe, v4
	v_cvt_u32_f32_e32 v4, v4
	v_mul_lo_u32 v5, s27, v4
	v_mul_hi_u32 v5, v4, v5
	v_add_u32_e32 v4, v4, v5
	v_mul_hi_u32 v4, v1, v4
	v_mul_lo_u32 v5, v4, s25
	v_sub_u32_e32 v5, v1, v5
	v_add_u32_e32 v6, 1, v4
	v_cmp_le_u32_e32 vcc, s25, v5
	v_cndmask_b32_e32 v4, v4, v6, vcc
	v_subrev_u32_e32 v6, s25, v5
	v_cndmask_b32_e32 v5, v5, v6, vcc
	v_add_u32_e32 v6, 1, v4
	v_cmp_le_u32_e32 vcc, s25, v5
	v_cndmask_b32_e32 v4, v4, v6, vcc
	v_mul_lo_u32 v5, v4, s25
	v_sub_u32_e32 v1, v1, v5
	v_mad_u64_u32 v[0:1], s[26:27], s26, v1, v[0:1]
	s_cbranch_scc1 .LBB137_7
.LBB137_8:                              ;   in Loop: Header=BB137_4 Depth=1
	v_mad_u64_u32 v[24:25], s[8:9], s35, v4, v[0:1]
	v_mov_b32_e32 v25, v3
.LBB137_9:                              ;   in Loop: Header=BB137_4 Depth=1
	s_or_b64 exec, exec, s[6:7]
	v_mul_lo_u32 v0, v35, s34
	v_cndmask_b32_e64 v0, 0, v0, s[4:5]
	v_mov_b32_e32 v1, v3
	v_lshlrev_b64 v[0:1], 1, v[0:1]
	v_add_co_u32_e32 v0, vcc, s10, v0
	v_addc_co_u32_e32 v1, vcc, v21, v1, vcc
	global_load_ushort v40, v[0:1], off
	s_and_b64 vcc, exec, s[2:3]
	v_pk_mov_b32 v[0:1], s[14:15], s[14:15] op_sel:[0,1]
	v_pk_mov_b32 v[26:27], s[12:13], s[12:13] op_sel:[0,1]
	s_cbranch_vccnz .LBB137_11
; %bb.10:                               ;   in Loop: Header=BB137_4 Depth=1
	v_pk_mov_b32 v[0:1], s[14:15], s[14:15] op_sel:[0,1]
	flat_load_dwordx2 v[0:1], v[0:1]
	v_pk_mov_b32 v[4:5], s[12:13], s[12:13] op_sel:[0,1]
	flat_load_dwordx2 v[26:27], v[4:5]
	v_mov_b32_e32 v4, s17
	s_waitcnt vmcnt(0) lgkmcnt(0)
	v_add_co_u32_e32 v0, vcc, s16, v0
	v_addc_co_u32_e32 v1, vcc, v1, v4, vcc
.LBB137_11:                             ;   in Loop: Header=BB137_4 Depth=1
	v_and_b32_e32 v38, 3, v0
	v_alignbit_b32 v0, v1, v0, 2
	v_mad_u64_u32 v[6:7], s[4:5], v0, s11, 0
	v_lshrrev_b32_e32 v1, 2, v1
	v_xor_b32_e32 v5, v7, v27
	v_xor_b32_e32 v7, v22, v26
	v_mov_b32_e32 v4, v27
	v_xor_b32_e32 v7, v7, v1
	v_mad_u64_u32 v[10:11], s[4:5], v5, s36, 0
	v_add_co_u32_e32 v42, vcc, 0x9e3779b9, v26
	v_add_co_u32_e32 v41, vcc, s59, v4
	v_mad_u64_u32 v[8:9], s[4:5], v7, s11, 0
	v_xor_b32_e32 v5, v20, v11
	v_xor_b32_e32 v5, v5, v42
	v_xor_b32_e32 v7, v41, v9
	v_xor_b32_e32 v9, v7, v6
	v_add_co_u32_e32 v43, vcc, s49, v4
	v_mad_u64_u32 v[6:7], s[4:5], v5, s11, 0
	v_add_co_u32_e32 v44, vcc, s48, v26
	v_mad_u64_u32 v[12:13], s[4:5], v9, s36, 0
	v_xor_b32_e32 v7, v43, v7
	v_xor_b32_e32 v5, v44, v13
	v_xor_b32_e32 v7, v7, v8
	v_xor_b32_e32 v5, v5, v10
	v_add_co_u32_e32 v46, vcc, s60, v26
	v_mad_u64_u32 v[10:11], s[4:5], v7, s36, 0
	;; [unrolled: 8-line block ×7, first 2 shown]
	v_add_co_u32_e32 v56, vcc, s64, v26
	v_mad_u64_u32 v[6:7], s[4:5], v6, s36, 0
	v_xor_b32_e32 v5, v55, v5
	v_xor_b32_e32 v7, v56, v7
	;; [unrolled: 1-line block ×4, first 2 shown]
	v_mad_u64_u32 v[18:19], s[4:5], v5, s36, 0
	v_mad_u64_u32 v[16:17], s[4:5], v7, s11, 0
	v_xor_b32_e32 v5, v19, v6
	s_waitcnt vmcnt(0)
	v_cvt_f32_f16_e32 v19, v40
	v_add_u32_e32 v36, 0x8ff34781, v26
	v_add_u32_e32 v37, 0x96a522ad, v27
	v_xor_b32_e32 v4, v17, v4
	v_xor_b32_e32 v8, v36, v5
	;; [unrolled: 1-line block ×3, first 2 shown]
	v_pk_mov_b32 v[6:7], v[2:3], v[2:3] op_sel:[0,1]
	v_mov_b32_e32 v9, v18
	v_mov_b32_e32 v11, v16
	v_cmp_gt_f16_e32 vcc, 1.0, v40
	s_mov_b64 s[4:5], -1
	v_mov_b32_e32 v39, 1.0
	v_pk_mov_b32 v[4:5], v[0:1], v[0:1] op_sel:[0,1]
                                        ; implicit-def: $sgpr6
	s_and_saveexec_b64 s[24:25], vcc
	s_cbranch_execz .LBB137_17
; %bb.12:                               ;   in Loop: Header=BB137_4 Depth=1
	v_cmp_neq_f16_e32 vcc, 0, v40
	s_mov_b64 s[28:29], 0
	v_mov_b32_e32 v39, 1.0
                                        ; implicit-def: $vgpr4_vgpr5_vgpr6_vgpr7
	s_and_saveexec_b64 s[26:27], vcc
	s_cbranch_execz .LBB137_16
; %bb.13:                               ;   in Loop: Header=BB137_4 Depth=1
	v_add_u32_e32 v17, 1, v38
	v_pk_mov_b32 v[14:15], v[10:11], v[10:11] op_sel:[0,1]
	v_pk_mov_b32 v[6:7], v[2:3], v[2:3] op_sel:[0,1]
	v_cmp_eq_u32_e32 vcc, 4, v17
	v_pk_mov_b32 v[12:13], v[8:9], v[8:9] op_sel:[0,1]
	v_pk_mov_b32 v[4:5], v[0:1], v[0:1] op_sel:[0,1]
	s_and_saveexec_b64 s[4:5], vcc
	s_cbranch_execz .LBB137_15
; %bb.14:                               ;   in Loop: Header=BB137_4 Depth=1
	v_add_co_u32_e32 v4, vcc, 1, v0
	v_cndmask_b32_e64 v0, 0, 1, vcc
	v_addc_co_u32_e32 v5, vcc, 0, v1, vcc
	v_cmp_eq_u32_e32 vcc, 0, v5
	v_cndmask_b32_e32 v0, 0, v0, vcc
	v_add_u32_e32 v6, v0, v2
	v_cmp_eq_u32_e32 vcc, 0, v6
	v_cndmask_b32_e32 v7, 0, v0, vcc
	v_mad_u64_u32 v[0:1], s[6:7], v4, s11, 0
	v_mad_u64_u32 v[12:13], s[6:7], v6, s36, 0
	v_xor_b32_e32 v9, v13, v26
	v_xor_b32_e32 v1, v1, v27
	v_xor_b32_e32 v9, v5, v9
	v_xor_b32_e32 v1, v7, v1
	v_mad_u64_u32 v[14:15], s[6:7], v9, s11, 0
	v_mad_u64_u32 v[58:59], s[6:7], v1, s36, 0
	v_xor_b32_e32 v1, v42, v59
	v_xor_b32_e32 v9, v41, v15
	v_xor_b32_e32 v1, v1, v12
	v_xor_b32_e32 v9, v9, v0
	;; [unrolled: 6-line block ×9, first 2 shown]
	v_mad_u64_u32 v[42:43], s[6:7], v9, s11, 0
	v_mad_u64_u32 v[44:45], s[6:7], v1, s36, 0
	v_xor_b32_e32 v1, v45, v12
	v_xor_b32_e32 v0, v43, v0
	v_mov_b32_e32 v17, 0
	v_xor_b32_e32 v12, v36, v1
	v_xor_b32_e32 v14, v37, v0
	v_mov_b32_e32 v13, v44
	v_mov_b32_e32 v15, v42
.LBB137_15:                             ;   in Loop: Header=BB137_4 Depth=1
	s_or_b64 exec, exec, s[4:5]
	v_cmp_eq_u32_e32 vcc, 1, v38
	v_cndmask_b32_e32 v0, v8, v18, vcc
	v_cmp_eq_u32_e32 vcc, 2, v38
	v_cndmask_b32_e32 v0, v0, v10, vcc
	;; [unrolled: 2-line block ×3, first 2 shown]
	v_div_scale_f32 v1, s[4:5], v19, v19, 1.0
	v_cvt_f32_u32_e32 v0, v0
	v_rcp_f32_e32 v8, v1
	v_mov_b32_e32 v9, 0x2f800000
	s_mov_b64 s[28:29], exec
	v_fmac_f32_e32 v9, 0x2f800000, v0
	v_fma_f32 v0, -v1, v8, 1.0
	v_fmac_f32_e32 v8, v0, v8
	v_div_scale_f32 v0, vcc, 1.0, v19, 1.0
	v_sub_f32_e32 v48, 1.0, v9
	v_mul_f32_e32 v9, v0, v8
	v_fma_f32 v10, -v1, v9, v0
	v_fmac_f32_e32 v9, v10, v8
	v_fma_f32 v0, -v1, v9, v0
	v_div_fmas_f32 v0, v0, v8, v9
	v_div_fixup_f32 v49, v0, v19, 1.0
	v_cmp_eq_f32_e32 vcc, 1.0, v48
	v_cndmask_b32_e64 v50, v49, 1.0, vcc
	v_cmp_eq_f32_e64 s[4:5], 0, v50
	v_cndmask_b32_e64 v51, |v48|, 1.0, s[4:5]
	v_frexp_mant_f32_e32 v0, v51
	v_cmp_gt_f32_e64 s[6:7], s39, v0
	v_cndmask_b32_e64 v1, 1.0, 2.0, s[6:7]
	v_mul_f32_e32 v0, v0, v1
	v_add_f32_e32 v9, 1.0, v0
	v_rcp_f32_e32 v16, v9
	v_add_f32_e32 v1, -1.0, v9
	v_sub_f32_e32 v11, v0, v1
	v_add_f32_e32 v1, -1.0, v0
	v_mul_f32_e32 v38, v1, v16
	v_mul_f32_e32 v8, v9, v38
	v_fma_f32 v10, v38, v9, -v8
	v_fmac_f32_e32 v10, v38, v11
	v_add_f32_e32 v0, v8, v10
	v_sub_f32_e32 v9, v1, v0
	v_pk_add_f32 v[18:19], v[0:1], v[8:9] neg_lo:[0,1] neg_hi:[0,1]
	v_mov_b32_e32 v11, v0
	v_pk_add_f32 v[0:1], v[18:19], v[10:11] neg_lo:[0,1] neg_hi:[0,1]
	v_add_f32_e32 v0, v0, v1
	v_add_f32_e32 v0, v9, v0
	v_mul_f32_e32 v1, v16, v0
	v_add_f32_e32 v0, v38, v1
	v_sub_f32_e32 v8, v0, v38
	v_sub_f32_e32 v16, v1, v8
	v_mul_f32_e32 v1, v0, v0
	v_fma_f32 v9, v0, v0, -v1
	v_add_f32_e32 v8, v16, v16
	v_fmac_f32_e32 v9, v0, v8
	v_add_f32_e32 v8, v1, v9
	v_mov_b32_e32 v10, 0x3e91f4c4
	v_fmac_f32_e32 v10, 0x3e76c4e1, v8
	v_fma_f32 v10, v8, v10, v23
	v_sub_f32_e32 v1, v8, v1
	v_sub_f32_e32 v41, v9, v1
	v_mul_f32_e32 v1, v8, v10
	v_fma_f32 v9, v8, v10, -v1
	v_fmac_f32_e32 v9, v41, v10
	v_add_f32_e32 v10, v1, v9
	v_add_f32_e32 v11, 0x3f2aaaaa, v10
	v_sub_f32_e32 v1, v10, v1
	v_sub_f32_e32 v1, v9, v1
	v_add_f32_e32 v9, 0xbf2aaaaa, v11
	v_add_f32_e32 v1, 0x31739010, v1
	v_sub_f32_e32 v9, v10, v9
	v_pk_mul_f32 v[18:19], v[0:1], v[8:9]
	v_fma_f32 v10, v8, v0, -v18
	v_pk_add_f32 v[38:39], v[0:1], v[8:9]
	v_fmac_f32_e32 v10, v8, v16
	v_mov_b32_e32 v19, v39
	v_fmac_f32_e32 v10, v41, v0
	v_pk_add_f32 v[8:9], v[18:19], v[10:11]
	v_sub_f32_e32 v1, v8, v18
	v_sub_f32_e32 v1, v10, v1
	;; [unrolled: 1-line block ×3, first 2 shown]
	v_add_f32_e32 v38, v39, v10
	v_mov_b32_e32 v10, v9
	v_pk_mul_f32 v[10:11], v[8:9], v[10:11]
	v_cvt_f64_f32_e32 v[18:19], v51
	v_frexp_exp_i32_f64_e32 v11, v[18:19]
	v_subbrev_co_u32_e64 v11, s[6:7], 0, v11, s[6:7]
	v_cvt_f32_i32_e32 v11, v11
	v_fma_f32 v18, v8, v9, -v10
	v_fmac_f32_e32 v18, v8, v38
	v_fmac_f32_e32 v18, v1, v9
	v_mul_f32_e32 v8, 0x3f317218, v11
	v_fma_f32 v38, v11, s40, -v8
	v_fmac_f32_e32 v38, 0xb102e308, v11
	v_ldexp_f32 v39, v0, 1
	v_add_f32_e32 v9, v10, v18
	v_pk_add_f32 v[0:1], v[8:9], v[38:39]
	v_mov_b32_e32 v42, v9
	v_mov_b32_e32 v43, v1
	;; [unrolled: 1-line block ×3, first 2 shown]
	v_pk_add_f32 v[10:11], v[42:43], v[10:11] neg_lo:[0,1] neg_hi:[0,1]
	v_mov_b32_e32 v19, v9
	v_ldexp_f32 v16, v16, 1
	v_pk_add_f32 v[10:11], v[18:19], v[10:11] neg_lo:[0,1] neg_hi:[0,1]
	v_add_f32_e32 v9, v16, v10
	v_add_f32_e32 v9, v9, v11
	v_pk_add_f32 v[10:11], v[0:1], v[8:9] neg_lo:[0,1] neg_hi:[0,1]
	v_pk_add_f32 v[18:19], v[0:1], v[8:9]
	v_mov_b32_e32 v42, v10
	v_mov_b32_e32 v43, v19
	;; [unrolled: 1-line block ×3, first 2 shown]
	v_pk_add_f32 v[42:43], v[38:39], v[42:43]
	v_mov_b32_e32 v8, v43
	v_pk_add_f32 v[44:45], v[8:9], v[0:1] neg_lo:[0,1] neg_hi:[0,1]
	v_mov_b32_e32 v41, v44
	v_mov_b32_e32 v42, v19
	;; [unrolled: 1-line block ×4, first 2 shown]
	v_pk_add_f32 v[10:11], v[38:39], v[10:11] neg_lo:[0,1] neg_hi:[0,1]
	v_pk_add_f32 v[46:47], v[18:19], v[40:41] neg_lo:[0,1] neg_hi:[0,1]
	v_pk_add_f32 v[0:1], v[42:43], v[0:1] neg_lo:[0,1] neg_hi:[0,1]
	v_mov_b32_e32 v38, v9
	v_pk_add_f32 v[0:1], v[38:39], v[0:1] neg_lo:[0,1] neg_hi:[0,1]
	v_mov_b32_e32 v46, v10
	v_pk_add_f32 v[18:19], v[46:47], v[0:1]
	v_mov_b32_e32 v16, v19
	v_pk_add_f32 v[38:39], v[18:19], v[16:17]
	v_pk_add_f32 v[8:9], v[8:9], v[38:39]
	v_mov_b32_e32 v11, v43
	v_mov_b32_e32 v19, v8
	v_pk_add_f32 v[42:43], v[18:19], v[10:11] neg_lo:[0,1] neg_hi:[0,1]
	v_mov_b32_e32 v1, v38
	v_sub_f32_e32 v9, v18, v42
	v_pk_add_f32 v[0:1], v[0:1], v[42:43] neg_lo:[0,1] neg_hi:[0,1]
	v_sub_f32_e32 v9, v10, v9
	v_add_f32_e32 v0, v0, v9
	v_add_f32_e32 v0, v0, v1
	;; [unrolled: 1-line block ×3, first 2 shown]
	v_sub_f32_e32 v8, v1, v8
	v_sub_f32_e32 v0, v0, v8
	v_mul_f32_e32 v8, v50, v1
	v_fma_f32 v1, v50, v1, -v8
	v_fmac_f32_e32 v1, v50, v0
	v_add_f32_e32 v0, v8, v1
	v_cmp_class_f32_e64 s[6:7], v8, s41
	v_sub_f32_e32 v9, v0, v8
	v_cndmask_b32_e64 v0, v0, v8, s[6:7]
	v_cmp_eq_f32_e64 s[6:7], s43, v0
	v_cndmask_b32_e64 v8, 0, v29, s[6:7]
	v_sub_f32_e32 v1, v1, v9
	v_sub_f32_e32 v9, v0, v8
	v_mul_f32_e32 v10, 0x3fb8aa3b, v9
	v_fma_f32 v11, v9, s44, -v10
	v_rndne_f32_e32 v16, v10
	v_fmac_f32_e32 v11, 0x32a5705f, v9
	v_sub_f32_e32 v10, v10, v16
	v_add_f32_e32 v10, v10, v11
	v_exp_f32_e32 v10, v10
	v_cvt_i32_f32_e32 v11, v16
	v_cmp_neq_f32_e64 s[6:7], |v0|, s42
	v_cndmask_b32_e64 v0, 0, v1, s[6:7]
	v_cmp_ngt_f32_e64 s[6:7], s45, v9
	v_ldexp_f32 v1, v10, v11
	v_cndmask_b32_e64 v1, 0, v1, s[6:7]
	v_cmp_nlt_f32_e64 s[6:7], s43, v9
	v_add_f32_e32 v0, v8, v0
	v_cndmask_b32_e64 v1, v30, v1, s[6:7]
	v_fma_f32 v0, v1, v0, v1
	v_cmp_class_f32_e64 s[6:7], v1, s41
	v_trunc_f32_e32 v8, v50
	v_cndmask_b32_e64 v0, v0, v1, s[6:7]
	v_cndmask_b32_e64 v1, v48, 1.0, s[4:5]
	v_cmp_eq_f32_e64 s[4:5], v8, v50
	v_mul_f32_e32 v8, 0.5, v50
	v_trunc_f32_e32 v9, v8
	v_cmp_neq_f32_e64 s[6:7], v9, v8
	s_and_b64 s[6:7], s[4:5], s[6:7]
	v_cndmask_b32_e64 v8, 1.0, v1, s[6:7]
	v_bfi_b32 v0, s46, v0, v8
	v_cndmask_b32_e64 v8, v31, v0, s[4:5]
	v_cmp_gt_f32_e64 s[4:5], 0, v1
	v_cndmask_b32_e64 v0, v0, v8, s[4:5]
	v_cndmask_b32_e64 v8, |v49|, 1.0, vcc
	v_cmp_neq_f32_e32 vcc, v50, v8
	v_cmp_gt_f32_e64 s[4:5], 1.0, v51
	s_xor_b64 s[4:5], vcc, s[4:5]
	v_cndmask_b32_e64 v9, v8, 0, s[4:5]
	v_cmp_eq_f32_e64 s[4:5], 0, v1
	v_cmp_gt_f32_e64 s[8:9], 0, v50
	v_cmp_eq_f32_e32 vcc, 1.0, v51
	s_xor_b64 s[8:9], s[8:9], s[4:5]
	v_cndmask_b32_e32 v9, v9, v51, vcc
	v_cmp_eq_f32_e32 vcc, s42, v8
	v_cndmask_b32_e64 v8, v30, 0, s[8:9]
	v_cndmask_b32_e64 v1, 0, v1, s[6:7]
	v_bfi_b32 v1, s46, v8, v1
	v_add_f16_e32 v8, 1.0, v40
	v_cvt_f32_f16_e32 v19, v8
	v_cndmask_b32_e32 v0, v0, v9, vcc
	v_cmp_eq_f32_e32 vcc, s42, v51
	s_or_b64 vcc, vcc, s[4:5]
	v_pk_mov_b32 v[8:9], v[12:13], v[12:13] op_sel:[0,1]
	v_cndmask_b32_e32 v39, v0, v1, vcc
	v_pk_mov_b32 v[10:11], v[14:15], v[14:15] op_sel:[0,1]
	v_mov_b32_e32 v38, v17
.LBB137_16:                             ;   in Loop: Header=BB137_4 Depth=1
	s_or_b64 exec, exec, s[26:27]
	s_mov_b32 s6, 0
	s_orn2_b64 s[4:5], s[28:29], exec
.LBB137_17:                             ;   in Loop: Header=BB137_4 Depth=1
	s_or_b64 exec, exec, s[24:25]
	v_mov_b32_e32 v0, s6
	s_and_saveexec_b64 s[6:7], s[4:5]
	s_cbranch_execz .LBB137_3
; %bb.18:                               ;   in Loop: Header=BB137_4 Depth=1
	v_add_f32_e32 v40, 0xbeaaaaab, v19
	v_mul_f32_e32 v0, 0x41100000, v40
	v_mul_f32_e32 v1, 0x4f800000, v0
	v_cmp_gt_f32_e32 vcc, s47, v0
	v_cndmask_b32_e32 v0, v0, v1, vcc
	v_sqrt_f32_e32 v1, v0
	v_add_u32_e32 v42, 0x9e3779b9, v26
	v_add_u32_e32 v43, 0xbb67ae85, v27
	;; [unrolled: 1-line block ×3, first 2 shown]
	v_add_u32_e32 v12, -1, v1
	v_fma_f32 v14, -v12, v1, v0
	v_add_u32_e32 v13, 1, v1
	v_cmp_ge_f32_e64 s[4:5], 0, v14
	v_cndmask_b32_e64 v12, v1, v12, s[4:5]
	v_fma_f32 v1, -v13, v1, v0
	v_cmp_lt_f32_e64 s[4:5], 0, v1
	v_cndmask_b32_e64 v1, v12, v13, s[4:5]
	v_mul_f32_e32 v12, 0x37800000, v1
	v_cndmask_b32_e32 v1, v1, v12, vcc
	v_cmp_class_f32_e32 vcc, v0, v28
	v_cndmask_b32_e32 v0, v1, v0, vcc
	v_div_scale_f32 v1, s[4:5], v0, v0, 1.0
	v_rcp_f32_e32 v12, v1
	v_add_u32_e32 v45, 0x76cf5d0a, v27
	v_add_u32_e32 v46, 0xdaa66d2b, v26
	;; [unrolled: 1-line block ×3, first 2 shown]
	v_fma_f32 v13, -v1, v12, 1.0
	v_fmac_f32_e32 v12, v13, v12
	v_div_scale_f32 v13, vcc, 1.0, v0, 1.0
	v_mul_f32_e32 v14, v13, v12
	v_fma_f32 v15, -v1, v14, v13
	v_fmac_f32_e32 v14, v15, v12
	v_fma_f32 v1, -v1, v14, v13
	v_div_fmas_f32 v1, v1, v12, v14
	v_div_fixup_f32 v41, v1, v0, 1.0
	v_add_u32_e32 v48, 0x78dde6e4, v26
	v_add_u32_e32 v49, 0xed9eba14, v27
	;; [unrolled: 1-line block ×10, first 2 shown]
	s_mov_b64 s[8:9], 0
	v_mov_b32_e32 v58, 0
	s_mov_b64 s[28:29], 0
                                        ; implicit-def: $sgpr24_sgpr25
                                        ; implicit-def: $sgpr26_sgpr27
                                        ; implicit-def: $vgpr0
	s_branch .LBB137_20
.LBB137_19:                             ;   in Loop: Header=BB137_20 Depth=2
	s_or_b64 exec, exec, s[28:29]
	s_and_b64 s[4:5], exec, s[4:5]
	s_or_b64 s[8:9], s[4:5], s[8:9]
	s_andn2_b64 s[4:5], s[24:25], exec
	s_and_b64 s[24:25], s[26:27], exec
	v_pk_mov_b32 v[8:9], v[12:13], v[12:13] op_sel:[0,1]
	s_or_b64 s[24:25], s[4:5], s[24:25]
	s_mov_b64 s[28:29], 0
	v_mov_b32_e32 v38, v16
	v_pk_mov_b32 v[10:11], v[14:15], v[14:15] op_sel:[0,1]
	s_andn2_b64 exec, exec, s[8:9]
	s_cbranch_execz .LBB137_31
.LBB137_20:                             ;   Parent Loop BB137_4 Depth=1
                                        ; =>  This Inner Loop Header: Depth=2
	v_cmp_eq_u32_e32 vcc, 0, v58
	v_mov_b32_e32 v1, v0
	v_mov_b32_e32 v58, 0
	s_and_saveexec_b64 s[30:31], vcc
	s_cbranch_execz .LBB137_26
; %bb.21:                               ;   in Loop: Header=BB137_20 Depth=2
	v_add_u32_e32 v0, 1, v38
	v_pk_mov_b32 v[14:15], v[10:11], v[10:11] op_sel:[0,1]
	v_cmp_eq_u32_e32 vcc, 4, v0
	v_pk_mov_b32 v[12:13], v[8:9], v[8:9] op_sel:[0,1]
	s_and_saveexec_b64 s[4:5], vcc
	s_cbranch_execz .LBB137_23
; %bb.22:                               ;   in Loop: Header=BB137_20 Depth=2
	v_add_co_u32_e32 v4, vcc, 1, v4
	v_cndmask_b32_e64 v1, 0, 1, vcc
	v_addc_co_u32_e32 v5, vcc, 0, v5, vcc
	v_cmp_eq_u32_e32 vcc, 0, v5
	v_cndmask_b32_e32 v1, 0, v1, vcc
	v_add_u32_e32 v6, v1, v6
	v_cmp_eq_u32_e32 vcc, 0, v6
	v_cndmask_b32_e32 v1, 0, v1, vcc
	v_mad_u64_u32 v[12:13], s[66:67], v4, s11, 0
	v_mad_u64_u32 v[14:15], s[66:67], v6, s36, 0
	v_add_u32_e32 v7, v1, v7
	v_xor_b32_e32 v1, v15, v26
	v_xor_b32_e32 v13, v13, v27
	v_xor_b32_e32 v1, v5, v1
	v_xor_b32_e32 v13, v7, v13
	v_mad_u64_u32 v[16:17], s[66:67], v1, s11, 0
	v_mad_u64_u32 v[18:19], s[66:67], v13, s36, 0
	v_xor_b32_e32 v1, v19, v14
	v_xor_b32_e32 v12, v17, v12
	v_xor_b32_e32 v1, v42, v1
	v_xor_b32_e32 v14, v43, v12
	v_mad_u64_u32 v[12:13], s[66:67], v1, s11, 0
	v_mad_u64_u32 v[14:15], s[66:67], v14, s36, 0
	;; [unrolled: 6-line block ×9, first 2 shown]
	v_xor_b32_e32 v1, v19, v12
	v_xor_b32_e32 v12, v36, v1
	;; [unrolled: 1-line block ×3, first 2 shown]
	v_mov_b32_e32 v0, 0
	v_xor_b32_e32 v14, v37, v1
	v_mov_b32_e32 v13, v18
	v_mov_b32_e32 v15, v16
.LBB137_23:                             ;   in Loop: Header=BB137_20 Depth=2
	s_or_b64 exec, exec, s[4:5]
	v_add_u32_e32 v59, 1, v0
	v_pk_mov_b32 v[18:19], v[14:15], v[14:15] op_sel:[0,1]
	v_cmp_eq_u32_e32 vcc, 4, v59
	v_pk_mov_b32 v[16:17], v[12:13], v[12:13] op_sel:[0,1]
	s_and_saveexec_b64 s[4:5], vcc
	s_cbranch_execz .LBB137_25
; %bb.24:                               ;   in Loop: Header=BB137_20 Depth=2
	v_add_co_u32_e32 v4, vcc, 1, v4
	v_cndmask_b32_e64 v1, 0, 1, vcc
	v_addc_co_u32_e32 v5, vcc, 0, v5, vcc
	v_cmp_eq_u32_e32 vcc, 0, v5
	v_cndmask_b32_e32 v1, 0, v1, vcc
	v_add_u32_e32 v6, v1, v6
	v_cmp_eq_u32_e32 vcc, 0, v6
	v_cndmask_b32_e32 v1, 0, v1, vcc
	v_mad_u64_u32 v[16:17], s[66:67], v4, s11, 0
	v_mad_u64_u32 v[18:19], s[66:67], v6, s36, 0
	v_add_u32_e32 v7, v1, v7
	v_xor_b32_e32 v1, v19, v26
	v_xor_b32_e32 v17, v17, v27
	v_xor_b32_e32 v1, v5, v1
	v_xor_b32_e32 v17, v7, v17
	v_mad_u64_u32 v[60:61], s[66:67], v1, s11, 0
	v_mad_u64_u32 v[62:63], s[66:67], v17, s36, 0
	v_xor_b32_e32 v1, v63, v18
	v_xor_b32_e32 v16, v61, v16
	v_xor_b32_e32 v1, v42, v1
	v_xor_b32_e32 v18, v43, v16
	v_mad_u64_u32 v[16:17], s[66:67], v1, s11, 0
	v_mad_u64_u32 v[18:19], s[66:67], v18, s36, 0
	;; [unrolled: 6-line block ×9, first 2 shown]
	v_xor_b32_e32 v1, v63, v16
	v_xor_b32_e32 v16, v36, v1
	;; [unrolled: 1-line block ×3, first 2 shown]
	v_mov_b32_e32 v59, 0
	v_xor_b32_e32 v18, v37, v1
	v_mov_b32_e32 v17, v62
	v_mov_b32_e32 v19, v60
.LBB137_25:                             ;   in Loop: Header=BB137_20 Depth=2
	s_or_b64 exec, exec, s[4:5]
	v_cmp_eq_u32_e32 vcc, 1, v38
	v_cndmask_b32_e32 v1, v8, v9, vcc
	v_cmp_eq_u32_e32 vcc, 2, v38
	v_cndmask_b32_e32 v1, v1, v10, vcc
	;; [unrolled: 2-line block ×3, first 2 shown]
	v_cvt_f32_u32_e32 v1, v1
	v_cmp_eq_u32_e32 vcc, 1, v0
	v_mov_b32_e32 v9, 0x2f800000
	v_cndmask_b32_e32 v8, v12, v13, vcc
	v_cmp_eq_u32_e32 vcc, 2, v0
	v_fmac_f32_e32 v9, 0x2f800000, v1
	v_cndmask_b32_e32 v8, v8, v14, vcc
	v_cmp_gt_f32_e32 vcc, s56, v9
	v_cndmask_b32_e32 v1, 1.0, v32, vcc
	v_mul_f32_e32 v1, v9, v1
	v_log_f32_e32 v1, v1
	v_cmp_eq_u32_e64 s[4:5], 3, v0
	v_cndmask_b32_e64 v0, v8, v15, s[4:5]
	v_cvt_f32_u32_e32 v0, v0
	v_mul_f32_e32 v8, 0x3f317217, v1
	v_fma_f32 v9, v1, s57, -v8
	v_fmac_f32_e32 v9, 0x3377d1cf, v1
	v_add_f32_e32 v8, v8, v9
	v_cmp_lt_f32_e64 s[4:5], |v1|, s42
	v_cndmask_b32_e64 v1, v1, v8, s[4:5]
	v_cndmask_b32_e32 v8, 0, v33, vcc
	v_sub_f32_e32 v1, v1, v8
	v_mul_f32_e32 v1, -2.0, v1
	v_mul_f32_e32 v8, 0x4f800000, v1
	v_cmp_gt_f32_e32 vcc, s47, v1
	v_cndmask_b32_e32 v8, v1, v8, vcc
	v_sqrt_f32_e32 v1, v8
	v_mov_b32_e32 v9, 0x30c90fdb
	v_fmac_f32_e32 v9, 0x30c90fdb, v0
	v_mov_b32_e32 v58, 1
	v_add_u32_e32 v0, -1, v1
	v_fma_f32 v10, -v0, v1, v8
	v_cmp_ge_f32_e64 s[4:5], 0, v10
	v_add_u32_e32 v10, 1, v1
	v_cndmask_b32_e64 v0, v1, v0, s[4:5]
	v_fma_f32 v1, -v10, v1, v8
	v_cmp_lt_f32_e64 s[4:5], 0, v1
	v_cndmask_b32_e64 v10, v0, v10, s[4:5]
	v_mul_f32_e32 v0, 0.15915494, v9
	v_sin_f32_e32 v1, v0
	v_cos_f32_e32 v0, v0
	v_mul_f32_e32 v11, 0x37800000, v10
	v_cndmask_b32_e32 v9, v10, v11, vcc
	v_cmp_class_f32_e32 vcc, v8, v28
	v_cndmask_b32_e32 v8, v9, v8, vcc
	v_pk_mul_f32 v[0:1], v[8:9], v[0:1] op_sel_hi:[0,1]
	v_pk_mov_b32 v[8:9], v[16:17], v[16:17] op_sel:[0,1]
	v_pk_mov_b32 v[10:11], v[18:19], v[18:19] op_sel:[0,1]
	v_mov_b32_e32 v38, v59
.LBB137_26:                             ;   in Loop: Header=BB137_20 Depth=2
	s_or_b64 exec, exec, s[30:31]
	v_fma_f32 v17, v41, v1, 1.0
	v_cmp_nge_f32_e32 vcc, 0, v17
	s_or_b64 s[28:29], vcc, s[28:29]
	s_andn2_b64 exec, exec, s[28:29]
	s_cbranch_execnz .LBB137_20
; %bb.27:                               ;   in Loop: Header=BB137_20 Depth=2
	s_or_b64 exec, exec, s[28:29]
	v_add_u32_e32 v16, 1, v38
	v_pk_mov_b32 v[14:15], v[10:11], v[10:11] op_sel:[0,1]
	v_cmp_eq_u32_e32 vcc, 4, v16
	v_pk_mov_b32 v[12:13], v[8:9], v[8:9] op_sel:[0,1]
	s_and_saveexec_b64 s[4:5], vcc
	s_cbranch_execz .LBB137_29
; %bb.28:                               ;   in Loop: Header=BB137_20 Depth=2
	v_add_co_u32_e32 v4, vcc, 1, v4
	v_cndmask_b32_e64 v12, 0, 1, vcc
	v_addc_co_u32_e32 v5, vcc, 0, v5, vcc
	v_cmp_eq_u32_e32 vcc, 0, v5
	v_cndmask_b32_e32 v12, 0, v12, vcc
	v_add_u32_e32 v6, v12, v6
	v_cmp_eq_u32_e32 vcc, 0, v6
	v_cndmask_b32_e32 v12, 0, v12, vcc
	v_add_u32_e32 v7, v12, v7
	v_mad_u64_u32 v[12:13], s[28:29], v4, s11, 0
	v_mad_u64_u32 v[14:15], s[28:29], v6, s36, 0
	v_xor_b32_e32 v15, v15, v26
	v_xor_b32_e32 v13, v13, v27
	v_xor_b32_e32 v15, v5, v15
	v_xor_b32_e32 v13, v7, v13
	v_mad_u64_u32 v[18:19], s[28:29], v15, s11, 0
	v_mad_u64_u32 v[60:61], s[28:29], v13, s36, 0
	v_xor_b32_e32 v13, v61, v14
	v_xor_b32_e32 v12, v19, v12
	v_xor_b32_e32 v13, v42, v13
	v_xor_b32_e32 v14, v43, v12
	;; [unrolled: 6-line block ×9, first 2 shown]
	v_mad_u64_u32 v[18:19], s[28:29], v13, s11, 0
	v_mad_u64_u32 v[60:61], s[28:29], v15, s36, 0
	v_xor_b32_e32 v12, v61, v12
	v_xor_b32_e32 v13, v19, v14
	v_mov_b32_e32 v16, 0
	v_xor_b32_e32 v12, v36, v12
	v_xor_b32_e32 v14, v37, v13
	v_mov_b32_e32 v13, v60
	v_mov_b32_e32 v15, v18
.LBB137_29:                             ;   in Loop: Header=BB137_20 Depth=2
	s_or_b64 exec, exec, s[4:5]
	v_cmp_eq_u32_e32 vcc, 1, v38
	v_cndmask_b32_e32 v8, v8, v9, vcc
	v_cmp_eq_u32_e32 vcc, 2, v38
	v_cndmask_b32_e32 v8, v8, v10, vcc
	v_cmp_eq_u32_e32 vcc, 3, v38
	v_cndmask_b32_e32 v8, v8, v11, vcc
	v_cvt_f32_u32_e32 v8, v8
	v_mul_f32_e32 v9, v17, v17
	v_mul_f32_e32 v17, v17, v9
	v_mov_b32_e32 v9, 0x2f800000
	v_fmac_f32_e32 v9, 0x2f800000, v8
	v_mul_f32_e32 v1, v1, v1
	v_sub_f32_e32 v8, 1.0, v9
	v_mul_f32_e32 v9, 0xbd0793de, v1
	v_fma_f32 v9, v1, v9, 1.0
	v_cmp_nlt_f32_e32 vcc, v8, v9
	s_mov_b64 s[4:5], -1
	s_or_b64 s[26:27], s[26:27], exec
	s_and_saveexec_b64 s[28:29], vcc
	s_cbranch_execz .LBB137_19
; %bb.30:                               ;   in Loop: Header=BB137_20 Depth=2
	v_cmp_gt_f32_e32 vcc, s56, v8
	v_cndmask_b32_e32 v9, 1.0, v32, vcc
	v_mul_f32_e32 v8, v8, v9
	v_log_f32_e32 v8, v8
	s_andn2_b64 s[26:27], s[26:27], exec
	v_mul_f32_e32 v9, 0x3f317217, v8
	v_fma_f32 v10, v8, s57, -v9
	v_fmac_f32_e32 v10, 0x3377d1cf, v8
	v_add_f32_e32 v9, v9, v10
	v_cmp_lt_f32_e64 s[4:5], |v8|, s42
	v_cndmask_b32_e64 v8, v8, v9, s[4:5]
	v_cmp_gt_f32_e64 s[4:5], s56, v17
	v_cndmask_b32_e64 v9, 1.0, v32, s[4:5]
	v_mul_f32_e32 v9, v17, v9
	v_log_f32_e32 v9, v9
	v_cndmask_b32_e32 v10, 0, v33, vcc
	v_sub_f32_e32 v8, v8, v10
	v_sub_f32_e32 v10, 1.0, v17
	v_mul_f32_e32 v11, 0x3f317217, v9
	v_fma_f32 v18, v9, s57, -v11
	v_fmac_f32_e32 v18, 0x3377d1cf, v9
	v_add_f32_e32 v11, v11, v18
	v_cmp_lt_f32_e64 vcc, |v9|, s42
	v_cndmask_b32_e32 v9, v9, v11, vcc
	v_cndmask_b32_e64 v11, 0, v33, s[4:5]
	v_sub_f32_e32 v9, v9, v11
	v_add_f32_e32 v9, v10, v9
	v_mul_f32_e32 v9, v40, v9
	v_fmac_f32_e32 v9, 0.5, v1
	v_cmp_lt_f32_e32 vcc, v8, v9
	s_orn2_b64 s[4:5], vcc, exec
	s_branch .LBB137_19
.LBB137_31:                             ;   in Loop: Header=BB137_4 Depth=1
	s_or_b64 exec, exec, s[8:9]
	s_xor_b64 s[4:5], s[24:25], -1
	v_mul_f32_e32 v1, v39, v40
                                        ; implicit-def: $vgpr0
	s_and_saveexec_b64 s[8:9], s[4:5]
	s_xor_b64 s[4:5], exec, s[8:9]
; %bb.32:                               ;   in Loop: Header=BB137_4 Depth=1
	v_fma_mixlo_f16 v0, v1, v17, 0
                                        ; implicit-def: $vgpr1
; %bb.33:                               ;   in Loop: Header=BB137_4 Depth=1
	s_andn2_saveexec_b64 s[4:5], s[4:5]
	s_cbranch_execz .LBB137_2
; %bb.34:                               ;   in Loop: Header=BB137_4 Depth=1
	v_fma_mixlo_f16 v0, v1, v17, 0
	s_branch .LBB137_2
.LBB137_35:
	s_endpgm
	.section	.rodata,"a",@progbits
	.p2align	6, 0x0
	.amdhsa_kernel _ZN2at4cuda12_GLOBAL__N_121kernelPointwiseApply2IZN12_GLOBAL__N_117gamma_cuda_kernelIN3c104HalfEEEvRKNS_10TensorBaseES9_NS_15PhiloxCudaStateEEUlRS6_RKS6_E_S6_S6_jLin1ELi1ELi1ELi256ELi2EEEvNS0_6detail10TensorInfoIT0_T2_EENSG_IT1_SI_EESI_T_
		.amdhsa_group_segment_fixed_size 0
		.amdhsa_private_segment_fixed_size 0
		.amdhsa_kernarg_size 728
		.amdhsa_user_sgpr_count 6
		.amdhsa_user_sgpr_private_segment_buffer 1
		.amdhsa_user_sgpr_dispatch_ptr 0
		.amdhsa_user_sgpr_queue_ptr 0
		.amdhsa_user_sgpr_kernarg_segment_ptr 1
		.amdhsa_user_sgpr_dispatch_id 0
		.amdhsa_user_sgpr_flat_scratch_init 0
		.amdhsa_user_sgpr_kernarg_preload_length 0
		.amdhsa_user_sgpr_kernarg_preload_offset 0
		.amdhsa_user_sgpr_private_segment_size 0
		.amdhsa_uses_dynamic_stack 0
		.amdhsa_system_sgpr_private_segment_wavefront_offset 0
		.amdhsa_system_sgpr_workgroup_id_x 1
		.amdhsa_system_sgpr_workgroup_id_y 0
		.amdhsa_system_sgpr_workgroup_id_z 0
		.amdhsa_system_sgpr_workgroup_info 0
		.amdhsa_system_vgpr_workitem_id 0
		.amdhsa_next_free_vgpr 64
		.amdhsa_next_free_sgpr 68
		.amdhsa_accum_offset 64
		.amdhsa_reserve_vcc 1
		.amdhsa_reserve_flat_scratch 0
		.amdhsa_float_round_mode_32 0
		.amdhsa_float_round_mode_16_64 0
		.amdhsa_float_denorm_mode_32 3
		.amdhsa_float_denorm_mode_16_64 3
		.amdhsa_dx10_clamp 1
		.amdhsa_ieee_mode 1
		.amdhsa_fp16_overflow 0
		.amdhsa_tg_split 0
		.amdhsa_exception_fp_ieee_invalid_op 0
		.amdhsa_exception_fp_denorm_src 0
		.amdhsa_exception_fp_ieee_div_zero 0
		.amdhsa_exception_fp_ieee_overflow 0
		.amdhsa_exception_fp_ieee_underflow 0
		.amdhsa_exception_fp_ieee_inexact 0
		.amdhsa_exception_int_div_zero 0
	.end_amdhsa_kernel
	.section	.text._ZN2at4cuda12_GLOBAL__N_121kernelPointwiseApply2IZN12_GLOBAL__N_117gamma_cuda_kernelIN3c104HalfEEEvRKNS_10TensorBaseES9_NS_15PhiloxCudaStateEEUlRS6_RKS6_E_S6_S6_jLin1ELi1ELi1ELi256ELi2EEEvNS0_6detail10TensorInfoIT0_T2_EENSG_IT1_SI_EESI_T_,"axG",@progbits,_ZN2at4cuda12_GLOBAL__N_121kernelPointwiseApply2IZN12_GLOBAL__N_117gamma_cuda_kernelIN3c104HalfEEEvRKNS_10TensorBaseES9_NS_15PhiloxCudaStateEEUlRS6_RKS6_E_S6_S6_jLin1ELi1ELi1ELi256ELi2EEEvNS0_6detail10TensorInfoIT0_T2_EENSG_IT1_SI_EESI_T_,comdat
.Lfunc_end137:
	.size	_ZN2at4cuda12_GLOBAL__N_121kernelPointwiseApply2IZN12_GLOBAL__N_117gamma_cuda_kernelIN3c104HalfEEEvRKNS_10TensorBaseES9_NS_15PhiloxCudaStateEEUlRS6_RKS6_E_S6_S6_jLin1ELi1ELi1ELi256ELi2EEEvNS0_6detail10TensorInfoIT0_T2_EENSG_IT1_SI_EESI_T_, .Lfunc_end137-_ZN2at4cuda12_GLOBAL__N_121kernelPointwiseApply2IZN12_GLOBAL__N_117gamma_cuda_kernelIN3c104HalfEEEvRKNS_10TensorBaseES9_NS_15PhiloxCudaStateEEUlRS6_RKS6_E_S6_S6_jLin1ELi1ELi1ELi256ELi2EEEvNS0_6detail10TensorInfoIT0_T2_EENSG_IT1_SI_EESI_T_
                                        ; -- End function
	.section	.AMDGPU.csdata,"",@progbits
; Kernel info:
; codeLenInByte = 5352
; NumSgprs: 72
; NumVgprs: 64
; NumAgprs: 0
; TotalNumVgprs: 64
; ScratchSize: 0
; MemoryBound: 0
; FloatMode: 240
; IeeeMode: 1
; LDSByteSize: 0 bytes/workgroup (compile time only)
; SGPRBlocks: 8
; VGPRBlocks: 7
; NumSGPRsForWavesPerEU: 72
; NumVGPRsForWavesPerEU: 64
; AccumOffset: 64
; Occupancy: 8
; WaveLimiterHint : 1
; COMPUTE_PGM_RSRC2:SCRATCH_EN: 0
; COMPUTE_PGM_RSRC2:USER_SGPR: 6
; COMPUTE_PGM_RSRC2:TRAP_HANDLER: 0
; COMPUTE_PGM_RSRC2:TGID_X_EN: 1
; COMPUTE_PGM_RSRC2:TGID_Y_EN: 0
; COMPUTE_PGM_RSRC2:TGID_Z_EN: 0
; COMPUTE_PGM_RSRC2:TIDIG_COMP_CNT: 0
; COMPUTE_PGM_RSRC3_GFX90A:ACCUM_OFFSET: 15
; COMPUTE_PGM_RSRC3_GFX90A:TG_SPLIT: 0
	.section	.text._ZN2at4cuda12_GLOBAL__N_121kernelPointwiseApply2IZN12_GLOBAL__N_117gamma_cuda_kernelIN3c104HalfEEEvRKNS_10TensorBaseES9_NS_15PhiloxCudaStateEEUlRS6_RKS6_E_S6_S6_jLin1ELi2ELi1ELi256ELi2EEEvNS0_6detail10TensorInfoIT0_T2_EENSG_IT1_SI_EESI_T_,"axG",@progbits,_ZN2at4cuda12_GLOBAL__N_121kernelPointwiseApply2IZN12_GLOBAL__N_117gamma_cuda_kernelIN3c104HalfEEEvRKNS_10TensorBaseES9_NS_15PhiloxCudaStateEEUlRS6_RKS6_E_S6_S6_jLin1ELi2ELi1ELi256ELi2EEEvNS0_6detail10TensorInfoIT0_T2_EENSG_IT1_SI_EESI_T_,comdat
	.globl	_ZN2at4cuda12_GLOBAL__N_121kernelPointwiseApply2IZN12_GLOBAL__N_117gamma_cuda_kernelIN3c104HalfEEEvRKNS_10TensorBaseES9_NS_15PhiloxCudaStateEEUlRS6_RKS6_E_S6_S6_jLin1ELi2ELi1ELi256ELi2EEEvNS0_6detail10TensorInfoIT0_T2_EENSG_IT1_SI_EESI_T_ ; -- Begin function _ZN2at4cuda12_GLOBAL__N_121kernelPointwiseApply2IZN12_GLOBAL__N_117gamma_cuda_kernelIN3c104HalfEEEvRKNS_10TensorBaseES9_NS_15PhiloxCudaStateEEUlRS6_RKS6_E_S6_S6_jLin1ELi2ELi1ELi256ELi2EEEvNS0_6detail10TensorInfoIT0_T2_EENSG_IT1_SI_EESI_T_
	.p2align	8
	.type	_ZN2at4cuda12_GLOBAL__N_121kernelPointwiseApply2IZN12_GLOBAL__N_117gamma_cuda_kernelIN3c104HalfEEEvRKNS_10TensorBaseES9_NS_15PhiloxCudaStateEEUlRS6_RKS6_E_S6_S6_jLin1ELi2ELi1ELi256ELi2EEEvNS0_6detail10TensorInfoIT0_T2_EENSG_IT1_SI_EESI_T_,@function
_ZN2at4cuda12_GLOBAL__N_121kernelPointwiseApply2IZN12_GLOBAL__N_117gamma_cuda_kernelIN3c104HalfEEEvRKNS_10TensorBaseES9_NS_15PhiloxCudaStateEEUlRS6_RKS6_E_S6_S6_jLin1ELi2ELi1ELi256ELi2EEEvNS0_6detail10TensorInfoIT0_T2_EENSG_IT1_SI_EESI_T_: ; @_ZN2at4cuda12_GLOBAL__N_121kernelPointwiseApply2IZN12_GLOBAL__N_117gamma_cuda_kernelIN3c104HalfEEEvRKNS_10TensorBaseES9_NS_15PhiloxCudaStateEEUlRS6_RKS6_E_S6_S6_jLin1ELi2ELi1ELi256ELi2EEEvNS0_6detail10TensorInfoIT0_T2_EENSG_IT1_SI_EESI_T_
; %bb.0:
	s_load_dword s2, s[4:5], 0x1e4
	s_load_dword s33, s[4:5], 0x1b0
	s_add_u32 s0, s4, 0x1d8
	s_addc_u32 s1, s5, 0
	s_waitcnt lgkmcnt(0)
	s_and_b32 s2, s2, 0xffff
	s_mul_i32 s6, s6, s2
	v_add_u32_e32 v2, s6, v0
	v_cmp_gt_u32_e32 vcc, s33, v2
	s_and_saveexec_b64 s[6:7], vcc
	s_cbranch_execz .LBB138_37
; %bb.1:
	s_load_dword s36, s[4:5], 0xe4
	s_load_dwordx2 s[12:13], s[4:5], 0x144
	s_load_dwordx2 s[14:15], s[4:5], 0xd8
	s_load_dword s22, s[4:5], 0xd0
	s_load_dwordx2 s[16:17], s[4:5], 0x1c8
	s_load_dwordx4 s[8:11], s[4:5], 0x1b8
	s_load_dword s39, s[0:1], 0x0
	s_load_dword s3, s[4:5], 0x1d0
	;; [unrolled: 1-line block ×3, first 2 shown]
	s_waitcnt lgkmcnt(0)
	v_cvt_f32_u32_e32 v0, s36
	s_cmp_gt_i32 s22, 1
	s_cselect_b64 s[0:1], -1, 0
	s_bitcmp1_b32 s3, 0
	v_rcp_iflag_f32_e32 v0, v0
	s_cselect_b64 s[20:21], -1, 0
	s_mul_i32 s39, s39, s2
	s_sub_i32 s2, 0, s36
	v_mul_f32_e32 v0, 0x4f7ffffe, v0
	v_cvt_u32_f32_e32 v0, v0
	s_mov_b32 s3, 0
	s_load_dwordx2 s[18:19], s[4:5], 0x0
	s_add_i32 s40, s22, 1
	v_mul_lo_u32 v1, s2, v0
	s_add_i32 s2, s22, -1
	s_lshl_b64 s[2:3], s[2:3], 2
	s_mov_b32 s38, 0xcd9e8d57
	s_add_u32 s2, s2, s4
	v_mad_u64_u32 v[20:21], s[6:7], v2, s38, 0
	v_mul_hi_u32 v1, v0, v1
	s_addc_u32 s3, s3, s5
	v_mov_b32_e32 v22, v21
	v_add_u32_e32 v21, v0, v1
	s_add_u32 s22, s2, 8
	v_cndmask_b32_e64 v0, 0, 1, s[0:1]
	v_mov_b32_e32 v3, 0
	s_addc_u32 s23, s3, 0
	s_mov_b64 s[24:25], 0
	v_cmp_ne_u32_e64 s[0:1], 1, v0
	v_mov_b32_e32 v23, s15
	s_mov_b32 s15, 0xd2511f53
	s_mov_b32 s41, 0x3f2aaaab
	v_mov_b32_e32 v28, 0x3ecccdef
	s_mov_b32 s42, 0x3f317218
	s_movk_i32 s43, 0x204
	s_mov_b32 s44, 0x7f800000
	s_mov_b32 s45, 0x42b17218
	;; [unrolled: 1-line block ×4, first 2 shown]
	s_brev_b32 s48, -2
	s_mov_b32 s49, 0xf800000
	v_mov_b32_e32 v29, 0x260
	s_mov_b32 s50, 0x3c6ef372
	s_mov_b32 s51, 0x76cf5d0a
	;; [unrolled: 1-line block ×10, first 2 shown]
	s_movk_i32 s60, 0x400
	s_mov_b32 s61, 0xbb67ae85
	s_mov_b32 s62, 0xdaa66d2b
	;; [unrolled: 1-line block ×7, first 2 shown]
	v_mov_b32_e32 v30, 0x37000000
	v_mov_b32_e32 v31, 0x7f800000
	;; [unrolled: 1-line block ×7, first 2 shown]
	s_branch .LBB138_4
.LBB138_2:                              ;   in Loop: Header=BB138_4 Depth=1
	s_or_b64 exec, exec, s[2:3]
.LBB138_3:                              ;   in Loop: Header=BB138_4 Depth=1
	s_or_b64 exec, exec, s[4:5]
	v_lshlrev_b64 v[4:5], 1, v[24:25]
	s_waitcnt lgkmcnt(0)
	v_mov_b32_e32 v1, s19
	v_add_co_u32_e32 v4, vcc, s18, v4
	v_addc_co_u32_e32 v5, vcc, v1, v5, vcc
	v_cmp_ngt_f16_e32 vcc, s60, v0
	v_add_u32_e32 v36, s39, v36
	v_cndmask_b32_e32 v0, v35, v0, vcc
	v_cmp_le_u32_e32 vcc, s33, v36
	s_or_b64 s[24:25], vcc, s[24:25]
	global_store_short v[4:5], v0, off
	s_andn2_b64 exec, exec, s[24:25]
	s_cbranch_execz .LBB138_37
.LBB138_4:                              ; =>This Loop Header: Depth=1
                                        ;     Child Loop BB138_7 Depth 2
                                        ;     Child Loop BB138_22 Depth 2
	v_sub_u32_e32 v0, s33, v36
	v_cmp_lt_i32_e64 s[2:3], 0, v0
	v_pk_mov_b32 v[24:25], 0, 0
	s_and_saveexec_b64 s[4:5], s[2:3]
	s_cbranch_execz .LBB138_9
; %bb.5:                                ;   in Loop: Header=BB138_4 Depth=1
	s_and_b64 vcc, exec, s[0:1]
	v_mov_b32_e32 v0, 0
	v_mov_b32_e32 v4, v36
	s_cbranch_vccnz .LBB138_8
; %bb.6:                                ;   in Loop: Header=BB138_4 Depth=1
	v_mov_b32_e32 v0, 0
	s_mov_b64 s[6:7], s[22:23]
	s_mov_b32 s26, s40
	v_mov_b32_e32 v4, v36
.LBB138_7:                              ;   Parent Loop BB138_4 Depth=1
                                        ; =>  This Inner Loop Header: Depth=2
	s_load_dword s27, s[6:7], 0x0
	s_load_dword s28, s[6:7], 0x64
	v_mov_b32_e32 v1, v4
	s_add_i32 s26, s26, -1
	s_waitcnt lgkmcnt(0)
	v_cvt_f32_u32_e32 v4, s27
	s_sub_i32 s29, 0, s27
	s_add_u32 s6, s6, -4
	s_addc_u32 s7, s7, -1
	v_rcp_iflag_f32_e32 v4, v4
	s_cmp_gt_u32 s26, 2
	v_mul_f32_e32 v4, 0x4f7ffffe, v4
	v_cvt_u32_f32_e32 v4, v4
	v_mul_lo_u32 v5, s29, v4
	v_mul_hi_u32 v5, v4, v5
	v_add_u32_e32 v4, v4, v5
	v_mul_hi_u32 v4, v1, v4
	v_mul_lo_u32 v5, v4, s27
	v_sub_u32_e32 v5, v1, v5
	v_add_u32_e32 v6, 1, v4
	v_cmp_le_u32_e32 vcc, s27, v5
	v_cndmask_b32_e32 v4, v4, v6, vcc
	v_subrev_u32_e32 v6, s27, v5
	v_cndmask_b32_e32 v5, v5, v6, vcc
	v_add_u32_e32 v6, 1, v4
	v_cmp_le_u32_e32 vcc, s27, v5
	v_cndmask_b32_e32 v4, v4, v6, vcc
	v_mul_lo_u32 v5, v4, s27
	v_sub_u32_e32 v1, v1, v5
	v_mad_u64_u32 v[0:1], s[28:29], s28, v1, v[0:1]
	s_cbranch_scc1 .LBB138_7
.LBB138_8:                              ;   in Loop: Header=BB138_4 Depth=1
	v_mad_u64_u32 v[24:25], s[6:7], s37, v4, v[0:1]
	v_mov_b32_e32 v25, v3
.LBB138_9:                              ;   in Loop: Header=BB138_4 Depth=1
	s_or_b64 exec, exec, s[4:5]
	v_pk_mov_b32 v[0:1], 0, 0
	s_and_saveexec_b64 s[4:5], s[2:3]
	s_cbranch_execz .LBB138_11
; %bb.10:                               ;   in Loop: Header=BB138_4 Depth=1
	v_mul_hi_u32 v0, v36, v21
	v_mul_lo_u32 v1, v0, s36
	v_sub_u32_e32 v1, v36, v1
	v_add_u32_e32 v4, 1, v0
	v_cmp_le_u32_e32 vcc, s36, v1
	v_cndmask_b32_e32 v0, v0, v4, vcc
	v_subrev_u32_e32 v4, s36, v1
	v_cndmask_b32_e32 v1, v1, v4, vcc
	v_add_u32_e32 v4, 1, v0
	v_cmp_le_u32_e32 vcc, s36, v1
	v_cndmask_b32_e32 v1, v0, v4, vcc
	v_mul_lo_u32 v0, v1, s36
	v_sub_u32_e32 v0, v36, v0
	v_mul_lo_u32 v0, v0, s13
	v_mad_u64_u32 v[0:1], s[2:3], v1, s12, v[0:1]
	v_mov_b32_e32 v1, v3
.LBB138_11:                             ;   in Loop: Header=BB138_4 Depth=1
	s_or_b64 exec, exec, s[4:5]
	v_lshlrev_b64 v[0:1], 1, v[0:1]
	v_add_co_u32_e32 v0, vcc, s14, v0
	v_addc_co_u32_e32 v1, vcc, v23, v1, vcc
	global_load_ushort v41, v[0:1], off
	s_andn2_b64 vcc, exec, s[20:21]
	v_pk_mov_b32 v[0:1], s[10:11], s[10:11] op_sel:[0,1]
	v_pk_mov_b32 v[26:27], s[8:9], s[8:9] op_sel:[0,1]
	s_cbranch_vccnz .LBB138_13
; %bb.12:                               ;   in Loop: Header=BB138_4 Depth=1
	v_pk_mov_b32 v[0:1], s[10:11], s[10:11] op_sel:[0,1]
	flat_load_dwordx2 v[0:1], v[0:1]
	v_pk_mov_b32 v[4:5], s[8:9], s[8:9] op_sel:[0,1]
	flat_load_dwordx2 v[26:27], v[4:5]
	v_mov_b32_e32 v4, s17
	s_waitcnt vmcnt(0) lgkmcnt(0)
	v_add_co_u32_e32 v0, vcc, s16, v0
	v_addc_co_u32_e32 v1, vcc, v1, v4, vcc
.LBB138_13:                             ;   in Loop: Header=BB138_4 Depth=1
	v_and_b32_e32 v39, 3, v0
	v_alignbit_b32 v0, v1, v0, 2
	v_mad_u64_u32 v[6:7], s[2:3], v0, s15, 0
	v_lshrrev_b32_e32 v1, 2, v1
	v_xor_b32_e32 v5, v7, v27
	v_xor_b32_e32 v7, v22, v26
	v_mov_b32_e32 v4, v27
	v_xor_b32_e32 v7, v7, v1
	v_mad_u64_u32 v[10:11], s[2:3], v5, s38, 0
	v_add_co_u32_e32 v43, vcc, 0x9e3779b9, v26
	v_add_co_u32_e32 v42, vcc, s61, v4
	v_mad_u64_u32 v[8:9], s[2:3], v7, s15, 0
	v_xor_b32_e32 v5, v20, v11
	v_xor_b32_e32 v5, v5, v43
	v_xor_b32_e32 v7, v42, v9
	v_xor_b32_e32 v9, v7, v6
	v_add_co_u32_e32 v44, vcc, s51, v4
	v_mad_u64_u32 v[6:7], s[2:3], v5, s15, 0
	v_add_co_u32_e32 v45, vcc, s50, v26
	v_mad_u64_u32 v[12:13], s[2:3], v9, s38, 0
	v_xor_b32_e32 v7, v44, v7
	v_xor_b32_e32 v5, v45, v13
	v_xor_b32_e32 v7, v7, v8
	v_xor_b32_e32 v5, v5, v10
	v_add_co_u32_e32 v47, vcc, s62, v26
	v_mad_u64_u32 v[10:11], s[2:3], v7, s38, 0
	;; [unrolled: 8-line block ×7, first 2 shown]
	v_add_co_u32_e32 v57, vcc, s66, v26
	v_mad_u64_u32 v[6:7], s[2:3], v6, s38, 0
	v_xor_b32_e32 v5, v56, v5
	v_xor_b32_e32 v7, v57, v7
	;; [unrolled: 1-line block ×4, first 2 shown]
	v_mad_u64_u32 v[18:19], s[2:3], v5, s38, 0
	v_mad_u64_u32 v[16:17], s[2:3], v7, s15, 0
	v_xor_b32_e32 v5, v19, v6
	s_waitcnt vmcnt(0)
	v_cvt_f32_f16_e32 v19, v41
	v_add_u32_e32 v37, 0x8ff34781, v26
	v_add_u32_e32 v38, 0x96a522ad, v27
	v_xor_b32_e32 v4, v17, v4
	v_xor_b32_e32 v8, v37, v5
	;; [unrolled: 1-line block ×3, first 2 shown]
	v_pk_mov_b32 v[6:7], v[2:3], v[2:3] op_sel:[0,1]
	v_mov_b32_e32 v9, v18
	v_mov_b32_e32 v11, v16
	v_cmp_gt_f16_e32 vcc, 1.0, v41
	s_mov_b64 s[2:3], -1
	v_mov_b32_e32 v40, 1.0
	v_pk_mov_b32 v[4:5], v[0:1], v[0:1] op_sel:[0,1]
                                        ; implicit-def: $sgpr4
	s_and_saveexec_b64 s[26:27], vcc
	s_cbranch_execz .LBB138_19
; %bb.14:                               ;   in Loop: Header=BB138_4 Depth=1
	v_cmp_neq_f16_e32 vcc, 0, v41
	s_mov_b64 s[30:31], 0
	v_mov_b32_e32 v40, 1.0
                                        ; implicit-def: $vgpr4_vgpr5_vgpr6_vgpr7
	s_and_saveexec_b64 s[28:29], vcc
	s_cbranch_execz .LBB138_18
; %bb.15:                               ;   in Loop: Header=BB138_4 Depth=1
	v_add_u32_e32 v17, 1, v39
	v_pk_mov_b32 v[14:15], v[10:11], v[10:11] op_sel:[0,1]
	v_pk_mov_b32 v[6:7], v[2:3], v[2:3] op_sel:[0,1]
	v_cmp_eq_u32_e32 vcc, 4, v17
	v_pk_mov_b32 v[12:13], v[8:9], v[8:9] op_sel:[0,1]
	v_pk_mov_b32 v[4:5], v[0:1], v[0:1] op_sel:[0,1]
	s_and_saveexec_b64 s[2:3], vcc
	s_cbranch_execz .LBB138_17
; %bb.16:                               ;   in Loop: Header=BB138_4 Depth=1
	v_add_co_u32_e32 v4, vcc, 1, v0
	v_cndmask_b32_e64 v0, 0, 1, vcc
	v_addc_co_u32_e32 v5, vcc, 0, v1, vcc
	v_cmp_eq_u32_e32 vcc, 0, v5
	v_cndmask_b32_e32 v0, 0, v0, vcc
	v_add_u32_e32 v6, v0, v2
	v_cmp_eq_u32_e32 vcc, 0, v6
	v_cndmask_b32_e32 v7, 0, v0, vcc
	v_mad_u64_u32 v[0:1], s[4:5], v4, s15, 0
	v_mad_u64_u32 v[12:13], s[4:5], v6, s38, 0
	v_xor_b32_e32 v9, v13, v26
	v_xor_b32_e32 v1, v1, v27
	v_xor_b32_e32 v9, v5, v9
	v_xor_b32_e32 v1, v7, v1
	v_mad_u64_u32 v[14:15], s[4:5], v9, s15, 0
	v_mad_u64_u32 v[58:59], s[4:5], v1, s38, 0
	v_xor_b32_e32 v1, v43, v59
	v_xor_b32_e32 v9, v42, v15
	v_xor_b32_e32 v1, v1, v12
	v_xor_b32_e32 v9, v9, v0
	;; [unrolled: 6-line block ×9, first 2 shown]
	v_mad_u64_u32 v[42:43], s[4:5], v9, s15, 0
	v_mad_u64_u32 v[44:45], s[4:5], v1, s38, 0
	v_xor_b32_e32 v1, v45, v12
	v_xor_b32_e32 v0, v43, v0
	v_mov_b32_e32 v17, 0
	v_xor_b32_e32 v12, v37, v1
	v_xor_b32_e32 v14, v38, v0
	v_mov_b32_e32 v13, v44
	v_mov_b32_e32 v15, v42
.LBB138_17:                             ;   in Loop: Header=BB138_4 Depth=1
	s_or_b64 exec, exec, s[2:3]
	v_cmp_eq_u32_e32 vcc, 1, v39
	v_cndmask_b32_e32 v0, v8, v18, vcc
	v_cmp_eq_u32_e32 vcc, 2, v39
	v_cndmask_b32_e32 v0, v0, v10, vcc
	;; [unrolled: 2-line block ×3, first 2 shown]
	v_div_scale_f32 v1, s[2:3], v19, v19, 1.0
	v_cvt_f32_u32_e32 v0, v0
	v_rcp_f32_e32 v8, v1
	v_mov_b32_e32 v9, 0x2f800000
	s_mov_b64 s[30:31], exec
	v_fmac_f32_e32 v9, 0x2f800000, v0
	v_fma_f32 v0, -v1, v8, 1.0
	v_fmac_f32_e32 v8, v0, v8
	v_div_scale_f32 v0, vcc, 1.0, v19, 1.0
	v_sub_f32_e32 v40, 1.0, v9
	v_mul_f32_e32 v9, v0, v8
	v_fma_f32 v10, -v1, v9, v0
	v_fmac_f32_e32 v9, v10, v8
	v_fma_f32 v0, -v1, v9, v0
	v_div_fmas_f32 v0, v0, v8, v9
	v_div_fixup_f32 v50, v0, v19, 1.0
	v_cmp_eq_f32_e32 vcc, 1.0, v40
	v_cndmask_b32_e64 v51, v50, 1.0, vcc
	v_cmp_eq_f32_e64 s[2:3], 0, v51
	v_cndmask_b32_e64 v52, |v40|, 1.0, s[2:3]
	v_frexp_mant_f32_e32 v0, v52
	v_cmp_gt_f32_e64 s[4:5], s41, v0
	v_cndmask_b32_e64 v1, 1.0, 2.0, s[4:5]
	v_mul_f32_e32 v0, v0, v1
	v_add_f32_e32 v9, 1.0, v0
	v_rcp_f32_e32 v16, v9
	v_add_f32_e32 v1, -1.0, v9
	v_sub_f32_e32 v11, v0, v1
	v_add_f32_e32 v1, -1.0, v0
	v_mul_f32_e32 v39, v1, v16
	v_mul_f32_e32 v8, v9, v39
	v_fma_f32 v10, v39, v9, -v8
	v_fmac_f32_e32 v10, v39, v11
	v_add_f32_e32 v0, v8, v10
	v_sub_f32_e32 v9, v1, v0
	v_pk_add_f32 v[18:19], v[0:1], v[8:9] neg_lo:[0,1] neg_hi:[0,1]
	v_mov_b32_e32 v11, v0
	v_pk_add_f32 v[0:1], v[18:19], v[10:11] neg_lo:[0,1] neg_hi:[0,1]
	v_add_f32_e32 v0, v0, v1
	v_add_f32_e32 v0, v9, v0
	v_mul_f32_e32 v1, v16, v0
	v_add_f32_e32 v0, v39, v1
	v_sub_f32_e32 v8, v0, v39
	v_sub_f32_e32 v16, v1, v8
	v_mul_f32_e32 v1, v0, v0
	v_fma_f32 v9, v0, v0, -v1
	v_add_f32_e32 v8, v16, v16
	v_fmac_f32_e32 v9, v0, v8
	v_add_f32_e32 v8, v1, v9
	v_mov_b32_e32 v10, 0x3e91f4c4
	v_fmac_f32_e32 v10, 0x3e76c4e1, v8
	v_fma_f32 v10, v8, v10, v28
	v_sub_f32_e32 v1, v8, v1
	v_sub_f32_e32 v39, v9, v1
	v_mul_f32_e32 v1, v8, v10
	v_fma_f32 v9, v8, v10, -v1
	v_fmac_f32_e32 v9, v39, v10
	v_add_f32_e32 v10, v1, v9
	v_add_f32_e32 v11, 0x3f2aaaaa, v10
	v_sub_f32_e32 v1, v10, v1
	v_sub_f32_e32 v1, v9, v1
	v_add_f32_e32 v9, 0xbf2aaaaa, v11
	v_add_f32_e32 v1, 0x31739010, v1
	v_sub_f32_e32 v9, v10, v9
	v_pk_mul_f32 v[18:19], v[0:1], v[8:9]
	v_fma_f32 v10, v8, v0, -v18
	v_pk_add_f32 v[42:43], v[0:1], v[8:9]
	v_fmac_f32_e32 v10, v8, v16
	v_mov_b32_e32 v19, v43
	v_fmac_f32_e32 v10, v39, v0
	v_pk_add_f32 v[8:9], v[18:19], v[10:11]
	v_sub_f32_e32 v1, v8, v18
	v_sub_f32_e32 v1, v10, v1
	;; [unrolled: 1-line block ×3, first 2 shown]
	v_add_f32_e32 v39, v43, v10
	v_mov_b32_e32 v10, v9
	v_pk_mul_f32 v[10:11], v[8:9], v[10:11]
	v_cvt_f64_f32_e32 v[18:19], v52
	v_frexp_exp_i32_f64_e32 v11, v[18:19]
	v_subbrev_co_u32_e64 v11, s[4:5], 0, v11, s[4:5]
	v_cvt_f32_i32_e32 v11, v11
	v_fma_f32 v18, v8, v9, -v10
	v_fmac_f32_e32 v18, v8, v39
	v_fmac_f32_e32 v18, v1, v9
	v_mul_f32_e32 v8, 0x3f317218, v11
	v_fma_f32 v42, v11, s42, -v8
	v_fmac_f32_e32 v42, 0xb102e308, v11
	v_ldexp_f32 v43, v0, 1
	v_add_f32_e32 v9, v10, v18
	v_pk_add_f32 v[0:1], v[8:9], v[42:43]
	v_mov_b32_e32 v44, v9
	v_mov_b32_e32 v45, v1
	;; [unrolled: 1-line block ×3, first 2 shown]
	v_pk_add_f32 v[10:11], v[44:45], v[10:11] neg_lo:[0,1] neg_hi:[0,1]
	v_mov_b32_e32 v19, v9
	v_ldexp_f32 v16, v16, 1
	v_pk_add_f32 v[10:11], v[18:19], v[10:11] neg_lo:[0,1] neg_hi:[0,1]
	v_add_f32_e32 v9, v16, v10
	v_add_f32_e32 v9, v9, v11
	v_pk_add_f32 v[10:11], v[0:1], v[8:9] neg_lo:[0,1] neg_hi:[0,1]
	v_pk_add_f32 v[18:19], v[0:1], v[8:9]
	v_mov_b32_e32 v44, v10
	v_mov_b32_e32 v45, v19
	;; [unrolled: 1-line block ×3, first 2 shown]
	v_pk_add_f32 v[44:45], v[42:43], v[44:45]
	v_mov_b32_e32 v8, v45
	v_pk_add_f32 v[46:47], v[8:9], v[0:1] neg_lo:[0,1] neg_hi:[0,1]
	v_mov_b32_e32 v39, v46
	v_mov_b32_e32 v44, v19
	;; [unrolled: 1-line block ×4, first 2 shown]
	v_pk_add_f32 v[10:11], v[42:43], v[10:11] neg_lo:[0,1] neg_hi:[0,1]
	v_pk_add_f32 v[48:49], v[18:19], v[38:39] neg_lo:[0,1] neg_hi:[0,1]
	;; [unrolled: 1-line block ×3, first 2 shown]
	v_mov_b32_e32 v42, v9
	v_pk_add_f32 v[0:1], v[42:43], v[0:1] neg_lo:[0,1] neg_hi:[0,1]
	v_mov_b32_e32 v48, v10
	v_pk_add_f32 v[18:19], v[48:49], v[0:1]
	v_mov_b32_e32 v16, v19
	v_pk_add_f32 v[42:43], v[18:19], v[16:17]
	v_pk_add_f32 v[8:9], v[8:9], v[42:43]
	v_mov_b32_e32 v11, v45
	v_mov_b32_e32 v19, v8
	v_pk_add_f32 v[44:45], v[18:19], v[10:11] neg_lo:[0,1] neg_hi:[0,1]
	v_mov_b32_e32 v1, v42
	v_sub_f32_e32 v9, v18, v44
	v_pk_add_f32 v[0:1], v[0:1], v[44:45] neg_lo:[0,1] neg_hi:[0,1]
	v_sub_f32_e32 v9, v10, v9
	v_add_f32_e32 v0, v0, v9
	v_add_f32_e32 v0, v0, v1
	;; [unrolled: 1-line block ×3, first 2 shown]
	v_sub_f32_e32 v8, v1, v8
	v_sub_f32_e32 v0, v0, v8
	v_mul_f32_e32 v8, v51, v1
	v_fma_f32 v1, v51, v1, -v8
	v_fmac_f32_e32 v1, v51, v0
	v_add_f32_e32 v0, v8, v1
	v_cmp_class_f32_e64 s[4:5], v8, s43
	v_sub_f32_e32 v9, v0, v8
	v_cndmask_b32_e64 v0, v0, v8, s[4:5]
	v_cmp_eq_f32_e64 s[4:5], s45, v0
	v_cndmask_b32_e64 v8, 0, v30, s[4:5]
	v_sub_f32_e32 v1, v1, v9
	v_sub_f32_e32 v9, v0, v8
	v_mul_f32_e32 v10, 0x3fb8aa3b, v9
	v_fma_f32 v11, v9, s46, -v10
	v_rndne_f32_e32 v16, v10
	v_fmac_f32_e32 v11, 0x32a5705f, v9
	v_sub_f32_e32 v10, v10, v16
	v_add_f32_e32 v10, v10, v11
	v_exp_f32_e32 v10, v10
	v_cvt_i32_f32_e32 v11, v16
	v_cmp_neq_f32_e64 s[4:5], |v0|, s44
	v_cndmask_b32_e64 v0, 0, v1, s[4:5]
	v_cmp_ngt_f32_e64 s[4:5], s47, v9
	v_ldexp_f32 v1, v10, v11
	v_cndmask_b32_e64 v1, 0, v1, s[4:5]
	v_cmp_nlt_f32_e64 s[4:5], s45, v9
	v_add_f32_e32 v0, v8, v0
	v_cndmask_b32_e64 v1, v31, v1, s[4:5]
	v_fma_f32 v0, v1, v0, v1
	v_cmp_class_f32_e64 s[4:5], v1, s43
	v_trunc_f32_e32 v8, v51
	v_cndmask_b32_e64 v0, v0, v1, s[4:5]
	v_cndmask_b32_e64 v1, v40, 1.0, s[2:3]
	v_cmp_eq_f32_e64 s[2:3], v8, v51
	v_mul_f32_e32 v8, 0.5, v51
	v_trunc_f32_e32 v9, v8
	v_cmp_neq_f32_e64 s[4:5], v9, v8
	s_and_b64 s[4:5], s[2:3], s[4:5]
	v_cndmask_b32_e64 v8, 1.0, v1, s[4:5]
	v_bfi_b32 v0, s48, v0, v8
	v_cndmask_b32_e64 v8, v32, v0, s[2:3]
	v_cmp_gt_f32_e64 s[2:3], 0, v1
	v_cndmask_b32_e64 v0, v0, v8, s[2:3]
	v_cndmask_b32_e64 v8, |v50|, 1.0, vcc
	v_cmp_neq_f32_e32 vcc, v51, v8
	v_cmp_gt_f32_e64 s[2:3], 1.0, v52
	s_xor_b64 s[2:3], vcc, s[2:3]
	v_cndmask_b32_e64 v9, v8, 0, s[2:3]
	v_cmp_eq_f32_e64 s[2:3], 0, v1
	v_cmp_gt_f32_e64 s[6:7], 0, v51
	v_cmp_eq_f32_e32 vcc, 1.0, v52
	s_xor_b64 s[6:7], s[6:7], s[2:3]
	v_cndmask_b32_e32 v9, v9, v52, vcc
	v_cmp_eq_f32_e32 vcc, s44, v8
	v_cndmask_b32_e64 v8, v31, 0, s[6:7]
	v_cndmask_b32_e64 v1, 0, v1, s[4:5]
	v_bfi_b32 v1, s48, v8, v1
	v_add_f16_e32 v8, 1.0, v41
	v_cvt_f32_f16_e32 v19, v8
	v_cndmask_b32_e32 v0, v0, v9, vcc
	v_cmp_eq_f32_e32 vcc, s44, v52
	s_or_b64 vcc, vcc, s[2:3]
	v_pk_mov_b32 v[8:9], v[12:13], v[12:13] op_sel:[0,1]
	v_cndmask_b32_e32 v40, v0, v1, vcc
	v_pk_mov_b32 v[10:11], v[14:15], v[14:15] op_sel:[0,1]
	v_mov_b32_e32 v39, v17
.LBB138_18:                             ;   in Loop: Header=BB138_4 Depth=1
	s_or_b64 exec, exec, s[28:29]
	s_mov_b32 s4, 0
	s_orn2_b64 s[2:3], s[30:31], exec
.LBB138_19:                             ;   in Loop: Header=BB138_4 Depth=1
	s_or_b64 exec, exec, s[26:27]
	v_mov_b32_e32 v0, s4
	s_and_saveexec_b64 s[4:5], s[2:3]
	s_cbranch_execz .LBB138_3
; %bb.20:                               ;   in Loop: Header=BB138_4 Depth=1
	v_add_f32_e32 v41, 0xbeaaaaab, v19
	v_mul_f32_e32 v0, 0x41100000, v41
	v_mul_f32_e32 v1, 0x4f800000, v0
	v_cmp_gt_f32_e32 vcc, s49, v0
	v_cndmask_b32_e32 v0, v0, v1, vcc
	v_sqrt_f32_e32 v1, v0
	v_add_u32_e32 v43, 0x9e3779b9, v26
	v_add_u32_e32 v44, 0xbb67ae85, v27
	;; [unrolled: 1-line block ×3, first 2 shown]
	v_add_u32_e32 v12, -1, v1
	v_fma_f32 v14, -v12, v1, v0
	v_add_u32_e32 v13, 1, v1
	v_cmp_ge_f32_e64 s[2:3], 0, v14
	v_cndmask_b32_e64 v12, v1, v12, s[2:3]
	v_fma_f32 v1, -v13, v1, v0
	v_cmp_lt_f32_e64 s[2:3], 0, v1
	v_cndmask_b32_e64 v1, v12, v13, s[2:3]
	v_mul_f32_e32 v12, 0x37800000, v1
	v_cndmask_b32_e32 v1, v1, v12, vcc
	v_cmp_class_f32_e32 vcc, v0, v29
	v_cndmask_b32_e32 v0, v1, v0, vcc
	v_div_scale_f32 v1, s[2:3], v0, v0, 1.0
	v_rcp_f32_e32 v12, v1
	v_add_u32_e32 v46, 0x76cf5d0a, v27
	v_add_u32_e32 v47, 0xdaa66d2b, v26
	v_add_u32_e32 v48, 0x32370b8f, v27
	v_fma_f32 v13, -v1, v12, 1.0
	v_fmac_f32_e32 v12, v13, v12
	v_div_scale_f32 v13, vcc, 1.0, v0, 1.0
	v_mul_f32_e32 v14, v13, v12
	v_fma_f32 v15, -v1, v14, v13
	v_fmac_f32_e32 v14, v15, v12
	v_fma_f32 v1, -v1, v14, v13
	v_div_fmas_f32 v1, v1, v12, v14
	v_div_fixup_f32 v42, v1, v0, 1.0
	v_add_u32_e32 v49, 0x78dde6e4, v26
	v_add_u32_e32 v50, 0xed9eba14, v27
	;; [unrolled: 1-line block ×10, first 2 shown]
	s_mov_b64 s[6:7], 0
	v_mov_b32_e32 v59, 0
	s_mov_b64 s[30:31], 0
                                        ; implicit-def: $sgpr26_sgpr27
                                        ; implicit-def: $sgpr28_sgpr29
                                        ; implicit-def: $vgpr0
	s_branch .LBB138_22
.LBB138_21:                             ;   in Loop: Header=BB138_22 Depth=2
	s_or_b64 exec, exec, s[30:31]
	s_and_b64 s[2:3], exec, s[2:3]
	s_or_b64 s[6:7], s[2:3], s[6:7]
	s_andn2_b64 s[2:3], s[26:27], exec
	s_and_b64 s[26:27], s[28:29], exec
	v_pk_mov_b32 v[8:9], v[12:13], v[12:13] op_sel:[0,1]
	s_or_b64 s[26:27], s[2:3], s[26:27]
	s_mov_b64 s[30:31], 0
	v_mov_b32_e32 v39, v16
	v_pk_mov_b32 v[10:11], v[14:15], v[14:15] op_sel:[0,1]
	s_andn2_b64 exec, exec, s[6:7]
	s_cbranch_execz .LBB138_33
.LBB138_22:                             ;   Parent Loop BB138_4 Depth=1
                                        ; =>  This Inner Loop Header: Depth=2
	v_cmp_eq_u32_e32 vcc, 0, v59
	v_mov_b32_e32 v1, v0
	v_mov_b32_e32 v59, 0
	s_and_saveexec_b64 s[34:35], vcc
	s_cbranch_execz .LBB138_28
; %bb.23:                               ;   in Loop: Header=BB138_22 Depth=2
	v_add_u32_e32 v0, 1, v39
	v_pk_mov_b32 v[14:15], v[10:11], v[10:11] op_sel:[0,1]
	v_cmp_eq_u32_e32 vcc, 4, v0
	v_pk_mov_b32 v[12:13], v[8:9], v[8:9] op_sel:[0,1]
	s_and_saveexec_b64 s[2:3], vcc
	s_cbranch_execz .LBB138_25
; %bb.24:                               ;   in Loop: Header=BB138_22 Depth=2
	v_add_co_u32_e32 v4, vcc, 1, v4
	v_cndmask_b32_e64 v1, 0, 1, vcc
	v_addc_co_u32_e32 v5, vcc, 0, v5, vcc
	v_cmp_eq_u32_e32 vcc, 0, v5
	v_cndmask_b32_e32 v1, 0, v1, vcc
	v_add_u32_e32 v6, v1, v6
	v_cmp_eq_u32_e32 vcc, 0, v6
	v_cndmask_b32_e32 v1, 0, v1, vcc
	v_mad_u64_u32 v[12:13], s[68:69], v4, s15, 0
	v_mad_u64_u32 v[14:15], s[68:69], v6, s38, 0
	v_add_u32_e32 v7, v1, v7
	v_xor_b32_e32 v1, v15, v26
	v_xor_b32_e32 v13, v13, v27
	v_xor_b32_e32 v1, v5, v1
	v_xor_b32_e32 v13, v7, v13
	v_mad_u64_u32 v[16:17], s[68:69], v1, s15, 0
	v_mad_u64_u32 v[18:19], s[68:69], v13, s38, 0
	v_xor_b32_e32 v1, v19, v14
	v_xor_b32_e32 v12, v17, v12
	v_xor_b32_e32 v1, v43, v1
	v_xor_b32_e32 v14, v44, v12
	v_mad_u64_u32 v[12:13], s[68:69], v1, s15, 0
	v_mad_u64_u32 v[14:15], s[68:69], v14, s38, 0
	;; [unrolled: 6-line block ×9, first 2 shown]
	v_xor_b32_e32 v1, v19, v12
	v_xor_b32_e32 v12, v37, v1
	v_xor_b32_e32 v1, v17, v14
	v_mov_b32_e32 v0, 0
	v_xor_b32_e32 v14, v38, v1
	v_mov_b32_e32 v13, v18
	v_mov_b32_e32 v15, v16
.LBB138_25:                             ;   in Loop: Header=BB138_22 Depth=2
	s_or_b64 exec, exec, s[2:3]
	v_add_u32_e32 v60, 1, v0
	v_pk_mov_b32 v[18:19], v[14:15], v[14:15] op_sel:[0,1]
	v_cmp_eq_u32_e32 vcc, 4, v60
	v_pk_mov_b32 v[16:17], v[12:13], v[12:13] op_sel:[0,1]
	s_and_saveexec_b64 s[2:3], vcc
	s_cbranch_execz .LBB138_27
; %bb.26:                               ;   in Loop: Header=BB138_22 Depth=2
	v_add_co_u32_e32 v4, vcc, 1, v4
	v_cndmask_b32_e64 v1, 0, 1, vcc
	v_addc_co_u32_e32 v5, vcc, 0, v5, vcc
	v_cmp_eq_u32_e32 vcc, 0, v5
	v_cndmask_b32_e32 v1, 0, v1, vcc
	v_add_u32_e32 v6, v1, v6
	v_cmp_eq_u32_e32 vcc, 0, v6
	v_cndmask_b32_e32 v1, 0, v1, vcc
	v_mad_u64_u32 v[16:17], s[68:69], v4, s15, 0
	v_mad_u64_u32 v[18:19], s[68:69], v6, s38, 0
	v_add_u32_e32 v7, v1, v7
	v_xor_b32_e32 v1, v19, v26
	v_xor_b32_e32 v17, v17, v27
	v_xor_b32_e32 v1, v5, v1
	v_xor_b32_e32 v17, v7, v17
	v_mad_u64_u32 v[62:63], s[68:69], v1, s15, 0
	v_mad_u64_u32 v[64:65], s[68:69], v17, s38, 0
	v_xor_b32_e32 v1, v65, v18
	v_xor_b32_e32 v16, v63, v16
	v_xor_b32_e32 v1, v43, v1
	v_xor_b32_e32 v18, v44, v16
	v_mad_u64_u32 v[16:17], s[68:69], v1, s15, 0
	v_mad_u64_u32 v[18:19], s[68:69], v18, s38, 0
	;; [unrolled: 6-line block ×9, first 2 shown]
	v_xor_b32_e32 v1, v65, v16
	v_xor_b32_e32 v16, v37, v1
	;; [unrolled: 1-line block ×3, first 2 shown]
	v_mov_b32_e32 v60, 0
	v_xor_b32_e32 v18, v38, v1
	v_mov_b32_e32 v17, v64
	v_mov_b32_e32 v19, v62
.LBB138_27:                             ;   in Loop: Header=BB138_22 Depth=2
	s_or_b64 exec, exec, s[2:3]
	v_cmp_eq_u32_e32 vcc, 1, v39
	v_cndmask_b32_e32 v1, v8, v9, vcc
	v_cmp_eq_u32_e32 vcc, 2, v39
	v_cndmask_b32_e32 v1, v1, v10, vcc
	;; [unrolled: 2-line block ×3, first 2 shown]
	v_cvt_f32_u32_e32 v1, v1
	v_cmp_eq_u32_e32 vcc, 1, v0
	v_mov_b32_e32 v9, 0x2f800000
	v_cndmask_b32_e32 v8, v12, v13, vcc
	v_cmp_eq_u32_e32 vcc, 2, v0
	v_fmac_f32_e32 v9, 0x2f800000, v1
	v_cndmask_b32_e32 v8, v8, v14, vcc
	v_cmp_gt_f32_e32 vcc, s58, v9
	v_cndmask_b32_e32 v1, 1.0, v33, vcc
	v_mul_f32_e32 v1, v9, v1
	v_log_f32_e32 v1, v1
	v_cmp_eq_u32_e64 s[2:3], 3, v0
	v_cndmask_b32_e64 v0, v8, v15, s[2:3]
	v_cvt_f32_u32_e32 v0, v0
	v_mul_f32_e32 v8, 0x3f317217, v1
	v_fma_f32 v9, v1, s59, -v8
	v_fmac_f32_e32 v9, 0x3377d1cf, v1
	v_add_f32_e32 v8, v8, v9
	v_cmp_lt_f32_e64 s[2:3], |v1|, s44
	v_cndmask_b32_e64 v1, v1, v8, s[2:3]
	v_cndmask_b32_e32 v8, 0, v34, vcc
	v_sub_f32_e32 v1, v1, v8
	v_mul_f32_e32 v1, -2.0, v1
	v_mul_f32_e32 v8, 0x4f800000, v1
	v_cmp_gt_f32_e32 vcc, s49, v1
	v_cndmask_b32_e32 v8, v1, v8, vcc
	v_sqrt_f32_e32 v1, v8
	v_mov_b32_e32 v9, 0x30c90fdb
	v_fmac_f32_e32 v9, 0x30c90fdb, v0
	v_mov_b32_e32 v59, 1
	v_add_u32_e32 v0, -1, v1
	v_fma_f32 v10, -v0, v1, v8
	v_cmp_ge_f32_e64 s[2:3], 0, v10
	v_add_u32_e32 v10, 1, v1
	v_cndmask_b32_e64 v0, v1, v0, s[2:3]
	v_fma_f32 v1, -v10, v1, v8
	v_cmp_lt_f32_e64 s[2:3], 0, v1
	v_cndmask_b32_e64 v10, v0, v10, s[2:3]
	v_mul_f32_e32 v0, 0.15915494, v9
	v_sin_f32_e32 v1, v0
	v_cos_f32_e32 v0, v0
	v_mul_f32_e32 v11, 0x37800000, v10
	v_cndmask_b32_e32 v9, v10, v11, vcc
	v_cmp_class_f32_e32 vcc, v8, v29
	v_cndmask_b32_e32 v8, v9, v8, vcc
	v_pk_mul_f32 v[0:1], v[8:9], v[0:1] op_sel_hi:[0,1]
	v_pk_mov_b32 v[8:9], v[16:17], v[16:17] op_sel:[0,1]
	v_pk_mov_b32 v[10:11], v[18:19], v[18:19] op_sel:[0,1]
	v_mov_b32_e32 v39, v60
.LBB138_28:                             ;   in Loop: Header=BB138_22 Depth=2
	s_or_b64 exec, exec, s[34:35]
	v_fma_f32 v17, v42, v1, 1.0
	v_cmp_nge_f32_e32 vcc, 0, v17
	s_or_b64 s[30:31], vcc, s[30:31]
	s_andn2_b64 exec, exec, s[30:31]
	s_cbranch_execnz .LBB138_22
; %bb.29:                               ;   in Loop: Header=BB138_22 Depth=2
	s_or_b64 exec, exec, s[30:31]
	v_add_u32_e32 v16, 1, v39
	v_pk_mov_b32 v[14:15], v[10:11], v[10:11] op_sel:[0,1]
	v_cmp_eq_u32_e32 vcc, 4, v16
	v_pk_mov_b32 v[12:13], v[8:9], v[8:9] op_sel:[0,1]
	s_and_saveexec_b64 s[2:3], vcc
	s_cbranch_execz .LBB138_31
; %bb.30:                               ;   in Loop: Header=BB138_22 Depth=2
	v_add_co_u32_e32 v4, vcc, 1, v4
	v_cndmask_b32_e64 v12, 0, 1, vcc
	v_addc_co_u32_e32 v5, vcc, 0, v5, vcc
	v_cmp_eq_u32_e32 vcc, 0, v5
	v_cndmask_b32_e32 v12, 0, v12, vcc
	v_add_u32_e32 v6, v12, v6
	v_cmp_eq_u32_e32 vcc, 0, v6
	v_cndmask_b32_e32 v12, 0, v12, vcc
	v_add_u32_e32 v7, v12, v7
	v_mad_u64_u32 v[12:13], s[30:31], v4, s15, 0
	v_mad_u64_u32 v[14:15], s[30:31], v6, s38, 0
	v_xor_b32_e32 v15, v15, v26
	v_xor_b32_e32 v13, v13, v27
	v_xor_b32_e32 v15, v5, v15
	v_xor_b32_e32 v13, v7, v13
	v_mad_u64_u32 v[18:19], s[30:31], v15, s15, 0
	v_mad_u64_u32 v[60:61], s[30:31], v13, s38, 0
	v_xor_b32_e32 v13, v61, v14
	v_xor_b32_e32 v12, v19, v12
	v_xor_b32_e32 v13, v43, v13
	v_xor_b32_e32 v14, v44, v12
	;; [unrolled: 6-line block ×9, first 2 shown]
	v_mad_u64_u32 v[18:19], s[30:31], v13, s15, 0
	v_mad_u64_u32 v[60:61], s[30:31], v15, s38, 0
	v_xor_b32_e32 v12, v61, v12
	v_xor_b32_e32 v13, v19, v14
	v_mov_b32_e32 v16, 0
	v_xor_b32_e32 v12, v37, v12
	v_xor_b32_e32 v14, v38, v13
	v_mov_b32_e32 v13, v60
	v_mov_b32_e32 v15, v18
.LBB138_31:                             ;   in Loop: Header=BB138_22 Depth=2
	s_or_b64 exec, exec, s[2:3]
	v_cmp_eq_u32_e32 vcc, 1, v39
	v_cndmask_b32_e32 v8, v8, v9, vcc
	v_cmp_eq_u32_e32 vcc, 2, v39
	v_cndmask_b32_e32 v8, v8, v10, vcc
	;; [unrolled: 2-line block ×3, first 2 shown]
	v_cvt_f32_u32_e32 v8, v8
	v_mul_f32_e32 v9, v17, v17
	v_mul_f32_e32 v17, v17, v9
	v_mov_b32_e32 v9, 0x2f800000
	v_fmac_f32_e32 v9, 0x2f800000, v8
	v_mul_f32_e32 v1, v1, v1
	v_sub_f32_e32 v8, 1.0, v9
	v_mul_f32_e32 v9, 0xbd0793de, v1
	v_fma_f32 v9, v1, v9, 1.0
	v_cmp_nlt_f32_e32 vcc, v8, v9
	s_mov_b64 s[2:3], -1
	s_or_b64 s[28:29], s[28:29], exec
	s_and_saveexec_b64 s[30:31], vcc
	s_cbranch_execz .LBB138_21
; %bb.32:                               ;   in Loop: Header=BB138_22 Depth=2
	v_cmp_gt_f32_e32 vcc, s58, v8
	v_cndmask_b32_e32 v9, 1.0, v33, vcc
	v_mul_f32_e32 v8, v8, v9
	v_log_f32_e32 v8, v8
	s_andn2_b64 s[28:29], s[28:29], exec
	v_mul_f32_e32 v9, 0x3f317217, v8
	v_fma_f32 v10, v8, s59, -v9
	v_fmac_f32_e32 v10, 0x3377d1cf, v8
	v_add_f32_e32 v9, v9, v10
	v_cmp_lt_f32_e64 s[2:3], |v8|, s44
	v_cndmask_b32_e64 v8, v8, v9, s[2:3]
	v_cmp_gt_f32_e64 s[2:3], s58, v17
	v_cndmask_b32_e64 v9, 1.0, v33, s[2:3]
	v_mul_f32_e32 v9, v17, v9
	v_log_f32_e32 v9, v9
	v_cndmask_b32_e32 v10, 0, v34, vcc
	v_sub_f32_e32 v8, v8, v10
	v_sub_f32_e32 v10, 1.0, v17
	v_mul_f32_e32 v11, 0x3f317217, v9
	v_fma_f32 v18, v9, s59, -v11
	v_fmac_f32_e32 v18, 0x3377d1cf, v9
	v_add_f32_e32 v11, v11, v18
	v_cmp_lt_f32_e64 vcc, |v9|, s44
	v_cndmask_b32_e32 v9, v9, v11, vcc
	v_cndmask_b32_e64 v11, 0, v34, s[2:3]
	v_sub_f32_e32 v9, v9, v11
	v_add_f32_e32 v9, v10, v9
	v_mul_f32_e32 v9, v41, v9
	v_fmac_f32_e32 v9, 0.5, v1
	v_cmp_lt_f32_e32 vcc, v8, v9
	s_orn2_b64 s[2:3], vcc, exec
	s_branch .LBB138_21
.LBB138_33:                             ;   in Loop: Header=BB138_4 Depth=1
	s_or_b64 exec, exec, s[6:7]
	s_xor_b64 s[2:3], s[26:27], -1
	v_mul_f32_e32 v1, v40, v41
                                        ; implicit-def: $vgpr0
	s_and_saveexec_b64 s[6:7], s[2:3]
	s_xor_b64 s[2:3], exec, s[6:7]
; %bb.34:                               ;   in Loop: Header=BB138_4 Depth=1
	v_fma_mixlo_f16 v0, v1, v17, 0
                                        ; implicit-def: $vgpr1
; %bb.35:                               ;   in Loop: Header=BB138_4 Depth=1
	s_andn2_saveexec_b64 s[2:3], s[2:3]
	s_cbranch_execz .LBB138_2
; %bb.36:                               ;   in Loop: Header=BB138_4 Depth=1
	v_fma_mixlo_f16 v0, v1, v17, 0
	s_branch .LBB138_2
.LBB138_37:
	s_endpgm
	.section	.rodata,"a",@progbits
	.p2align	6, 0x0
	.amdhsa_kernel _ZN2at4cuda12_GLOBAL__N_121kernelPointwiseApply2IZN12_GLOBAL__N_117gamma_cuda_kernelIN3c104HalfEEEvRKNS_10TensorBaseES9_NS_15PhiloxCudaStateEEUlRS6_RKS6_E_S6_S6_jLin1ELi2ELi1ELi256ELi2EEEvNS0_6detail10TensorInfoIT0_T2_EENSG_IT1_SI_EESI_T_
		.amdhsa_group_segment_fixed_size 0
		.amdhsa_private_segment_fixed_size 0
		.amdhsa_kernarg_size 728
		.amdhsa_user_sgpr_count 6
		.amdhsa_user_sgpr_private_segment_buffer 1
		.amdhsa_user_sgpr_dispatch_ptr 0
		.amdhsa_user_sgpr_queue_ptr 0
		.amdhsa_user_sgpr_kernarg_segment_ptr 1
		.amdhsa_user_sgpr_dispatch_id 0
		.amdhsa_user_sgpr_flat_scratch_init 0
		.amdhsa_user_sgpr_kernarg_preload_length 0
		.amdhsa_user_sgpr_kernarg_preload_offset 0
		.amdhsa_user_sgpr_private_segment_size 0
		.amdhsa_uses_dynamic_stack 0
		.amdhsa_system_sgpr_private_segment_wavefront_offset 0
		.amdhsa_system_sgpr_workgroup_id_x 1
		.amdhsa_system_sgpr_workgroup_id_y 0
		.amdhsa_system_sgpr_workgroup_id_z 0
		.amdhsa_system_sgpr_workgroup_info 0
		.amdhsa_system_vgpr_workitem_id 0
		.amdhsa_next_free_vgpr 66
		.amdhsa_next_free_sgpr 70
		.amdhsa_accum_offset 68
		.amdhsa_reserve_vcc 1
		.amdhsa_reserve_flat_scratch 0
		.amdhsa_float_round_mode_32 0
		.amdhsa_float_round_mode_16_64 0
		.amdhsa_float_denorm_mode_32 3
		.amdhsa_float_denorm_mode_16_64 3
		.amdhsa_dx10_clamp 1
		.amdhsa_ieee_mode 1
		.amdhsa_fp16_overflow 0
		.amdhsa_tg_split 0
		.amdhsa_exception_fp_ieee_invalid_op 0
		.amdhsa_exception_fp_denorm_src 0
		.amdhsa_exception_fp_ieee_div_zero 0
		.amdhsa_exception_fp_ieee_overflow 0
		.amdhsa_exception_fp_ieee_underflow 0
		.amdhsa_exception_fp_ieee_inexact 0
		.amdhsa_exception_int_div_zero 0
	.end_amdhsa_kernel
	.section	.text._ZN2at4cuda12_GLOBAL__N_121kernelPointwiseApply2IZN12_GLOBAL__N_117gamma_cuda_kernelIN3c104HalfEEEvRKNS_10TensorBaseES9_NS_15PhiloxCudaStateEEUlRS6_RKS6_E_S6_S6_jLin1ELi2ELi1ELi256ELi2EEEvNS0_6detail10TensorInfoIT0_T2_EENSG_IT1_SI_EESI_T_,"axG",@progbits,_ZN2at4cuda12_GLOBAL__N_121kernelPointwiseApply2IZN12_GLOBAL__N_117gamma_cuda_kernelIN3c104HalfEEEvRKNS_10TensorBaseES9_NS_15PhiloxCudaStateEEUlRS6_RKS6_E_S6_S6_jLin1ELi2ELi1ELi256ELi2EEEvNS0_6detail10TensorInfoIT0_T2_EENSG_IT1_SI_EESI_T_,comdat
.Lfunc_end138:
	.size	_ZN2at4cuda12_GLOBAL__N_121kernelPointwiseApply2IZN12_GLOBAL__N_117gamma_cuda_kernelIN3c104HalfEEEvRKNS_10TensorBaseES9_NS_15PhiloxCudaStateEEUlRS6_RKS6_E_S6_S6_jLin1ELi2ELi1ELi256ELi2EEEvNS0_6detail10TensorInfoIT0_T2_EENSG_IT1_SI_EESI_T_, .Lfunc_end138-_ZN2at4cuda12_GLOBAL__N_121kernelPointwiseApply2IZN12_GLOBAL__N_117gamma_cuda_kernelIN3c104HalfEEEvRKNS_10TensorBaseES9_NS_15PhiloxCudaStateEEUlRS6_RKS6_E_S6_S6_jLin1ELi2ELi1ELi256ELi2EEEvNS0_6detail10TensorInfoIT0_T2_EENSG_IT1_SI_EESI_T_
                                        ; -- End function
	.section	.AMDGPU.csdata,"",@progbits
; Kernel info:
; codeLenInByte = 5472
; NumSgprs: 74
; NumVgprs: 66
; NumAgprs: 0
; TotalNumVgprs: 66
; ScratchSize: 0
; MemoryBound: 0
; FloatMode: 240
; IeeeMode: 1
; LDSByteSize: 0 bytes/workgroup (compile time only)
; SGPRBlocks: 9
; VGPRBlocks: 8
; NumSGPRsForWavesPerEU: 74
; NumVGPRsForWavesPerEU: 66
; AccumOffset: 68
; Occupancy: 7
; WaveLimiterHint : 1
; COMPUTE_PGM_RSRC2:SCRATCH_EN: 0
; COMPUTE_PGM_RSRC2:USER_SGPR: 6
; COMPUTE_PGM_RSRC2:TRAP_HANDLER: 0
; COMPUTE_PGM_RSRC2:TGID_X_EN: 1
; COMPUTE_PGM_RSRC2:TGID_Y_EN: 0
; COMPUTE_PGM_RSRC2:TGID_Z_EN: 0
; COMPUTE_PGM_RSRC2:TIDIG_COMP_CNT: 0
; COMPUTE_PGM_RSRC3_GFX90A:ACCUM_OFFSET: 16
; COMPUTE_PGM_RSRC3_GFX90A:TG_SPLIT: 0
	.section	.text._ZN2at4cuda12_GLOBAL__N_121kernelPointwiseApply2IZN12_GLOBAL__N_117gamma_cuda_kernelIN3c104HalfEEEvRKNS_10TensorBaseES9_NS_15PhiloxCudaStateEEUlRS6_RKS6_E_S6_S6_jLin1ELin1ELi1ELi256ELi2EEEvNS0_6detail10TensorInfoIT0_T2_EENSG_IT1_SI_EESI_T_,"axG",@progbits,_ZN2at4cuda12_GLOBAL__N_121kernelPointwiseApply2IZN12_GLOBAL__N_117gamma_cuda_kernelIN3c104HalfEEEvRKNS_10TensorBaseES9_NS_15PhiloxCudaStateEEUlRS6_RKS6_E_S6_S6_jLin1ELin1ELi1ELi256ELi2EEEvNS0_6detail10TensorInfoIT0_T2_EENSG_IT1_SI_EESI_T_,comdat
	.globl	_ZN2at4cuda12_GLOBAL__N_121kernelPointwiseApply2IZN12_GLOBAL__N_117gamma_cuda_kernelIN3c104HalfEEEvRKNS_10TensorBaseES9_NS_15PhiloxCudaStateEEUlRS6_RKS6_E_S6_S6_jLin1ELin1ELi1ELi256ELi2EEEvNS0_6detail10TensorInfoIT0_T2_EENSG_IT1_SI_EESI_T_ ; -- Begin function _ZN2at4cuda12_GLOBAL__N_121kernelPointwiseApply2IZN12_GLOBAL__N_117gamma_cuda_kernelIN3c104HalfEEEvRKNS_10TensorBaseES9_NS_15PhiloxCudaStateEEUlRS6_RKS6_E_S6_S6_jLin1ELin1ELi1ELi256ELi2EEEvNS0_6detail10TensorInfoIT0_T2_EENSG_IT1_SI_EESI_T_
	.p2align	8
	.type	_ZN2at4cuda12_GLOBAL__N_121kernelPointwiseApply2IZN12_GLOBAL__N_117gamma_cuda_kernelIN3c104HalfEEEvRKNS_10TensorBaseES9_NS_15PhiloxCudaStateEEUlRS6_RKS6_E_S6_S6_jLin1ELin1ELi1ELi256ELi2EEEvNS0_6detail10TensorInfoIT0_T2_EENSG_IT1_SI_EESI_T_,@function
_ZN2at4cuda12_GLOBAL__N_121kernelPointwiseApply2IZN12_GLOBAL__N_117gamma_cuda_kernelIN3c104HalfEEEvRKNS_10TensorBaseES9_NS_15PhiloxCudaStateEEUlRS6_RKS6_E_S6_S6_jLin1ELin1ELi1ELi256ELi2EEEvNS0_6detail10TensorInfoIT0_T2_EENSG_IT1_SI_EESI_T_: ; @_ZN2at4cuda12_GLOBAL__N_121kernelPointwiseApply2IZN12_GLOBAL__N_117gamma_cuda_kernelIN3c104HalfEEEvRKNS_10TensorBaseES9_NS_15PhiloxCudaStateEEUlRS6_RKS6_E_S6_S6_jLin1ELin1ELi1ELi256ELi2EEEvNS0_6detail10TensorInfoIT0_T2_EENSG_IT1_SI_EESI_T_
; %bb.0:
	s_load_dword s2, s[4:5], 0x1e4
	s_load_dword s33, s[4:5], 0x1b0
	s_add_u32 s0, s4, 0x1d8
	s_addc_u32 s1, s5, 0
	s_waitcnt lgkmcnt(0)
	s_and_b32 s2, s2, 0xffff
	s_mul_i32 s6, s6, s2
	v_add_u32_e32 v2, s6, v0
	v_cmp_gt_u32_e32 vcc, s33, v2
	s_and_saveexec_b64 s[6:7], vcc
	s_cbranch_execz .LBB139_40
; %bb.1:
	s_add_u32 s24, s4, 0xd8
	s_load_dword s41, s[0:1], 0x0
	s_load_dword s3, s[4:5], 0x1d0
	;; [unrolled: 1-line block ×3, first 2 shown]
	s_load_dwordx2 s[6:7], s[4:5], 0x1c8
	s_load_dwordx4 s[8:11], s[4:5], 0x1b8
	s_load_dword s26, s[4:5], 0x1a8
	s_load_dwordx2 s[12:13], s[4:5], 0xd8
	s_load_dword s38, s[4:5], 0x6c
	s_addc_u32 s25, s5, 0
	s_waitcnt lgkmcnt(0)
	s_cmp_gt_i32 s22, 1
	s_cselect_b64 s[14:15], -1, 0
	s_cmp_gt_i32 s26, 1
	s_mov_b32 s40, 0xcd9e8d57
	s_cselect_b64 s[16:17], -1, 0
	s_bitcmp1_b32 s3, 0
	v_mad_u64_u32 v[20:21], s[0:1], v2, s40, 0
	s_cselect_b64 s[20:21], -1, 0
	s_add_i32 s0, s22, -1
	s_mov_b32 s1, 0
	s_mul_i32 s41, s41, s2
	s_add_i32 s42, s22, 1
	s_lshl_b64 s[2:3], s[0:1], 2
	s_add_u32 s0, s2, s4
	s_addc_u32 s2, s3, s5
	s_add_u32 s22, s0, 8
	s_addc_u32 s23, s2, 0
	s_add_i32 s0, s26, -1
	s_load_dword s39, s[4:5], 0x144
	s_load_dwordx2 s[18:19], s[4:5], 0x0
	s_add_i32 s43, s26, 1
	s_lshl_b64 s[0:1], s[0:1], 2
	s_add_u32 s0, s0, s24
	s_addc_u32 s1, s1, s25
	s_add_u32 s24, s0, 8
	v_mov_b32_e32 v3, 0
	v_mov_b32_e32 v22, v21
	s_addc_u32 s25, s1, 0
	s_mov_b64 s[26:27], 0
	v_mov_b32_e32 v21, s13
	s_mov_b32 s13, 0xd2511f53
	s_mov_b32 s44, 0x3f2aaaab
	v_mov_b32_e32 v23, 0x3ecccdef
	s_mov_b32 s45, 0x3f317218
	s_movk_i32 s46, 0x204
	s_mov_b32 s47, 0x7f800000
	s_mov_b32 s48, 0x42b17218
	;; [unrolled: 1-line block ×4, first 2 shown]
	s_brev_b32 s51, -2
	s_mov_b32 s52, 0xf800000
	v_mov_b32_e32 v28, 0x260
	s_mov_b32 s53, 0x3c6ef372
	s_mov_b32 s54, 0x76cf5d0a
	;; [unrolled: 1-line block ×10, first 2 shown]
	s_movk_i32 s63, 0x400
	s_mov_b32 s64, 0xbb67ae85
	s_mov_b32 s65, 0xdaa66d2b
	;; [unrolled: 1-line block ×7, first 2 shown]
	v_mov_b32_e32 v29, 0x37000000
	v_mov_b32_e32 v30, 0x7f800000
	;; [unrolled: 1-line block ×7, first 2 shown]
	s_branch .LBB139_4
.LBB139_2:                              ;   in Loop: Header=BB139_4 Depth=1
	s_or_b64 exec, exec, s[0:1]
.LBB139_3:                              ;   in Loop: Header=BB139_4 Depth=1
	s_or_b64 exec, exec, s[2:3]
	v_lshlrev_b64 v[4:5], 1, v[24:25]
	s_waitcnt lgkmcnt(0)
	v_mov_b32_e32 v1, s19
	v_add_co_u32_e32 v4, vcc, s18, v4
	v_addc_co_u32_e32 v5, vcc, v1, v5, vcc
	v_cmp_ngt_f16_e32 vcc, s63, v0
	v_add_u32_e32 v35, s41, v35
	v_cndmask_b32_e32 v0, v34, v0, vcc
	v_cmp_le_u32_e32 vcc, s33, v35
	s_or_b64 s[26:27], vcc, s[26:27]
	global_store_short v[4:5], v0, off
	s_andn2_b64 exec, exec, s[26:27]
	s_cbranch_execz .LBB139_40
.LBB139_4:                              ; =>This Loop Header: Depth=1
                                        ;     Child Loop BB139_7 Depth 2
                                        ;     Child Loop BB139_12 Depth 2
	;; [unrolled: 1-line block ×3, first 2 shown]
	v_sub_u32_e32 v0, s33, v35
	v_cmp_lt_i32_e64 s[0:1], 0, v0
	v_pk_mov_b32 v[24:25], 0, 0
	s_and_saveexec_b64 s[2:3], s[0:1]
	s_cbranch_execz .LBB139_9
; %bb.5:                                ;   in Loop: Header=BB139_4 Depth=1
	s_andn2_b64 vcc, exec, s[14:15]
	v_mov_b32_e32 v0, 0
	v_mov_b32_e32 v4, v35
	s_cbranch_vccnz .LBB139_8
; %bb.6:                                ;   in Loop: Header=BB139_4 Depth=1
	v_mov_b32_e32 v0, 0
	s_mov_b64 s[4:5], s[22:23]
	s_mov_b32 s28, s42
	v_mov_b32_e32 v4, v35
.LBB139_7:                              ;   Parent Loop BB139_4 Depth=1
                                        ; =>  This Inner Loop Header: Depth=2
	s_load_dword s29, s[4:5], 0x0
	s_load_dword s30, s[4:5], 0x64
	v_mov_b32_e32 v1, v4
	s_add_i32 s28, s28, -1
	s_waitcnt lgkmcnt(0)
	v_cvt_f32_u32_e32 v4, s29
	s_sub_i32 s31, 0, s29
	s_add_u32 s4, s4, -4
	s_addc_u32 s5, s5, -1
	v_rcp_iflag_f32_e32 v4, v4
	s_cmp_gt_u32 s28, 2
	v_mul_f32_e32 v4, 0x4f7ffffe, v4
	v_cvt_u32_f32_e32 v4, v4
	v_mul_lo_u32 v5, s31, v4
	v_mul_hi_u32 v5, v4, v5
	v_add_u32_e32 v4, v4, v5
	v_mul_hi_u32 v4, v1, v4
	v_mul_lo_u32 v5, v4, s29
	v_sub_u32_e32 v5, v1, v5
	v_add_u32_e32 v6, 1, v4
	v_cmp_le_u32_e32 vcc, s29, v5
	v_cndmask_b32_e32 v4, v4, v6, vcc
	v_subrev_u32_e32 v6, s29, v5
	v_cndmask_b32_e32 v5, v5, v6, vcc
	v_add_u32_e32 v6, 1, v4
	v_cmp_le_u32_e32 vcc, s29, v5
	v_cndmask_b32_e32 v4, v4, v6, vcc
	v_mul_lo_u32 v5, v4, s29
	v_sub_u32_e32 v1, v1, v5
	v_mad_u64_u32 v[0:1], s[30:31], s30, v1, v[0:1]
	s_cbranch_scc1 .LBB139_7
.LBB139_8:                              ;   in Loop: Header=BB139_4 Depth=1
	v_mad_u64_u32 v[24:25], s[4:5], s38, v4, v[0:1]
	v_mov_b32_e32 v25, v3
.LBB139_9:                              ;   in Loop: Header=BB139_4 Depth=1
	s_or_b64 exec, exec, s[2:3]
	v_pk_mov_b32 v[0:1], 0, 0
	s_and_saveexec_b64 s[2:3], s[0:1]
	s_cbranch_execz .LBB139_14
; %bb.10:                               ;   in Loop: Header=BB139_4 Depth=1
	s_andn2_b64 vcc, exec, s[16:17]
	v_mov_b32_e32 v0, 0
	v_mov_b32_e32 v4, v35
	s_cbranch_vccnz .LBB139_13
; %bb.11:                               ;   in Loop: Header=BB139_4 Depth=1
	v_mov_b32_e32 v0, 0
	s_mov_b64 s[0:1], s[24:25]
	s_mov_b32 s4, s43
	v_mov_b32_e32 v4, v35
.LBB139_12:                             ;   Parent Loop BB139_4 Depth=1
                                        ; =>  This Inner Loop Header: Depth=2
	s_load_dword s5, s[0:1], 0x0
	s_load_dword s28, s[0:1], 0x64
	v_mov_b32_e32 v1, v4
	s_add_i32 s4, s4, -1
	s_waitcnt lgkmcnt(0)
	v_cvt_f32_u32_e32 v4, s5
	s_sub_i32 s29, 0, s5
	s_add_u32 s0, s0, -4
	s_addc_u32 s1, s1, -1
	v_rcp_iflag_f32_e32 v4, v4
	s_cmp_gt_u32 s4, 2
	v_mul_f32_e32 v4, 0x4f7ffffe, v4
	v_cvt_u32_f32_e32 v4, v4
	v_mul_lo_u32 v5, s29, v4
	v_mul_hi_u32 v5, v4, v5
	v_add_u32_e32 v4, v4, v5
	v_mul_hi_u32 v4, v1, v4
	v_mul_lo_u32 v5, v4, s5
	v_sub_u32_e32 v5, v1, v5
	v_add_u32_e32 v6, 1, v4
	v_cmp_le_u32_e32 vcc, s5, v5
	v_cndmask_b32_e32 v4, v4, v6, vcc
	v_subrev_u32_e32 v6, s5, v5
	v_cndmask_b32_e32 v5, v5, v6, vcc
	v_add_u32_e32 v6, 1, v4
	v_cmp_le_u32_e32 vcc, s5, v5
	v_cndmask_b32_e32 v4, v4, v6, vcc
	v_mul_lo_u32 v5, v4, s5
	v_sub_u32_e32 v1, v1, v5
	v_mad_u64_u32 v[0:1], s[28:29], s28, v1, v[0:1]
	s_cbranch_scc1 .LBB139_12
.LBB139_13:                             ;   in Loop: Header=BB139_4 Depth=1
	s_waitcnt lgkmcnt(0)
	v_mad_u64_u32 v[0:1], s[0:1], s39, v4, v[0:1]
	v_mov_b32_e32 v1, v3
.LBB139_14:                             ;   in Loop: Header=BB139_4 Depth=1
	s_or_b64 exec, exec, s[2:3]
	v_lshlrev_b64 v[0:1], 1, v[0:1]
	v_add_co_u32_e32 v0, vcc, s12, v0
	v_addc_co_u32_e32 v1, vcc, v21, v1, vcc
	global_load_ushort v40, v[0:1], off
	s_andn2_b64 vcc, exec, s[20:21]
	v_pk_mov_b32 v[0:1], s[10:11], s[10:11] op_sel:[0,1]
	v_pk_mov_b32 v[26:27], s[8:9], s[8:9] op_sel:[0,1]
	s_cbranch_vccnz .LBB139_16
; %bb.15:                               ;   in Loop: Header=BB139_4 Depth=1
	v_pk_mov_b32 v[0:1], s[10:11], s[10:11] op_sel:[0,1]
	flat_load_dwordx2 v[0:1], v[0:1]
	v_pk_mov_b32 v[4:5], s[8:9], s[8:9] op_sel:[0,1]
	flat_load_dwordx2 v[26:27], v[4:5]
	v_mov_b32_e32 v4, s7
	s_waitcnt vmcnt(0) lgkmcnt(0)
	v_add_co_u32_e32 v0, vcc, s6, v0
	v_addc_co_u32_e32 v1, vcc, v1, v4, vcc
.LBB139_16:                             ;   in Loop: Header=BB139_4 Depth=1
	v_and_b32_e32 v38, 3, v0
	v_alignbit_b32 v0, v1, v0, 2
	v_mad_u64_u32 v[6:7], s[0:1], v0, s13, 0
	v_lshrrev_b32_e32 v1, 2, v1
	v_xor_b32_e32 v5, v7, v27
	v_xor_b32_e32 v7, v22, v26
	v_mov_b32_e32 v4, v27
	v_xor_b32_e32 v7, v7, v1
	v_mad_u64_u32 v[10:11], s[0:1], v5, s40, 0
	v_add_co_u32_e32 v42, vcc, 0x9e3779b9, v26
	v_add_co_u32_e32 v41, vcc, s64, v4
	v_mad_u64_u32 v[8:9], s[0:1], v7, s13, 0
	v_xor_b32_e32 v5, v20, v11
	v_xor_b32_e32 v5, v5, v42
	v_xor_b32_e32 v7, v41, v9
	v_xor_b32_e32 v9, v7, v6
	v_add_co_u32_e32 v43, vcc, s54, v4
	v_mad_u64_u32 v[6:7], s[0:1], v5, s13, 0
	v_add_co_u32_e32 v44, vcc, s53, v26
	v_mad_u64_u32 v[12:13], s[0:1], v9, s40, 0
	v_xor_b32_e32 v7, v43, v7
	v_xor_b32_e32 v5, v44, v13
	v_xor_b32_e32 v7, v7, v8
	v_xor_b32_e32 v5, v5, v10
	v_add_co_u32_e32 v46, vcc, s65, v26
	v_mad_u64_u32 v[10:11], s[0:1], v7, s40, 0
	;; [unrolled: 8-line block ×7, first 2 shown]
	v_add_co_u32_e32 v56, vcc, s69, v26
	v_mad_u64_u32 v[6:7], s[0:1], v6, s40, 0
	v_xor_b32_e32 v5, v55, v5
	v_xor_b32_e32 v7, v56, v7
	v_xor_b32_e32 v5, v5, v8
	v_xor_b32_e32 v7, v7, v10
	v_mad_u64_u32 v[18:19], s[0:1], v5, s40, 0
	v_mad_u64_u32 v[16:17], s[0:1], v7, s13, 0
	v_xor_b32_e32 v5, v19, v6
	s_waitcnt vmcnt(0)
	v_cvt_f32_f16_e32 v19, v40
	v_add_u32_e32 v36, 0x8ff34781, v26
	v_add_u32_e32 v37, 0x96a522ad, v27
	v_xor_b32_e32 v4, v17, v4
	v_xor_b32_e32 v8, v36, v5
	;; [unrolled: 1-line block ×3, first 2 shown]
	v_pk_mov_b32 v[6:7], v[2:3], v[2:3] op_sel:[0,1]
	v_mov_b32_e32 v9, v18
	v_mov_b32_e32 v11, v16
	v_cmp_gt_f16_e32 vcc, 1.0, v40
	s_mov_b64 s[0:1], -1
	v_mov_b32_e32 v39, 1.0
	v_pk_mov_b32 v[4:5], v[0:1], v[0:1] op_sel:[0,1]
                                        ; implicit-def: $sgpr2
	s_and_saveexec_b64 s[28:29], vcc
	s_cbranch_execz .LBB139_22
; %bb.17:                               ;   in Loop: Header=BB139_4 Depth=1
	v_cmp_neq_f16_e32 vcc, 0, v40
	s_mov_b64 s[34:35], 0
	v_mov_b32_e32 v39, 1.0
                                        ; implicit-def: $vgpr4_vgpr5_vgpr6_vgpr7
	s_and_saveexec_b64 s[30:31], vcc
	s_cbranch_execz .LBB139_21
; %bb.18:                               ;   in Loop: Header=BB139_4 Depth=1
	v_add_u32_e32 v17, 1, v38
	v_pk_mov_b32 v[14:15], v[10:11], v[10:11] op_sel:[0,1]
	v_pk_mov_b32 v[6:7], v[2:3], v[2:3] op_sel:[0,1]
	v_cmp_eq_u32_e32 vcc, 4, v17
	v_pk_mov_b32 v[12:13], v[8:9], v[8:9] op_sel:[0,1]
	v_pk_mov_b32 v[4:5], v[0:1], v[0:1] op_sel:[0,1]
	s_and_saveexec_b64 s[0:1], vcc
	s_cbranch_execz .LBB139_20
; %bb.19:                               ;   in Loop: Header=BB139_4 Depth=1
	v_add_co_u32_e32 v4, vcc, 1, v0
	v_cndmask_b32_e64 v0, 0, 1, vcc
	v_addc_co_u32_e32 v5, vcc, 0, v1, vcc
	v_cmp_eq_u32_e32 vcc, 0, v5
	v_cndmask_b32_e32 v0, 0, v0, vcc
	v_add_u32_e32 v6, v0, v2
	v_cmp_eq_u32_e32 vcc, 0, v6
	v_cndmask_b32_e32 v7, 0, v0, vcc
	v_mad_u64_u32 v[0:1], s[2:3], v4, s13, 0
	v_mad_u64_u32 v[12:13], s[2:3], v6, s40, 0
	v_xor_b32_e32 v9, v13, v26
	v_xor_b32_e32 v1, v1, v27
	v_xor_b32_e32 v9, v5, v9
	v_xor_b32_e32 v1, v7, v1
	v_mad_u64_u32 v[14:15], s[2:3], v9, s13, 0
	v_mad_u64_u32 v[58:59], s[2:3], v1, s40, 0
	v_xor_b32_e32 v1, v42, v59
	v_xor_b32_e32 v9, v41, v15
	v_xor_b32_e32 v1, v1, v12
	v_xor_b32_e32 v9, v9, v0
	;; [unrolled: 6-line block ×9, first 2 shown]
	v_mad_u64_u32 v[42:43], s[2:3], v9, s13, 0
	v_mad_u64_u32 v[44:45], s[2:3], v1, s40, 0
	v_xor_b32_e32 v1, v45, v12
	v_xor_b32_e32 v0, v43, v0
	v_mov_b32_e32 v17, 0
	v_xor_b32_e32 v12, v36, v1
	v_xor_b32_e32 v14, v37, v0
	v_mov_b32_e32 v13, v44
	v_mov_b32_e32 v15, v42
.LBB139_20:                             ;   in Loop: Header=BB139_4 Depth=1
	s_or_b64 exec, exec, s[0:1]
	v_cmp_eq_u32_e32 vcc, 1, v38
	v_cndmask_b32_e32 v0, v8, v18, vcc
	v_cmp_eq_u32_e32 vcc, 2, v38
	v_cndmask_b32_e32 v0, v0, v10, vcc
	;; [unrolled: 2-line block ×3, first 2 shown]
	v_div_scale_f32 v1, s[0:1], v19, v19, 1.0
	v_cvt_f32_u32_e32 v0, v0
	v_rcp_f32_e32 v8, v1
	v_mov_b32_e32 v9, 0x2f800000
	s_mov_b64 s[34:35], exec
	v_fmac_f32_e32 v9, 0x2f800000, v0
	v_fma_f32 v0, -v1, v8, 1.0
	v_fmac_f32_e32 v8, v0, v8
	v_div_scale_f32 v0, vcc, 1.0, v19, 1.0
	v_sub_f32_e32 v48, 1.0, v9
	v_mul_f32_e32 v9, v0, v8
	v_fma_f32 v10, -v1, v9, v0
	v_fmac_f32_e32 v9, v10, v8
	v_fma_f32 v0, -v1, v9, v0
	v_div_fmas_f32 v0, v0, v8, v9
	v_div_fixup_f32 v49, v0, v19, 1.0
	v_cmp_eq_f32_e32 vcc, 1.0, v48
	v_cndmask_b32_e64 v50, v49, 1.0, vcc
	v_cmp_eq_f32_e64 s[0:1], 0, v50
	v_cndmask_b32_e64 v51, |v48|, 1.0, s[0:1]
	v_frexp_mant_f32_e32 v0, v51
	v_cmp_gt_f32_e64 s[2:3], s44, v0
	v_cndmask_b32_e64 v1, 1.0, 2.0, s[2:3]
	v_mul_f32_e32 v0, v0, v1
	v_add_f32_e32 v9, 1.0, v0
	v_rcp_f32_e32 v16, v9
	v_add_f32_e32 v1, -1.0, v9
	v_sub_f32_e32 v11, v0, v1
	v_add_f32_e32 v1, -1.0, v0
	v_mul_f32_e32 v38, v1, v16
	v_mul_f32_e32 v8, v9, v38
	v_fma_f32 v10, v38, v9, -v8
	v_fmac_f32_e32 v10, v38, v11
	v_add_f32_e32 v0, v8, v10
	v_sub_f32_e32 v9, v1, v0
	v_pk_add_f32 v[18:19], v[0:1], v[8:9] neg_lo:[0,1] neg_hi:[0,1]
	v_mov_b32_e32 v11, v0
	v_pk_add_f32 v[0:1], v[18:19], v[10:11] neg_lo:[0,1] neg_hi:[0,1]
	v_add_f32_e32 v0, v0, v1
	v_add_f32_e32 v0, v9, v0
	v_mul_f32_e32 v1, v16, v0
	v_add_f32_e32 v0, v38, v1
	v_sub_f32_e32 v8, v0, v38
	v_sub_f32_e32 v16, v1, v8
	v_mul_f32_e32 v1, v0, v0
	v_fma_f32 v9, v0, v0, -v1
	v_add_f32_e32 v8, v16, v16
	v_fmac_f32_e32 v9, v0, v8
	v_add_f32_e32 v8, v1, v9
	v_mov_b32_e32 v10, 0x3e91f4c4
	v_fmac_f32_e32 v10, 0x3e76c4e1, v8
	v_fma_f32 v10, v8, v10, v23
	v_sub_f32_e32 v1, v8, v1
	v_sub_f32_e32 v41, v9, v1
	v_mul_f32_e32 v1, v8, v10
	v_fma_f32 v9, v8, v10, -v1
	v_fmac_f32_e32 v9, v41, v10
	v_add_f32_e32 v10, v1, v9
	v_add_f32_e32 v11, 0x3f2aaaaa, v10
	v_sub_f32_e32 v1, v10, v1
	v_sub_f32_e32 v1, v9, v1
	v_add_f32_e32 v9, 0xbf2aaaaa, v11
	v_add_f32_e32 v1, 0x31739010, v1
	v_sub_f32_e32 v9, v10, v9
	v_pk_mul_f32 v[18:19], v[0:1], v[8:9]
	v_fma_f32 v10, v8, v0, -v18
	v_pk_add_f32 v[38:39], v[0:1], v[8:9]
	v_fmac_f32_e32 v10, v8, v16
	v_mov_b32_e32 v19, v39
	v_fmac_f32_e32 v10, v41, v0
	v_pk_add_f32 v[8:9], v[18:19], v[10:11]
	v_sub_f32_e32 v1, v8, v18
	v_sub_f32_e32 v1, v10, v1
	;; [unrolled: 1-line block ×3, first 2 shown]
	v_add_f32_e32 v38, v39, v10
	v_mov_b32_e32 v10, v9
	v_pk_mul_f32 v[10:11], v[8:9], v[10:11]
	v_cvt_f64_f32_e32 v[18:19], v51
	v_frexp_exp_i32_f64_e32 v11, v[18:19]
	v_subbrev_co_u32_e64 v11, s[2:3], 0, v11, s[2:3]
	v_cvt_f32_i32_e32 v11, v11
	v_fma_f32 v18, v8, v9, -v10
	v_fmac_f32_e32 v18, v8, v38
	v_fmac_f32_e32 v18, v1, v9
	v_mul_f32_e32 v8, 0x3f317218, v11
	v_fma_f32 v38, v11, s45, -v8
	v_fmac_f32_e32 v38, 0xb102e308, v11
	v_ldexp_f32 v39, v0, 1
	v_add_f32_e32 v9, v10, v18
	v_pk_add_f32 v[0:1], v[8:9], v[38:39]
	v_mov_b32_e32 v42, v9
	v_mov_b32_e32 v43, v1
	;; [unrolled: 1-line block ×3, first 2 shown]
	v_pk_add_f32 v[10:11], v[42:43], v[10:11] neg_lo:[0,1] neg_hi:[0,1]
	v_mov_b32_e32 v19, v9
	v_ldexp_f32 v16, v16, 1
	v_pk_add_f32 v[10:11], v[18:19], v[10:11] neg_lo:[0,1] neg_hi:[0,1]
	v_add_f32_e32 v9, v16, v10
	v_add_f32_e32 v9, v9, v11
	v_pk_add_f32 v[10:11], v[0:1], v[8:9] neg_lo:[0,1] neg_hi:[0,1]
	v_pk_add_f32 v[18:19], v[0:1], v[8:9]
	v_mov_b32_e32 v42, v10
	v_mov_b32_e32 v43, v19
	;; [unrolled: 1-line block ×3, first 2 shown]
	v_pk_add_f32 v[42:43], v[38:39], v[42:43]
	v_mov_b32_e32 v8, v43
	v_pk_add_f32 v[44:45], v[8:9], v[0:1] neg_lo:[0,1] neg_hi:[0,1]
	v_mov_b32_e32 v41, v44
	v_mov_b32_e32 v42, v19
	;; [unrolled: 1-line block ×4, first 2 shown]
	v_pk_add_f32 v[10:11], v[38:39], v[10:11] neg_lo:[0,1] neg_hi:[0,1]
	v_pk_add_f32 v[46:47], v[18:19], v[40:41] neg_lo:[0,1] neg_hi:[0,1]
	;; [unrolled: 1-line block ×3, first 2 shown]
	v_mov_b32_e32 v38, v9
	v_pk_add_f32 v[0:1], v[38:39], v[0:1] neg_lo:[0,1] neg_hi:[0,1]
	v_mov_b32_e32 v46, v10
	v_pk_add_f32 v[18:19], v[46:47], v[0:1]
	v_mov_b32_e32 v16, v19
	v_pk_add_f32 v[38:39], v[18:19], v[16:17]
	v_pk_add_f32 v[8:9], v[8:9], v[38:39]
	v_mov_b32_e32 v11, v43
	v_mov_b32_e32 v19, v8
	v_pk_add_f32 v[42:43], v[18:19], v[10:11] neg_lo:[0,1] neg_hi:[0,1]
	v_mov_b32_e32 v1, v38
	v_sub_f32_e32 v9, v18, v42
	v_pk_add_f32 v[0:1], v[0:1], v[42:43] neg_lo:[0,1] neg_hi:[0,1]
	v_sub_f32_e32 v9, v10, v9
	v_add_f32_e32 v0, v0, v9
	v_add_f32_e32 v0, v0, v1
	;; [unrolled: 1-line block ×3, first 2 shown]
	v_sub_f32_e32 v8, v1, v8
	v_sub_f32_e32 v0, v0, v8
	v_mul_f32_e32 v8, v50, v1
	v_fma_f32 v1, v50, v1, -v8
	v_fmac_f32_e32 v1, v50, v0
	v_add_f32_e32 v0, v8, v1
	v_cmp_class_f32_e64 s[2:3], v8, s46
	v_sub_f32_e32 v9, v0, v8
	v_cndmask_b32_e64 v0, v0, v8, s[2:3]
	v_cmp_eq_f32_e64 s[2:3], s48, v0
	v_cndmask_b32_e64 v8, 0, v29, s[2:3]
	v_sub_f32_e32 v1, v1, v9
	v_sub_f32_e32 v9, v0, v8
	v_mul_f32_e32 v10, 0x3fb8aa3b, v9
	v_fma_f32 v11, v9, s49, -v10
	v_rndne_f32_e32 v16, v10
	v_fmac_f32_e32 v11, 0x32a5705f, v9
	v_sub_f32_e32 v10, v10, v16
	v_add_f32_e32 v10, v10, v11
	v_exp_f32_e32 v10, v10
	v_cvt_i32_f32_e32 v11, v16
	v_cmp_neq_f32_e64 s[2:3], |v0|, s47
	v_cndmask_b32_e64 v0, 0, v1, s[2:3]
	v_cmp_ngt_f32_e64 s[2:3], s50, v9
	v_ldexp_f32 v1, v10, v11
	v_cndmask_b32_e64 v1, 0, v1, s[2:3]
	v_cmp_nlt_f32_e64 s[2:3], s48, v9
	v_add_f32_e32 v0, v8, v0
	v_cndmask_b32_e64 v1, v30, v1, s[2:3]
	v_fma_f32 v0, v1, v0, v1
	v_cmp_class_f32_e64 s[2:3], v1, s46
	v_trunc_f32_e32 v8, v50
	v_cndmask_b32_e64 v0, v0, v1, s[2:3]
	v_cndmask_b32_e64 v1, v48, 1.0, s[0:1]
	v_cmp_eq_f32_e64 s[0:1], v8, v50
	v_mul_f32_e32 v8, 0.5, v50
	v_trunc_f32_e32 v9, v8
	v_cmp_neq_f32_e64 s[2:3], v9, v8
	s_and_b64 s[2:3], s[0:1], s[2:3]
	v_cndmask_b32_e64 v8, 1.0, v1, s[2:3]
	v_bfi_b32 v0, s51, v0, v8
	v_cndmask_b32_e64 v8, v31, v0, s[0:1]
	v_cmp_gt_f32_e64 s[0:1], 0, v1
	v_cndmask_b32_e64 v0, v0, v8, s[0:1]
	v_cndmask_b32_e64 v8, |v49|, 1.0, vcc
	v_cmp_neq_f32_e32 vcc, v50, v8
	v_cmp_gt_f32_e64 s[0:1], 1.0, v51
	s_xor_b64 s[0:1], vcc, s[0:1]
	v_cndmask_b32_e64 v9, v8, 0, s[0:1]
	v_cmp_eq_f32_e64 s[0:1], 0, v1
	v_cmp_gt_f32_e64 s[4:5], 0, v50
	v_cmp_eq_f32_e32 vcc, 1.0, v51
	s_xor_b64 s[4:5], s[4:5], s[0:1]
	v_cndmask_b32_e32 v9, v9, v51, vcc
	v_cmp_eq_f32_e32 vcc, s47, v8
	v_cndmask_b32_e64 v8, v30, 0, s[4:5]
	v_cndmask_b32_e64 v1, 0, v1, s[2:3]
	v_bfi_b32 v1, s51, v8, v1
	v_add_f16_e32 v8, 1.0, v40
	v_cvt_f32_f16_e32 v19, v8
	v_cndmask_b32_e32 v0, v0, v9, vcc
	v_cmp_eq_f32_e32 vcc, s47, v51
	s_or_b64 vcc, vcc, s[0:1]
	v_pk_mov_b32 v[8:9], v[12:13], v[12:13] op_sel:[0,1]
	v_cndmask_b32_e32 v39, v0, v1, vcc
	v_pk_mov_b32 v[10:11], v[14:15], v[14:15] op_sel:[0,1]
	v_mov_b32_e32 v38, v17
.LBB139_21:                             ;   in Loop: Header=BB139_4 Depth=1
	s_or_b64 exec, exec, s[30:31]
	s_mov_b32 s2, 0
	s_orn2_b64 s[0:1], s[34:35], exec
.LBB139_22:                             ;   in Loop: Header=BB139_4 Depth=1
	s_or_b64 exec, exec, s[28:29]
	v_mov_b32_e32 v0, s2
	s_and_saveexec_b64 s[2:3], s[0:1]
	s_cbranch_execz .LBB139_3
; %bb.23:                               ;   in Loop: Header=BB139_4 Depth=1
	v_add_f32_e32 v40, 0xbeaaaaab, v19
	v_mul_f32_e32 v0, 0x41100000, v40
	v_mul_f32_e32 v1, 0x4f800000, v0
	v_cmp_gt_f32_e32 vcc, s52, v0
	v_cndmask_b32_e32 v0, v0, v1, vcc
	v_sqrt_f32_e32 v1, v0
	v_add_u32_e32 v42, 0x9e3779b9, v26
	v_add_u32_e32 v43, 0xbb67ae85, v27
	;; [unrolled: 1-line block ×3, first 2 shown]
	v_add_u32_e32 v12, -1, v1
	v_fma_f32 v14, -v12, v1, v0
	v_add_u32_e32 v13, 1, v1
	v_cmp_ge_f32_e64 s[0:1], 0, v14
	v_cndmask_b32_e64 v12, v1, v12, s[0:1]
	v_fma_f32 v1, -v13, v1, v0
	v_cmp_lt_f32_e64 s[0:1], 0, v1
	v_cndmask_b32_e64 v1, v12, v13, s[0:1]
	v_mul_f32_e32 v12, 0x37800000, v1
	v_cndmask_b32_e32 v1, v1, v12, vcc
	v_cmp_class_f32_e32 vcc, v0, v28
	v_cndmask_b32_e32 v0, v1, v0, vcc
	v_div_scale_f32 v1, s[0:1], v0, v0, 1.0
	v_rcp_f32_e32 v12, v1
	v_add_u32_e32 v45, 0x76cf5d0a, v27
	v_add_u32_e32 v46, 0xdaa66d2b, v26
	;; [unrolled: 1-line block ×3, first 2 shown]
	v_fma_f32 v13, -v1, v12, 1.0
	v_fmac_f32_e32 v12, v13, v12
	v_div_scale_f32 v13, vcc, 1.0, v0, 1.0
	v_mul_f32_e32 v14, v13, v12
	v_fma_f32 v15, -v1, v14, v13
	v_fmac_f32_e32 v14, v15, v12
	v_fma_f32 v1, -v1, v14, v13
	v_div_fmas_f32 v1, v1, v12, v14
	v_div_fixup_f32 v41, v1, v0, 1.0
	v_add_u32_e32 v48, 0x78dde6e4, v26
	v_add_u32_e32 v49, 0xed9eba14, v27
	;; [unrolled: 1-line block ×10, first 2 shown]
	s_mov_b64 s[4:5], 0
	v_mov_b32_e32 v58, 0
	s_mov_b64 s[34:35], 0
                                        ; implicit-def: $sgpr28_sgpr29
                                        ; implicit-def: $sgpr30_sgpr31
                                        ; implicit-def: $vgpr0
	s_branch .LBB139_25
.LBB139_24:                             ;   in Loop: Header=BB139_25 Depth=2
	s_or_b64 exec, exec, s[34:35]
	s_and_b64 s[0:1], exec, s[0:1]
	s_or_b64 s[4:5], s[0:1], s[4:5]
	s_andn2_b64 s[0:1], s[28:29], exec
	s_and_b64 s[28:29], s[30:31], exec
	v_pk_mov_b32 v[8:9], v[12:13], v[12:13] op_sel:[0,1]
	s_or_b64 s[28:29], s[0:1], s[28:29]
	s_mov_b64 s[34:35], 0
	v_mov_b32_e32 v38, v16
	v_pk_mov_b32 v[10:11], v[14:15], v[14:15] op_sel:[0,1]
	s_andn2_b64 exec, exec, s[4:5]
	s_cbranch_execz .LBB139_36
.LBB139_25:                             ;   Parent Loop BB139_4 Depth=1
                                        ; =>  This Inner Loop Header: Depth=2
	v_cmp_eq_u32_e32 vcc, 0, v58
	v_mov_b32_e32 v1, v0
	v_mov_b32_e32 v58, 0
	s_and_saveexec_b64 s[36:37], vcc
	s_cbranch_execz .LBB139_31
; %bb.26:                               ;   in Loop: Header=BB139_25 Depth=2
	v_add_u32_e32 v0, 1, v38
	v_pk_mov_b32 v[14:15], v[10:11], v[10:11] op_sel:[0,1]
	v_cmp_eq_u32_e32 vcc, 4, v0
	v_pk_mov_b32 v[12:13], v[8:9], v[8:9] op_sel:[0,1]
	s_and_saveexec_b64 s[0:1], vcc
	s_cbranch_execz .LBB139_28
; %bb.27:                               ;   in Loop: Header=BB139_25 Depth=2
	v_add_co_u32_e32 v4, vcc, 1, v4
	v_cndmask_b32_e64 v1, 0, 1, vcc
	v_addc_co_u32_e32 v5, vcc, 0, v5, vcc
	v_cmp_eq_u32_e32 vcc, 0, v5
	v_cndmask_b32_e32 v1, 0, v1, vcc
	v_add_u32_e32 v6, v1, v6
	v_cmp_eq_u32_e32 vcc, 0, v6
	v_cndmask_b32_e32 v1, 0, v1, vcc
	v_mad_u64_u32 v[12:13], s[72:73], v4, s13, 0
	v_mad_u64_u32 v[14:15], s[72:73], v6, s40, 0
	v_add_u32_e32 v7, v1, v7
	v_xor_b32_e32 v1, v15, v26
	v_xor_b32_e32 v13, v13, v27
	v_xor_b32_e32 v1, v5, v1
	v_xor_b32_e32 v13, v7, v13
	v_mad_u64_u32 v[16:17], s[72:73], v1, s13, 0
	v_mad_u64_u32 v[18:19], s[72:73], v13, s40, 0
	v_xor_b32_e32 v1, v19, v14
	v_xor_b32_e32 v12, v17, v12
	v_xor_b32_e32 v1, v42, v1
	v_xor_b32_e32 v14, v43, v12
	v_mad_u64_u32 v[12:13], s[72:73], v1, s13, 0
	v_mad_u64_u32 v[14:15], s[72:73], v14, s40, 0
	;; [unrolled: 6-line block ×9, first 2 shown]
	v_xor_b32_e32 v1, v19, v12
	v_xor_b32_e32 v12, v36, v1
	;; [unrolled: 1-line block ×3, first 2 shown]
	v_mov_b32_e32 v0, 0
	v_xor_b32_e32 v14, v37, v1
	v_mov_b32_e32 v13, v18
	v_mov_b32_e32 v15, v16
.LBB139_28:                             ;   in Loop: Header=BB139_25 Depth=2
	s_or_b64 exec, exec, s[0:1]
	v_add_u32_e32 v59, 1, v0
	v_pk_mov_b32 v[18:19], v[14:15], v[14:15] op_sel:[0,1]
	v_cmp_eq_u32_e32 vcc, 4, v59
	v_pk_mov_b32 v[16:17], v[12:13], v[12:13] op_sel:[0,1]
	s_and_saveexec_b64 s[0:1], vcc
	s_cbranch_execz .LBB139_30
; %bb.29:                               ;   in Loop: Header=BB139_25 Depth=2
	v_add_co_u32_e32 v4, vcc, 1, v4
	v_cndmask_b32_e64 v1, 0, 1, vcc
	v_addc_co_u32_e32 v5, vcc, 0, v5, vcc
	v_cmp_eq_u32_e32 vcc, 0, v5
	v_cndmask_b32_e32 v1, 0, v1, vcc
	v_add_u32_e32 v6, v1, v6
	v_cmp_eq_u32_e32 vcc, 0, v6
	v_cndmask_b32_e32 v1, 0, v1, vcc
	v_mad_u64_u32 v[16:17], s[72:73], v4, s13, 0
	v_mad_u64_u32 v[18:19], s[72:73], v6, s40, 0
	v_add_u32_e32 v7, v1, v7
	v_xor_b32_e32 v1, v19, v26
	v_xor_b32_e32 v17, v17, v27
	v_xor_b32_e32 v1, v5, v1
	v_xor_b32_e32 v17, v7, v17
	v_mad_u64_u32 v[60:61], s[72:73], v1, s13, 0
	v_mad_u64_u32 v[62:63], s[72:73], v17, s40, 0
	v_xor_b32_e32 v1, v63, v18
	v_xor_b32_e32 v16, v61, v16
	v_xor_b32_e32 v1, v42, v1
	v_xor_b32_e32 v18, v43, v16
	v_mad_u64_u32 v[16:17], s[72:73], v1, s13, 0
	v_mad_u64_u32 v[18:19], s[72:73], v18, s40, 0
	;; [unrolled: 6-line block ×9, first 2 shown]
	v_xor_b32_e32 v1, v63, v16
	v_xor_b32_e32 v16, v36, v1
	;; [unrolled: 1-line block ×3, first 2 shown]
	v_mov_b32_e32 v59, 0
	v_xor_b32_e32 v18, v37, v1
	v_mov_b32_e32 v17, v62
	v_mov_b32_e32 v19, v60
.LBB139_30:                             ;   in Loop: Header=BB139_25 Depth=2
	s_or_b64 exec, exec, s[0:1]
	v_cmp_eq_u32_e32 vcc, 1, v38
	v_cndmask_b32_e32 v1, v8, v9, vcc
	v_cmp_eq_u32_e32 vcc, 2, v38
	v_cndmask_b32_e32 v1, v1, v10, vcc
	;; [unrolled: 2-line block ×3, first 2 shown]
	v_cvt_f32_u32_e32 v1, v1
	v_cmp_eq_u32_e32 vcc, 1, v0
	v_mov_b32_e32 v9, 0x2f800000
	v_cndmask_b32_e32 v8, v12, v13, vcc
	v_cmp_eq_u32_e32 vcc, 2, v0
	v_fmac_f32_e32 v9, 0x2f800000, v1
	v_cndmask_b32_e32 v8, v8, v14, vcc
	v_cmp_gt_f32_e32 vcc, s61, v9
	v_cndmask_b32_e32 v1, 1.0, v32, vcc
	v_mul_f32_e32 v1, v9, v1
	v_log_f32_e32 v1, v1
	v_cmp_eq_u32_e64 s[0:1], 3, v0
	v_cndmask_b32_e64 v0, v8, v15, s[0:1]
	v_cvt_f32_u32_e32 v0, v0
	v_mul_f32_e32 v8, 0x3f317217, v1
	v_fma_f32 v9, v1, s62, -v8
	v_fmac_f32_e32 v9, 0x3377d1cf, v1
	v_add_f32_e32 v8, v8, v9
	v_cmp_lt_f32_e64 s[0:1], |v1|, s47
	v_cndmask_b32_e64 v1, v1, v8, s[0:1]
	v_cndmask_b32_e32 v8, 0, v33, vcc
	v_sub_f32_e32 v1, v1, v8
	v_mul_f32_e32 v1, -2.0, v1
	v_mul_f32_e32 v8, 0x4f800000, v1
	v_cmp_gt_f32_e32 vcc, s52, v1
	v_cndmask_b32_e32 v8, v1, v8, vcc
	v_sqrt_f32_e32 v1, v8
	v_mov_b32_e32 v9, 0x30c90fdb
	v_fmac_f32_e32 v9, 0x30c90fdb, v0
	v_mov_b32_e32 v58, 1
	v_add_u32_e32 v0, -1, v1
	v_fma_f32 v10, -v0, v1, v8
	v_cmp_ge_f32_e64 s[0:1], 0, v10
	v_add_u32_e32 v10, 1, v1
	v_cndmask_b32_e64 v0, v1, v0, s[0:1]
	v_fma_f32 v1, -v10, v1, v8
	v_cmp_lt_f32_e64 s[0:1], 0, v1
	v_cndmask_b32_e64 v10, v0, v10, s[0:1]
	v_mul_f32_e32 v0, 0.15915494, v9
	v_sin_f32_e32 v1, v0
	v_cos_f32_e32 v0, v0
	v_mul_f32_e32 v11, 0x37800000, v10
	v_cndmask_b32_e32 v9, v10, v11, vcc
	v_cmp_class_f32_e32 vcc, v8, v28
	v_cndmask_b32_e32 v8, v9, v8, vcc
	v_pk_mul_f32 v[0:1], v[8:9], v[0:1] op_sel_hi:[0,1]
	v_pk_mov_b32 v[8:9], v[16:17], v[16:17] op_sel:[0,1]
	v_pk_mov_b32 v[10:11], v[18:19], v[18:19] op_sel:[0,1]
	v_mov_b32_e32 v38, v59
.LBB139_31:                             ;   in Loop: Header=BB139_25 Depth=2
	s_or_b64 exec, exec, s[36:37]
	v_fma_f32 v17, v41, v1, 1.0
	v_cmp_nge_f32_e32 vcc, 0, v17
	s_or_b64 s[34:35], vcc, s[34:35]
	s_andn2_b64 exec, exec, s[34:35]
	s_cbranch_execnz .LBB139_25
; %bb.32:                               ;   in Loop: Header=BB139_25 Depth=2
	s_or_b64 exec, exec, s[34:35]
	v_add_u32_e32 v16, 1, v38
	v_pk_mov_b32 v[14:15], v[10:11], v[10:11] op_sel:[0,1]
	v_cmp_eq_u32_e32 vcc, 4, v16
	v_pk_mov_b32 v[12:13], v[8:9], v[8:9] op_sel:[0,1]
	s_and_saveexec_b64 s[0:1], vcc
	s_cbranch_execz .LBB139_34
; %bb.33:                               ;   in Loop: Header=BB139_25 Depth=2
	v_add_co_u32_e32 v4, vcc, 1, v4
	v_cndmask_b32_e64 v12, 0, 1, vcc
	v_addc_co_u32_e32 v5, vcc, 0, v5, vcc
	v_cmp_eq_u32_e32 vcc, 0, v5
	v_cndmask_b32_e32 v12, 0, v12, vcc
	v_add_u32_e32 v6, v12, v6
	v_cmp_eq_u32_e32 vcc, 0, v6
	v_cndmask_b32_e32 v12, 0, v12, vcc
	v_add_u32_e32 v7, v12, v7
	v_mad_u64_u32 v[12:13], s[34:35], v4, s13, 0
	v_mad_u64_u32 v[14:15], s[34:35], v6, s40, 0
	v_xor_b32_e32 v15, v15, v26
	v_xor_b32_e32 v13, v13, v27
	v_xor_b32_e32 v15, v5, v15
	v_xor_b32_e32 v13, v7, v13
	v_mad_u64_u32 v[18:19], s[34:35], v15, s13, 0
	v_mad_u64_u32 v[60:61], s[34:35], v13, s40, 0
	v_xor_b32_e32 v13, v61, v14
	v_xor_b32_e32 v12, v19, v12
	v_xor_b32_e32 v13, v42, v13
	v_xor_b32_e32 v14, v43, v12
	;; [unrolled: 6-line block ×9, first 2 shown]
	v_mad_u64_u32 v[18:19], s[34:35], v13, s13, 0
	v_mad_u64_u32 v[60:61], s[34:35], v15, s40, 0
	v_xor_b32_e32 v12, v61, v12
	v_xor_b32_e32 v13, v19, v14
	v_mov_b32_e32 v16, 0
	v_xor_b32_e32 v12, v36, v12
	v_xor_b32_e32 v14, v37, v13
	v_mov_b32_e32 v13, v60
	v_mov_b32_e32 v15, v18
.LBB139_34:                             ;   in Loop: Header=BB139_25 Depth=2
	s_or_b64 exec, exec, s[0:1]
	v_cmp_eq_u32_e32 vcc, 1, v38
	v_cndmask_b32_e32 v8, v8, v9, vcc
	v_cmp_eq_u32_e32 vcc, 2, v38
	v_cndmask_b32_e32 v8, v8, v10, vcc
	;; [unrolled: 2-line block ×3, first 2 shown]
	v_cvt_f32_u32_e32 v8, v8
	v_mul_f32_e32 v9, v17, v17
	v_mul_f32_e32 v17, v17, v9
	v_mov_b32_e32 v9, 0x2f800000
	v_fmac_f32_e32 v9, 0x2f800000, v8
	v_mul_f32_e32 v1, v1, v1
	v_sub_f32_e32 v8, 1.0, v9
	v_mul_f32_e32 v9, 0xbd0793de, v1
	v_fma_f32 v9, v1, v9, 1.0
	v_cmp_nlt_f32_e32 vcc, v8, v9
	s_mov_b64 s[0:1], -1
	s_or_b64 s[30:31], s[30:31], exec
	s_and_saveexec_b64 s[34:35], vcc
	s_cbranch_execz .LBB139_24
; %bb.35:                               ;   in Loop: Header=BB139_25 Depth=2
	v_cmp_gt_f32_e32 vcc, s61, v8
	v_cndmask_b32_e32 v9, 1.0, v32, vcc
	v_mul_f32_e32 v8, v8, v9
	v_log_f32_e32 v8, v8
	s_andn2_b64 s[30:31], s[30:31], exec
	v_mul_f32_e32 v9, 0x3f317217, v8
	v_fma_f32 v10, v8, s62, -v9
	v_fmac_f32_e32 v10, 0x3377d1cf, v8
	v_add_f32_e32 v9, v9, v10
	v_cmp_lt_f32_e64 s[0:1], |v8|, s47
	v_cndmask_b32_e64 v8, v8, v9, s[0:1]
	v_cmp_gt_f32_e64 s[0:1], s61, v17
	v_cndmask_b32_e64 v9, 1.0, v32, s[0:1]
	v_mul_f32_e32 v9, v17, v9
	v_log_f32_e32 v9, v9
	v_cndmask_b32_e32 v10, 0, v33, vcc
	v_sub_f32_e32 v8, v8, v10
	v_sub_f32_e32 v10, 1.0, v17
	v_mul_f32_e32 v11, 0x3f317217, v9
	v_fma_f32 v18, v9, s62, -v11
	v_fmac_f32_e32 v18, 0x3377d1cf, v9
	v_add_f32_e32 v11, v11, v18
	v_cmp_lt_f32_e64 vcc, |v9|, s47
	v_cndmask_b32_e32 v9, v9, v11, vcc
	v_cndmask_b32_e64 v11, 0, v33, s[0:1]
	v_sub_f32_e32 v9, v9, v11
	v_add_f32_e32 v9, v10, v9
	v_mul_f32_e32 v9, v40, v9
	v_fmac_f32_e32 v9, 0.5, v1
	v_cmp_lt_f32_e32 vcc, v8, v9
	s_orn2_b64 s[0:1], vcc, exec
	s_branch .LBB139_24
.LBB139_36:                             ;   in Loop: Header=BB139_4 Depth=1
	s_or_b64 exec, exec, s[4:5]
	s_xor_b64 s[0:1], s[28:29], -1
	v_mul_f32_e32 v1, v39, v40
                                        ; implicit-def: $vgpr0
	s_and_saveexec_b64 s[4:5], s[0:1]
	s_xor_b64 s[0:1], exec, s[4:5]
; %bb.37:                               ;   in Loop: Header=BB139_4 Depth=1
	v_fma_mixlo_f16 v0, v1, v17, 0
                                        ; implicit-def: $vgpr1
; %bb.38:                               ;   in Loop: Header=BB139_4 Depth=1
	s_andn2_saveexec_b64 s[0:1], s[0:1]
	s_cbranch_execz .LBB139_2
; %bb.39:                               ;   in Loop: Header=BB139_4 Depth=1
	v_fma_mixlo_f16 v0, v1, v17, 0
	s_branch .LBB139_2
.LBB139_40:
	s_endpgm
	.section	.rodata,"a",@progbits
	.p2align	6, 0x0
	.amdhsa_kernel _ZN2at4cuda12_GLOBAL__N_121kernelPointwiseApply2IZN12_GLOBAL__N_117gamma_cuda_kernelIN3c104HalfEEEvRKNS_10TensorBaseES9_NS_15PhiloxCudaStateEEUlRS6_RKS6_E_S6_S6_jLin1ELin1ELi1ELi256ELi2EEEvNS0_6detail10TensorInfoIT0_T2_EENSG_IT1_SI_EESI_T_
		.amdhsa_group_segment_fixed_size 0
		.amdhsa_private_segment_fixed_size 0
		.amdhsa_kernarg_size 728
		.amdhsa_user_sgpr_count 6
		.amdhsa_user_sgpr_private_segment_buffer 1
		.amdhsa_user_sgpr_dispatch_ptr 0
		.amdhsa_user_sgpr_queue_ptr 0
		.amdhsa_user_sgpr_kernarg_segment_ptr 1
		.amdhsa_user_sgpr_dispatch_id 0
		.amdhsa_user_sgpr_flat_scratch_init 0
		.amdhsa_user_sgpr_kernarg_preload_length 0
		.amdhsa_user_sgpr_kernarg_preload_offset 0
		.amdhsa_user_sgpr_private_segment_size 0
		.amdhsa_uses_dynamic_stack 0
		.amdhsa_system_sgpr_private_segment_wavefront_offset 0
		.amdhsa_system_sgpr_workgroup_id_x 1
		.amdhsa_system_sgpr_workgroup_id_y 0
		.amdhsa_system_sgpr_workgroup_id_z 0
		.amdhsa_system_sgpr_workgroup_info 0
		.amdhsa_system_vgpr_workitem_id 0
		.amdhsa_next_free_vgpr 64
		.amdhsa_next_free_sgpr 74
		.amdhsa_accum_offset 64
		.amdhsa_reserve_vcc 1
		.amdhsa_reserve_flat_scratch 0
		.amdhsa_float_round_mode_32 0
		.amdhsa_float_round_mode_16_64 0
		.amdhsa_float_denorm_mode_32 3
		.amdhsa_float_denorm_mode_16_64 3
		.amdhsa_dx10_clamp 1
		.amdhsa_ieee_mode 1
		.amdhsa_fp16_overflow 0
		.amdhsa_tg_split 0
		.amdhsa_exception_fp_ieee_invalid_op 0
		.amdhsa_exception_fp_denorm_src 0
		.amdhsa_exception_fp_ieee_div_zero 0
		.amdhsa_exception_fp_ieee_overflow 0
		.amdhsa_exception_fp_ieee_underflow 0
		.amdhsa_exception_fp_ieee_inexact 0
		.amdhsa_exception_int_div_zero 0
	.end_amdhsa_kernel
	.section	.text._ZN2at4cuda12_GLOBAL__N_121kernelPointwiseApply2IZN12_GLOBAL__N_117gamma_cuda_kernelIN3c104HalfEEEvRKNS_10TensorBaseES9_NS_15PhiloxCudaStateEEUlRS6_RKS6_E_S6_S6_jLin1ELin1ELi1ELi256ELi2EEEvNS0_6detail10TensorInfoIT0_T2_EENSG_IT1_SI_EESI_T_,"axG",@progbits,_ZN2at4cuda12_GLOBAL__N_121kernelPointwiseApply2IZN12_GLOBAL__N_117gamma_cuda_kernelIN3c104HalfEEEvRKNS_10TensorBaseES9_NS_15PhiloxCudaStateEEUlRS6_RKS6_E_S6_S6_jLin1ELin1ELi1ELi256ELi2EEEvNS0_6detail10TensorInfoIT0_T2_EENSG_IT1_SI_EESI_T_,comdat
.Lfunc_end139:
	.size	_ZN2at4cuda12_GLOBAL__N_121kernelPointwiseApply2IZN12_GLOBAL__N_117gamma_cuda_kernelIN3c104HalfEEEvRKNS_10TensorBaseES9_NS_15PhiloxCudaStateEEUlRS6_RKS6_E_S6_S6_jLin1ELin1ELi1ELi256ELi2EEEvNS0_6detail10TensorInfoIT0_T2_EENSG_IT1_SI_EESI_T_, .Lfunc_end139-_ZN2at4cuda12_GLOBAL__N_121kernelPointwiseApply2IZN12_GLOBAL__N_117gamma_cuda_kernelIN3c104HalfEEEvRKNS_10TensorBaseES9_NS_15PhiloxCudaStateEEUlRS6_RKS6_E_S6_S6_jLin1ELin1ELi1ELi256ELi2EEEvNS0_6detail10TensorInfoIT0_T2_EENSG_IT1_SI_EESI_T_
                                        ; -- End function
	.section	.AMDGPU.csdata,"",@progbits
; Kernel info:
; codeLenInByte = 5584
; NumSgprs: 78
; NumVgprs: 64
; NumAgprs: 0
; TotalNumVgprs: 64
; ScratchSize: 0
; MemoryBound: 0
; FloatMode: 240
; IeeeMode: 1
; LDSByteSize: 0 bytes/workgroup (compile time only)
; SGPRBlocks: 9
; VGPRBlocks: 7
; NumSGPRsForWavesPerEU: 78
; NumVGPRsForWavesPerEU: 64
; AccumOffset: 64
; Occupancy: 8
; WaveLimiterHint : 1
; COMPUTE_PGM_RSRC2:SCRATCH_EN: 0
; COMPUTE_PGM_RSRC2:USER_SGPR: 6
; COMPUTE_PGM_RSRC2:TRAP_HANDLER: 0
; COMPUTE_PGM_RSRC2:TGID_X_EN: 1
; COMPUTE_PGM_RSRC2:TGID_Y_EN: 0
; COMPUTE_PGM_RSRC2:TGID_Z_EN: 0
; COMPUTE_PGM_RSRC2:TIDIG_COMP_CNT: 0
; COMPUTE_PGM_RSRC3_GFX90A:ACCUM_OFFSET: 15
; COMPUTE_PGM_RSRC3_GFX90A:TG_SPLIT: 0
	.section	.text._ZN2at4cuda12_GLOBAL__N_121kernelPointwiseApply2IZN12_GLOBAL__N_117gamma_cuda_kernelIN3c104HalfEEEvRKNS_10TensorBaseES9_NS_15PhiloxCudaStateEEUlRS6_RKS6_E_S6_S6_mLi1ELi1ELi1ELi256ELi2EEEvNS0_6detail10TensorInfoIT0_T2_EENSG_IT1_SI_EESI_T_,"axG",@progbits,_ZN2at4cuda12_GLOBAL__N_121kernelPointwiseApply2IZN12_GLOBAL__N_117gamma_cuda_kernelIN3c104HalfEEEvRKNS_10TensorBaseES9_NS_15PhiloxCudaStateEEUlRS6_RKS6_E_S6_S6_mLi1ELi1ELi1ELi256ELi2EEEvNS0_6detail10TensorInfoIT0_T2_EENSG_IT1_SI_EESI_T_,comdat
	.globl	_ZN2at4cuda12_GLOBAL__N_121kernelPointwiseApply2IZN12_GLOBAL__N_117gamma_cuda_kernelIN3c104HalfEEEvRKNS_10TensorBaseES9_NS_15PhiloxCudaStateEEUlRS6_RKS6_E_S6_S6_mLi1ELi1ELi1ELi256ELi2EEEvNS0_6detail10TensorInfoIT0_T2_EENSG_IT1_SI_EESI_T_ ; -- Begin function _ZN2at4cuda12_GLOBAL__N_121kernelPointwiseApply2IZN12_GLOBAL__N_117gamma_cuda_kernelIN3c104HalfEEEvRKNS_10TensorBaseES9_NS_15PhiloxCudaStateEEUlRS6_RKS6_E_S6_S6_mLi1ELi1ELi1ELi256ELi2EEEvNS0_6detail10TensorInfoIT0_T2_EENSG_IT1_SI_EESI_T_
	.p2align	8
	.type	_ZN2at4cuda12_GLOBAL__N_121kernelPointwiseApply2IZN12_GLOBAL__N_117gamma_cuda_kernelIN3c104HalfEEEvRKNS_10TensorBaseES9_NS_15PhiloxCudaStateEEUlRS6_RKS6_E_S6_S6_mLi1ELi1ELi1ELi256ELi2EEEvNS0_6detail10TensorInfoIT0_T2_EENSG_IT1_SI_EESI_T_,@function
_ZN2at4cuda12_GLOBAL__N_121kernelPointwiseApply2IZN12_GLOBAL__N_117gamma_cuda_kernelIN3c104HalfEEEvRKNS_10TensorBaseES9_NS_15PhiloxCudaStateEEUlRS6_RKS6_E_S6_S6_mLi1ELi1ELi1ELi256ELi2EEEvNS0_6detail10TensorInfoIT0_T2_EENSG_IT1_SI_EESI_T_: ; @_ZN2at4cuda12_GLOBAL__N_121kernelPointwiseApply2IZN12_GLOBAL__N_117gamma_cuda_kernelIN3c104HalfEEEvRKNS_10TensorBaseES9_NS_15PhiloxCudaStateEEUlRS6_RKS6_E_S6_S6_mLi1ELi1ELi1ELi256ELi2EEEvNS0_6detail10TensorInfoIT0_T2_EENSG_IT1_SI_EESI_T_
; %bb.0:
	s_load_dword s2, s[4:5], 0x374
	s_load_dwordx8 s[12:19], s[4:5], 0x340
	s_add_u32 s0, s4, 0x368
	s_addc_u32 s1, s5, 0
	v_mov_b32_e32 v3, 0
	s_waitcnt lgkmcnt(0)
	s_and_b32 s2, s2, 0xffff
	s_mul_i32 s6, s6, s2
	v_add_u32_e32 v2, s6, v0
	v_cmp_gt_u64_e32 vcc, s[12:13], v[2:3]
	s_and_saveexec_b64 s[6:7], vcc
	s_cbranch_execz .LBB140_30
; %bb.1:
	s_load_dword s3, s[4:5], 0x360
	s_load_dwordx2 s[10:11], s[4:5], 0x0
	s_load_dwordx2 s[20:21], s[4:5], 0xd0
	;; [unrolled: 1-line block ×4, first 2 shown]
	s_load_dword s6, s[0:1], 0x0
	s_mov_b32 s33, 0xcd9e8d57
	s_waitcnt lgkmcnt(0)
	s_bitcmp1_b32 s3, 0
	v_mad_u64_u32 v[20:21], s[0:1], v2, s33, 0
	s_cselect_b64 s[0:1], -1, 0
	v_cndmask_b32_e64 v0, 0, 1, s[0:1]
	v_mov_b32_e32 v22, v21
	s_mul_i32 s38, s6, s2
	s_mov_b32 s39, 0
	s_mov_b64 s[26:27], 0
	v_mov_b32_e32 v21, s23
	v_cmp_ne_u32_e64 s[0:1], 1, v0
	s_mov_b32 s23, 0xd2511f53
	s_mov_b32 s40, 0x9e3779b9
	;; [unrolled: 1-line block ×7, first 2 shown]
	v_mov_b32_e32 v23, 0x3ecccdef
	s_mov_b32 s46, 0x3f317218
	s_movk_i32 s47, 0x204
	s_mov_b32 s48, 0x7f800000
	s_mov_b32 s49, 0x42b17218
	;; [unrolled: 1-line block ×4, first 2 shown]
	s_brev_b32 s52, -2
	s_mov_b32 s53, 0xf800000
	v_mov_b32_e32 v28, 0x260
	s_mov_b32 s54, 0x32370b8f
	s_mov_b32 s55, 0x78dde6e4
	;; [unrolled: 1-line block ×8, first 2 shown]
	s_movk_i32 s62, 0x400
	s_mov_b32 s63, 0xed9eba14
	s_mov_b32 s64, 0xa9066899
	;; [unrolled: 1-line block ×5, first 2 shown]
	v_mov_b32_e32 v29, 0x37000000
	v_mov_b32_e32 v30, 0x7f800000
	;; [unrolled: 1-line block ×6, first 2 shown]
	v_pk_mov_b32 v[24:25], v[2:3], v[2:3] op_sel:[0,1]
	s_branch .LBB140_4
.LBB140_2:                              ;   in Loop: Header=BB140_4 Depth=1
	s_or_b64 exec, exec, s[4:5]
.LBB140_3:                              ;   in Loop: Header=BB140_4 Depth=1
	s_or_b64 exec, exec, s[6:7]
	v_mul_lo_u32 v1, v25, s20
	v_mul_lo_u32 v6, v24, s21
	v_mad_u64_u32 v[4:5], s[4:5], v24, s20, 0
	v_add3_u32 v1, v5, v6, v1
	v_cndmask_b32_e64 v5, 0, v1, s[2:3]
	v_cndmask_b32_e64 v4, 0, v4, s[2:3]
	v_lshlrev_b64 v[4:5], 1, v[4:5]
	v_mov_b32_e32 v1, s11
	v_add_co_u32_e32 v4, vcc, s10, v4
	v_addc_co_u32_e32 v5, vcc, v1, v5, vcc
	v_cmp_ngt_f16_e32 vcc, s62, v0
	v_cndmask_b32_e32 v0, v34, v0, vcc
	v_mov_b32_e32 v1, s39
	v_add_co_u32_e32 v24, vcc, s38, v24
	v_addc_co_u32_e32 v25, vcc, v25, v1, vcc
	v_cmp_le_u64_e32 vcc, s[12:13], v[24:25]
	s_or_b64 s[26:27], vcc, s[26:27]
	global_store_short v[4:5], v0, off
	s_andn2_b64 exec, exec, s[26:27]
	s_cbranch_execz .LBB140_30
.LBB140_4:                              ; =>This Loop Header: Depth=1
                                        ;     Child Loop BB140_15 Depth 2
	v_sub_u32_e32 v4, s12, v24
	v_mul_lo_u32 v5, v25, s24
	v_mul_lo_u32 v6, v24, s25
	v_mad_u64_u32 v[0:1], s[2:3], v24, s24, 0
	v_add3_u32 v1, v1, v6, v5
	v_cmp_lt_i32_e64 s[2:3], 0, v4
	v_cndmask_b32_e64 v1, 0, v1, s[2:3]
	v_cndmask_b32_e64 v0, 0, v0, s[2:3]
	v_lshlrev_b64 v[0:1], 1, v[0:1]
	v_add_co_u32_e32 v0, vcc, s22, v0
	v_addc_co_u32_e32 v1, vcc, v21, v1, vcc
	global_load_ushort v39, v[0:1], off
	s_and_b64 vcc, exec, s[0:1]
	v_pk_mov_b32 v[0:1], s[16:17], s[16:17] op_sel:[0,1]
	v_pk_mov_b32 v[26:27], s[14:15], s[14:15] op_sel:[0,1]
	s_cbranch_vccnz .LBB140_6
; %bb.5:                                ;   in Loop: Header=BB140_4 Depth=1
	v_pk_mov_b32 v[0:1], s[16:17], s[16:17] op_sel:[0,1]
	flat_load_dwordx2 v[0:1], v[0:1]
	v_pk_mov_b32 v[4:5], s[14:15], s[14:15] op_sel:[0,1]
	flat_load_dwordx2 v[26:27], v[4:5]
	v_mov_b32_e32 v4, s19
	s_waitcnt vmcnt(0) lgkmcnt(0)
	v_add_co_u32_e32 v0, vcc, s18, v0
	v_addc_co_u32_e32 v1, vcc, v1, v4, vcc
.LBB140_6:                              ;   in Loop: Header=BB140_4 Depth=1
	v_and_b32_e32 v37, 3, v0
	v_alignbit_b32 v0, v1, v0, 2
	v_mad_u64_u32 v[6:7], s[4:5], v0, s23, 0
	v_lshrrev_b32_e32 v1, 2, v1
	v_xor_b32_e32 v5, v7, v27
	v_xor_b32_e32 v7, v22, v26
	v_mov_b32_e32 v4, v27
	v_xor_b32_e32 v7, v7, v1
	v_mad_u64_u32 v[10:11], s[4:5], v5, s33, 0
	v_add_co_u32_e32 v41, vcc, s40, v26
	v_add_co_u32_e32 v40, vcc, s41, v4
	v_mad_u64_u32 v[8:9], s[4:5], v7, s23, 0
	v_xor_b32_e32 v5, v20, v11
	v_xor_b32_e32 v5, v5, v41
	v_xor_b32_e32 v7, v40, v9
	v_xor_b32_e32 v9, v7, v6
	v_add_co_u32_e32 v42, vcc, s43, v4
	v_mad_u64_u32 v[6:7], s[4:5], v5, s23, 0
	v_add_co_u32_e32 v43, vcc, s42, v26
	v_mad_u64_u32 v[12:13], s[4:5], v9, s33, 0
	v_xor_b32_e32 v7, v42, v7
	v_xor_b32_e32 v5, v43, v13
	v_xor_b32_e32 v7, v7, v8
	v_xor_b32_e32 v5, v5, v10
	v_add_co_u32_e32 v45, vcc, s44, v26
	v_mad_u64_u32 v[10:11], s[4:5], v7, s33, 0
	;; [unrolled: 8-line block ×7, first 2 shown]
	v_add_co_u32_e32 v55, vcc, s66, v26
	v_mad_u64_u32 v[6:7], s[4:5], v6, s33, 0
	v_xor_b32_e32 v5, v54, v5
	v_xor_b32_e32 v7, v55, v7
	;; [unrolled: 1-line block ×4, first 2 shown]
	v_mad_u64_u32 v[18:19], s[4:5], v5, s33, 0
	v_mad_u64_u32 v[16:17], s[4:5], v7, s23, 0
	v_xor_b32_e32 v5, v19, v6
	s_waitcnt vmcnt(0)
	v_cvt_f32_f16_e32 v19, v39
	v_add_u32_e32 v35, 0x8ff34781, v26
	v_add_u32_e32 v36, 0x96a522ad, v27
	v_xor_b32_e32 v4, v17, v4
	v_xor_b32_e32 v8, v35, v5
	;; [unrolled: 1-line block ×3, first 2 shown]
	v_pk_mov_b32 v[6:7], v[2:3], v[2:3] op_sel:[0,1]
	v_mov_b32_e32 v9, v18
	v_mov_b32_e32 v11, v16
	v_cmp_gt_f16_e32 vcc, 1.0, v39
	s_mov_b64 s[4:5], -1
	v_mov_b32_e32 v38, 1.0
	v_pk_mov_b32 v[4:5], v[0:1], v[0:1] op_sel:[0,1]
                                        ; implicit-def: $sgpr6
	s_and_saveexec_b64 s[28:29], vcc
	s_cbranch_execz .LBB140_12
; %bb.7:                                ;   in Loop: Header=BB140_4 Depth=1
	v_cmp_neq_f16_e32 vcc, 0, v39
	s_mov_b64 s[34:35], 0
	v_mov_b32_e32 v38, 1.0
                                        ; implicit-def: $vgpr4_vgpr5_vgpr6_vgpr7
	s_and_saveexec_b64 s[30:31], vcc
	s_cbranch_execz .LBB140_11
; %bb.8:                                ;   in Loop: Header=BB140_4 Depth=1
	v_add_u32_e32 v17, 1, v37
	v_pk_mov_b32 v[14:15], v[10:11], v[10:11] op_sel:[0,1]
	v_pk_mov_b32 v[6:7], v[2:3], v[2:3] op_sel:[0,1]
	v_cmp_eq_u32_e32 vcc, 4, v17
	v_pk_mov_b32 v[12:13], v[8:9], v[8:9] op_sel:[0,1]
	v_pk_mov_b32 v[4:5], v[0:1], v[0:1] op_sel:[0,1]
	s_and_saveexec_b64 s[4:5], vcc
	s_cbranch_execz .LBB140_10
; %bb.9:                                ;   in Loop: Header=BB140_4 Depth=1
	v_add_co_u32_e32 v4, vcc, 1, v0
	v_cndmask_b32_e64 v0, 0, 1, vcc
	v_addc_co_u32_e32 v5, vcc, 0, v1, vcc
	v_cmp_eq_u32_e32 vcc, 0, v5
	v_cndmask_b32_e32 v0, 0, v0, vcc
	v_add_u32_e32 v6, v0, v2
	v_cmp_eq_u32_e32 vcc, 0, v6
	v_cndmask_b32_e32 v7, 0, v0, vcc
	v_mad_u64_u32 v[0:1], s[6:7], v4, s23, 0
	v_mad_u64_u32 v[12:13], s[6:7], v6, s33, 0
	v_xor_b32_e32 v9, v13, v26
	v_xor_b32_e32 v1, v1, v27
	v_xor_b32_e32 v9, v5, v9
	v_xor_b32_e32 v1, v7, v1
	v_mad_u64_u32 v[14:15], s[6:7], v9, s23, 0
	v_mad_u64_u32 v[56:57], s[6:7], v1, s33, 0
	v_xor_b32_e32 v1, v41, v57
	v_xor_b32_e32 v9, v40, v15
	v_xor_b32_e32 v1, v1, v12
	v_xor_b32_e32 v9, v9, v0
	;; [unrolled: 6-line block ×9, first 2 shown]
	v_mad_u64_u32 v[40:41], s[6:7], v9, s23, 0
	v_mad_u64_u32 v[42:43], s[6:7], v1, s33, 0
	v_xor_b32_e32 v1, v43, v12
	v_xor_b32_e32 v0, v41, v0
	v_mov_b32_e32 v17, 0
	v_xor_b32_e32 v12, v35, v1
	v_xor_b32_e32 v14, v36, v0
	v_mov_b32_e32 v13, v42
	v_mov_b32_e32 v15, v40
.LBB140_10:                             ;   in Loop: Header=BB140_4 Depth=1
	s_or_b64 exec, exec, s[4:5]
	v_cmp_eq_u32_e32 vcc, 1, v37
	v_cndmask_b32_e32 v0, v8, v18, vcc
	v_cmp_eq_u32_e32 vcc, 2, v37
	v_cndmask_b32_e32 v0, v0, v10, vcc
	;; [unrolled: 2-line block ×3, first 2 shown]
	v_div_scale_f32 v1, s[4:5], v19, v19, 1.0
	v_cvt_f32_u32_e32 v0, v0
	v_rcp_f32_e32 v8, v1
	v_mov_b32_e32 v9, 0x2f800000
	s_mov_b64 s[34:35], exec
	v_fmac_f32_e32 v9, 0x2f800000, v0
	v_fma_f32 v0, -v1, v8, 1.0
	v_fmac_f32_e32 v8, v0, v8
	v_div_scale_f32 v0, vcc, 1.0, v19, 1.0
	v_sub_f32_e32 v38, 1.0, v9
	v_mul_f32_e32 v9, v0, v8
	v_fma_f32 v10, -v1, v9, v0
	v_fmac_f32_e32 v9, v10, v8
	v_fma_f32 v0, -v1, v9, v0
	v_div_fmas_f32 v0, v0, v8, v9
	v_div_fixup_f32 v48, v0, v19, 1.0
	v_cmp_eq_f32_e32 vcc, 1.0, v38
	v_cndmask_b32_e64 v49, v48, 1.0, vcc
	v_cmp_eq_f32_e64 s[4:5], 0, v49
	v_cndmask_b32_e64 v50, |v38|, 1.0, s[4:5]
	v_frexp_mant_f32_e32 v0, v50
	v_cmp_gt_f32_e64 s[6:7], s45, v0
	v_cndmask_b32_e64 v1, 1.0, 2.0, s[6:7]
	v_mul_f32_e32 v0, v0, v1
	v_add_f32_e32 v9, 1.0, v0
	v_rcp_f32_e32 v16, v9
	v_add_f32_e32 v1, -1.0, v9
	v_sub_f32_e32 v11, v0, v1
	v_add_f32_e32 v1, -1.0, v0
	v_mul_f32_e32 v37, v1, v16
	v_mul_f32_e32 v8, v9, v37
	v_fma_f32 v10, v37, v9, -v8
	v_fmac_f32_e32 v10, v37, v11
	v_add_f32_e32 v0, v8, v10
	v_sub_f32_e32 v9, v1, v0
	v_pk_add_f32 v[18:19], v[0:1], v[8:9] neg_lo:[0,1] neg_hi:[0,1]
	v_mov_b32_e32 v11, v0
	v_pk_add_f32 v[0:1], v[18:19], v[10:11] neg_lo:[0,1] neg_hi:[0,1]
	v_add_f32_e32 v0, v0, v1
	v_add_f32_e32 v0, v9, v0
	v_mul_f32_e32 v1, v16, v0
	v_add_f32_e32 v0, v37, v1
	v_sub_f32_e32 v8, v0, v37
	v_sub_f32_e32 v16, v1, v8
	v_mul_f32_e32 v1, v0, v0
	v_fma_f32 v9, v0, v0, -v1
	v_add_f32_e32 v8, v16, v16
	v_fmac_f32_e32 v9, v0, v8
	v_add_f32_e32 v8, v1, v9
	v_mov_b32_e32 v10, 0x3e91f4c4
	v_fmac_f32_e32 v10, 0x3e76c4e1, v8
	v_fma_f32 v10, v8, v10, v23
	v_sub_f32_e32 v1, v8, v1
	v_sub_f32_e32 v37, v9, v1
	v_mul_f32_e32 v1, v8, v10
	v_fma_f32 v9, v8, v10, -v1
	v_fmac_f32_e32 v9, v37, v10
	v_add_f32_e32 v10, v1, v9
	v_add_f32_e32 v11, 0x3f2aaaaa, v10
	v_sub_f32_e32 v1, v10, v1
	v_sub_f32_e32 v1, v9, v1
	v_add_f32_e32 v9, 0xbf2aaaaa, v11
	v_add_f32_e32 v1, 0x31739010, v1
	v_sub_f32_e32 v9, v10, v9
	v_pk_mul_f32 v[18:19], v[0:1], v[8:9]
	v_fma_f32 v10, v8, v0, -v18
	v_pk_add_f32 v[40:41], v[0:1], v[8:9]
	v_fmac_f32_e32 v10, v8, v16
	v_mov_b32_e32 v19, v41
	v_fmac_f32_e32 v10, v37, v0
	v_pk_add_f32 v[8:9], v[18:19], v[10:11]
	v_sub_f32_e32 v1, v8, v18
	v_sub_f32_e32 v1, v10, v1
	;; [unrolled: 1-line block ×3, first 2 shown]
	v_add_f32_e32 v37, v41, v10
	v_mov_b32_e32 v10, v9
	v_pk_mul_f32 v[10:11], v[8:9], v[10:11]
	v_cvt_f64_f32_e32 v[18:19], v50
	v_frexp_exp_i32_f64_e32 v11, v[18:19]
	v_subbrev_co_u32_e64 v11, s[6:7], 0, v11, s[6:7]
	v_cvt_f32_i32_e32 v11, v11
	v_fma_f32 v18, v8, v9, -v10
	v_fmac_f32_e32 v18, v8, v37
	v_fmac_f32_e32 v18, v1, v9
	v_mul_f32_e32 v8, 0x3f317218, v11
	v_fma_f32 v40, v11, s46, -v8
	v_fmac_f32_e32 v40, 0xb102e308, v11
	v_ldexp_f32 v41, v0, 1
	v_add_f32_e32 v9, v10, v18
	v_pk_add_f32 v[0:1], v[8:9], v[40:41]
	v_mov_b32_e32 v42, v9
	v_mov_b32_e32 v43, v1
	;; [unrolled: 1-line block ×3, first 2 shown]
	v_pk_add_f32 v[10:11], v[42:43], v[10:11] neg_lo:[0,1] neg_hi:[0,1]
	v_mov_b32_e32 v19, v9
	v_ldexp_f32 v16, v16, 1
	v_pk_add_f32 v[10:11], v[18:19], v[10:11] neg_lo:[0,1] neg_hi:[0,1]
	v_add_f32_e32 v9, v16, v10
	v_add_f32_e32 v9, v9, v11
	v_pk_add_f32 v[10:11], v[0:1], v[8:9] neg_lo:[0,1] neg_hi:[0,1]
	v_pk_add_f32 v[18:19], v[0:1], v[8:9]
	v_mov_b32_e32 v42, v10
	v_mov_b32_e32 v43, v19
	;; [unrolled: 1-line block ×3, first 2 shown]
	v_pk_add_f32 v[42:43], v[40:41], v[42:43]
	v_mov_b32_e32 v8, v43
	v_pk_add_f32 v[44:45], v[8:9], v[0:1] neg_lo:[0,1] neg_hi:[0,1]
	v_mov_b32_e32 v37, v44
	v_mov_b32_e32 v42, v19
	v_mov_b32_e32 v0, v1
	v_mov_b32_e32 v1, v44
	v_pk_add_f32 v[10:11], v[40:41], v[10:11] neg_lo:[0,1] neg_hi:[0,1]
	v_pk_add_f32 v[46:47], v[18:19], v[36:37] neg_lo:[0,1] neg_hi:[0,1]
	;; [unrolled: 1-line block ×3, first 2 shown]
	v_mov_b32_e32 v40, v9
	v_pk_add_f32 v[0:1], v[40:41], v[0:1] neg_lo:[0,1] neg_hi:[0,1]
	v_mov_b32_e32 v46, v10
	v_pk_add_f32 v[18:19], v[46:47], v[0:1]
	v_mov_b32_e32 v16, v19
	v_pk_add_f32 v[40:41], v[18:19], v[16:17]
	v_pk_add_f32 v[8:9], v[8:9], v[40:41]
	v_mov_b32_e32 v11, v43
	v_mov_b32_e32 v19, v8
	v_pk_add_f32 v[42:43], v[18:19], v[10:11] neg_lo:[0,1] neg_hi:[0,1]
	v_mov_b32_e32 v1, v40
	v_sub_f32_e32 v9, v18, v42
	v_pk_add_f32 v[0:1], v[0:1], v[42:43] neg_lo:[0,1] neg_hi:[0,1]
	v_sub_f32_e32 v9, v10, v9
	v_add_f32_e32 v0, v0, v9
	v_add_f32_e32 v0, v0, v1
	;; [unrolled: 1-line block ×3, first 2 shown]
	v_sub_f32_e32 v8, v1, v8
	v_sub_f32_e32 v0, v0, v8
	v_mul_f32_e32 v8, v49, v1
	v_fma_f32 v1, v49, v1, -v8
	v_fmac_f32_e32 v1, v49, v0
	v_add_f32_e32 v0, v8, v1
	v_cmp_class_f32_e64 s[6:7], v8, s47
	v_sub_f32_e32 v9, v0, v8
	v_cndmask_b32_e64 v0, v0, v8, s[6:7]
	v_cmp_eq_f32_e64 s[6:7], s49, v0
	v_cndmask_b32_e64 v8, 0, v29, s[6:7]
	v_sub_f32_e32 v1, v1, v9
	v_sub_f32_e32 v9, v0, v8
	v_mul_f32_e32 v10, 0x3fb8aa3b, v9
	v_fma_f32 v11, v9, s50, -v10
	v_rndne_f32_e32 v16, v10
	v_fmac_f32_e32 v11, 0x32a5705f, v9
	v_sub_f32_e32 v10, v10, v16
	v_add_f32_e32 v10, v10, v11
	v_exp_f32_e32 v10, v10
	v_cvt_i32_f32_e32 v11, v16
	v_cmp_neq_f32_e64 s[6:7], |v0|, s48
	v_cndmask_b32_e64 v0, 0, v1, s[6:7]
	v_cmp_ngt_f32_e64 s[6:7], s51, v9
	v_ldexp_f32 v1, v10, v11
	v_cndmask_b32_e64 v1, 0, v1, s[6:7]
	v_cmp_nlt_f32_e64 s[6:7], s49, v9
	v_add_f32_e32 v0, v8, v0
	v_cndmask_b32_e64 v1, v30, v1, s[6:7]
	v_fma_f32 v0, v1, v0, v1
	v_cmp_class_f32_e64 s[6:7], v1, s47
	v_trunc_f32_e32 v8, v49
	v_cndmask_b32_e64 v0, v0, v1, s[6:7]
	v_cndmask_b32_e64 v1, v38, 1.0, s[4:5]
	v_cmp_eq_f32_e64 s[4:5], v8, v49
	v_mul_f32_e32 v8, 0.5, v49
	v_trunc_f32_e32 v9, v8
	v_cmp_neq_f32_e64 s[6:7], v9, v8
	s_and_b64 s[6:7], s[4:5], s[6:7]
	v_cndmask_b32_e64 v8, 1.0, v1, s[6:7]
	v_bfi_b32 v0, s52, v0, v8
	v_cndmask_b32_e64 v8, v31, v0, s[4:5]
	v_cmp_gt_f32_e64 s[4:5], 0, v1
	v_cndmask_b32_e64 v0, v0, v8, s[4:5]
	v_cndmask_b32_e64 v8, |v48|, 1.0, vcc
	v_cmp_neq_f32_e32 vcc, v49, v8
	v_cmp_gt_f32_e64 s[4:5], 1.0, v50
	s_xor_b64 s[4:5], vcc, s[4:5]
	v_cndmask_b32_e64 v9, v8, 0, s[4:5]
	v_cmp_eq_f32_e64 s[4:5], 0, v1
	v_cmp_gt_f32_e64 s[8:9], 0, v49
	v_cmp_eq_f32_e32 vcc, 1.0, v50
	s_xor_b64 s[8:9], s[8:9], s[4:5]
	v_cndmask_b32_e32 v9, v9, v50, vcc
	v_cmp_eq_f32_e32 vcc, s48, v8
	v_cndmask_b32_e64 v8, v30, 0, s[8:9]
	v_cndmask_b32_e64 v1, 0, v1, s[6:7]
	v_bfi_b32 v1, s52, v8, v1
	v_add_f16_e32 v8, 1.0, v39
	v_cvt_f32_f16_e32 v19, v8
	v_cndmask_b32_e32 v0, v0, v9, vcc
	v_cmp_eq_f32_e32 vcc, s48, v50
	s_or_b64 vcc, vcc, s[4:5]
	v_pk_mov_b32 v[8:9], v[12:13], v[12:13] op_sel:[0,1]
	v_cndmask_b32_e32 v38, v0, v1, vcc
	v_pk_mov_b32 v[10:11], v[14:15], v[14:15] op_sel:[0,1]
	v_mov_b32_e32 v37, v17
.LBB140_11:                             ;   in Loop: Header=BB140_4 Depth=1
	s_or_b64 exec, exec, s[30:31]
	s_mov_b32 s6, 0
	s_orn2_b64 s[4:5], s[34:35], exec
.LBB140_12:                             ;   in Loop: Header=BB140_4 Depth=1
	s_or_b64 exec, exec, s[28:29]
	v_mov_b32_e32 v0, s6
	s_and_saveexec_b64 s[6:7], s[4:5]
	s_cbranch_execz .LBB140_3
; %bb.13:                               ;   in Loop: Header=BB140_4 Depth=1
	v_add_f32_e32 v39, 0xbeaaaaab, v19
	v_mul_f32_e32 v0, 0x41100000, v39
	v_mul_f32_e32 v1, 0x4f800000, v0
	v_cmp_gt_f32_e32 vcc, s53, v0
	v_cndmask_b32_e32 v0, v0, v1, vcc
	v_sqrt_f32_e32 v1, v0
	v_add_u32_e32 v41, 0x9e3779b9, v26
	v_add_u32_e32 v42, 0xbb67ae85, v27
	;; [unrolled: 1-line block ×3, first 2 shown]
	v_add_u32_e32 v12, -1, v1
	v_fma_f32 v14, -v12, v1, v0
	v_add_u32_e32 v13, 1, v1
	v_cmp_ge_f32_e64 s[4:5], 0, v14
	v_cndmask_b32_e64 v12, v1, v12, s[4:5]
	v_fma_f32 v1, -v13, v1, v0
	v_cmp_lt_f32_e64 s[4:5], 0, v1
	v_cndmask_b32_e64 v1, v12, v13, s[4:5]
	v_mul_f32_e32 v12, 0x37800000, v1
	v_cndmask_b32_e32 v1, v1, v12, vcc
	v_cmp_class_f32_e32 vcc, v0, v28
	v_cndmask_b32_e32 v0, v1, v0, vcc
	v_div_scale_f32 v1, s[4:5], v0, v0, 1.0
	v_rcp_f32_e32 v12, v1
	v_add_u32_e32 v44, 0x76cf5d0a, v27
	v_add_u32_e32 v45, 0xdaa66d2b, v26
	;; [unrolled: 1-line block ×3, first 2 shown]
	v_fma_f32 v13, -v1, v12, 1.0
	v_fmac_f32_e32 v12, v13, v12
	v_div_scale_f32 v13, vcc, 1.0, v0, 1.0
	v_mul_f32_e32 v14, v13, v12
	v_fma_f32 v15, -v1, v14, v13
	v_fmac_f32_e32 v14, v15, v12
	v_fma_f32 v1, -v1, v14, v13
	v_div_fmas_f32 v1, v1, v12, v14
	v_div_fixup_f32 v40, v1, v0, 1.0
	v_add_u32_e32 v47, 0x78dde6e4, v26
	v_add_u32_e32 v48, 0xed9eba14, v27
	;; [unrolled: 1-line block ×10, first 2 shown]
	s_mov_b64 s[8:9], 0
	v_mov_b32_e32 v57, 0
	s_mov_b64 s[34:35], 0
                                        ; implicit-def: $sgpr28_sgpr29
                                        ; implicit-def: $sgpr30_sgpr31
                                        ; implicit-def: $vgpr0
	s_branch .LBB140_15
.LBB140_14:                             ;   in Loop: Header=BB140_15 Depth=2
	s_or_b64 exec, exec, s[34:35]
	s_and_b64 s[4:5], exec, s[4:5]
	s_or_b64 s[8:9], s[4:5], s[8:9]
	s_andn2_b64 s[4:5], s[28:29], exec
	s_and_b64 s[28:29], s[30:31], exec
	v_pk_mov_b32 v[8:9], v[12:13], v[12:13] op_sel:[0,1]
	s_or_b64 s[28:29], s[4:5], s[28:29]
	s_mov_b64 s[34:35], 0
	v_mov_b32_e32 v37, v16
	v_pk_mov_b32 v[10:11], v[14:15], v[14:15] op_sel:[0,1]
	s_andn2_b64 exec, exec, s[8:9]
	s_cbranch_execz .LBB140_26
.LBB140_15:                             ;   Parent Loop BB140_4 Depth=1
                                        ; =>  This Inner Loop Header: Depth=2
	v_cmp_eq_u32_e32 vcc, 0, v57
	v_mov_b32_e32 v1, v0
	v_mov_b32_e32 v57, 0
	s_and_saveexec_b64 s[36:37], vcc
	s_cbranch_execz .LBB140_21
; %bb.16:                               ;   in Loop: Header=BB140_15 Depth=2
	v_add_u32_e32 v0, 1, v37
	v_pk_mov_b32 v[14:15], v[10:11], v[10:11] op_sel:[0,1]
	v_cmp_eq_u32_e32 vcc, 4, v0
	v_pk_mov_b32 v[12:13], v[8:9], v[8:9] op_sel:[0,1]
	s_and_saveexec_b64 s[4:5], vcc
	s_cbranch_execz .LBB140_18
; %bb.17:                               ;   in Loop: Header=BB140_15 Depth=2
	v_add_co_u32_e32 v4, vcc, 1, v4
	v_cndmask_b32_e64 v1, 0, 1, vcc
	v_addc_co_u32_e32 v5, vcc, 0, v5, vcc
	v_cmp_eq_u32_e32 vcc, 0, v5
	v_cndmask_b32_e32 v1, 0, v1, vcc
	v_add_u32_e32 v6, v1, v6
	v_cmp_eq_u32_e32 vcc, 0, v6
	v_cndmask_b32_e32 v1, 0, v1, vcc
	v_mad_u64_u32 v[12:13], s[68:69], v4, s23, 0
	v_mad_u64_u32 v[14:15], s[68:69], v6, s33, 0
	v_add_u32_e32 v7, v1, v7
	v_xor_b32_e32 v1, v15, v26
	v_xor_b32_e32 v13, v13, v27
	v_xor_b32_e32 v1, v5, v1
	v_xor_b32_e32 v13, v7, v13
	v_mad_u64_u32 v[16:17], s[68:69], v1, s23, 0
	v_mad_u64_u32 v[18:19], s[68:69], v13, s33, 0
	v_xor_b32_e32 v1, v19, v14
	v_xor_b32_e32 v12, v17, v12
	v_xor_b32_e32 v1, v41, v1
	v_xor_b32_e32 v14, v42, v12
	v_mad_u64_u32 v[12:13], s[68:69], v1, s23, 0
	v_mad_u64_u32 v[14:15], s[68:69], v14, s33, 0
	;; [unrolled: 6-line block ×9, first 2 shown]
	v_xor_b32_e32 v1, v19, v12
	v_xor_b32_e32 v12, v35, v1
	v_xor_b32_e32 v1, v17, v14
	v_mov_b32_e32 v0, 0
	v_xor_b32_e32 v14, v36, v1
	v_mov_b32_e32 v13, v18
	v_mov_b32_e32 v15, v16
.LBB140_18:                             ;   in Loop: Header=BB140_15 Depth=2
	s_or_b64 exec, exec, s[4:5]
	v_add_u32_e32 v58, 1, v0
	v_pk_mov_b32 v[18:19], v[14:15], v[14:15] op_sel:[0,1]
	v_cmp_eq_u32_e32 vcc, 4, v58
	v_pk_mov_b32 v[16:17], v[12:13], v[12:13] op_sel:[0,1]
	s_and_saveexec_b64 s[4:5], vcc
	s_cbranch_execz .LBB140_20
; %bb.19:                               ;   in Loop: Header=BB140_15 Depth=2
	v_add_co_u32_e32 v4, vcc, 1, v4
	v_cndmask_b32_e64 v1, 0, 1, vcc
	v_addc_co_u32_e32 v5, vcc, 0, v5, vcc
	v_cmp_eq_u32_e32 vcc, 0, v5
	v_cndmask_b32_e32 v1, 0, v1, vcc
	v_add_u32_e32 v6, v1, v6
	v_cmp_eq_u32_e32 vcc, 0, v6
	v_cndmask_b32_e32 v1, 0, v1, vcc
	v_mad_u64_u32 v[16:17], s[68:69], v4, s23, 0
	v_mad_u64_u32 v[18:19], s[68:69], v6, s33, 0
	v_add_u32_e32 v7, v1, v7
	v_xor_b32_e32 v1, v19, v26
	v_xor_b32_e32 v17, v17, v27
	v_xor_b32_e32 v1, v5, v1
	v_xor_b32_e32 v17, v7, v17
	v_mad_u64_u32 v[60:61], s[68:69], v1, s23, 0
	v_mad_u64_u32 v[62:63], s[68:69], v17, s33, 0
	v_xor_b32_e32 v1, v63, v18
	v_xor_b32_e32 v16, v61, v16
	v_xor_b32_e32 v1, v41, v1
	v_xor_b32_e32 v18, v42, v16
	v_mad_u64_u32 v[16:17], s[68:69], v1, s23, 0
	v_mad_u64_u32 v[18:19], s[68:69], v18, s33, 0
	;; [unrolled: 6-line block ×9, first 2 shown]
	v_xor_b32_e32 v1, v63, v16
	v_xor_b32_e32 v16, v35, v1
	;; [unrolled: 1-line block ×3, first 2 shown]
	v_mov_b32_e32 v58, 0
	v_xor_b32_e32 v18, v36, v1
	v_mov_b32_e32 v17, v62
	v_mov_b32_e32 v19, v60
.LBB140_20:                             ;   in Loop: Header=BB140_15 Depth=2
	s_or_b64 exec, exec, s[4:5]
	v_cmp_eq_u32_e32 vcc, 1, v37
	v_cndmask_b32_e32 v1, v8, v9, vcc
	v_cmp_eq_u32_e32 vcc, 2, v37
	v_cndmask_b32_e32 v1, v1, v10, vcc
	;; [unrolled: 2-line block ×3, first 2 shown]
	v_cvt_f32_u32_e32 v1, v1
	v_cmp_eq_u32_e32 vcc, 1, v0
	v_mov_b32_e32 v9, 0x2f800000
	v_cndmask_b32_e32 v8, v12, v13, vcc
	v_cmp_eq_u32_e32 vcc, 2, v0
	v_fmac_f32_e32 v9, 0x2f800000, v1
	v_cndmask_b32_e32 v8, v8, v14, vcc
	v_cmp_gt_f32_e32 vcc, s60, v9
	v_cndmask_b32_e32 v1, 1.0, v32, vcc
	v_mul_f32_e32 v1, v9, v1
	v_log_f32_e32 v1, v1
	v_cmp_eq_u32_e64 s[4:5], 3, v0
	v_cndmask_b32_e64 v0, v8, v15, s[4:5]
	v_cvt_f32_u32_e32 v0, v0
	v_mul_f32_e32 v8, 0x3f317217, v1
	v_fma_f32 v9, v1, s61, -v8
	v_fmac_f32_e32 v9, 0x3377d1cf, v1
	v_add_f32_e32 v8, v8, v9
	v_cmp_lt_f32_e64 s[4:5], |v1|, s48
	v_cndmask_b32_e64 v1, v1, v8, s[4:5]
	v_cndmask_b32_e32 v8, 0, v33, vcc
	v_sub_f32_e32 v1, v1, v8
	v_mul_f32_e32 v1, -2.0, v1
	v_mul_f32_e32 v8, 0x4f800000, v1
	v_cmp_gt_f32_e32 vcc, s53, v1
	v_cndmask_b32_e32 v8, v1, v8, vcc
	v_sqrt_f32_e32 v1, v8
	v_mov_b32_e32 v9, 0x30c90fdb
	v_fmac_f32_e32 v9, 0x30c90fdb, v0
	v_mov_b32_e32 v57, 1
	v_add_u32_e32 v0, -1, v1
	v_fma_f32 v10, -v0, v1, v8
	v_cmp_ge_f32_e64 s[4:5], 0, v10
	v_add_u32_e32 v10, 1, v1
	v_cndmask_b32_e64 v0, v1, v0, s[4:5]
	v_fma_f32 v1, -v10, v1, v8
	v_cmp_lt_f32_e64 s[4:5], 0, v1
	v_cndmask_b32_e64 v10, v0, v10, s[4:5]
	v_mul_f32_e32 v0, 0.15915494, v9
	v_sin_f32_e32 v1, v0
	v_cos_f32_e32 v0, v0
	v_mul_f32_e32 v11, 0x37800000, v10
	v_cndmask_b32_e32 v9, v10, v11, vcc
	v_cmp_class_f32_e32 vcc, v8, v28
	v_cndmask_b32_e32 v8, v9, v8, vcc
	v_pk_mul_f32 v[0:1], v[8:9], v[0:1] op_sel_hi:[0,1]
	v_pk_mov_b32 v[8:9], v[16:17], v[16:17] op_sel:[0,1]
	v_pk_mov_b32 v[10:11], v[18:19], v[18:19] op_sel:[0,1]
	v_mov_b32_e32 v37, v58
.LBB140_21:                             ;   in Loop: Header=BB140_15 Depth=2
	s_or_b64 exec, exec, s[36:37]
	v_fma_f32 v17, v40, v1, 1.0
	v_cmp_nge_f32_e32 vcc, 0, v17
	s_or_b64 s[34:35], vcc, s[34:35]
	s_andn2_b64 exec, exec, s[34:35]
	s_cbranch_execnz .LBB140_15
; %bb.22:                               ;   in Loop: Header=BB140_15 Depth=2
	s_or_b64 exec, exec, s[34:35]
	v_add_u32_e32 v16, 1, v37
	v_pk_mov_b32 v[14:15], v[10:11], v[10:11] op_sel:[0,1]
	v_cmp_eq_u32_e32 vcc, 4, v16
	v_pk_mov_b32 v[12:13], v[8:9], v[8:9] op_sel:[0,1]
	s_and_saveexec_b64 s[4:5], vcc
	s_cbranch_execz .LBB140_24
; %bb.23:                               ;   in Loop: Header=BB140_15 Depth=2
	v_add_co_u32_e32 v4, vcc, 1, v4
	v_cndmask_b32_e64 v12, 0, 1, vcc
	v_addc_co_u32_e32 v5, vcc, 0, v5, vcc
	v_cmp_eq_u32_e32 vcc, 0, v5
	v_cndmask_b32_e32 v12, 0, v12, vcc
	v_add_u32_e32 v6, v12, v6
	v_cmp_eq_u32_e32 vcc, 0, v6
	v_cndmask_b32_e32 v12, 0, v12, vcc
	v_add_u32_e32 v7, v12, v7
	v_mad_u64_u32 v[12:13], s[34:35], v4, s23, 0
	v_mad_u64_u32 v[14:15], s[34:35], v6, s33, 0
	v_xor_b32_e32 v15, v15, v26
	v_xor_b32_e32 v13, v13, v27
	v_xor_b32_e32 v15, v5, v15
	v_xor_b32_e32 v13, v7, v13
	v_mad_u64_u32 v[18:19], s[34:35], v15, s23, 0
	v_mad_u64_u32 v[58:59], s[34:35], v13, s33, 0
	v_xor_b32_e32 v13, v59, v14
	v_xor_b32_e32 v12, v19, v12
	v_xor_b32_e32 v13, v41, v13
	v_xor_b32_e32 v14, v42, v12
	;; [unrolled: 6-line block ×9, first 2 shown]
	v_mad_u64_u32 v[18:19], s[34:35], v13, s23, 0
	v_mad_u64_u32 v[58:59], s[34:35], v15, s33, 0
	v_xor_b32_e32 v12, v59, v12
	v_xor_b32_e32 v13, v19, v14
	v_mov_b32_e32 v16, 0
	v_xor_b32_e32 v12, v35, v12
	v_xor_b32_e32 v14, v36, v13
	v_mov_b32_e32 v13, v58
	v_mov_b32_e32 v15, v18
.LBB140_24:                             ;   in Loop: Header=BB140_15 Depth=2
	s_or_b64 exec, exec, s[4:5]
	v_cmp_eq_u32_e32 vcc, 1, v37
	v_cndmask_b32_e32 v8, v8, v9, vcc
	v_cmp_eq_u32_e32 vcc, 2, v37
	v_cndmask_b32_e32 v8, v8, v10, vcc
	;; [unrolled: 2-line block ×3, first 2 shown]
	v_cvt_f32_u32_e32 v8, v8
	v_mul_f32_e32 v9, v17, v17
	v_mul_f32_e32 v17, v17, v9
	v_mov_b32_e32 v9, 0x2f800000
	v_fmac_f32_e32 v9, 0x2f800000, v8
	v_mul_f32_e32 v1, v1, v1
	v_sub_f32_e32 v8, 1.0, v9
	v_mul_f32_e32 v9, 0xbd0793de, v1
	v_fma_f32 v9, v1, v9, 1.0
	v_cmp_nlt_f32_e32 vcc, v8, v9
	s_mov_b64 s[4:5], -1
	s_or_b64 s[30:31], s[30:31], exec
	s_and_saveexec_b64 s[34:35], vcc
	s_cbranch_execz .LBB140_14
; %bb.25:                               ;   in Loop: Header=BB140_15 Depth=2
	v_cmp_gt_f32_e32 vcc, s60, v8
	v_cndmask_b32_e32 v9, 1.0, v32, vcc
	v_mul_f32_e32 v8, v8, v9
	v_log_f32_e32 v8, v8
	s_andn2_b64 s[30:31], s[30:31], exec
	v_mul_f32_e32 v9, 0x3f317217, v8
	v_fma_f32 v10, v8, s61, -v9
	v_fmac_f32_e32 v10, 0x3377d1cf, v8
	v_add_f32_e32 v9, v9, v10
	v_cmp_lt_f32_e64 s[4:5], |v8|, s48
	v_cndmask_b32_e64 v8, v8, v9, s[4:5]
	v_cmp_gt_f32_e64 s[4:5], s60, v17
	v_cndmask_b32_e64 v9, 1.0, v32, s[4:5]
	v_mul_f32_e32 v9, v17, v9
	v_log_f32_e32 v9, v9
	v_cndmask_b32_e32 v10, 0, v33, vcc
	v_sub_f32_e32 v8, v8, v10
	v_sub_f32_e32 v10, 1.0, v17
	v_mul_f32_e32 v11, 0x3f317217, v9
	v_fma_f32 v18, v9, s61, -v11
	v_fmac_f32_e32 v18, 0x3377d1cf, v9
	v_add_f32_e32 v11, v11, v18
	v_cmp_lt_f32_e64 vcc, |v9|, s48
	v_cndmask_b32_e32 v9, v9, v11, vcc
	v_cndmask_b32_e64 v11, 0, v33, s[4:5]
	v_sub_f32_e32 v9, v9, v11
	v_add_f32_e32 v9, v10, v9
	v_mul_f32_e32 v9, v39, v9
	v_fmac_f32_e32 v9, 0.5, v1
	v_cmp_lt_f32_e32 vcc, v8, v9
	s_orn2_b64 s[4:5], vcc, exec
	s_branch .LBB140_14
.LBB140_26:                             ;   in Loop: Header=BB140_4 Depth=1
	s_or_b64 exec, exec, s[8:9]
	s_xor_b64 s[4:5], s[28:29], -1
	v_mul_f32_e32 v1, v38, v39
                                        ; implicit-def: $vgpr0
	s_and_saveexec_b64 s[8:9], s[4:5]
	s_xor_b64 s[4:5], exec, s[8:9]
; %bb.27:                               ;   in Loop: Header=BB140_4 Depth=1
	v_fma_mixlo_f16 v0, v1, v17, 0
                                        ; implicit-def: $vgpr1
; %bb.28:                               ;   in Loop: Header=BB140_4 Depth=1
	s_andn2_saveexec_b64 s[4:5], s[4:5]
	s_cbranch_execz .LBB140_2
; %bb.29:                               ;   in Loop: Header=BB140_4 Depth=1
	v_fma_mixlo_f16 v0, v1, v17, 0
	s_branch .LBB140_2
.LBB140_30:
	s_endpgm
	.section	.rodata,"a",@progbits
	.p2align	6, 0x0
	.amdhsa_kernel _ZN2at4cuda12_GLOBAL__N_121kernelPointwiseApply2IZN12_GLOBAL__N_117gamma_cuda_kernelIN3c104HalfEEEvRKNS_10TensorBaseES9_NS_15PhiloxCudaStateEEUlRS6_RKS6_E_S6_S6_mLi1ELi1ELi1ELi256ELi2EEEvNS0_6detail10TensorInfoIT0_T2_EENSG_IT1_SI_EESI_T_
		.amdhsa_group_segment_fixed_size 0
		.amdhsa_private_segment_fixed_size 0
		.amdhsa_kernarg_size 1128
		.amdhsa_user_sgpr_count 6
		.amdhsa_user_sgpr_private_segment_buffer 1
		.amdhsa_user_sgpr_dispatch_ptr 0
		.amdhsa_user_sgpr_queue_ptr 0
		.amdhsa_user_sgpr_kernarg_segment_ptr 1
		.amdhsa_user_sgpr_dispatch_id 0
		.amdhsa_user_sgpr_flat_scratch_init 0
		.amdhsa_user_sgpr_kernarg_preload_length 0
		.amdhsa_user_sgpr_kernarg_preload_offset 0
		.amdhsa_user_sgpr_private_segment_size 0
		.amdhsa_uses_dynamic_stack 0
		.amdhsa_system_sgpr_private_segment_wavefront_offset 0
		.amdhsa_system_sgpr_workgroup_id_x 1
		.amdhsa_system_sgpr_workgroup_id_y 0
		.amdhsa_system_sgpr_workgroup_id_z 0
		.amdhsa_system_sgpr_workgroup_info 0
		.amdhsa_system_vgpr_workitem_id 0
		.amdhsa_next_free_vgpr 64
		.amdhsa_next_free_sgpr 70
		.amdhsa_accum_offset 64
		.amdhsa_reserve_vcc 1
		.amdhsa_reserve_flat_scratch 0
		.amdhsa_float_round_mode_32 0
		.amdhsa_float_round_mode_16_64 0
		.amdhsa_float_denorm_mode_32 3
		.amdhsa_float_denorm_mode_16_64 3
		.amdhsa_dx10_clamp 1
		.amdhsa_ieee_mode 1
		.amdhsa_fp16_overflow 0
		.amdhsa_tg_split 0
		.amdhsa_exception_fp_ieee_invalid_op 0
		.amdhsa_exception_fp_denorm_src 0
		.amdhsa_exception_fp_ieee_div_zero 0
		.amdhsa_exception_fp_ieee_overflow 0
		.amdhsa_exception_fp_ieee_underflow 0
		.amdhsa_exception_fp_ieee_inexact 0
		.amdhsa_exception_int_div_zero 0
	.end_amdhsa_kernel
	.section	.text._ZN2at4cuda12_GLOBAL__N_121kernelPointwiseApply2IZN12_GLOBAL__N_117gamma_cuda_kernelIN3c104HalfEEEvRKNS_10TensorBaseES9_NS_15PhiloxCudaStateEEUlRS6_RKS6_E_S6_S6_mLi1ELi1ELi1ELi256ELi2EEEvNS0_6detail10TensorInfoIT0_T2_EENSG_IT1_SI_EESI_T_,"axG",@progbits,_ZN2at4cuda12_GLOBAL__N_121kernelPointwiseApply2IZN12_GLOBAL__N_117gamma_cuda_kernelIN3c104HalfEEEvRKNS_10TensorBaseES9_NS_15PhiloxCudaStateEEUlRS6_RKS6_E_S6_S6_mLi1ELi1ELi1ELi256ELi2EEEvNS0_6detail10TensorInfoIT0_T2_EENSG_IT1_SI_EESI_T_,comdat
.Lfunc_end140:
	.size	_ZN2at4cuda12_GLOBAL__N_121kernelPointwiseApply2IZN12_GLOBAL__N_117gamma_cuda_kernelIN3c104HalfEEEvRKNS_10TensorBaseES9_NS_15PhiloxCudaStateEEUlRS6_RKS6_E_S6_S6_mLi1ELi1ELi1ELi256ELi2EEEvNS0_6detail10TensorInfoIT0_T2_EENSG_IT1_SI_EESI_T_, .Lfunc_end140-_ZN2at4cuda12_GLOBAL__N_121kernelPointwiseApply2IZN12_GLOBAL__N_117gamma_cuda_kernelIN3c104HalfEEEvRKNS_10TensorBaseES9_NS_15PhiloxCudaStateEEUlRS6_RKS6_E_S6_S6_mLi1ELi1ELi1ELi256ELi2EEEvNS0_6detail10TensorInfoIT0_T2_EENSG_IT1_SI_EESI_T_
                                        ; -- End function
	.section	.AMDGPU.csdata,"",@progbits
; Kernel info:
; codeLenInByte = 5140
; NumSgprs: 74
; NumVgprs: 64
; NumAgprs: 0
; TotalNumVgprs: 64
; ScratchSize: 0
; MemoryBound: 0
; FloatMode: 240
; IeeeMode: 1
; LDSByteSize: 0 bytes/workgroup (compile time only)
; SGPRBlocks: 9
; VGPRBlocks: 7
; NumSGPRsForWavesPerEU: 74
; NumVGPRsForWavesPerEU: 64
; AccumOffset: 64
; Occupancy: 8
; WaveLimiterHint : 1
; COMPUTE_PGM_RSRC2:SCRATCH_EN: 0
; COMPUTE_PGM_RSRC2:USER_SGPR: 6
; COMPUTE_PGM_RSRC2:TRAP_HANDLER: 0
; COMPUTE_PGM_RSRC2:TGID_X_EN: 1
; COMPUTE_PGM_RSRC2:TGID_Y_EN: 0
; COMPUTE_PGM_RSRC2:TGID_Z_EN: 0
; COMPUTE_PGM_RSRC2:TIDIG_COMP_CNT: 0
; COMPUTE_PGM_RSRC3_GFX90A:ACCUM_OFFSET: 15
; COMPUTE_PGM_RSRC3_GFX90A:TG_SPLIT: 0
	.section	.text._ZN2at4cuda12_GLOBAL__N_121kernelPointwiseApply2IZN12_GLOBAL__N_117gamma_cuda_kernelIN3c104HalfEEEvRKNS_10TensorBaseES9_NS_15PhiloxCudaStateEEUlRS6_RKS6_E_S6_S6_mLin1ELin1ELi1ELi256ELi2EEEvNS0_6detail10TensorInfoIT0_T2_EENSG_IT1_SI_EESI_T_,"axG",@progbits,_ZN2at4cuda12_GLOBAL__N_121kernelPointwiseApply2IZN12_GLOBAL__N_117gamma_cuda_kernelIN3c104HalfEEEvRKNS_10TensorBaseES9_NS_15PhiloxCudaStateEEUlRS6_RKS6_E_S6_S6_mLin1ELin1ELi1ELi256ELi2EEEvNS0_6detail10TensorInfoIT0_T2_EENSG_IT1_SI_EESI_T_,comdat
	.globl	_ZN2at4cuda12_GLOBAL__N_121kernelPointwiseApply2IZN12_GLOBAL__N_117gamma_cuda_kernelIN3c104HalfEEEvRKNS_10TensorBaseES9_NS_15PhiloxCudaStateEEUlRS6_RKS6_E_S6_S6_mLin1ELin1ELi1ELi256ELi2EEEvNS0_6detail10TensorInfoIT0_T2_EENSG_IT1_SI_EESI_T_ ; -- Begin function _ZN2at4cuda12_GLOBAL__N_121kernelPointwiseApply2IZN12_GLOBAL__N_117gamma_cuda_kernelIN3c104HalfEEEvRKNS_10TensorBaseES9_NS_15PhiloxCudaStateEEUlRS6_RKS6_E_S6_S6_mLin1ELin1ELi1ELi256ELi2EEEvNS0_6detail10TensorInfoIT0_T2_EENSG_IT1_SI_EESI_T_
	.p2align	8
	.type	_ZN2at4cuda12_GLOBAL__N_121kernelPointwiseApply2IZN12_GLOBAL__N_117gamma_cuda_kernelIN3c104HalfEEEvRKNS_10TensorBaseES9_NS_15PhiloxCudaStateEEUlRS6_RKS6_E_S6_S6_mLin1ELin1ELi1ELi256ELi2EEEvNS0_6detail10TensorInfoIT0_T2_EENSG_IT1_SI_EESI_T_,@function
_ZN2at4cuda12_GLOBAL__N_121kernelPointwiseApply2IZN12_GLOBAL__N_117gamma_cuda_kernelIN3c104HalfEEEvRKNS_10TensorBaseES9_NS_15PhiloxCudaStateEEUlRS6_RKS6_E_S6_S6_mLin1ELin1ELi1ELi256ELi2EEEvNS0_6detail10TensorInfoIT0_T2_EENSG_IT1_SI_EESI_T_: ; @_ZN2at4cuda12_GLOBAL__N_121kernelPointwiseApply2IZN12_GLOBAL__N_117gamma_cuda_kernelIN3c104HalfEEEvRKNS_10TensorBaseES9_NS_15PhiloxCudaStateEEUlRS6_RKS6_E_S6_S6_mLin1ELin1ELi1ELi256ELi2EEEvNS0_6detail10TensorInfoIT0_T2_EENSG_IT1_SI_EESI_T_
; %bb.0:
	s_load_dword s2, s[4:5], 0x374
	s_load_dwordx8 s[8:15], s[4:5], 0x340
	s_add_u32 s0, s4, 0x368
	s_addc_u32 s1, s5, 0
	v_mov_b32_e32 v18, 0
	s_waitcnt lgkmcnt(0)
	s_and_b32 s2, s2, 0xffff
	s_mul_i32 s6, s6, s2
	v_add_u32_e32 v16, s6, v0
	v_mov_b32_e32 v17, v18
	v_cmp_gt_u64_e32 vcc, s[8:9], v[16:17]
	s_and_saveexec_b64 s[6:7], vcc
	s_cbranch_execz .LBB141_48
; %bb.1:
	s_add_u32 s3, s4, 0x1a0
	s_load_dword s28, s[0:1], 0x0
	s_load_dword s29, s[4:5], 0x198
	;; [unrolled: 1-line block ×4, first 2 shown]
	s_load_dwordx2 s[6:7], s[4:5], 0x1a0
	s_load_dwordx2 s[16:17], s[4:5], 0xd0
	s_addc_u32 s30, s5, 0
	s_waitcnt lgkmcnt(0)
	s_cmp_gt_i32 s29, 1
	s_cselect_b64 s[18:19], -1, 0
	s_cmp_gt_i32 s31, 1
	s_mov_b32 s33, 0xcd9e8d57
	s_cselect_b64 s[22:23], -1, 0
	s_bitcmp1_b32 s26, 0
	v_mad_u64_u32 v[20:21], s[0:1], v16, s33, 0
	s_mov_b32 s45, 0
	s_cselect_b64 s[26:27], -1, 0
	s_add_i32 s0, s29, -1
	s_mov_b32 s1, s45
	s_add_i32 s46, s29, 1
	s_lshl_b64 s[0:1], s[0:1], 3
	s_add_u32 s0, s0, s4
	s_addc_u32 s1, s1, s5
	s_mul_i32 s44, s28, s2
	s_add_u32 s28, s0, 8
	s_addc_u32 s29, s1, 0
	s_add_i32 s0, s31, -1
	s_mov_b32 s1, s45
	s_load_dwordx2 s[20:21], s[4:5], 0x270
	s_load_dwordx2 s[24:25], s[4:5], 0x0
	s_add_i32 s47, s31, 1
	s_lshl_b64 s[0:1], s[0:1], 3
	s_add_u32 s0, s0, s3
	s_addc_u32 s1, s1, s30
	s_add_u32 s30, s0, 8
	v_mov_b32_e32 v22, v21
	s_addc_u32 s31, s1, 0
	s_mov_b64 s[34:35], 0
	s_mov_b32 s48, 0xd2511f53
	s_mov_b32 s49, 0x3f2aaaab
	v_mov_b32_e32 v21, 0x3ecccdef
	s_mov_b32 s50, 0x3f317218
	s_movk_i32 s51, 0x204
	s_mov_b32 s52, 0x7f800000
	s_mov_b32 s53, 0x42b17218
	;; [unrolled: 1-line block ×4, first 2 shown]
	s_brev_b32 s56, -2
	s_mov_b32 s57, 0xf800000
	v_mov_b32_e32 v23, 0x260
	s_mov_b32 s58, 0x3c6ef372
	s_mov_b32 s59, 0x76cf5d0a
	;; [unrolled: 1-line block ×10, first 2 shown]
	s_movk_i32 s68, 0x400
	s_mov_b32 s69, 0xbb67ae85
	s_mov_b32 s70, 0xdaa66d2b
	;; [unrolled: 1-line block ×7, first 2 shown]
	v_mov_b32_e32 v32, 0x37000000
	v_mov_b32_e32 v33, 0x7f800000
	;; [unrolled: 1-line block ×6, first 2 shown]
	v_pk_mov_b32 v[24:25], v[16:17], v[16:17] op_sel:[0,1]
	s_branch .LBB141_4
.LBB141_2:                              ;   in Loop: Header=BB141_4 Depth=1
	s_or_b64 exec, exec, s[0:1]
.LBB141_3:                              ;   in Loop: Header=BB141_4 Depth=1
	s_or_b64 exec, exec, s[2:3]
	v_lshlrev_b64 v[0:1], 1, v[26:27]
	s_waitcnt lgkmcnt(0)
	v_mov_b32_e32 v2, s25
	v_add_co_u32_e32 v0, vcc, s24, v0
	v_addc_co_u32_e32 v1, vcc, v2, v1, vcc
	v_cmp_ngt_f16_e32 vcc, s68, v8
	v_cndmask_b32_e32 v2, v37, v8, vcc
	v_mov_b32_e32 v3, s45
	v_add_co_u32_e32 v24, vcc, s44, v24
	v_addc_co_u32_e32 v25, vcc, v25, v3, vcc
	v_cmp_le_u64_e32 vcc, s[8:9], v[24:25]
	s_or_b64 s[34:35], vcc, s[34:35]
	global_store_short v[0:1], v2, off
	s_andn2_b64 exec, exec, s[34:35]
	s_cbranch_execz .LBB141_48
.LBB141_4:                              ; =>This Loop Header: Depth=1
                                        ;     Child Loop BB141_6 Depth 2
                                        ;     Child Loop BB141_15 Depth 2
	;; [unrolled: 1-line block ×3, first 2 shown]
	v_sub_u32_e32 v0, s8, v24
	v_cmp_lt_i32_e64 s[0:1], 0, v0
	v_pk_mov_b32 v[26:27], 0, 0
	s_and_saveexec_b64 s[4:5], s[0:1]
	s_cbranch_execz .LBB141_13
; %bb.5:                                ;   in Loop: Header=BB141_4 Depth=1
	s_andn2_b64 vcc, exec, s[18:19]
	v_pk_mov_b32 v[0:1], 0, 0
	s_mov_b64 s[36:37], s[28:29]
	s_mov_b32 s42, s46
	v_pk_mov_b32 v[2:3], v[24:25], v[24:25] op_sel:[0,1]
	v_pk_mov_b32 v[4:5], v[24:25], v[24:25] op_sel:[0,1]
	s_cbranch_vccnz .LBB141_12
.LBB141_6:                              ;   Parent Loop BB141_4 Depth=1
                                        ; =>  This Inner Loop Header: Depth=2
	s_load_dwordx2 s[38:39], s[36:37], 0x0
                                        ; implicit-def: $vgpr4_vgpr5
	s_waitcnt lgkmcnt(0)
	v_or_b32_e32 v19, s39, v3
	v_cmp_ne_u64_e32 vcc, 0, v[18:19]
	s_and_saveexec_b64 s[2:3], vcc
	s_xor_b64 s[40:41], exec, s[2:3]
	s_cbranch_execz .LBB141_8
; %bb.7:                                ;   in Loop: Header=BB141_6 Depth=2
	v_cvt_f32_u32_e32 v4, s38
	v_cvt_f32_u32_e32 v5, s39
	s_sub_u32 s2, 0, s38
	s_subb_u32 s3, 0, s39
	v_mac_f32_e32 v4, 0x4f800000, v5
	v_rcp_f32_e32 v4, v4
	v_mul_f32_e32 v4, 0x5f7ffffc, v4
	v_mul_f32_e32 v5, 0x2f800000, v4
	v_trunc_f32_e32 v5, v5
	v_mac_f32_e32 v4, 0xcf800000, v5
	v_cvt_u32_f32_e32 v5, v5
	v_cvt_u32_f32_e32 v4, v4
	v_mul_lo_u32 v6, s2, v5
	v_mul_hi_u32 v8, s2, v4
	v_mul_lo_u32 v7, s3, v4
	v_add_u32_e32 v6, v8, v6
	v_mul_lo_u32 v9, s2, v4
	v_add_u32_e32 v6, v6, v7
	v_mul_hi_u32 v8, v4, v9
	v_mul_lo_u32 v10, v4, v6
	v_mul_hi_u32 v7, v4, v6
	v_add_co_u32_e32 v8, vcc, v8, v10
	v_addc_co_u32_e32 v7, vcc, 0, v7, vcc
	v_mul_hi_u32 v11, v5, v9
	v_mul_lo_u32 v9, v5, v9
	v_add_co_u32_e32 v8, vcc, v8, v9
	v_mul_hi_u32 v10, v5, v6
	v_addc_co_u32_e32 v7, vcc, v7, v11, vcc
	v_addc_co_u32_e32 v8, vcc, 0, v10, vcc
	v_mul_lo_u32 v6, v5, v6
	v_add_co_u32_e32 v6, vcc, v7, v6
	v_addc_co_u32_e32 v7, vcc, 0, v8, vcc
	v_add_co_u32_e32 v4, vcc, v4, v6
	v_addc_co_u32_e32 v5, vcc, v5, v7, vcc
	v_mul_lo_u32 v6, s2, v5
	v_mul_hi_u32 v7, s2, v4
	v_add_u32_e32 v6, v7, v6
	v_mul_lo_u32 v7, s3, v4
	v_add_u32_e32 v6, v6, v7
	v_mul_lo_u32 v8, s2, v4
	v_mul_hi_u32 v9, v5, v8
	v_mul_lo_u32 v10, v5, v8
	v_mul_lo_u32 v12, v4, v6
	v_mul_hi_u32 v8, v4, v8
	v_mul_hi_u32 v11, v4, v6
	v_add_co_u32_e32 v8, vcc, v8, v12
	v_addc_co_u32_e32 v11, vcc, 0, v11, vcc
	v_add_co_u32_e32 v8, vcc, v8, v10
	v_mul_hi_u32 v7, v5, v6
	v_addc_co_u32_e32 v8, vcc, v11, v9, vcc
	v_addc_co_u32_e32 v7, vcc, 0, v7, vcc
	v_mul_lo_u32 v6, v5, v6
	v_add_co_u32_e32 v6, vcc, v8, v6
	v_addc_co_u32_e32 v7, vcc, 0, v7, vcc
	v_add_co_u32_e32 v6, vcc, v4, v6
	v_addc_co_u32_e32 v7, vcc, v5, v7, vcc
	v_mad_u64_u32 v[4:5], s[2:3], v2, v7, 0
	v_mul_hi_u32 v8, v2, v6
	v_add_co_u32_e32 v8, vcc, v8, v4
	v_addc_co_u32_e32 v9, vcc, 0, v5, vcc
	v_mad_u64_u32 v[4:5], s[2:3], v3, v7, 0
	v_mad_u64_u32 v[6:7], s[2:3], v3, v6, 0
	v_add_co_u32_e32 v6, vcc, v8, v6
	v_addc_co_u32_e32 v6, vcc, v9, v7, vcc
	v_addc_co_u32_e32 v5, vcc, 0, v5, vcc
	v_add_co_u32_e32 v6, vcc, v6, v4
	v_addc_co_u32_e32 v7, vcc, 0, v5, vcc
	v_mul_lo_u32 v8, s39, v6
	v_mul_lo_u32 v9, s38, v7
	v_mad_u64_u32 v[4:5], s[2:3], s38, v6, 0
	v_add3_u32 v5, v5, v9, v8
	v_sub_u32_e32 v8, v3, v5
	v_mov_b32_e32 v9, s39
	v_sub_co_u32_e32 v4, vcc, v2, v4
	v_subb_co_u32_e64 v8, s[2:3], v8, v9, vcc
	v_subrev_co_u32_e64 v9, s[2:3], s38, v4
	v_subbrev_co_u32_e64 v8, s[2:3], 0, v8, s[2:3]
	v_cmp_le_u32_e64 s[2:3], s39, v8
	v_cndmask_b32_e64 v10, 0, -1, s[2:3]
	v_cmp_le_u32_e64 s[2:3], s38, v9
	v_cndmask_b32_e64 v9, 0, -1, s[2:3]
	v_cmp_eq_u32_e64 s[2:3], s39, v8
	v_cndmask_b32_e64 v8, v10, v9, s[2:3]
	v_add_co_u32_e64 v9, s[2:3], 2, v6
	v_addc_co_u32_e64 v10, s[2:3], 0, v7, s[2:3]
	v_add_co_u32_e64 v11, s[2:3], 1, v6
	v_addc_co_u32_e64 v12, s[2:3], 0, v7, s[2:3]
	v_subb_co_u32_e32 v5, vcc, v3, v5, vcc
	v_cmp_ne_u32_e64 s[2:3], 0, v8
	v_cmp_le_u32_e32 vcc, s39, v5
	v_cndmask_b32_e64 v8, v12, v10, s[2:3]
	v_cndmask_b32_e64 v10, 0, -1, vcc
	v_cmp_le_u32_e32 vcc, s38, v4
	v_cndmask_b32_e64 v4, 0, -1, vcc
	v_cmp_eq_u32_e32 vcc, s39, v5
	v_cndmask_b32_e32 v4, v10, v4, vcc
	v_cmp_ne_u32_e32 vcc, 0, v4
	v_cndmask_b32_e64 v4, v11, v9, s[2:3]
	v_cndmask_b32_e32 v5, v7, v8, vcc
	v_cndmask_b32_e32 v4, v6, v4, vcc
.LBB141_8:                              ;   in Loop: Header=BB141_6 Depth=2
	s_andn2_saveexec_b64 s[2:3], s[40:41]
	s_cbranch_execz .LBB141_10
; %bb.9:                                ;   in Loop: Header=BB141_6 Depth=2
	v_cvt_f32_u32_e32 v4, s38
	s_sub_i32 s40, 0, s38
	v_rcp_iflag_f32_e32 v4, v4
	v_mul_f32_e32 v4, 0x4f7ffffe, v4
	v_cvt_u32_f32_e32 v4, v4
	v_mul_lo_u32 v5, s40, v4
	v_mul_hi_u32 v5, v4, v5
	v_add_u32_e32 v4, v4, v5
	v_mul_hi_u32 v4, v2, v4
	v_mul_lo_u32 v5, v4, s38
	v_sub_u32_e32 v5, v2, v5
	v_add_u32_e32 v6, 1, v4
	v_subrev_u32_e32 v7, s38, v5
	v_cmp_le_u32_e32 vcc, s38, v5
	v_cndmask_b32_e32 v5, v5, v7, vcc
	v_cndmask_b32_e32 v4, v4, v6, vcc
	v_add_u32_e32 v6, 1, v4
	v_cmp_le_u32_e32 vcc, s38, v5
	v_cndmask_b32_e32 v4, v4, v6, vcc
	v_mov_b32_e32 v5, v18
.LBB141_10:                             ;   in Loop: Header=BB141_6 Depth=2
	s_or_b64 exec, exec, s[2:3]
	v_mad_u64_u32 v[6:7], s[2:3], v4, s38, 0
	s_load_dwordx2 s[2:3], s[36:37], 0xc8
	v_mul_lo_u32 v8, v5, s38
	v_mul_lo_u32 v9, v4, s39
	v_add3_u32 v7, v7, v9, v8
	v_sub_co_u32_e32 v2, vcc, v2, v6
	s_add_i32 s42, s42, -1
	v_subb_co_u32_e32 v3, vcc, v3, v7, vcc
	s_add_u32 s36, s36, -8
	s_waitcnt lgkmcnt(0)
	v_mul_lo_u32 v3, s2, v3
	v_mul_lo_u32 v6, s3, v2
	v_mad_u64_u32 v[0:1], s[2:3], s2, v2, v[0:1]
	s_addc_u32 s37, s37, -1
	s_cmp_gt_u32 s42, 2
	v_add3_u32 v1, v6, v1, v3
	s_cbranch_scc0 .LBB141_12
; %bb.11:                               ;   in Loop: Header=BB141_6 Depth=2
	v_pk_mov_b32 v[2:3], v[4:5], v[4:5] op_sel:[0,1]
	s_branch .LBB141_6
.LBB141_12:                             ;   in Loop: Header=BB141_4 Depth=1
	v_mad_u64_u32 v[26:27], s[2:3], s16, v4, v[0:1]
	v_mul_lo_u32 v0, s16, v5
	v_mul_lo_u32 v1, s17, v4
	v_add3_u32 v27, v1, v27, v0
.LBB141_13:                             ;   in Loop: Header=BB141_4 Depth=1
	s_or_b64 exec, exec, s[4:5]
	v_pk_mov_b32 v[0:1], 0, 0
	s_and_saveexec_b64 s[2:3], s[0:1]
	s_cbranch_execz .LBB141_22
; %bb.14:                               ;   in Loop: Header=BB141_4 Depth=1
	s_andn2_b64 vcc, exec, s[22:23]
	v_pk_mov_b32 v[0:1], 0, 0
	s_mov_b64 s[4:5], s[30:31]
	s_mov_b32 s40, s47
	v_pk_mov_b32 v[2:3], v[24:25], v[24:25] op_sel:[0,1]
	v_pk_mov_b32 v[4:5], v[24:25], v[24:25] op_sel:[0,1]
	s_cbranch_vccnz .LBB141_21
.LBB141_15:                             ;   Parent Loop BB141_4 Depth=1
                                        ; =>  This Inner Loop Header: Depth=2
	s_load_dwordx2 s[36:37], s[4:5], 0x0
                                        ; implicit-def: $vgpr4_vgpr5
	s_waitcnt lgkmcnt(0)
	v_or_b32_e32 v19, s37, v3
	v_cmp_ne_u64_e32 vcc, 0, v[18:19]
	s_and_saveexec_b64 s[0:1], vcc
	s_xor_b64 s[38:39], exec, s[0:1]
	s_cbranch_execz .LBB141_17
; %bb.16:                               ;   in Loop: Header=BB141_15 Depth=2
	v_cvt_f32_u32_e32 v4, s36
	v_cvt_f32_u32_e32 v5, s37
	s_sub_u32 s0, 0, s36
	s_subb_u32 s1, 0, s37
	v_mac_f32_e32 v4, 0x4f800000, v5
	v_rcp_f32_e32 v4, v4
	v_mul_f32_e32 v4, 0x5f7ffffc, v4
	v_mul_f32_e32 v5, 0x2f800000, v4
	v_trunc_f32_e32 v5, v5
	v_mac_f32_e32 v4, 0xcf800000, v5
	v_cvt_u32_f32_e32 v5, v5
	v_cvt_u32_f32_e32 v4, v4
	v_mul_lo_u32 v6, s0, v5
	v_mul_hi_u32 v8, s0, v4
	v_mul_lo_u32 v7, s1, v4
	v_add_u32_e32 v6, v8, v6
	v_mul_lo_u32 v9, s0, v4
	v_add_u32_e32 v6, v6, v7
	v_mul_hi_u32 v8, v4, v9
	v_mul_lo_u32 v10, v4, v6
	v_mul_hi_u32 v7, v4, v6
	v_add_co_u32_e32 v8, vcc, v8, v10
	v_addc_co_u32_e32 v7, vcc, 0, v7, vcc
	v_mul_hi_u32 v11, v5, v9
	v_mul_lo_u32 v9, v5, v9
	v_add_co_u32_e32 v8, vcc, v8, v9
	v_mul_hi_u32 v10, v5, v6
	v_addc_co_u32_e32 v7, vcc, v7, v11, vcc
	v_addc_co_u32_e32 v8, vcc, 0, v10, vcc
	v_mul_lo_u32 v6, v5, v6
	v_add_co_u32_e32 v6, vcc, v7, v6
	v_addc_co_u32_e32 v7, vcc, 0, v8, vcc
	v_add_co_u32_e32 v4, vcc, v4, v6
	v_addc_co_u32_e32 v5, vcc, v5, v7, vcc
	v_mul_lo_u32 v6, s0, v5
	v_mul_hi_u32 v7, s0, v4
	v_add_u32_e32 v6, v7, v6
	v_mul_lo_u32 v7, s1, v4
	v_add_u32_e32 v6, v6, v7
	v_mul_lo_u32 v8, s0, v4
	v_mul_hi_u32 v9, v5, v8
	v_mul_lo_u32 v10, v5, v8
	v_mul_lo_u32 v12, v4, v6
	v_mul_hi_u32 v8, v4, v8
	v_mul_hi_u32 v11, v4, v6
	v_add_co_u32_e32 v8, vcc, v8, v12
	v_addc_co_u32_e32 v11, vcc, 0, v11, vcc
	v_add_co_u32_e32 v8, vcc, v8, v10
	v_mul_hi_u32 v7, v5, v6
	v_addc_co_u32_e32 v8, vcc, v11, v9, vcc
	v_addc_co_u32_e32 v7, vcc, 0, v7, vcc
	v_mul_lo_u32 v6, v5, v6
	v_add_co_u32_e32 v6, vcc, v8, v6
	v_addc_co_u32_e32 v7, vcc, 0, v7, vcc
	v_add_co_u32_e32 v6, vcc, v4, v6
	v_addc_co_u32_e32 v7, vcc, v5, v7, vcc
	v_mad_u64_u32 v[4:5], s[0:1], v2, v7, 0
	v_mul_hi_u32 v8, v2, v6
	v_add_co_u32_e32 v8, vcc, v8, v4
	v_addc_co_u32_e32 v9, vcc, 0, v5, vcc
	v_mad_u64_u32 v[4:5], s[0:1], v3, v7, 0
	v_mad_u64_u32 v[6:7], s[0:1], v3, v6, 0
	v_add_co_u32_e32 v6, vcc, v8, v6
	v_addc_co_u32_e32 v6, vcc, v9, v7, vcc
	v_addc_co_u32_e32 v5, vcc, 0, v5, vcc
	v_add_co_u32_e32 v6, vcc, v6, v4
	v_addc_co_u32_e32 v7, vcc, 0, v5, vcc
	v_mul_lo_u32 v8, s37, v6
	v_mul_lo_u32 v9, s36, v7
	v_mad_u64_u32 v[4:5], s[0:1], s36, v6, 0
	v_add3_u32 v5, v5, v9, v8
	v_sub_u32_e32 v8, v3, v5
	v_mov_b32_e32 v9, s37
	v_sub_co_u32_e32 v4, vcc, v2, v4
	v_subb_co_u32_e64 v8, s[0:1], v8, v9, vcc
	v_subrev_co_u32_e64 v9, s[0:1], s36, v4
	v_subbrev_co_u32_e64 v8, s[0:1], 0, v8, s[0:1]
	v_cmp_le_u32_e64 s[0:1], s37, v8
	v_cndmask_b32_e64 v10, 0, -1, s[0:1]
	v_cmp_le_u32_e64 s[0:1], s36, v9
	v_cndmask_b32_e64 v9, 0, -1, s[0:1]
	v_cmp_eq_u32_e64 s[0:1], s37, v8
	v_cndmask_b32_e64 v8, v10, v9, s[0:1]
	v_add_co_u32_e64 v9, s[0:1], 2, v6
	v_addc_co_u32_e64 v10, s[0:1], 0, v7, s[0:1]
	v_add_co_u32_e64 v11, s[0:1], 1, v6
	v_addc_co_u32_e64 v12, s[0:1], 0, v7, s[0:1]
	v_subb_co_u32_e32 v5, vcc, v3, v5, vcc
	v_cmp_ne_u32_e64 s[0:1], 0, v8
	v_cmp_le_u32_e32 vcc, s37, v5
	v_cndmask_b32_e64 v8, v12, v10, s[0:1]
	v_cndmask_b32_e64 v10, 0, -1, vcc
	v_cmp_le_u32_e32 vcc, s36, v4
	v_cndmask_b32_e64 v4, 0, -1, vcc
	v_cmp_eq_u32_e32 vcc, s37, v5
	v_cndmask_b32_e32 v4, v10, v4, vcc
	v_cmp_ne_u32_e32 vcc, 0, v4
	v_cndmask_b32_e64 v4, v11, v9, s[0:1]
	v_cndmask_b32_e32 v5, v7, v8, vcc
	v_cndmask_b32_e32 v4, v6, v4, vcc
.LBB141_17:                             ;   in Loop: Header=BB141_15 Depth=2
	s_andn2_saveexec_b64 s[0:1], s[38:39]
	s_cbranch_execz .LBB141_19
; %bb.18:                               ;   in Loop: Header=BB141_15 Depth=2
	v_cvt_f32_u32_e32 v4, s36
	s_sub_i32 s38, 0, s36
	v_rcp_iflag_f32_e32 v4, v4
	v_mul_f32_e32 v4, 0x4f7ffffe, v4
	v_cvt_u32_f32_e32 v4, v4
	v_mul_lo_u32 v5, s38, v4
	v_mul_hi_u32 v5, v4, v5
	v_add_u32_e32 v4, v4, v5
	v_mul_hi_u32 v4, v2, v4
	v_mul_lo_u32 v5, v4, s36
	v_sub_u32_e32 v5, v2, v5
	v_add_u32_e32 v6, 1, v4
	v_subrev_u32_e32 v7, s36, v5
	v_cmp_le_u32_e32 vcc, s36, v5
	v_cndmask_b32_e32 v5, v5, v7, vcc
	v_cndmask_b32_e32 v4, v4, v6, vcc
	v_add_u32_e32 v6, 1, v4
	v_cmp_le_u32_e32 vcc, s36, v5
	v_cndmask_b32_e32 v4, v4, v6, vcc
	v_mov_b32_e32 v5, v18
.LBB141_19:                             ;   in Loop: Header=BB141_15 Depth=2
	s_or_b64 exec, exec, s[0:1]
	v_mad_u64_u32 v[6:7], s[0:1], v4, s36, 0
	s_load_dwordx2 s[0:1], s[4:5], 0xc8
	v_mul_lo_u32 v8, v5, s36
	v_mul_lo_u32 v9, v4, s37
	v_add3_u32 v7, v7, v9, v8
	v_sub_co_u32_e32 v2, vcc, v2, v6
	s_add_i32 s40, s40, -1
	v_subb_co_u32_e32 v3, vcc, v3, v7, vcc
	s_add_u32 s4, s4, -8
	s_waitcnt lgkmcnt(0)
	v_mul_lo_u32 v3, s0, v3
	v_mul_lo_u32 v6, s1, v2
	v_mad_u64_u32 v[0:1], s[0:1], s0, v2, v[0:1]
	s_addc_u32 s5, s5, -1
	s_cmp_gt_u32 s40, 2
	v_add3_u32 v1, v6, v1, v3
	s_cbranch_scc0 .LBB141_21
; %bb.20:                               ;   in Loop: Header=BB141_15 Depth=2
	v_pk_mov_b32 v[2:3], v[4:5], v[4:5] op_sel:[0,1]
	s_branch .LBB141_15
.LBB141_21:                             ;   in Loop: Header=BB141_4 Depth=1
	s_waitcnt lgkmcnt(0)
	v_mad_u64_u32 v[0:1], s[0:1], s20, v4, v[0:1]
	v_mul_lo_u32 v2, s20, v5
	v_mul_lo_u32 v3, s21, v4
	v_add3_u32 v1, v3, v1, v2
.LBB141_22:                             ;   in Loop: Header=BB141_4 Depth=1
	s_or_b64 exec, exec, s[2:3]
	v_lshlrev_b64 v[0:1], 1, v[0:1]
	v_mov_b32_e32 v2, s7
	v_add_co_u32_e32 v0, vcc, s6, v0
	v_addc_co_u32_e32 v1, vcc, v2, v1, vcc
	global_load_ushort v30, v[0:1], off
	s_andn2_b64 vcc, exec, s[26:27]
	v_pk_mov_b32 v[0:1], s[12:13], s[12:13] op_sel:[0,1]
	v_pk_mov_b32 v[28:29], s[10:11], s[10:11] op_sel:[0,1]
	s_cbranch_vccnz .LBB141_24
; %bb.23:                               ;   in Loop: Header=BB141_4 Depth=1
	v_pk_mov_b32 v[0:1], s[12:13], s[12:13] op_sel:[0,1]
	flat_load_dwordx2 v[0:1], v[0:1]
	v_pk_mov_b32 v[2:3], s[10:11], s[10:11] op_sel:[0,1]
	flat_load_dwordx2 v[28:29], v[2:3]
	v_mov_b32_e32 v2, s15
	s_waitcnt vmcnt(0) lgkmcnt(0)
	v_add_co_u32_e32 v0, vcc, s14, v0
	v_addc_co_u32_e32 v1, vcc, v1, v2, vcc
.LBB141_24:                             ;   in Loop: Header=BB141_4 Depth=1
	v_and_b32_e32 v38, 3, v0
	v_alignbit_b32 v0, v1, v0, 2
	v_mad_u64_u32 v[6:7], s[0:1], v0, s48, 0
	v_lshrrev_b32_e32 v1, 2, v1
	v_xor_b32_e32 v5, v7, v29
	v_xor_b32_e32 v7, v22, v28
	v_mov_b32_e32 v4, v29
	v_xor_b32_e32 v7, v7, v1
	v_mad_u64_u32 v[10:11], s[0:1], v5, s33, 0
	v_add_co_u32_e32 v40, vcc, 0x9e3779b9, v28
	v_add_co_u32_e32 v31, vcc, s69, v4
	v_mad_u64_u32 v[8:9], s[0:1], v7, s48, 0
	v_xor_b32_e32 v5, v20, v11
	v_xor_b32_e32 v5, v5, v40
	v_xor_b32_e32 v7, v31, v9
	v_xor_b32_e32 v9, v7, v6
	v_add_co_u32_e32 v41, vcc, s59, v4
	v_mad_u64_u32 v[6:7], s[0:1], v5, s48, 0
	v_add_co_u32_e32 v42, vcc, s58, v28
	v_mad_u64_u32 v[12:13], s[0:1], v9, s33, 0
	v_xor_b32_e32 v7, v41, v7
	v_xor_b32_e32 v5, v42, v13
	v_xor_b32_e32 v7, v7, v8
	v_xor_b32_e32 v5, v5, v10
	v_add_co_u32_e32 v44, vcc, s70, v28
	v_mad_u64_u32 v[10:11], s[0:1], v7, s33, 0
	;; [unrolled: 8-line block ×7, first 2 shown]
	v_xor_b32_e32 v7, v53, v7
	v_add_co_u32_e32 v54, vcc, s74, v28
	v_mad_u64_u32 v[4:5], s[0:1], v9, s33, 0
	v_xor_b32_e32 v7, v7, v8
	v_xor_b32_e32 v5, v54, v5
	v_mad_u64_u32 v[14:15], s[0:1], v7, s33, 0
	v_xor_b32_e32 v5, v5, v10
	v_xor_b32_e32 v4, v15, v4
	s_waitcnt vmcnt(0)
	v_cvt_f32_f16_e32 v15, v30
	v_mad_u64_u32 v[12:13], s[0:1], v5, s48, 0
	v_add_u32_e32 v17, 0x8ff34781, v28
	v_add_u32_e32 v19, 0x96a522ad, v29
	v_xor_b32_e32 v5, v13, v6
	v_mov_b32_e32 v2, v16
	v_mov_b32_e32 v3, v18
	v_xor_b32_e32 v4, v17, v4
	v_xor_b32_e32 v6, v19, v5
	v_mov_b32_e32 v5, v14
	v_mov_b32_e32 v7, v12
	v_cmp_gt_f16_e32 vcc, 1.0, v30
	s_mov_b64 s[0:1], -1
	v_mov_b32_e32 v39, 1.0
                                        ; implicit-def: $sgpr2
	s_and_saveexec_b64 s[36:37], vcc
	s_cbranch_execz .LBB141_30
; %bb.25:                               ;   in Loop: Header=BB141_4 Depth=1
	v_cmp_neq_f16_e32 vcc, 0, v30
	s_mov_b64 s[40:41], 0
	v_mov_b32_e32 v39, 1.0
	s_and_saveexec_b64 s[38:39], vcc
	s_cbranch_execz .LBB141_29
; %bb.26:                               ;   in Loop: Header=BB141_4 Depth=1
	v_add_u32_e32 v13, 1, v38
	v_pk_mov_b32 v[10:11], v[6:7], v[6:7] op_sel:[0,1]
	v_cmp_eq_u32_e32 vcc, 4, v13
	v_pk_mov_b32 v[8:9], v[4:5], v[4:5] op_sel:[0,1]
	s_and_saveexec_b64 s[0:1], vcc
	s_cbranch_execz .LBB141_28
; %bb.27:                               ;   in Loop: Header=BB141_4 Depth=1
	v_add_co_u32_e32 v0, vcc, 1, v0
	v_cndmask_b32_e64 v2, 0, 1, vcc
	v_addc_co_u32_e32 v1, vcc, 0, v1, vcc
	v_cmp_eq_u32_e32 vcc, 0, v1
	v_cndmask_b32_e32 v3, 0, v2, vcc
	v_add_u32_e32 v2, v3, v16
	v_cmp_eq_u32_e32 vcc, 0, v2
	v_mad_u64_u32 v[8:9], s[2:3], v0, s48, 0
	v_cndmask_b32_e32 v3, 0, v3, vcc
	v_mad_u64_u32 v[10:11], s[2:3], v2, s33, 0
	v_xor_b32_e32 v7, v9, v29
	v_xor_b32_e32 v5, v11, v28
	v_xor_b32_e32 v7, v3, v7
	v_xor_b32_e32 v5, v1, v5
	v_mad_u64_u32 v[58:59], s[2:3], v7, s33, 0
	v_mad_u64_u32 v[56:57], s[2:3], v5, s48, 0
	v_xor_b32_e32 v5, v40, v59
	v_xor_b32_e32 v5, v5, v10
	v_xor_b32_e32 v7, v31, v57
	v_xor_b32_e32 v7, v7, v8
	v_mad_u64_u32 v[8:9], s[2:3], v5, s48, 0
	;; [unrolled: 6-line block ×9, first 2 shown]
	v_mad_u64_u32 v[40:41], s[2:3], v5, s48, 0
	v_xor_b32_e32 v5, v43, v8
	v_xor_b32_e32 v8, v17, v5
	v_xor_b32_e32 v5, v41, v10
	v_mov_b32_e32 v13, 0
	v_xor_b32_e32 v10, v19, v5
	v_mov_b32_e32 v9, v42
	v_mov_b32_e32 v11, v40
.LBB141_28:                             ;   in Loop: Header=BB141_4 Depth=1
	s_or_b64 exec, exec, s[0:1]
	v_cmp_eq_u32_e32 vcc, 1, v38
	v_cndmask_b32_e32 v4, v4, v14, vcc
	v_cmp_eq_u32_e32 vcc, 2, v38
	v_cndmask_b32_e32 v4, v4, v6, vcc
	;; [unrolled: 2-line block ×3, first 2 shown]
	v_div_scale_f32 v5, s[0:1], v15, v15, 1.0
	v_cvt_f32_u32_e32 v4, v4
	v_rcp_f32_e32 v6, v5
	v_mov_b32_e32 v7, 0x2f800000
	s_mov_b64 s[40:41], exec
	v_fmac_f32_e32 v7, 0x2f800000, v4
	v_fma_f32 v4, -v5, v6, 1.0
	v_fmac_f32_e32 v6, v4, v6
	v_div_scale_f32 v4, vcc, 1.0, v15, 1.0
	v_sub_f32_e32 v48, 1.0, v7
	v_mul_f32_e32 v7, v4, v6
	v_fma_f32 v12, -v5, v7, v4
	v_fmac_f32_e32 v7, v12, v6
	v_fma_f32 v4, -v5, v7, v4
	v_div_fmas_f32 v4, v4, v6, v7
	v_div_fixup_f32 v49, v4, v15, 1.0
	v_cmp_eq_f32_e32 vcc, 1.0, v48
	v_cndmask_b32_e64 v50, v49, 1.0, vcc
	v_cmp_eq_f32_e64 s[0:1], 0, v50
	v_cndmask_b32_e64 v51, |v48|, 1.0, s[0:1]
	v_frexp_mant_f32_e32 v4, v51
	v_cmp_gt_f32_e64 s[2:3], s49, v4
	v_cndmask_b32_e64 v5, 1.0, 2.0, s[2:3]
	v_mul_f32_e32 v4, v4, v5
	v_add_f32_e32 v7, 1.0, v4
	v_rcp_f32_e32 v12, v7
	v_add_f32_e32 v5, -1.0, v7
	v_sub_f32_e32 v15, v4, v5
	v_add_f32_e32 v5, -1.0, v4
	v_mul_f32_e32 v31, v5, v12
	v_mul_f32_e32 v6, v7, v31
	v_fma_f32 v14, v31, v7, -v6
	v_fmac_f32_e32 v14, v31, v15
	v_add_f32_e32 v4, v6, v14
	v_sub_f32_e32 v7, v5, v4
	v_pk_add_f32 v[38:39], v[4:5], v[6:7] neg_lo:[0,1] neg_hi:[0,1]
	v_mov_b32_e32 v15, v4
	v_pk_add_f32 v[4:5], v[38:39], v[14:15] neg_lo:[0,1] neg_hi:[0,1]
	v_add_f32_e32 v4, v4, v5
	v_add_f32_e32 v4, v7, v4
	v_mul_f32_e32 v5, v12, v4
	v_add_f32_e32 v4, v31, v5
	v_sub_f32_e32 v6, v4, v31
	v_sub_f32_e32 v31, v5, v6
	v_mul_f32_e32 v5, v4, v4
	v_fma_f32 v7, v4, v4, -v5
	v_add_f32_e32 v6, v31, v31
	v_fmac_f32_e32 v7, v4, v6
	v_add_f32_e32 v6, v5, v7
	v_mov_b32_e32 v12, 0x3e91f4c4
	v_fmac_f32_e32 v12, 0x3e76c4e1, v6
	v_fma_f32 v12, v6, v12, v21
	v_sub_f32_e32 v5, v6, v5
	v_sub_f32_e32 v42, v7, v5
	v_mul_f32_e32 v5, v6, v12
	v_fma_f32 v7, v6, v12, -v5
	v_fmac_f32_e32 v7, v42, v12
	v_add_f32_e32 v12, v5, v7
	v_add_f32_e32 v15, 0x3f2aaaaa, v12
	v_sub_f32_e32 v5, v12, v5
	v_sub_f32_e32 v5, v7, v5
	v_add_f32_e32 v7, 0xbf2aaaaa, v15
	v_add_f32_e32 v5, 0x31739010, v5
	v_sub_f32_e32 v7, v12, v7
	v_pk_mul_f32 v[38:39], v[4:5], v[6:7]
	v_fma_f32 v14, v6, v4, -v38
	v_pk_add_f32 v[40:41], v[4:5], v[6:7]
	v_fmac_f32_e32 v14, v6, v31
	v_mov_b32_e32 v39, v41
	v_fmac_f32_e32 v14, v42, v4
	v_pk_add_f32 v[6:7], v[38:39], v[14:15]
	v_sub_f32_e32 v12, v15, v7
	v_sub_f32_e32 v5, v6, v38
	v_add_f32_e32 v40, v41, v12
	v_mov_b32_e32 v12, v7
	v_cvt_f64_f32_e32 v[38:39], v51
	v_sub_f32_e32 v5, v14, v5
	v_pk_mul_f32 v[14:15], v[6:7], v[12:13]
	v_frexp_exp_i32_f64_e32 v12, v[38:39]
	v_subbrev_co_u32_e64 v12, s[2:3], 0, v12, s[2:3]
	v_cvt_f32_i32_e32 v12, v12
	v_fma_f32 v38, v6, v7, -v14
	v_fmac_f32_e32 v38, v6, v40
	v_fmac_f32_e32 v38, v5, v7
	v_mul_f32_e32 v6, 0x3f317218, v12
	v_fma_f32 v40, v12, s50, -v6
	v_fmac_f32_e32 v40, 0xb102e308, v12
	v_ldexp_f32 v41, v4, 1
	v_add_f32_e32 v7, v14, v38
	v_pk_add_f32 v[4:5], v[6:7], v[40:41]
	v_mov_b32_e32 v42, v7
	v_mov_b32_e32 v43, v5
	;; [unrolled: 1-line block ×3, first 2 shown]
	v_pk_add_f32 v[14:15], v[42:43], v[14:15] neg_lo:[0,1] neg_hi:[0,1]
	v_mov_b32_e32 v39, v7
	v_ldexp_f32 v12, v31, 1
	v_pk_add_f32 v[14:15], v[38:39], v[14:15] neg_lo:[0,1] neg_hi:[0,1]
	v_add_f32_e32 v7, v12, v14
	v_add_f32_e32 v7, v7, v15
	v_pk_add_f32 v[14:15], v[4:5], v[6:7] neg_lo:[0,1] neg_hi:[0,1]
	v_pk_add_f32 v[38:39], v[4:5], v[6:7]
	v_mov_b32_e32 v42, v14
	v_mov_b32_e32 v43, v39
	v_mov_b32_e32 v41, v4
	v_pk_add_f32 v[42:43], v[40:41], v[42:43]
	v_mov_b32_e32 v6, v43
	v_pk_add_f32 v[44:45], v[6:7], v[4:5] neg_lo:[0,1] neg_hi:[0,1]
	v_mov_b32_e32 v31, v44
	v_mov_b32_e32 v42, v39
	v_mov_b32_e32 v4, v5
	v_mov_b32_e32 v5, v44
	v_pk_add_f32 v[14:15], v[40:41], v[14:15] neg_lo:[0,1] neg_hi:[0,1]
	v_pk_add_f32 v[46:47], v[38:39], v[30:31] neg_lo:[0,1] neg_hi:[0,1]
	;; [unrolled: 1-line block ×3, first 2 shown]
	v_mov_b32_e32 v40, v7
	v_pk_add_f32 v[4:5], v[40:41], v[4:5] neg_lo:[0,1] neg_hi:[0,1]
	v_mov_b32_e32 v46, v14
	v_pk_add_f32 v[38:39], v[46:47], v[4:5]
	v_mov_b32_e32 v12, v39
	v_pk_add_f32 v[40:41], v[38:39], v[12:13]
	v_pk_add_f32 v[6:7], v[6:7], v[40:41]
	v_mov_b32_e32 v15, v43
	v_mov_b32_e32 v39, v6
	v_pk_add_f32 v[42:43], v[38:39], v[14:15] neg_lo:[0,1] neg_hi:[0,1]
	v_mov_b32_e32 v5, v40
	v_sub_f32_e32 v7, v38, v42
	v_pk_add_f32 v[4:5], v[4:5], v[42:43] neg_lo:[0,1] neg_hi:[0,1]
	v_sub_f32_e32 v7, v14, v7
	v_add_f32_e32 v4, v4, v7
	v_add_f32_e32 v4, v4, v5
	;; [unrolled: 1-line block ×3, first 2 shown]
	v_sub_f32_e32 v6, v5, v6
	v_sub_f32_e32 v4, v4, v6
	v_mul_f32_e32 v6, v50, v5
	v_fma_f32 v5, v50, v5, -v6
	v_fmac_f32_e32 v5, v50, v4
	v_add_f32_e32 v4, v6, v5
	v_cmp_class_f32_e64 s[2:3], v6, s51
	v_sub_f32_e32 v7, v4, v6
	v_cndmask_b32_e64 v4, v4, v6, s[2:3]
	v_cmp_eq_f32_e64 s[2:3], s53, v4
	v_cndmask_b32_e64 v6, 0, v32, s[2:3]
	v_sub_f32_e32 v5, v5, v7
	v_sub_f32_e32 v7, v4, v6
	v_mul_f32_e32 v12, 0x3fb8aa3b, v7
	v_fma_f32 v14, v7, s54, -v12
	v_rndne_f32_e32 v15, v12
	v_fmac_f32_e32 v14, 0x32a5705f, v7
	v_sub_f32_e32 v12, v12, v15
	v_add_f32_e32 v12, v12, v14
	v_exp_f32_e32 v12, v12
	v_cvt_i32_f32_e32 v14, v15
	v_cmp_neq_f32_e64 s[2:3], |v4|, s52
	v_cndmask_b32_e64 v4, 0, v5, s[2:3]
	v_cmp_ngt_f32_e64 s[2:3], s55, v7
	v_ldexp_f32 v5, v12, v14
	v_cndmask_b32_e64 v5, 0, v5, s[2:3]
	v_cmp_nlt_f32_e64 s[2:3], s53, v7
	v_add_f32_e32 v4, v6, v4
	v_cndmask_b32_e64 v5, v33, v5, s[2:3]
	v_fma_f32 v4, v5, v4, v5
	v_cmp_class_f32_e64 s[2:3], v5, s51
	v_trunc_f32_e32 v6, v50
	v_cndmask_b32_e64 v4, v4, v5, s[2:3]
	v_cndmask_b32_e64 v5, v48, 1.0, s[0:1]
	v_cmp_eq_f32_e64 s[0:1], v6, v50
	v_mul_f32_e32 v6, 0.5, v50
	v_trunc_f32_e32 v7, v6
	v_cmp_neq_f32_e64 s[2:3], v7, v6
	s_and_b64 s[2:3], s[0:1], s[2:3]
	v_cndmask_b32_e64 v6, 1.0, v5, s[2:3]
	v_bfi_b32 v4, s56, v4, v6
	v_cndmask_b32_e64 v6, v34, v4, s[0:1]
	v_cmp_gt_f32_e64 s[0:1], 0, v5
	v_cndmask_b32_e64 v4, v4, v6, s[0:1]
	v_cndmask_b32_e64 v6, |v49|, 1.0, vcc
	v_cmp_neq_f32_e32 vcc, v50, v6
	v_cmp_gt_f32_e64 s[0:1], 1.0, v51
	s_xor_b64 s[0:1], vcc, s[0:1]
	v_cndmask_b32_e64 v7, v6, 0, s[0:1]
	v_cmp_eq_f32_e64 s[0:1], 0, v5
	v_cmp_gt_f32_e64 s[4:5], 0, v50
	v_cmp_eq_f32_e32 vcc, 1.0, v51
	s_xor_b64 s[4:5], s[4:5], s[0:1]
	v_cndmask_b32_e32 v7, v7, v51, vcc
	v_cmp_eq_f32_e32 vcc, s52, v6
	v_cndmask_b32_e64 v6, v33, 0, s[4:5]
	v_cndmask_b32_e64 v5, 0, v5, s[2:3]
	v_bfi_b32 v5, s56, v6, v5
	v_add_f16_e32 v6, 1.0, v30
	v_cndmask_b32_e32 v4, v4, v7, vcc
	v_cmp_eq_f32_e32 vcc, s52, v51
	v_cvt_f32_f16_e32 v15, v6
	s_or_b64 vcc, vcc, s[0:1]
	v_cndmask_b32_e32 v39, v4, v5, vcc
	v_pk_mov_b32 v[4:5], v[8:9], v[8:9] op_sel:[0,1]
	v_pk_mov_b32 v[6:7], v[10:11], v[10:11] op_sel:[0,1]
	v_mov_b32_e32 v38, v13
.LBB141_29:                             ;   in Loop: Header=BB141_4 Depth=1
	s_or_b64 exec, exec, s[38:39]
	s_mov_b32 s2, 0
	s_orn2_b64 s[0:1], s[40:41], exec
.LBB141_30:                             ;   in Loop: Header=BB141_4 Depth=1
	s_or_b64 exec, exec, s[36:37]
	v_mov_b32_e32 v8, s2
	s_and_saveexec_b64 s[2:3], s[0:1]
	s_cbranch_execz .LBB141_3
; %bb.31:                               ;   in Loop: Header=BB141_4 Depth=1
	v_add_f32_e32 v40, 0xbeaaaaab, v15
	v_mul_f32_e32 v8, 0x41100000, v40
	v_mul_f32_e32 v9, 0x4f800000, v8
	v_cmp_gt_f32_e32 vcc, s57, v8
	v_cndmask_b32_e32 v8, v8, v9, vcc
	v_sqrt_f32_e32 v9, v8
	v_add_u32_e32 v42, 0x9e3779b9, v28
	v_add_u32_e32 v43, 0xbb67ae85, v29
	;; [unrolled: 1-line block ×3, first 2 shown]
	v_add_u32_e32 v10, -1, v9
	v_fma_f32 v12, -v10, v9, v8
	v_add_u32_e32 v11, 1, v9
	v_cmp_ge_f32_e64 s[0:1], 0, v12
	v_cndmask_b32_e64 v10, v9, v10, s[0:1]
	v_fma_f32 v9, -v11, v9, v8
	v_cmp_lt_f32_e64 s[0:1], 0, v9
	v_cndmask_b32_e64 v9, v10, v11, s[0:1]
	v_mul_f32_e32 v10, 0x37800000, v9
	v_cndmask_b32_e32 v9, v9, v10, vcc
	v_cmp_class_f32_e32 vcc, v8, v23
	v_cndmask_b32_e32 v8, v9, v8, vcc
	v_div_scale_f32 v9, s[0:1], v8, v8, 1.0
	v_rcp_f32_e32 v10, v9
	v_add_u32_e32 v45, 0x76cf5d0a, v29
	v_add_u32_e32 v46, 0xdaa66d2b, v28
	;; [unrolled: 1-line block ×3, first 2 shown]
	v_fma_f32 v11, -v9, v10, 1.0
	v_fmac_f32_e32 v10, v11, v10
	v_div_scale_f32 v11, vcc, 1.0, v8, 1.0
	v_mul_f32_e32 v12, v11, v10
	v_fma_f32 v13, -v9, v12, v11
	v_fmac_f32_e32 v12, v13, v10
	v_fma_f32 v9, -v9, v12, v11
	v_div_fmas_f32 v9, v9, v10, v12
	v_div_fixup_f32 v41, v9, v8, 1.0
	v_add_u32_e32 v48, 0x78dde6e4, v28
	v_add_u32_e32 v49, 0xed9eba14, v29
	;; [unrolled: 1-line block ×10, first 2 shown]
	s_mov_b64 s[4:5], 0
	v_mov_b32_e32 v58, 0
	s_mov_b64 s[40:41], 0
                                        ; implicit-def: $sgpr36_sgpr37
                                        ; implicit-def: $sgpr38_sgpr39
                                        ; implicit-def: $vgpr30
	s_branch .LBB141_33
.LBB141_32:                             ;   in Loop: Header=BB141_33 Depth=2
	s_or_b64 exec, exec, s[40:41]
	s_and_b64 s[0:1], exec, s[0:1]
	s_or_b64 s[4:5], s[0:1], s[4:5]
	s_andn2_b64 s[0:1], s[36:37], exec
	s_and_b64 s[36:37], s[38:39], exec
	v_pk_mov_b32 v[4:5], v[8:9], v[8:9] op_sel:[0,1]
	s_or_b64 s[36:37], s[0:1], s[36:37]
	s_mov_b64 s[40:41], 0
	v_mov_b32_e32 v38, v12
	v_pk_mov_b32 v[6:7], v[10:11], v[10:11] op_sel:[0,1]
	s_andn2_b64 exec, exec, s[4:5]
	s_cbranch_execz .LBB141_44
.LBB141_33:                             ;   Parent Loop BB141_4 Depth=1
                                        ; =>  This Inner Loop Header: Depth=2
	v_cmp_eq_u32_e32 vcc, 0, v58
	v_mov_b32_e32 v31, v30
	v_mov_b32_e32 v58, 0
	s_and_saveexec_b64 s[42:43], vcc
	s_cbranch_execz .LBB141_39
; %bb.34:                               ;   in Loop: Header=BB141_33 Depth=2
	v_add_u32_e32 v30, 1, v38
	v_pk_mov_b32 v[10:11], v[6:7], v[6:7] op_sel:[0,1]
	v_cmp_eq_u32_e32 vcc, 4, v30
	v_pk_mov_b32 v[8:9], v[4:5], v[4:5] op_sel:[0,1]
	s_and_saveexec_b64 s[0:1], vcc
	s_cbranch_execz .LBB141_36
; %bb.35:                               ;   in Loop: Header=BB141_33 Depth=2
	v_add_co_u32_e32 v0, vcc, 1, v0
	v_cndmask_b32_e64 v8, 0, 1, vcc
	v_addc_co_u32_e32 v1, vcc, 0, v1, vcc
	v_cmp_eq_u32_e32 vcc, 0, v1
	v_cndmask_b32_e32 v8, 0, v8, vcc
	v_add_u32_e32 v2, v8, v2
	v_cmp_eq_u32_e32 vcc, 0, v2
	v_cndmask_b32_e32 v8, 0, v8, vcc
	v_add_u32_e32 v3, v8, v3
	v_mad_u64_u32 v[8:9], s[76:77], v0, s48, 0
	v_mad_u64_u32 v[10:11], s[76:77], v2, s33, 0
	v_xor_b32_e32 v11, v11, v28
	v_xor_b32_e32 v9, v9, v29
	v_xor_b32_e32 v11, v1, v11
	v_xor_b32_e32 v9, v3, v9
	v_mad_u64_u32 v[12:13], s[76:77], v11, s48, 0
	v_mad_u64_u32 v[14:15], s[76:77], v9, s33, 0
	v_xor_b32_e32 v9, v15, v10
	v_xor_b32_e32 v8, v13, v8
	v_xor_b32_e32 v9, v42, v9
	v_xor_b32_e32 v10, v43, v8
	v_mad_u64_u32 v[8:9], s[76:77], v9, s48, 0
	v_mad_u64_u32 v[10:11], s[76:77], v10, s33, 0
	v_xor_b32_e32 v11, v11, v14
	v_xor_b32_e32 v9, v9, v12
	v_xor_b32_e32 v11, v44, v11
	v_xor_b32_e32 v9, v45, v9
	v_mad_u64_u32 v[12:13], s[76:77], v11, s48, 0
	v_mad_u64_u32 v[14:15], s[76:77], v9, s33, 0
	v_xor_b32_e32 v9, v15, v10
	v_xor_b32_e32 v8, v13, v8
	v_xor_b32_e32 v9, v46, v9
	v_xor_b32_e32 v10, v47, v8
	v_mad_u64_u32 v[8:9], s[76:77], v9, s48, 0
	v_mad_u64_u32 v[10:11], s[76:77], v10, s33, 0
	v_xor_b32_e32 v11, v11, v14
	v_xor_b32_e32 v9, v9, v12
	v_xor_b32_e32 v11, v48, v11
	v_xor_b32_e32 v9, v49, v9
	v_mad_u64_u32 v[12:13], s[76:77], v11, s48, 0
	v_mad_u64_u32 v[14:15], s[76:77], v9, s33, 0
	v_xor_b32_e32 v9, v15, v10
	v_xor_b32_e32 v8, v13, v8
	v_xor_b32_e32 v9, v50, v9
	v_xor_b32_e32 v10, v51, v8
	v_mad_u64_u32 v[8:9], s[76:77], v9, s48, 0
	v_mad_u64_u32 v[10:11], s[76:77], v10, s33, 0
	v_xor_b32_e32 v11, v11, v14
	v_xor_b32_e32 v9, v9, v12
	v_xor_b32_e32 v11, v52, v11
	v_xor_b32_e32 v9, v53, v9
	v_mad_u64_u32 v[12:13], s[76:77], v11, s48, 0
	v_mad_u64_u32 v[14:15], s[76:77], v9, s33, 0
	v_xor_b32_e32 v9, v15, v10
	v_xor_b32_e32 v8, v13, v8
	v_xor_b32_e32 v9, v54, v9
	v_xor_b32_e32 v8, v55, v8
	v_mad_u64_u32 v[10:11], s[76:77], v9, s48, 0
	v_mad_u64_u32 v[8:9], s[76:77], v8, s33, 0
	v_xor_b32_e32 v9, v9, v14
	v_xor_b32_e32 v11, v11, v12
	v_xor_b32_e32 v9, v56, v9
	v_xor_b32_e32 v11, v57, v11
	v_mad_u64_u32 v[12:13], s[76:77], v9, s48, 0
	v_mad_u64_u32 v[14:15], s[76:77], v11, s33, 0
	v_xor_b32_e32 v8, v15, v8
	v_xor_b32_e32 v9, v13, v10
	v_mov_b32_e32 v30, 0
	v_xor_b32_e32 v8, v17, v8
	v_xor_b32_e32 v10, v19, v9
	v_mov_b32_e32 v9, v14
	v_mov_b32_e32 v11, v12
.LBB141_36:                             ;   in Loop: Header=BB141_33 Depth=2
	s_or_b64 exec, exec, s[0:1]
	v_add_u32_e32 v59, 1, v30
	v_pk_mov_b32 v[14:15], v[10:11], v[10:11] op_sel:[0,1]
	v_cmp_eq_u32_e32 vcc, 4, v59
	v_pk_mov_b32 v[12:13], v[8:9], v[8:9] op_sel:[0,1]
	s_and_saveexec_b64 s[0:1], vcc
	s_cbranch_execz .LBB141_38
; %bb.37:                               ;   in Loop: Header=BB141_33 Depth=2
	v_add_co_u32_e32 v0, vcc, 1, v0
	v_cndmask_b32_e64 v12, 0, 1, vcc
	v_addc_co_u32_e32 v1, vcc, 0, v1, vcc
	v_cmp_eq_u32_e32 vcc, 0, v1
	v_cndmask_b32_e32 v12, 0, v12, vcc
	v_add_u32_e32 v2, v12, v2
	v_cmp_eq_u32_e32 vcc, 0, v2
	v_cndmask_b32_e32 v12, 0, v12, vcc
	v_add_u32_e32 v3, v12, v3
	v_mad_u64_u32 v[12:13], s[76:77], v0, s48, 0
	v_mad_u64_u32 v[14:15], s[76:77], v2, s33, 0
	v_xor_b32_e32 v15, v15, v28
	v_xor_b32_e32 v13, v13, v29
	v_xor_b32_e32 v15, v1, v15
	v_xor_b32_e32 v13, v3, v13
	v_mad_u64_u32 v[60:61], s[76:77], v15, s48, 0
	v_mad_u64_u32 v[62:63], s[76:77], v13, s33, 0
	v_xor_b32_e32 v13, v63, v14
	v_xor_b32_e32 v12, v61, v12
	v_xor_b32_e32 v13, v42, v13
	v_xor_b32_e32 v14, v43, v12
	;; [unrolled: 6-line block ×9, first 2 shown]
	v_mad_u64_u32 v[60:61], s[76:77], v13, s48, 0
	v_mad_u64_u32 v[62:63], s[76:77], v15, s33, 0
	v_xor_b32_e32 v12, v63, v12
	v_xor_b32_e32 v13, v61, v14
	v_mov_b32_e32 v59, 0
	v_xor_b32_e32 v12, v17, v12
	v_xor_b32_e32 v14, v19, v13
	v_mov_b32_e32 v13, v62
	v_mov_b32_e32 v15, v60
.LBB141_38:                             ;   in Loop: Header=BB141_33 Depth=2
	s_or_b64 exec, exec, s[0:1]
	v_cmp_eq_u32_e32 vcc, 1, v38
	v_cndmask_b32_e32 v4, v4, v5, vcc
	v_cmp_eq_u32_e32 vcc, 2, v38
	v_cndmask_b32_e32 v4, v4, v6, vcc
	;; [unrolled: 2-line block ×3, first 2 shown]
	v_cvt_f32_u32_e32 v4, v4
	v_cmp_eq_u32_e32 vcc, 1, v30
	v_mov_b32_e32 v6, 0x2f800000
	v_cndmask_b32_e32 v5, v8, v9, vcc
	v_cmp_eq_u32_e32 vcc, 2, v30
	v_fmac_f32_e32 v6, 0x2f800000, v4
	v_cndmask_b32_e32 v5, v5, v10, vcc
	v_cmp_gt_f32_e32 vcc, s66, v6
	v_cndmask_b32_e32 v4, 1.0, v35, vcc
	v_mul_f32_e32 v4, v6, v4
	v_log_f32_e32 v4, v4
	v_cmp_eq_u32_e64 s[0:1], 3, v30
	v_cndmask_b32_e64 v5, v5, v11, s[0:1]
	v_cvt_f32_u32_e32 v5, v5
	v_mul_f32_e32 v6, 0x3f317217, v4
	v_fma_f32 v7, v4, s67, -v6
	v_fmac_f32_e32 v7, 0x3377d1cf, v4
	v_add_f32_e32 v6, v6, v7
	v_cmp_lt_f32_e64 s[0:1], |v4|, s52
	v_cndmask_b32_e64 v4, v4, v6, s[0:1]
	v_cndmask_b32_e32 v6, 0, v36, vcc
	v_sub_f32_e32 v4, v4, v6
	v_mul_f32_e32 v4, -2.0, v4
	v_mul_f32_e32 v6, 0x4f800000, v4
	v_cmp_gt_f32_e32 vcc, s57, v4
	v_cndmask_b32_e32 v6, v4, v6, vcc
	v_sqrt_f32_e32 v4, v6
	v_mov_b32_e32 v7, 0x30c90fdb
	v_fmac_f32_e32 v7, 0x30c90fdb, v5
	v_mov_b32_e32 v58, 1
	v_add_u32_e32 v5, -1, v4
	v_fma_f32 v8, -v5, v4, v6
	v_cmp_ge_f32_e64 s[0:1], 0, v8
	v_add_u32_e32 v8, 1, v4
	v_cndmask_b32_e64 v5, v4, v5, s[0:1]
	v_fma_f32 v4, -v8, v4, v6
	v_cmp_lt_f32_e64 s[0:1], 0, v4
	v_mul_f32_e32 v4, 0.15915494, v7
	v_cndmask_b32_e64 v8, v5, v8, s[0:1]
	v_sin_f32_e32 v5, v4
	v_cos_f32_e32 v4, v4
	v_mul_f32_e32 v9, 0x37800000, v8
	v_cndmask_b32_e32 v7, v8, v9, vcc
	v_cmp_class_f32_e32 vcc, v6, v23
	v_cndmask_b32_e32 v6, v7, v6, vcc
	v_pk_mul_f32 v[30:31], v[6:7], v[4:5] op_sel_hi:[0,1]
	v_pk_mov_b32 v[4:5], v[12:13], v[12:13] op_sel:[0,1]
	v_pk_mov_b32 v[6:7], v[14:15], v[14:15] op_sel:[0,1]
	v_mov_b32_e32 v38, v59
.LBB141_39:                             ;   in Loop: Header=BB141_33 Depth=2
	s_or_b64 exec, exec, s[42:43]
	v_fma_f32 v13, v41, v31, 1.0
	v_cmp_nge_f32_e32 vcc, 0, v13
	s_or_b64 s[40:41], vcc, s[40:41]
	s_andn2_b64 exec, exec, s[40:41]
	s_cbranch_execnz .LBB141_33
; %bb.40:                               ;   in Loop: Header=BB141_33 Depth=2
	s_or_b64 exec, exec, s[40:41]
	v_add_u32_e32 v12, 1, v38
	v_pk_mov_b32 v[10:11], v[6:7], v[6:7] op_sel:[0,1]
	v_cmp_eq_u32_e32 vcc, 4, v12
	v_pk_mov_b32 v[8:9], v[4:5], v[4:5] op_sel:[0,1]
	s_and_saveexec_b64 s[0:1], vcc
	s_cbranch_execz .LBB141_42
; %bb.41:                               ;   in Loop: Header=BB141_33 Depth=2
	v_add_co_u32_e32 v0, vcc, 1, v0
	v_cndmask_b32_e64 v8, 0, 1, vcc
	v_addc_co_u32_e32 v1, vcc, 0, v1, vcc
	v_cmp_eq_u32_e32 vcc, 0, v1
	v_cndmask_b32_e32 v8, 0, v8, vcc
	v_add_u32_e32 v2, v8, v2
	v_cmp_eq_u32_e32 vcc, 0, v2
	v_cndmask_b32_e32 v8, 0, v8, vcc
	v_add_u32_e32 v3, v8, v3
	v_mad_u64_u32 v[8:9], s[40:41], v0, s48, 0
	v_mad_u64_u32 v[10:11], s[40:41], v2, s33, 0
	v_xor_b32_e32 v11, v11, v28
	v_xor_b32_e32 v9, v9, v29
	v_xor_b32_e32 v11, v1, v11
	v_xor_b32_e32 v9, v3, v9
	v_mad_u64_u32 v[14:15], s[40:41], v11, s48, 0
	v_mad_u64_u32 v[60:61], s[40:41], v9, s33, 0
	v_xor_b32_e32 v9, v61, v10
	v_xor_b32_e32 v8, v15, v8
	v_xor_b32_e32 v9, v42, v9
	v_xor_b32_e32 v10, v43, v8
	v_mad_u64_u32 v[8:9], s[40:41], v9, s48, 0
	v_mad_u64_u32 v[10:11], s[40:41], v10, s33, 0
	v_xor_b32_e32 v11, v11, v60
	v_xor_b32_e32 v9, v9, v14
	v_xor_b32_e32 v11, v44, v11
	v_xor_b32_e32 v9, v45, v9
	v_mad_u64_u32 v[14:15], s[40:41], v11, s48, 0
	v_mad_u64_u32 v[60:61], s[40:41], v9, s33, 0
	v_xor_b32_e32 v9, v61, v10
	v_xor_b32_e32 v8, v15, v8
	v_xor_b32_e32 v9, v46, v9
	v_xor_b32_e32 v10, v47, v8
	v_mad_u64_u32 v[8:9], s[40:41], v9, s48, 0
	v_mad_u64_u32 v[10:11], s[40:41], v10, s33, 0
	v_xor_b32_e32 v11, v11, v60
	v_xor_b32_e32 v9, v9, v14
	v_xor_b32_e32 v11, v48, v11
	v_xor_b32_e32 v9, v49, v9
	v_mad_u64_u32 v[14:15], s[40:41], v11, s48, 0
	v_mad_u64_u32 v[60:61], s[40:41], v9, s33, 0
	v_xor_b32_e32 v9, v61, v10
	v_xor_b32_e32 v8, v15, v8
	v_xor_b32_e32 v9, v50, v9
	v_xor_b32_e32 v10, v51, v8
	v_mad_u64_u32 v[8:9], s[40:41], v9, s48, 0
	v_mad_u64_u32 v[10:11], s[40:41], v10, s33, 0
	v_xor_b32_e32 v11, v11, v60
	v_xor_b32_e32 v9, v9, v14
	v_xor_b32_e32 v11, v52, v11
	v_xor_b32_e32 v9, v53, v9
	v_mad_u64_u32 v[14:15], s[40:41], v11, s48, 0
	v_mad_u64_u32 v[60:61], s[40:41], v9, s33, 0
	v_xor_b32_e32 v9, v61, v10
	v_xor_b32_e32 v8, v15, v8
	v_xor_b32_e32 v9, v54, v9
	v_xor_b32_e32 v8, v55, v8
	v_mad_u64_u32 v[10:11], s[40:41], v9, s48, 0
	v_mad_u64_u32 v[8:9], s[40:41], v8, s33, 0
	v_xor_b32_e32 v9, v9, v60
	v_xor_b32_e32 v11, v11, v14
	v_xor_b32_e32 v9, v56, v9
	v_xor_b32_e32 v11, v57, v11
	v_mad_u64_u32 v[14:15], s[40:41], v9, s48, 0
	v_mad_u64_u32 v[60:61], s[40:41], v11, s33, 0
	v_xor_b32_e32 v8, v61, v8
	v_xor_b32_e32 v9, v15, v10
	v_mov_b32_e32 v12, 0
	v_xor_b32_e32 v8, v17, v8
	v_xor_b32_e32 v10, v19, v9
	v_mov_b32_e32 v9, v60
	v_mov_b32_e32 v11, v14
.LBB141_42:                             ;   in Loop: Header=BB141_33 Depth=2
	s_or_b64 exec, exec, s[0:1]
	v_cmp_eq_u32_e32 vcc, 1, v38
	v_cndmask_b32_e32 v4, v4, v5, vcc
	v_cmp_eq_u32_e32 vcc, 2, v38
	v_cndmask_b32_e32 v4, v4, v6, vcc
	;; [unrolled: 2-line block ×3, first 2 shown]
	v_cvt_f32_u32_e32 v4, v4
	v_mul_f32_e32 v5, v13, v13
	v_mul_f32_e32 v13, v13, v5
	v_mov_b32_e32 v5, 0x2f800000
	v_fmac_f32_e32 v5, 0x2f800000, v4
	v_mul_f32_e32 v4, v31, v31
	v_mul_f32_e32 v6, 0xbd0793de, v4
	v_sub_f32_e32 v5, 1.0, v5
	v_fma_f32 v6, v4, v6, 1.0
	v_cmp_nlt_f32_e32 vcc, v5, v6
	s_mov_b64 s[0:1], -1
	s_or_b64 s[38:39], s[38:39], exec
	s_and_saveexec_b64 s[40:41], vcc
	s_cbranch_execz .LBB141_32
; %bb.43:                               ;   in Loop: Header=BB141_33 Depth=2
	v_cmp_gt_f32_e32 vcc, s66, v5
	v_cndmask_b32_e32 v6, 1.0, v35, vcc
	v_mul_f32_e32 v5, v5, v6
	v_log_f32_e32 v5, v5
	s_andn2_b64 s[38:39], s[38:39], exec
	v_mul_f32_e32 v6, 0x3f317217, v5
	v_fma_f32 v7, v5, s67, -v6
	v_fmac_f32_e32 v7, 0x3377d1cf, v5
	v_add_f32_e32 v6, v6, v7
	v_cmp_lt_f32_e64 s[0:1], |v5|, s52
	v_cndmask_b32_e64 v5, v5, v6, s[0:1]
	v_cmp_gt_f32_e64 s[0:1], s66, v13
	v_cndmask_b32_e64 v6, 1.0, v35, s[0:1]
	v_mul_f32_e32 v6, v13, v6
	v_log_f32_e32 v6, v6
	v_cndmask_b32_e32 v7, 0, v36, vcc
	v_sub_f32_e32 v5, v5, v7
	v_sub_f32_e32 v7, 1.0, v13
	v_mul_f32_e32 v14, 0x3f317217, v6
	v_fma_f32 v15, v6, s67, -v14
	v_fmac_f32_e32 v15, 0x3377d1cf, v6
	v_add_f32_e32 v14, v14, v15
	v_cmp_lt_f32_e64 vcc, |v6|, s52
	v_cndmask_b32_e32 v6, v6, v14, vcc
	v_cndmask_b32_e64 v14, 0, v36, s[0:1]
	v_sub_f32_e32 v6, v6, v14
	v_add_f32_e32 v6, v7, v6
	v_mul_f32_e32 v6, v40, v6
	v_fmac_f32_e32 v6, 0.5, v4
	v_cmp_lt_f32_e32 vcc, v5, v6
	s_orn2_b64 s[0:1], vcc, exec
	s_branch .LBB141_32
.LBB141_44:                             ;   in Loop: Header=BB141_4 Depth=1
	s_or_b64 exec, exec, s[4:5]
	s_xor_b64 s[0:1], s[36:37], -1
	v_mul_f32_e32 v0, v39, v40
                                        ; implicit-def: $vgpr8
	s_and_saveexec_b64 s[4:5], s[0:1]
	s_xor_b64 s[0:1], exec, s[4:5]
; %bb.45:                               ;   in Loop: Header=BB141_4 Depth=1
	v_fma_mixlo_f16 v8, v0, v13, 0
                                        ; implicit-def: $vgpr0
; %bb.46:                               ;   in Loop: Header=BB141_4 Depth=1
	s_andn2_saveexec_b64 s[0:1], s[0:1]
	s_cbranch_execz .LBB141_2
; %bb.47:                               ;   in Loop: Header=BB141_4 Depth=1
	v_fma_mixlo_f16 v8, v0, v13, 0
	s_branch .LBB141_2
.LBB141_48:
	s_endpgm
	.section	.rodata,"a",@progbits
	.p2align	6, 0x0
	.amdhsa_kernel _ZN2at4cuda12_GLOBAL__N_121kernelPointwiseApply2IZN12_GLOBAL__N_117gamma_cuda_kernelIN3c104HalfEEEvRKNS_10TensorBaseES9_NS_15PhiloxCudaStateEEUlRS6_RKS6_E_S6_S6_mLin1ELin1ELi1ELi256ELi2EEEvNS0_6detail10TensorInfoIT0_T2_EENSG_IT1_SI_EESI_T_
		.amdhsa_group_segment_fixed_size 0
		.amdhsa_private_segment_fixed_size 0
		.amdhsa_kernarg_size 1128
		.amdhsa_user_sgpr_count 6
		.amdhsa_user_sgpr_private_segment_buffer 1
		.amdhsa_user_sgpr_dispatch_ptr 0
		.amdhsa_user_sgpr_queue_ptr 0
		.amdhsa_user_sgpr_kernarg_segment_ptr 1
		.amdhsa_user_sgpr_dispatch_id 0
		.amdhsa_user_sgpr_flat_scratch_init 0
		.amdhsa_user_sgpr_kernarg_preload_length 0
		.amdhsa_user_sgpr_kernarg_preload_offset 0
		.amdhsa_user_sgpr_private_segment_size 0
		.amdhsa_uses_dynamic_stack 0
		.amdhsa_system_sgpr_private_segment_wavefront_offset 0
		.amdhsa_system_sgpr_workgroup_id_x 1
		.amdhsa_system_sgpr_workgroup_id_y 0
		.amdhsa_system_sgpr_workgroup_id_z 0
		.amdhsa_system_sgpr_workgroup_info 0
		.amdhsa_system_vgpr_workitem_id 0
		.amdhsa_next_free_vgpr 64
		.amdhsa_next_free_sgpr 78
		.amdhsa_accum_offset 64
		.amdhsa_reserve_vcc 1
		.amdhsa_reserve_flat_scratch 0
		.amdhsa_float_round_mode_32 0
		.amdhsa_float_round_mode_16_64 0
		.amdhsa_float_denorm_mode_32 3
		.amdhsa_float_denorm_mode_16_64 3
		.amdhsa_dx10_clamp 1
		.amdhsa_ieee_mode 1
		.amdhsa_fp16_overflow 0
		.amdhsa_tg_split 0
		.amdhsa_exception_fp_ieee_invalid_op 0
		.amdhsa_exception_fp_denorm_src 0
		.amdhsa_exception_fp_ieee_div_zero 0
		.amdhsa_exception_fp_ieee_overflow 0
		.amdhsa_exception_fp_ieee_underflow 0
		.amdhsa_exception_fp_ieee_inexact 0
		.amdhsa_exception_int_div_zero 0
	.end_amdhsa_kernel
	.section	.text._ZN2at4cuda12_GLOBAL__N_121kernelPointwiseApply2IZN12_GLOBAL__N_117gamma_cuda_kernelIN3c104HalfEEEvRKNS_10TensorBaseES9_NS_15PhiloxCudaStateEEUlRS6_RKS6_E_S6_S6_mLin1ELin1ELi1ELi256ELi2EEEvNS0_6detail10TensorInfoIT0_T2_EENSG_IT1_SI_EESI_T_,"axG",@progbits,_ZN2at4cuda12_GLOBAL__N_121kernelPointwiseApply2IZN12_GLOBAL__N_117gamma_cuda_kernelIN3c104HalfEEEvRKNS_10TensorBaseES9_NS_15PhiloxCudaStateEEUlRS6_RKS6_E_S6_S6_mLin1ELin1ELi1ELi256ELi2EEEvNS0_6detail10TensorInfoIT0_T2_EENSG_IT1_SI_EESI_T_,comdat
.Lfunc_end141:
	.size	_ZN2at4cuda12_GLOBAL__N_121kernelPointwiseApply2IZN12_GLOBAL__N_117gamma_cuda_kernelIN3c104HalfEEEvRKNS_10TensorBaseES9_NS_15PhiloxCudaStateEEUlRS6_RKS6_E_S6_S6_mLin1ELin1ELi1ELi256ELi2EEEvNS0_6detail10TensorInfoIT0_T2_EENSG_IT1_SI_EESI_T_, .Lfunc_end141-_ZN2at4cuda12_GLOBAL__N_121kernelPointwiseApply2IZN12_GLOBAL__N_117gamma_cuda_kernelIN3c104HalfEEEvRKNS_10TensorBaseES9_NS_15PhiloxCudaStateEEUlRS6_RKS6_E_S6_S6_mLin1ELin1ELi1ELi256ELi2EEEvNS0_6detail10TensorInfoIT0_T2_EENSG_IT1_SI_EESI_T_
                                        ; -- End function
	.section	.AMDGPU.csdata,"",@progbits
; Kernel info:
; codeLenInByte = 7040
; NumSgprs: 82
; NumVgprs: 64
; NumAgprs: 0
; TotalNumVgprs: 64
; ScratchSize: 0
; MemoryBound: 0
; FloatMode: 240
; IeeeMode: 1
; LDSByteSize: 0 bytes/workgroup (compile time only)
; SGPRBlocks: 10
; VGPRBlocks: 7
; NumSGPRsForWavesPerEU: 82
; NumVGPRsForWavesPerEU: 64
; AccumOffset: 64
; Occupancy: 8
; WaveLimiterHint : 1
; COMPUTE_PGM_RSRC2:SCRATCH_EN: 0
; COMPUTE_PGM_RSRC2:USER_SGPR: 6
; COMPUTE_PGM_RSRC2:TRAP_HANDLER: 0
; COMPUTE_PGM_RSRC2:TGID_X_EN: 1
; COMPUTE_PGM_RSRC2:TGID_Y_EN: 0
; COMPUTE_PGM_RSRC2:TGID_Z_EN: 0
; COMPUTE_PGM_RSRC2:TIDIG_COMP_CNT: 0
; COMPUTE_PGM_RSRC3_GFX90A:ACCUM_OFFSET: 15
; COMPUTE_PGM_RSRC3_GFX90A:TG_SPLIT: 0
	.section	.text._ZN2at4cuda12_GLOBAL__N_121kernelPointwiseApply2IZN12_GLOBAL__N_117gamma_cuda_kernelIN3c108BFloat16EEEvRKNS_10TensorBaseES9_NS_15PhiloxCudaStateEEUlRS6_RKS6_E_S6_S6_jLi1ELi1ELi1ELi256ELi2EEEvNS0_6detail10TensorInfoIT0_T2_EENSG_IT1_SI_EESI_T_,"axG",@progbits,_ZN2at4cuda12_GLOBAL__N_121kernelPointwiseApply2IZN12_GLOBAL__N_117gamma_cuda_kernelIN3c108BFloat16EEEvRKNS_10TensorBaseES9_NS_15PhiloxCudaStateEEUlRS6_RKS6_E_S6_S6_jLi1ELi1ELi1ELi256ELi2EEEvNS0_6detail10TensorInfoIT0_T2_EENSG_IT1_SI_EESI_T_,comdat
	.globl	_ZN2at4cuda12_GLOBAL__N_121kernelPointwiseApply2IZN12_GLOBAL__N_117gamma_cuda_kernelIN3c108BFloat16EEEvRKNS_10TensorBaseES9_NS_15PhiloxCudaStateEEUlRS6_RKS6_E_S6_S6_jLi1ELi1ELi1ELi256ELi2EEEvNS0_6detail10TensorInfoIT0_T2_EENSG_IT1_SI_EESI_T_ ; -- Begin function _ZN2at4cuda12_GLOBAL__N_121kernelPointwiseApply2IZN12_GLOBAL__N_117gamma_cuda_kernelIN3c108BFloat16EEEvRKNS_10TensorBaseES9_NS_15PhiloxCudaStateEEUlRS6_RKS6_E_S6_S6_jLi1ELi1ELi1ELi256ELi2EEEvNS0_6detail10TensorInfoIT0_T2_EENSG_IT1_SI_EESI_T_
	.p2align	8
	.type	_ZN2at4cuda12_GLOBAL__N_121kernelPointwiseApply2IZN12_GLOBAL__N_117gamma_cuda_kernelIN3c108BFloat16EEEvRKNS_10TensorBaseES9_NS_15PhiloxCudaStateEEUlRS6_RKS6_E_S6_S6_jLi1ELi1ELi1ELi256ELi2EEEvNS0_6detail10TensorInfoIT0_T2_EENSG_IT1_SI_EESI_T_,@function
_ZN2at4cuda12_GLOBAL__N_121kernelPointwiseApply2IZN12_GLOBAL__N_117gamma_cuda_kernelIN3c108BFloat16EEEvRKNS_10TensorBaseES9_NS_15PhiloxCudaStateEEUlRS6_RKS6_E_S6_S6_jLi1ELi1ELi1ELi256ELi2EEEvNS0_6detail10TensorInfoIT0_T2_EENSG_IT1_SI_EESI_T_: ; @_ZN2at4cuda12_GLOBAL__N_121kernelPointwiseApply2IZN12_GLOBAL__N_117gamma_cuda_kernelIN3c108BFloat16EEEvRKNS_10TensorBaseES9_NS_15PhiloxCudaStateEEUlRS6_RKS6_E_S6_S6_jLi1ELi1ELi1ELi256ELi2EEEvNS0_6detail10TensorInfoIT0_T2_EENSG_IT1_SI_EESI_T_
; %bb.0:
	s_load_dword s2, s[4:5], 0x1e4
	s_load_dword s30, s[4:5], 0x1b0
	s_add_u32 s0, s4, 0x1d8
	s_addc_u32 s1, s5, 0
	s_waitcnt lgkmcnt(0)
	s_and_b32 s2, s2, 0xffff
	s_mul_i32 s6, s6, s2
	v_add_u32_e32 v2, s6, v0
	v_cmp_gt_u32_e32 vcc, s30, v2
	s_and_saveexec_b64 s[6:7], vcc
	s_cbranch_execz .LBB142_30
; %bb.1:
	s_load_dword s3, s[4:5], 0x1d0
	s_load_dwordx2 s[10:11], s[4:5], 0x0
	s_load_dword s31, s[4:5], 0x6c
	s_load_dwordx2 s[16:17], s[4:5], 0xd8
	;; [unrolled: 2-line block ×3, first 2 shown]
	s_load_dwordx4 s[12:15], s[4:5], 0x1b8
	s_load_dword s35, s[0:1], 0x0
	s_mov_b32 s34, 0xcd9e8d57
	s_waitcnt lgkmcnt(0)
	s_bitcmp1_b32 s3, 0
	v_mad_u64_u32 v[20:21], s[0:1], v2, s34, 0
	s_cselect_b64 s[0:1], -1, 0
	v_cndmask_b32_e64 v0, 0, 1, s[0:1]
	v_mov_b32_e32 v3, 0
	v_mov_b32_e32 v22, v21
	s_mul_i32 s35, s35, s2
	s_mov_b64 s[20:21], 0
	v_mov_b32_e32 v21, s17
	v_cmp_ne_u32_e64 s[0:1], 1, v0
	s_mov_b32 s17, 0xd2511f53
	s_mov_b32 s36, 0x9e3779b9
	;; [unrolled: 1-line block ×11, first 2 shown]
	v_mov_b32_e32 v23, 0x3ecccdef
	s_mov_b32 s46, 0x3f317218
	s_movk_i32 s47, 0x204
	s_mov_b32 s48, 0x7f800000
	s_mov_b32 s49, 0x42b17218
	;; [unrolled: 1-line block ×4, first 2 shown]
	s_brev_b32 s52, -2
	s_movk_i32 s53, 0x7fff
	s_mov_b32 s54, 0xf800000
	v_mov_b32_e32 v26, 0x260
	s_mov_b32 s55, 0x646e171e
	s_mov_b32 s56, 0x5384540f
	;; [unrolled: 1-line block ×9, first 2 shown]
	v_mov_b32_e32 v27, 0x37000000
	v_mov_b32_e32 v28, 0x7f800000
	;; [unrolled: 1-line block ×8, first 2 shown]
	s_branch .LBB142_4
.LBB142_2:                              ;   in Loop: Header=BB142_4 Depth=1
	s_or_b64 exec, exec, s[4:5]
.LBB142_3:                              ;   in Loop: Header=BB142_4 Depth=1
	s_or_b64 exec, exec, s[6:7]
	v_mul_lo_u32 v1, v34, s31
	v_cndmask_b32_e64 v4, 0, v1, s[2:3]
	v_mov_b32_e32 v5, v3
	v_lshlrev_b64 v[4:5], 1, v[4:5]
	v_mov_b32_e32 v1, s11
	v_add_co_u32_e32 v4, vcc, s10, v4
	v_addc_co_u32_e32 v5, vcc, v1, v5, vcc
	v_lshlrev_b32_e32 v1, 16, v0
	v_cmp_ngt_f32_e32 vcc, s58, v1
	v_add_u32_e32 v34, s35, v34
	v_cndmask_b32_e32 v0, v33, v0, vcc
	v_cmp_le_u32_e32 vcc, s30, v34
	s_or_b64 s[20:21], vcc, s[20:21]
	global_store_short v[4:5], v0, off
	s_andn2_b64 exec, exec, s[20:21]
	s_cbranch_execz .LBB142_30
.LBB142_4:                              ; =>This Loop Header: Depth=1
                                        ;     Child Loop BB142_15 Depth 2
	v_sub_u32_e32 v0, s30, v34
	v_mul_lo_u32 v1, v34, s33
	v_cmp_lt_i32_e64 s[2:3], 0, v0
	v_cndmask_b32_e64 v0, 0, v1, s[2:3]
	v_mov_b32_e32 v1, v3
	v_lshlrev_b64 v[0:1], 1, v[0:1]
	v_add_co_u32_e32 v0, vcc, s16, v0
	v_addc_co_u32_e32 v1, vcc, v21, v1, vcc
	global_load_ushort v4, v[0:1], off
	s_and_b64 vcc, exec, s[0:1]
	v_pk_mov_b32 v[0:1], s[14:15], s[14:15] op_sel:[0,1]
	v_pk_mov_b32 v[24:25], s[12:13], s[12:13] op_sel:[0,1]
	s_cbranch_vccnz .LBB142_6
; %bb.5:                                ;   in Loop: Header=BB142_4 Depth=1
	v_pk_mov_b32 v[0:1], s[14:15], s[14:15] op_sel:[0,1]
	flat_load_dwordx2 v[0:1], v[0:1]
	v_pk_mov_b32 v[6:7], s[12:13], s[12:13] op_sel:[0,1]
	flat_load_dwordx2 v[24:25], v[6:7]
	v_mov_b32_e32 v5, s19
	s_waitcnt vmcnt(0) lgkmcnt(0)
	v_add_co_u32_e32 v0, vcc, s18, v0
	v_addc_co_u32_e32 v1, vcc, v1, v5, vcc
.LBB142_6:                              ;   in Loop: Header=BB142_4 Depth=1
	v_and_b32_e32 v37, 3, v0
	v_alignbit_b32 v0, v1, v0, 2
	v_mad_u64_u32 v[8:9], s[4:5], v0, s17, 0
	v_lshrrev_b32_e32 v1, 2, v1
	v_xor_b32_e32 v5, v9, v25
	v_xor_b32_e32 v7, v22, v24
	v_mov_b32_e32 v6, v25
	v_xor_b32_e32 v7, v7, v1
	v_mad_u64_u32 v[12:13], s[4:5], v5, s34, 0
	v_add_co_u32_e32 v40, vcc, s36, v24
	v_add_co_u32_e32 v39, vcc, s37, v6
	v_mad_u64_u32 v[10:11], s[4:5], v7, s17, 0
	v_xor_b32_e32 v5, v20, v13
	v_xor_b32_e32 v5, v5, v40
	v_xor_b32_e32 v7, v39, v11
	v_xor_b32_e32 v7, v7, v8
	v_add_co_u32_e32 v41, vcc, s39, v6
	v_mad_u64_u32 v[8:9], s[4:5], v5, s17, 0
	v_add_co_u32_e32 v42, vcc, s38, v24
	v_mad_u64_u32 v[14:15], s[4:5], v7, s34, 0
	v_xor_b32_e32 v7, v41, v9
	v_xor_b32_e32 v5, v42, v15
	v_xor_b32_e32 v7, v7, v10
	v_xor_b32_e32 v5, v5, v12
	v_add_co_u32_e32 v44, vcc, s40, v24
	v_mad_u64_u32 v[12:13], s[4:5], v7, s34, 0
	;; [unrolled: 8-line block ×7, first 2 shown]
	v_add_co_u32_e32 v54, vcc, s62, v24
	v_mad_u64_u32 v[8:9], s[4:5], v8, s34, 0
	v_xor_b32_e32 v7, v53, v7
	v_xor_b32_e32 v5, v54, v9
	;; [unrolled: 1-line block ×4, first 2 shown]
	v_mad_u64_u32 v[18:19], s[4:5], v7, s34, 0
	v_add_u32_e32 v35, 0x8ff34781, v24
	v_mad_u64_u32 v[16:17], s[4:5], v5, s17, 0
	v_xor_b32_e32 v5, v19, v8
	v_add_u32_e32 v36, 0x96a522ad, v25
	v_xor_b32_e32 v8, v35, v5
	v_xor_b32_e32 v5, v17, v6
	v_xor_b32_e32 v10, v36, v5
	s_waitcnt vmcnt(0)
	v_lshlrev_b32_e32 v17, 16, v4
	v_pk_mov_b32 v[6:7], v[2:3], v[2:3] op_sel:[0,1]
	v_mov_b32_e32 v9, v18
	v_mov_b32_e32 v11, v16
	v_cmp_gt_f32_e32 vcc, 1.0, v17
	s_mov_b64 s[4:5], -1
	v_mov_b32_e32 v38, 1.0
	v_pk_mov_b32 v[4:5], v[0:1], v[0:1] op_sel:[0,1]
                                        ; implicit-def: $sgpr6
	s_and_saveexec_b64 s[22:23], vcc
	s_cbranch_execz .LBB142_12
; %bb.7:                                ;   in Loop: Header=BB142_4 Depth=1
	v_cmp_neq_f32_e32 vcc, 0, v17
	s_mov_b64 s[26:27], 0
	v_mov_b32_e32 v38, 1.0
                                        ; implicit-def: $vgpr4_vgpr5_vgpr6_vgpr7
	s_and_saveexec_b64 s[24:25], vcc
	s_cbranch_execz .LBB142_11
; %bb.8:                                ;   in Loop: Header=BB142_4 Depth=1
	v_add_u32_e32 v19, 1, v37
	v_pk_mov_b32 v[14:15], v[10:11], v[10:11] op_sel:[0,1]
	v_pk_mov_b32 v[6:7], v[2:3], v[2:3] op_sel:[0,1]
	v_cmp_eq_u32_e32 vcc, 4, v19
	v_pk_mov_b32 v[12:13], v[8:9], v[8:9] op_sel:[0,1]
	v_pk_mov_b32 v[4:5], v[0:1], v[0:1] op_sel:[0,1]
	s_and_saveexec_b64 s[4:5], vcc
	s_cbranch_execz .LBB142_10
; %bb.9:                                ;   in Loop: Header=BB142_4 Depth=1
	v_add_co_u32_e32 v4, vcc, 1, v0
	v_cndmask_b32_e64 v0, 0, 1, vcc
	v_addc_co_u32_e32 v5, vcc, 0, v1, vcc
	v_cmp_eq_u32_e32 vcc, 0, v5
	v_cndmask_b32_e32 v0, 0, v0, vcc
	v_add_u32_e32 v6, v0, v2
	v_cmp_eq_u32_e32 vcc, 0, v6
	v_cndmask_b32_e32 v7, 0, v0, vcc
	v_mad_u64_u32 v[0:1], s[6:7], v4, s17, 0
	v_mad_u64_u32 v[12:13], s[6:7], v6, s34, 0
	v_xor_b32_e32 v9, v13, v24
	v_xor_b32_e32 v1, v1, v25
	v_xor_b32_e32 v9, v5, v9
	v_xor_b32_e32 v1, v7, v1
	v_mad_u64_u32 v[14:15], s[6:7], v9, s17, 0
	v_mad_u64_u32 v[56:57], s[6:7], v1, s34, 0
	v_xor_b32_e32 v1, v40, v57
	v_xor_b32_e32 v9, v39, v15
	v_xor_b32_e32 v1, v1, v12
	v_xor_b32_e32 v9, v9, v0
	;; [unrolled: 6-line block ×9, first 2 shown]
	v_mad_u64_u32 v[38:39], s[6:7], v9, s17, 0
	v_mad_u64_u32 v[40:41], s[6:7], v1, s34, 0
	v_xor_b32_e32 v1, v41, v12
	v_xor_b32_e32 v0, v39, v0
	v_mov_b32_e32 v19, 0
	v_xor_b32_e32 v12, v35, v1
	v_xor_b32_e32 v14, v36, v0
	v_mov_b32_e32 v13, v40
	v_mov_b32_e32 v15, v38
.LBB142_10:                             ;   in Loop: Header=BB142_4 Depth=1
	s_or_b64 exec, exec, s[4:5]
	v_cmp_eq_u32_e32 vcc, 1, v37
	v_cndmask_b32_e32 v0, v8, v18, vcc
	v_cmp_eq_u32_e32 vcc, 2, v37
	v_cndmask_b32_e32 v0, v0, v10, vcc
	;; [unrolled: 2-line block ×3, first 2 shown]
	v_div_scale_f32 v1, s[4:5], v17, v17, 1.0
	v_cvt_f32_u32_e32 v0, v0
	v_rcp_f32_e32 v8, v1
	v_mov_b32_e32 v9, 0x2f800000
	s_mov_b64 s[26:27], exec
	v_fmac_f32_e32 v9, 0x2f800000, v0
	v_fma_f32 v0, -v1, v8, 1.0
	v_fmac_f32_e32 v8, v0, v8
	v_div_scale_f32 v0, vcc, 1.0, v17, 1.0
	v_sub_f32_e32 v18, 1.0, v9
	v_mul_f32_e32 v9, v0, v8
	v_fma_f32 v10, -v1, v9, v0
	v_fmac_f32_e32 v9, v10, v8
	v_fma_f32 v0, -v1, v9, v0
	v_div_fmas_f32 v0, v0, v8, v9
	v_div_fixup_f32 v48, v0, v17, 1.0
	v_cmp_eq_f32_e32 vcc, 1.0, v18
	v_cndmask_b32_e64 v49, v48, 1.0, vcc
	v_cmp_eq_f32_e64 s[4:5], 0, v49
	v_cndmask_b32_e64 v50, |v18|, 1.0, s[4:5]
	v_frexp_mant_f32_e32 v0, v50
	v_cmp_gt_f32_e64 s[6:7], s45, v0
	v_cndmask_b32_e64 v1, 1.0, 2.0, s[6:7]
	v_mul_f32_e32 v0, v0, v1
	v_add_f32_e32 v9, 1.0, v0
	v_rcp_f32_e32 v16, v9
	v_add_f32_e32 v1, -1.0, v9
	v_sub_f32_e32 v11, v0, v1
	v_add_f32_e32 v1, -1.0, v0
	v_mul_f32_e32 v37, v1, v16
	v_mul_f32_e32 v8, v9, v37
	v_fma_f32 v10, v37, v9, -v8
	v_fmac_f32_e32 v10, v37, v11
	v_add_f32_e32 v0, v8, v10
	v_sub_f32_e32 v9, v1, v0
	v_pk_add_f32 v[38:39], v[0:1], v[8:9] neg_lo:[0,1] neg_hi:[0,1]
	v_mov_b32_e32 v11, v0
	v_pk_add_f32 v[0:1], v[38:39], v[10:11] neg_lo:[0,1] neg_hi:[0,1]
	v_add_f32_e32 v0, v0, v1
	v_add_f32_e32 v0, v9, v0
	v_mul_f32_e32 v1, v16, v0
	v_add_f32_e32 v0, v37, v1
	v_sub_f32_e32 v8, v0, v37
	v_sub_f32_e32 v16, v1, v8
	v_mul_f32_e32 v1, v0, v0
	v_fma_f32 v9, v0, v0, -v1
	v_add_f32_e32 v8, v16, v16
	v_fmac_f32_e32 v9, v0, v8
	v_add_f32_e32 v8, v1, v9
	v_mov_b32_e32 v10, 0x3e91f4c4
	v_fmac_f32_e32 v10, 0x3e76c4e1, v8
	v_fma_f32 v10, v8, v10, v23
	v_sub_f32_e32 v1, v8, v1
	v_sub_f32_e32 v37, v9, v1
	v_mul_f32_e32 v1, v8, v10
	v_fma_f32 v9, v8, v10, -v1
	v_fmac_f32_e32 v9, v37, v10
	v_add_f32_e32 v10, v1, v9
	v_add_f32_e32 v11, 0x3f2aaaaa, v10
	v_sub_f32_e32 v1, v10, v1
	v_sub_f32_e32 v1, v9, v1
	v_add_f32_e32 v9, 0xbf2aaaaa, v11
	v_add_f32_e32 v1, 0x31739010, v1
	v_sub_f32_e32 v9, v10, v9
	v_pk_mul_f32 v[38:39], v[0:1], v[8:9]
	v_fma_f32 v10, v8, v0, -v38
	v_pk_add_f32 v[40:41], v[0:1], v[8:9]
	v_fmac_f32_e32 v10, v8, v16
	v_mov_b32_e32 v39, v41
	v_fmac_f32_e32 v10, v37, v0
	v_pk_add_f32 v[8:9], v[38:39], v[10:11]
	v_sub_f32_e32 v1, v8, v38
	v_sub_f32_e32 v1, v10, v1
	;; [unrolled: 1-line block ×3, first 2 shown]
	v_add_f32_e32 v37, v41, v10
	v_mov_b32_e32 v10, v9
	v_pk_mul_f32 v[10:11], v[8:9], v[10:11]
	v_cvt_f64_f32_e32 v[38:39], v50
	v_frexp_exp_i32_f64_e32 v11, v[38:39]
	v_subbrev_co_u32_e64 v11, s[6:7], 0, v11, s[6:7]
	v_cvt_f32_i32_e32 v11, v11
	v_fma_f32 v38, v8, v9, -v10
	v_fmac_f32_e32 v38, v8, v37
	v_fmac_f32_e32 v38, v1, v9
	v_mul_f32_e32 v8, 0x3f317218, v11
	v_fma_f32 v40, v11, s46, -v8
	v_fmac_f32_e32 v40, 0xb102e308, v11
	v_ldexp_f32 v41, v0, 1
	v_add_f32_e32 v9, v10, v38
	v_pk_add_f32 v[0:1], v[8:9], v[40:41]
	v_mov_b32_e32 v42, v9
	v_mov_b32_e32 v43, v1
	;; [unrolled: 1-line block ×3, first 2 shown]
	v_pk_add_f32 v[10:11], v[42:43], v[10:11] neg_lo:[0,1] neg_hi:[0,1]
	v_mov_b32_e32 v39, v9
	v_ldexp_f32 v16, v16, 1
	v_pk_add_f32 v[10:11], v[38:39], v[10:11] neg_lo:[0,1] neg_hi:[0,1]
	v_add_f32_e32 v9, v16, v10
	v_add_f32_e32 v9, v9, v11
	v_pk_add_f32 v[10:11], v[0:1], v[8:9] neg_lo:[0,1] neg_hi:[0,1]
	v_pk_add_f32 v[38:39], v[0:1], v[8:9]
	v_mov_b32_e32 v42, v10
	v_mov_b32_e32 v43, v39
	;; [unrolled: 1-line block ×3, first 2 shown]
	v_pk_add_f32 v[42:43], v[40:41], v[42:43]
	v_mov_b32_e32 v8, v43
	v_pk_add_f32 v[44:45], v[8:9], v[0:1] neg_lo:[0,1] neg_hi:[0,1]
	v_mov_b32_e32 v37, v44
	v_mov_b32_e32 v42, v39
	;; [unrolled: 1-line block ×4, first 2 shown]
	v_pk_add_f32 v[10:11], v[40:41], v[10:11] neg_lo:[0,1] neg_hi:[0,1]
	v_pk_add_f32 v[46:47], v[38:39], v[36:37] neg_lo:[0,1] neg_hi:[0,1]
	;; [unrolled: 1-line block ×3, first 2 shown]
	v_mov_b32_e32 v40, v9
	v_pk_add_f32 v[0:1], v[40:41], v[0:1] neg_lo:[0,1] neg_hi:[0,1]
	v_mov_b32_e32 v46, v10
	v_pk_add_f32 v[38:39], v[46:47], v[0:1]
	v_mov_b32_e32 v16, v39
	v_pk_add_f32 v[40:41], v[38:39], v[16:17]
	v_pk_add_f32 v[8:9], v[8:9], v[40:41]
	v_mov_b32_e32 v11, v43
	v_mov_b32_e32 v39, v8
	v_pk_add_f32 v[42:43], v[38:39], v[10:11] neg_lo:[0,1] neg_hi:[0,1]
	v_mov_b32_e32 v1, v40
	v_sub_f32_e32 v9, v38, v42
	v_pk_add_f32 v[0:1], v[0:1], v[42:43] neg_lo:[0,1] neg_hi:[0,1]
	v_sub_f32_e32 v9, v10, v9
	v_add_f32_e32 v0, v0, v9
	v_add_f32_e32 v0, v0, v1
	;; [unrolled: 1-line block ×3, first 2 shown]
	v_sub_f32_e32 v8, v1, v8
	v_sub_f32_e32 v0, v0, v8
	v_mul_f32_e32 v8, v49, v1
	v_fma_f32 v1, v49, v1, -v8
	v_fmac_f32_e32 v1, v49, v0
	v_add_f32_e32 v0, v8, v1
	v_cmp_class_f32_e64 s[6:7], v8, s47
	v_sub_f32_e32 v9, v0, v8
	v_cndmask_b32_e64 v0, v0, v8, s[6:7]
	v_cmp_eq_f32_e64 s[6:7], s49, v0
	v_cndmask_b32_e64 v8, 0, v27, s[6:7]
	v_sub_f32_e32 v1, v1, v9
	v_sub_f32_e32 v9, v0, v8
	v_mul_f32_e32 v10, 0x3fb8aa3b, v9
	v_fma_f32 v11, v9, s50, -v10
	v_rndne_f32_e32 v16, v10
	v_fmac_f32_e32 v11, 0x32a5705f, v9
	v_sub_f32_e32 v10, v10, v16
	v_add_f32_e32 v10, v10, v11
	v_exp_f32_e32 v10, v10
	v_cvt_i32_f32_e32 v11, v16
	v_cmp_neq_f32_e64 s[6:7], |v0|, s48
	v_cndmask_b32_e64 v0, 0, v1, s[6:7]
	v_cmp_ngt_f32_e64 s[6:7], s51, v9
	v_ldexp_f32 v1, v10, v11
	v_cndmask_b32_e64 v1, 0, v1, s[6:7]
	v_cmp_nlt_f32_e64 s[6:7], s49, v9
	v_add_f32_e32 v0, v8, v0
	v_cndmask_b32_e64 v1, v28, v1, s[6:7]
	v_fma_f32 v0, v1, v0, v1
	v_cmp_class_f32_e64 s[6:7], v1, s47
	v_trunc_f32_e32 v8, v49
	v_cndmask_b32_e64 v0, v0, v1, s[6:7]
	v_cndmask_b32_e64 v1, v18, 1.0, s[4:5]
	v_cmp_eq_f32_e64 s[4:5], v8, v49
	v_mul_f32_e32 v8, 0.5, v49
	v_trunc_f32_e32 v9, v8
	v_cmp_neq_f32_e64 s[6:7], v9, v8
	s_and_b64 s[6:7], s[4:5], s[6:7]
	v_cndmask_b32_e64 v8, 1.0, v1, s[6:7]
	v_bfi_b32 v0, s52, v0, v8
	v_cndmask_b32_e64 v8, v29, v0, s[4:5]
	v_cmp_gt_f32_e64 s[4:5], 0, v1
	v_cndmask_b32_e64 v0, v0, v8, s[4:5]
	v_cndmask_b32_e64 v8, |v48|, 1.0, vcc
	v_cmp_neq_f32_e32 vcc, v49, v8
	v_cmp_gt_f32_e64 s[4:5], 1.0, v50
	s_xor_b64 s[4:5], vcc, s[4:5]
	v_cndmask_b32_e64 v9, v8, 0, s[4:5]
	v_cmp_eq_f32_e32 vcc, 1.0, v50
	v_cmp_eq_f32_e64 s[4:5], 0, v1
	v_cmp_gt_f32_e64 s[8:9], 0, v49
	v_cndmask_b32_e32 v9, v9, v50, vcc
	v_cmp_eq_f32_e32 vcc, s48, v8
	s_xor_b64 s[8:9], s[8:9], s[4:5]
	v_cndmask_b32_e32 v0, v0, v9, vcc
	v_cmp_eq_f32_e32 vcc, s48, v50
	v_cndmask_b32_e64 v8, v28, 0, s[8:9]
	v_cndmask_b32_e64 v1, 0, v1, s[6:7]
	v_bfi_b32 v1, s52, v8, v1
	s_or_b64 vcc, vcc, s[4:5]
	v_cndmask_b32_e32 v38, v0, v1, vcc
	v_add_f32_e32 v0, 1.0, v17
	v_bfe_u32 v1, v0, 16, 1
	v_add3_u32 v0, v0, v1, s53
	v_pk_mov_b32 v[8:9], v[12:13], v[12:13] op_sel:[0,1]
	v_and_b32_e32 v17, 0xffff0000, v0
	v_pk_mov_b32 v[10:11], v[14:15], v[14:15] op_sel:[0,1]
	v_mov_b32_e32 v37, v19
.LBB142_11:                             ;   in Loop: Header=BB142_4 Depth=1
	s_or_b64 exec, exec, s[24:25]
	s_mov_b32 s6, 0
	s_orn2_b64 s[4:5], s[26:27], exec
.LBB142_12:                             ;   in Loop: Header=BB142_4 Depth=1
	s_or_b64 exec, exec, s[22:23]
	v_mov_b32_e32 v0, s6
	s_and_saveexec_b64 s[6:7], s[4:5]
	s_cbranch_execz .LBB142_3
; %bb.13:                               ;   in Loop: Header=BB142_4 Depth=1
	v_add_f32_e32 v39, 0xbeaaaaab, v17
	v_mul_f32_e32 v0, 0x41100000, v39
	v_mul_f32_e32 v1, 0x4f800000, v0
	v_cmp_gt_f32_e32 vcc, s54, v0
	v_cndmask_b32_e32 v0, v0, v1, vcc
	v_sqrt_f32_e32 v1, v0
	v_add_u32_e32 v41, 0x9e3779b9, v24
	v_add_u32_e32 v42, 0xbb67ae85, v25
	;; [unrolled: 1-line block ×3, first 2 shown]
	v_add_u32_e32 v12, -1, v1
	v_fma_f32 v14, -v12, v1, v0
	v_add_u32_e32 v13, 1, v1
	v_cmp_ge_f32_e64 s[4:5], 0, v14
	v_cndmask_b32_e64 v12, v1, v12, s[4:5]
	v_fma_f32 v1, -v13, v1, v0
	v_cmp_lt_f32_e64 s[4:5], 0, v1
	v_cndmask_b32_e64 v1, v12, v13, s[4:5]
	v_mul_f32_e32 v12, 0x37800000, v1
	v_cndmask_b32_e32 v1, v1, v12, vcc
	v_cmp_class_f32_e32 vcc, v0, v26
	v_cndmask_b32_e32 v0, v1, v0, vcc
	v_div_scale_f32 v1, s[4:5], v0, v0, 1.0
	v_rcp_f32_e32 v12, v1
	v_add_u32_e32 v44, 0x76cf5d0a, v25
	v_add_u32_e32 v45, 0xdaa66d2b, v24
	;; [unrolled: 1-line block ×3, first 2 shown]
	v_fma_f32 v13, -v1, v12, 1.0
	v_fmac_f32_e32 v12, v13, v12
	v_div_scale_f32 v13, vcc, 1.0, v0, 1.0
	v_mul_f32_e32 v14, v13, v12
	v_fma_f32 v15, -v1, v14, v13
	v_fmac_f32_e32 v14, v15, v12
	v_fma_f32 v1, -v1, v14, v13
	v_div_fmas_f32 v1, v1, v12, v14
	v_div_fixup_f32 v40, v1, v0, 1.0
	v_add_u32_e32 v47, 0x78dde6e4, v24
	v_add_u32_e32 v48, 0xed9eba14, v25
	;; [unrolled: 1-line block ×10, first 2 shown]
	s_mov_b64 s[8:9], 0
	v_mov_b32_e32 v57, 0
	s_mov_b64 s[26:27], 0
                                        ; implicit-def: $sgpr22_sgpr23
                                        ; implicit-def: $sgpr24_sgpr25
                                        ; implicit-def: $vgpr0
	s_branch .LBB142_15
.LBB142_14:                             ;   in Loop: Header=BB142_15 Depth=2
	s_or_b64 exec, exec, s[26:27]
	s_and_b64 s[4:5], exec, s[4:5]
	s_or_b64 s[8:9], s[4:5], s[8:9]
	s_andn2_b64 s[4:5], s[22:23], exec
	s_and_b64 s[22:23], s[24:25], exec
	v_pk_mov_b32 v[8:9], v[12:13], v[12:13] op_sel:[0,1]
	s_or_b64 s[22:23], s[4:5], s[22:23]
	s_mov_b64 s[26:27], 0
	v_mov_b32_e32 v37, v16
	v_pk_mov_b32 v[10:11], v[14:15], v[14:15] op_sel:[0,1]
	s_andn2_b64 exec, exec, s[8:9]
	s_cbranch_execz .LBB142_26
.LBB142_15:                             ;   Parent Loop BB142_4 Depth=1
                                        ; =>  This Inner Loop Header: Depth=2
	v_cmp_eq_u32_e32 vcc, 0, v57
	v_mov_b32_e32 v1, v0
	v_mov_b32_e32 v57, 0
	s_and_saveexec_b64 s[28:29], vcc
	s_cbranch_execz .LBB142_21
; %bb.16:                               ;   in Loop: Header=BB142_15 Depth=2
	v_add_u32_e32 v0, 1, v37
	v_pk_mov_b32 v[14:15], v[10:11], v[10:11] op_sel:[0,1]
	v_cmp_eq_u32_e32 vcc, 4, v0
	v_pk_mov_b32 v[12:13], v[8:9], v[8:9] op_sel:[0,1]
	s_and_saveexec_b64 s[4:5], vcc
	s_cbranch_execz .LBB142_18
; %bb.17:                               ;   in Loop: Header=BB142_15 Depth=2
	v_add_co_u32_e32 v4, vcc, 1, v4
	v_cndmask_b32_e64 v1, 0, 1, vcc
	v_addc_co_u32_e32 v5, vcc, 0, v5, vcc
	v_cmp_eq_u32_e32 vcc, 0, v5
	v_cndmask_b32_e32 v1, 0, v1, vcc
	v_add_u32_e32 v6, v1, v6
	v_cmp_eq_u32_e32 vcc, 0, v6
	v_cndmask_b32_e32 v1, 0, v1, vcc
	v_mad_u64_u32 v[12:13], s[64:65], v4, s17, 0
	v_mad_u64_u32 v[14:15], s[64:65], v6, s34, 0
	v_add_u32_e32 v7, v1, v7
	v_xor_b32_e32 v1, v15, v24
	v_xor_b32_e32 v13, v13, v25
	v_xor_b32_e32 v1, v5, v1
	v_xor_b32_e32 v13, v7, v13
	v_mad_u64_u32 v[16:17], s[64:65], v1, s17, 0
	v_mad_u64_u32 v[18:19], s[64:65], v13, s34, 0
	v_xor_b32_e32 v1, v19, v14
	v_xor_b32_e32 v12, v17, v12
	v_xor_b32_e32 v1, v41, v1
	v_xor_b32_e32 v14, v42, v12
	v_mad_u64_u32 v[12:13], s[64:65], v1, s17, 0
	v_mad_u64_u32 v[14:15], s[64:65], v14, s34, 0
	;; [unrolled: 6-line block ×9, first 2 shown]
	v_xor_b32_e32 v1, v19, v12
	v_xor_b32_e32 v12, v35, v1
	;; [unrolled: 1-line block ×3, first 2 shown]
	v_mov_b32_e32 v0, 0
	v_xor_b32_e32 v14, v36, v1
	v_mov_b32_e32 v13, v18
	v_mov_b32_e32 v15, v16
.LBB142_18:                             ;   in Loop: Header=BB142_15 Depth=2
	s_or_b64 exec, exec, s[4:5]
	v_add_u32_e32 v58, 1, v0
	v_pk_mov_b32 v[18:19], v[14:15], v[14:15] op_sel:[0,1]
	v_cmp_eq_u32_e32 vcc, 4, v58
	v_pk_mov_b32 v[16:17], v[12:13], v[12:13] op_sel:[0,1]
	s_and_saveexec_b64 s[4:5], vcc
	s_cbranch_execz .LBB142_20
; %bb.19:                               ;   in Loop: Header=BB142_15 Depth=2
	v_add_co_u32_e32 v4, vcc, 1, v4
	v_cndmask_b32_e64 v1, 0, 1, vcc
	v_addc_co_u32_e32 v5, vcc, 0, v5, vcc
	v_cmp_eq_u32_e32 vcc, 0, v5
	v_cndmask_b32_e32 v1, 0, v1, vcc
	v_add_u32_e32 v6, v1, v6
	v_cmp_eq_u32_e32 vcc, 0, v6
	v_cndmask_b32_e32 v1, 0, v1, vcc
	v_mad_u64_u32 v[16:17], s[64:65], v4, s17, 0
	v_mad_u64_u32 v[18:19], s[64:65], v6, s34, 0
	v_add_u32_e32 v7, v1, v7
	v_xor_b32_e32 v1, v19, v24
	v_xor_b32_e32 v17, v17, v25
	v_xor_b32_e32 v1, v5, v1
	v_xor_b32_e32 v17, v7, v17
	v_mad_u64_u32 v[60:61], s[64:65], v1, s17, 0
	v_mad_u64_u32 v[62:63], s[64:65], v17, s34, 0
	v_xor_b32_e32 v1, v63, v18
	v_xor_b32_e32 v16, v61, v16
	v_xor_b32_e32 v1, v41, v1
	v_xor_b32_e32 v18, v42, v16
	v_mad_u64_u32 v[16:17], s[64:65], v1, s17, 0
	v_mad_u64_u32 v[18:19], s[64:65], v18, s34, 0
	;; [unrolled: 6-line block ×9, first 2 shown]
	v_xor_b32_e32 v1, v63, v16
	v_xor_b32_e32 v16, v35, v1
	;; [unrolled: 1-line block ×3, first 2 shown]
	v_mov_b32_e32 v58, 0
	v_xor_b32_e32 v18, v36, v1
	v_mov_b32_e32 v17, v62
	v_mov_b32_e32 v19, v60
.LBB142_20:                             ;   in Loop: Header=BB142_15 Depth=2
	s_or_b64 exec, exec, s[4:5]
	v_cmp_eq_u32_e32 vcc, 1, v37
	v_cndmask_b32_e32 v1, v8, v9, vcc
	v_cmp_eq_u32_e32 vcc, 2, v37
	v_cndmask_b32_e32 v1, v1, v10, vcc
	;; [unrolled: 2-line block ×3, first 2 shown]
	v_cvt_f32_u32_e32 v1, v1
	v_cmp_eq_u32_e32 vcc, 1, v0
	v_mov_b32_e32 v9, 0x2f800000
	v_cndmask_b32_e32 v8, v12, v13, vcc
	v_cmp_eq_u32_e32 vcc, 2, v0
	v_fmac_f32_e32 v9, 0x2f800000, v1
	v_cndmask_b32_e32 v8, v8, v14, vcc
	v_cmp_gt_f32_e32 vcc, s58, v9
	v_cndmask_b32_e32 v1, 1.0, v30, vcc
	v_mul_f32_e32 v1, v9, v1
	v_log_f32_e32 v1, v1
	v_cmp_eq_u32_e64 s[4:5], 3, v0
	v_cndmask_b32_e64 v0, v8, v15, s[4:5]
	v_cvt_f32_u32_e32 v0, v0
	v_mul_f32_e32 v8, 0x3f317217, v1
	v_fma_f32 v9, v1, s59, -v8
	v_fmac_f32_e32 v9, 0x3377d1cf, v1
	v_add_f32_e32 v8, v8, v9
	v_cmp_lt_f32_e64 s[4:5], |v1|, s48
	v_cndmask_b32_e64 v1, v1, v8, s[4:5]
	v_cndmask_b32_e32 v8, 0, v31, vcc
	v_sub_f32_e32 v1, v1, v8
	v_mul_f32_e32 v1, -2.0, v1
	v_mul_f32_e32 v8, 0x4f800000, v1
	v_cmp_gt_f32_e32 vcc, s54, v1
	v_cndmask_b32_e32 v8, v1, v8, vcc
	v_sqrt_f32_e32 v1, v8
	v_mov_b32_e32 v9, 0x30c90fdb
	v_fmac_f32_e32 v9, 0x30c90fdb, v0
	v_mov_b32_e32 v57, 1
	v_add_u32_e32 v0, -1, v1
	v_fma_f32 v10, -v0, v1, v8
	v_cmp_ge_f32_e64 s[4:5], 0, v10
	v_add_u32_e32 v10, 1, v1
	v_cndmask_b32_e64 v0, v1, v0, s[4:5]
	v_fma_f32 v1, -v10, v1, v8
	v_cmp_lt_f32_e64 s[4:5], 0, v1
	v_cndmask_b32_e64 v10, v0, v10, s[4:5]
	v_mul_f32_e32 v0, 0.15915494, v9
	v_sin_f32_e32 v1, v0
	v_cos_f32_e32 v0, v0
	v_mul_f32_e32 v11, 0x37800000, v10
	v_cndmask_b32_e32 v9, v10, v11, vcc
	v_cmp_class_f32_e32 vcc, v8, v26
	v_cndmask_b32_e32 v8, v9, v8, vcc
	v_pk_mul_f32 v[0:1], v[8:9], v[0:1] op_sel_hi:[0,1]
	v_pk_mov_b32 v[8:9], v[16:17], v[16:17] op_sel:[0,1]
	v_pk_mov_b32 v[10:11], v[18:19], v[18:19] op_sel:[0,1]
	v_mov_b32_e32 v37, v58
.LBB142_21:                             ;   in Loop: Header=BB142_15 Depth=2
	s_or_b64 exec, exec, s[28:29]
	v_fma_f32 v17, v40, v1, 1.0
	v_cmp_nge_f32_e32 vcc, 0, v17
	s_or_b64 s[26:27], vcc, s[26:27]
	s_andn2_b64 exec, exec, s[26:27]
	s_cbranch_execnz .LBB142_15
; %bb.22:                               ;   in Loop: Header=BB142_15 Depth=2
	s_or_b64 exec, exec, s[26:27]
	v_add_u32_e32 v16, 1, v37
	v_pk_mov_b32 v[14:15], v[10:11], v[10:11] op_sel:[0,1]
	v_cmp_eq_u32_e32 vcc, 4, v16
	v_pk_mov_b32 v[12:13], v[8:9], v[8:9] op_sel:[0,1]
	s_and_saveexec_b64 s[4:5], vcc
	s_cbranch_execz .LBB142_24
; %bb.23:                               ;   in Loop: Header=BB142_15 Depth=2
	v_add_co_u32_e32 v4, vcc, 1, v4
	v_cndmask_b32_e64 v12, 0, 1, vcc
	v_addc_co_u32_e32 v5, vcc, 0, v5, vcc
	v_cmp_eq_u32_e32 vcc, 0, v5
	v_cndmask_b32_e32 v12, 0, v12, vcc
	v_add_u32_e32 v6, v12, v6
	v_cmp_eq_u32_e32 vcc, 0, v6
	v_cndmask_b32_e32 v12, 0, v12, vcc
	v_add_u32_e32 v7, v12, v7
	v_mad_u64_u32 v[12:13], s[26:27], v4, s17, 0
	v_mad_u64_u32 v[14:15], s[26:27], v6, s34, 0
	v_xor_b32_e32 v15, v15, v24
	v_xor_b32_e32 v13, v13, v25
	v_xor_b32_e32 v15, v5, v15
	v_xor_b32_e32 v13, v7, v13
	v_mad_u64_u32 v[18:19], s[26:27], v15, s17, 0
	v_mad_u64_u32 v[58:59], s[26:27], v13, s34, 0
	v_xor_b32_e32 v13, v59, v14
	v_xor_b32_e32 v12, v19, v12
	v_xor_b32_e32 v13, v41, v13
	v_xor_b32_e32 v14, v42, v12
	;; [unrolled: 6-line block ×9, first 2 shown]
	v_mad_u64_u32 v[18:19], s[26:27], v13, s17, 0
	v_mad_u64_u32 v[58:59], s[26:27], v15, s34, 0
	v_xor_b32_e32 v12, v59, v12
	v_xor_b32_e32 v13, v19, v14
	v_mov_b32_e32 v16, 0
	v_xor_b32_e32 v12, v35, v12
	v_xor_b32_e32 v14, v36, v13
	v_mov_b32_e32 v13, v58
	v_mov_b32_e32 v15, v18
.LBB142_24:                             ;   in Loop: Header=BB142_15 Depth=2
	s_or_b64 exec, exec, s[4:5]
	v_cmp_eq_u32_e32 vcc, 1, v37
	v_cndmask_b32_e32 v8, v8, v9, vcc
	v_cmp_eq_u32_e32 vcc, 2, v37
	v_cndmask_b32_e32 v8, v8, v10, vcc
	;; [unrolled: 2-line block ×3, first 2 shown]
	v_cvt_f32_u32_e32 v8, v8
	v_mul_f32_e32 v9, v17, v17
	v_mul_f32_e32 v17, v17, v9
	v_mov_b32_e32 v9, 0x2f800000
	v_fmac_f32_e32 v9, 0x2f800000, v8
	v_mul_f32_e32 v1, v1, v1
	v_sub_f32_e32 v8, 1.0, v9
	v_mul_f32_e32 v9, 0xbd0793de, v1
	v_fma_f32 v9, v1, v9, 1.0
	v_cmp_nlt_f32_e32 vcc, v8, v9
	s_mov_b64 s[4:5], -1
	s_or_b64 s[24:25], s[24:25], exec
	s_and_saveexec_b64 s[26:27], vcc
	s_cbranch_execz .LBB142_14
; %bb.25:                               ;   in Loop: Header=BB142_15 Depth=2
	v_cmp_gt_f32_e32 vcc, s58, v8
	v_cndmask_b32_e32 v9, 1.0, v30, vcc
	v_mul_f32_e32 v8, v8, v9
	v_log_f32_e32 v8, v8
	s_andn2_b64 s[24:25], s[24:25], exec
	v_mul_f32_e32 v9, 0x3f317217, v8
	v_fma_f32 v10, v8, s59, -v9
	v_fmac_f32_e32 v10, 0x3377d1cf, v8
	v_add_f32_e32 v9, v9, v10
	v_cmp_lt_f32_e64 s[4:5], |v8|, s48
	v_cndmask_b32_e64 v8, v8, v9, s[4:5]
	v_cmp_gt_f32_e64 s[4:5], s58, v17
	v_cndmask_b32_e64 v9, 1.0, v30, s[4:5]
	v_mul_f32_e32 v9, v17, v9
	v_log_f32_e32 v9, v9
	v_cndmask_b32_e32 v10, 0, v31, vcc
	v_sub_f32_e32 v8, v8, v10
	v_sub_f32_e32 v10, 1.0, v17
	v_mul_f32_e32 v11, 0x3f317217, v9
	v_fma_f32 v18, v9, s59, -v11
	v_fmac_f32_e32 v18, 0x3377d1cf, v9
	v_add_f32_e32 v11, v11, v18
	v_cmp_lt_f32_e64 vcc, |v9|, s48
	v_cndmask_b32_e32 v9, v9, v11, vcc
	v_cndmask_b32_e64 v11, 0, v31, s[4:5]
	v_sub_f32_e32 v9, v9, v11
	v_add_f32_e32 v9, v10, v9
	v_mul_f32_e32 v9, v39, v9
	v_fmac_f32_e32 v9, 0.5, v1
	v_cmp_lt_f32_e32 vcc, v8, v9
	s_orn2_b64 s[4:5], vcc, exec
	s_branch .LBB142_14
.LBB142_26:                             ;   in Loop: Header=BB142_4 Depth=1
	s_or_b64 exec, exec, s[8:9]
	v_mul_f32_e32 v0, v38, v39
	s_xor_b64 s[4:5], s[22:23], -1
	v_mul_f32_e32 v1, v0, v17
                                        ; implicit-def: $vgpr0
	s_and_saveexec_b64 s[8:9], s[4:5]
	s_xor_b64 s[4:5], exec, s[8:9]
; %bb.27:                               ;   in Loop: Header=BB142_4 Depth=1
	v_bfe_u32 v0, v1, 16, 1
	v_add3_u32 v0, v1, v0, s53
	v_lshrrev_b32_e32 v0, 16, v0
	v_cmp_o_f32_e32 vcc, v1, v1
	v_cndmask_b32_e32 v0, v32, v0, vcc
                                        ; implicit-def: $vgpr1
; %bb.28:                               ;   in Loop: Header=BB142_4 Depth=1
	s_andn2_saveexec_b64 s[4:5], s[4:5]
	s_cbranch_execz .LBB142_2
; %bb.29:                               ;   in Loop: Header=BB142_4 Depth=1
	v_bfe_u32 v0, v1, 16, 1
	v_add3_u32 v0, v1, v0, s53
	v_lshrrev_b32_e32 v0, 16, v0
	v_cmp_o_f32_e32 vcc, v1, v1
	v_cndmask_b32_e32 v0, v32, v0, vcc
	s_branch .LBB142_2
.LBB142_30:
	s_endpgm
	.section	.rodata,"a",@progbits
	.p2align	6, 0x0
	.amdhsa_kernel _ZN2at4cuda12_GLOBAL__N_121kernelPointwiseApply2IZN12_GLOBAL__N_117gamma_cuda_kernelIN3c108BFloat16EEEvRKNS_10TensorBaseES9_NS_15PhiloxCudaStateEEUlRS6_RKS6_E_S6_S6_jLi1ELi1ELi1ELi256ELi2EEEvNS0_6detail10TensorInfoIT0_T2_EENSG_IT1_SI_EESI_T_
		.amdhsa_group_segment_fixed_size 0
		.amdhsa_private_segment_fixed_size 0
		.amdhsa_kernarg_size 728
		.amdhsa_user_sgpr_count 6
		.amdhsa_user_sgpr_private_segment_buffer 1
		.amdhsa_user_sgpr_dispatch_ptr 0
		.amdhsa_user_sgpr_queue_ptr 0
		.amdhsa_user_sgpr_kernarg_segment_ptr 1
		.amdhsa_user_sgpr_dispatch_id 0
		.amdhsa_user_sgpr_flat_scratch_init 0
		.amdhsa_user_sgpr_kernarg_preload_length 0
		.amdhsa_user_sgpr_kernarg_preload_offset 0
		.amdhsa_user_sgpr_private_segment_size 0
		.amdhsa_uses_dynamic_stack 0
		.amdhsa_system_sgpr_private_segment_wavefront_offset 0
		.amdhsa_system_sgpr_workgroup_id_x 1
		.amdhsa_system_sgpr_workgroup_id_y 0
		.amdhsa_system_sgpr_workgroup_id_z 0
		.amdhsa_system_sgpr_workgroup_info 0
		.amdhsa_system_vgpr_workitem_id 0
		.amdhsa_next_free_vgpr 64
		.amdhsa_next_free_sgpr 66
		.amdhsa_accum_offset 64
		.amdhsa_reserve_vcc 1
		.amdhsa_reserve_flat_scratch 0
		.amdhsa_float_round_mode_32 0
		.amdhsa_float_round_mode_16_64 0
		.amdhsa_float_denorm_mode_32 3
		.amdhsa_float_denorm_mode_16_64 3
		.amdhsa_dx10_clamp 1
		.amdhsa_ieee_mode 1
		.amdhsa_fp16_overflow 0
		.amdhsa_tg_split 0
		.amdhsa_exception_fp_ieee_invalid_op 0
		.amdhsa_exception_fp_denorm_src 0
		.amdhsa_exception_fp_ieee_div_zero 0
		.amdhsa_exception_fp_ieee_overflow 0
		.amdhsa_exception_fp_ieee_underflow 0
		.amdhsa_exception_fp_ieee_inexact 0
		.amdhsa_exception_int_div_zero 0
	.end_amdhsa_kernel
	.section	.text._ZN2at4cuda12_GLOBAL__N_121kernelPointwiseApply2IZN12_GLOBAL__N_117gamma_cuda_kernelIN3c108BFloat16EEEvRKNS_10TensorBaseES9_NS_15PhiloxCudaStateEEUlRS6_RKS6_E_S6_S6_jLi1ELi1ELi1ELi256ELi2EEEvNS0_6detail10TensorInfoIT0_T2_EENSG_IT1_SI_EESI_T_,"axG",@progbits,_ZN2at4cuda12_GLOBAL__N_121kernelPointwiseApply2IZN12_GLOBAL__N_117gamma_cuda_kernelIN3c108BFloat16EEEvRKNS_10TensorBaseES9_NS_15PhiloxCudaStateEEUlRS6_RKS6_E_S6_S6_jLi1ELi1ELi1ELi256ELi2EEEvNS0_6detail10TensorInfoIT0_T2_EENSG_IT1_SI_EESI_T_,comdat
.Lfunc_end142:
	.size	_ZN2at4cuda12_GLOBAL__N_121kernelPointwiseApply2IZN12_GLOBAL__N_117gamma_cuda_kernelIN3c108BFloat16EEEvRKNS_10TensorBaseES9_NS_15PhiloxCudaStateEEUlRS6_RKS6_E_S6_S6_jLi1ELi1ELi1ELi256ELi2EEEvNS0_6detail10TensorInfoIT0_T2_EENSG_IT1_SI_EESI_T_, .Lfunc_end142-_ZN2at4cuda12_GLOBAL__N_121kernelPointwiseApply2IZN12_GLOBAL__N_117gamma_cuda_kernelIN3c108BFloat16EEEvRKNS_10TensorBaseES9_NS_15PhiloxCudaStateEEUlRS6_RKS6_E_S6_S6_jLi1ELi1ELi1ELi256ELi2EEEvNS0_6detail10TensorInfoIT0_T2_EENSG_IT1_SI_EESI_T_
                                        ; -- End function
	.section	.AMDGPU.csdata,"",@progbits
; Kernel info:
; codeLenInByte = 5160
; NumSgprs: 70
; NumVgprs: 64
; NumAgprs: 0
; TotalNumVgprs: 64
; ScratchSize: 0
; MemoryBound: 0
; FloatMode: 240
; IeeeMode: 1
; LDSByteSize: 0 bytes/workgroup (compile time only)
; SGPRBlocks: 8
; VGPRBlocks: 7
; NumSGPRsForWavesPerEU: 70
; NumVGPRsForWavesPerEU: 64
; AccumOffset: 64
; Occupancy: 8
; WaveLimiterHint : 1
; COMPUTE_PGM_RSRC2:SCRATCH_EN: 0
; COMPUTE_PGM_RSRC2:USER_SGPR: 6
; COMPUTE_PGM_RSRC2:TRAP_HANDLER: 0
; COMPUTE_PGM_RSRC2:TGID_X_EN: 1
; COMPUTE_PGM_RSRC2:TGID_Y_EN: 0
; COMPUTE_PGM_RSRC2:TGID_Z_EN: 0
; COMPUTE_PGM_RSRC2:TIDIG_COMP_CNT: 0
; COMPUTE_PGM_RSRC3_GFX90A:ACCUM_OFFSET: 15
; COMPUTE_PGM_RSRC3_GFX90A:TG_SPLIT: 0
	.section	.text._ZN2at4cuda12_GLOBAL__N_121kernelPointwiseApply2IZN12_GLOBAL__N_117gamma_cuda_kernelIN3c108BFloat16EEEvRKNS_10TensorBaseES9_NS_15PhiloxCudaStateEEUlRS6_RKS6_E_S6_S6_jLi1ELi2ELi1ELi256ELi2EEEvNS0_6detail10TensorInfoIT0_T2_EENSG_IT1_SI_EESI_T_,"axG",@progbits,_ZN2at4cuda12_GLOBAL__N_121kernelPointwiseApply2IZN12_GLOBAL__N_117gamma_cuda_kernelIN3c108BFloat16EEEvRKNS_10TensorBaseES9_NS_15PhiloxCudaStateEEUlRS6_RKS6_E_S6_S6_jLi1ELi2ELi1ELi256ELi2EEEvNS0_6detail10TensorInfoIT0_T2_EENSG_IT1_SI_EESI_T_,comdat
	.globl	_ZN2at4cuda12_GLOBAL__N_121kernelPointwiseApply2IZN12_GLOBAL__N_117gamma_cuda_kernelIN3c108BFloat16EEEvRKNS_10TensorBaseES9_NS_15PhiloxCudaStateEEUlRS6_RKS6_E_S6_S6_jLi1ELi2ELi1ELi256ELi2EEEvNS0_6detail10TensorInfoIT0_T2_EENSG_IT1_SI_EESI_T_ ; -- Begin function _ZN2at4cuda12_GLOBAL__N_121kernelPointwiseApply2IZN12_GLOBAL__N_117gamma_cuda_kernelIN3c108BFloat16EEEvRKNS_10TensorBaseES9_NS_15PhiloxCudaStateEEUlRS6_RKS6_E_S6_S6_jLi1ELi2ELi1ELi256ELi2EEEvNS0_6detail10TensorInfoIT0_T2_EENSG_IT1_SI_EESI_T_
	.p2align	8
	.type	_ZN2at4cuda12_GLOBAL__N_121kernelPointwiseApply2IZN12_GLOBAL__N_117gamma_cuda_kernelIN3c108BFloat16EEEvRKNS_10TensorBaseES9_NS_15PhiloxCudaStateEEUlRS6_RKS6_E_S6_S6_jLi1ELi2ELi1ELi256ELi2EEEvNS0_6detail10TensorInfoIT0_T2_EENSG_IT1_SI_EESI_T_,@function
_ZN2at4cuda12_GLOBAL__N_121kernelPointwiseApply2IZN12_GLOBAL__N_117gamma_cuda_kernelIN3c108BFloat16EEEvRKNS_10TensorBaseES9_NS_15PhiloxCudaStateEEUlRS6_RKS6_E_S6_S6_jLi1ELi2ELi1ELi256ELi2EEEvNS0_6detail10TensorInfoIT0_T2_EENSG_IT1_SI_EESI_T_: ; @_ZN2at4cuda12_GLOBAL__N_121kernelPointwiseApply2IZN12_GLOBAL__N_117gamma_cuda_kernelIN3c108BFloat16EEEvRKNS_10TensorBaseES9_NS_15PhiloxCudaStateEEUlRS6_RKS6_E_S6_S6_jLi1ELi2ELi1ELi256ELi2EEEvNS0_6detail10TensorInfoIT0_T2_EENSG_IT1_SI_EESI_T_
; %bb.0:
	s_load_dword s2, s[4:5], 0x1e4
	s_load_dword s30, s[4:5], 0x1b0
	s_add_u32 s0, s4, 0x1d8
	s_addc_u32 s1, s5, 0
	s_waitcnt lgkmcnt(0)
	s_and_b32 s2, s2, 0xffff
	s_mul_i32 s6, s6, s2
	v_add_u32_e32 v2, s6, v0
	v_cmp_gt_u32_e32 vcc, s30, v2
	s_and_saveexec_b64 s[6:7], vcc
	s_cbranch_execz .LBB143_32
; %bb.1:
	s_load_dwordx2 s[12:13], s[4:5], 0x0
	s_load_dword s31, s[4:5], 0x6c
	s_load_dwordx2 s[14:15], s[4:5], 0xd8
	s_load_dword s33, s[4:5], 0xe4
	;; [unrolled: 2-line block ×3, first 2 shown]
	s_load_dwordx2 s[18:19], s[4:5], 0x144
	s_load_dwordx4 s[8:11], s[4:5], 0x1b8
	s_waitcnt lgkmcnt(0)
	v_cvt_f32_u32_e32 v0, s33
	s_load_dword s35, s[0:1], 0x0
	s_mov_b32 s34, 0xcd9e8d57
	s_bitcmp1_b32 s3, 0
	v_rcp_iflag_f32_e32 v0, v0
	v_mad_u64_u32 v[20:21], s[0:1], v2, s34, 0
	s_waitcnt lgkmcnt(0)
	s_mul_i32 s35, s35, s2
	v_mul_f32_e32 v0, 0x4f7ffffe, v0
	v_cvt_u32_f32_e32 v0, v0
	s_cselect_b64 s[0:1], -1, 0
	s_sub_i32 s2, 0, s33
	v_mov_b32_e32 v22, v21
	v_mul_lo_u32 v1, s2, v0
	v_mul_hi_u32 v1, v0, v1
	v_add_u32_e32 v21, v0, v1
	v_cndmask_b32_e64 v0, 0, 1, s[0:1]
	v_mov_b32_e32 v3, 0
	s_mov_b64 s[20:21], 0
	v_mov_b32_e32 v23, s15
	v_cmp_ne_u32_e64 s[0:1], 1, v0
	s_mov_b32 s15, 0xd2511f53
	s_mov_b32 s36, 0x9e3779b9
	;; [unrolled: 1-line block ×9, first 2 shown]
	v_mov_b32_e32 v28, 0x3ecccdef
	s_mov_b32 s44, 0x3f317218
	s_movk_i32 s45, 0x204
	s_mov_b32 s46, 0x7f800000
	s_mov_b32 s47, 0x42b17218
	;; [unrolled: 1-line block ×4, first 2 shown]
	s_brev_b32 s50, -2
	s_movk_i32 s51, 0x7fff
	s_mov_b32 s52, 0xf800000
	v_mov_b32_e32 v29, 0x260
	s_mov_b32 s53, 0x1715609d
	s_mov_b32 s54, 0x646e171e
	;; [unrolled: 1-line block ×11, first 2 shown]
	v_mov_b32_e32 v30, 0x37000000
	v_mov_b32_e32 v31, 0x7f800000
	;; [unrolled: 1-line block ×8, first 2 shown]
	s_branch .LBB143_4
.LBB143_2:                              ;   in Loop: Header=BB143_4 Depth=1
	s_or_b64 exec, exec, s[2:3]
.LBB143_3:                              ;   in Loop: Header=BB143_4 Depth=1
	s_or_b64 exec, exec, s[4:5]
	v_lshlrev_b64 v[4:5], 1, v[24:25]
	v_mov_b32_e32 v1, s13
	v_add_co_u32_e32 v4, vcc, s12, v4
	v_addc_co_u32_e32 v5, vcc, v1, v5, vcc
	v_lshlrev_b32_e32 v1, 16, v0
	v_cmp_ngt_f32_e32 vcc, s57, v1
	v_add_u32_e32 v37, s35, v37
	v_cndmask_b32_e32 v0, v36, v0, vcc
	v_cmp_le_u32_e32 vcc, s30, v37
	s_or_b64 s[20:21], vcc, s[20:21]
	global_store_short v[4:5], v0, off
	s_andn2_b64 exec, exec, s[20:21]
	s_cbranch_execz .LBB143_32
.LBB143_4:                              ; =>This Loop Header: Depth=1
                                        ;     Child Loop BB143_17 Depth 2
	v_sub_u32_e32 v0, s30, v37
	v_pk_mov_b32 v[24:25], 0, 0
	v_cmp_lt_i32_e32 vcc, 0, v0
	v_pk_mov_b32 v[0:1], v[24:25], v[24:25] op_sel:[0,1]
	s_and_saveexec_b64 s[2:3], vcc
	s_cbranch_execz .LBB143_6
; %bb.5:                                ;   in Loop: Header=BB143_4 Depth=1
	v_mul_hi_u32 v0, v37, v21
	v_mul_lo_u32 v1, v0, s33
	v_sub_u32_e32 v1, v37, v1
	v_add_u32_e32 v4, 1, v0
	v_cmp_le_u32_e32 vcc, s33, v1
	v_cndmask_b32_e32 v0, v0, v4, vcc
	v_subrev_u32_e32 v4, s33, v1
	v_cndmask_b32_e32 v1, v1, v4, vcc
	v_add_u32_e32 v4, 1, v0
	v_cmp_le_u32_e32 vcc, s33, v1
	v_cndmask_b32_e32 v1, v0, v4, vcc
	v_mul_lo_u32 v0, v1, s33
	v_sub_u32_e32 v0, v37, v0
	v_mul_lo_u32 v0, v0, s19
	v_mad_u64_u32 v[0:1], s[4:5], v1, s18, v[0:1]
	v_mul_lo_u32 v24, v37, s31
	v_mov_b32_e32 v25, v3
	v_mov_b32_e32 v1, v3
.LBB143_6:                              ;   in Loop: Header=BB143_4 Depth=1
	s_or_b64 exec, exec, s[2:3]
	v_lshlrev_b64 v[0:1], 1, v[0:1]
	v_add_co_u32_e32 v0, vcc, s14, v0
	v_addc_co_u32_e32 v1, vcc, v23, v1, vcc
	global_load_ushort v4, v[0:1], off
	s_and_b64 vcc, exec, s[0:1]
	v_pk_mov_b32 v[0:1], s[10:11], s[10:11] op_sel:[0,1]
	v_pk_mov_b32 v[26:27], s[8:9], s[8:9] op_sel:[0,1]
	s_cbranch_vccnz .LBB143_8
; %bb.7:                                ;   in Loop: Header=BB143_4 Depth=1
	v_pk_mov_b32 v[0:1], s[10:11], s[10:11] op_sel:[0,1]
	flat_load_dwordx2 v[0:1], v[0:1]
	v_pk_mov_b32 v[6:7], s[8:9], s[8:9] op_sel:[0,1]
	flat_load_dwordx2 v[26:27], v[6:7]
	v_mov_b32_e32 v5, s17
	s_waitcnt vmcnt(0) lgkmcnt(0)
	v_add_co_u32_e32 v0, vcc, s16, v0
	v_addc_co_u32_e32 v1, vcc, v1, v5, vcc
.LBB143_8:                              ;   in Loop: Header=BB143_4 Depth=1
	v_and_b32_e32 v40, 3, v0
	v_alignbit_b32 v0, v1, v0, 2
	v_mad_u64_u32 v[8:9], s[2:3], v0, s15, 0
	v_lshrrev_b32_e32 v1, 2, v1
	v_xor_b32_e32 v5, v9, v27
	v_xor_b32_e32 v7, v22, v26
	v_mov_b32_e32 v6, v27
	v_xor_b32_e32 v7, v7, v1
	v_mad_u64_u32 v[12:13], s[2:3], v5, s34, 0
	v_add_co_u32_e32 v43, vcc, s36, v26
	v_add_co_u32_e32 v42, vcc, s37, v6
	v_mad_u64_u32 v[10:11], s[2:3], v7, s15, 0
	v_xor_b32_e32 v5, v20, v13
	v_xor_b32_e32 v5, v5, v43
	v_xor_b32_e32 v7, v42, v11
	v_xor_b32_e32 v7, v7, v8
	v_add_co_u32_e32 v44, vcc, s39, v6
	v_mad_u64_u32 v[8:9], s[2:3], v5, s15, 0
	v_add_co_u32_e32 v45, vcc, s38, v26
	v_mad_u64_u32 v[14:15], s[2:3], v7, s34, 0
	v_xor_b32_e32 v7, v44, v9
	v_xor_b32_e32 v5, v45, v15
	v_xor_b32_e32 v7, v7, v10
	v_xor_b32_e32 v5, v5, v12
	v_add_co_u32_e32 v47, vcc, s40, v26
	v_mad_u64_u32 v[12:13], s[2:3], v7, s34, 0
	;; [unrolled: 8-line block ×7, first 2 shown]
	v_add_co_u32_e32 v57, vcc, s62, v26
	v_mad_u64_u32 v[8:9], s[2:3], v8, s34, 0
	v_xor_b32_e32 v7, v56, v7
	v_xor_b32_e32 v5, v57, v9
	;; [unrolled: 1-line block ×4, first 2 shown]
	v_mad_u64_u32 v[18:19], s[2:3], v7, s34, 0
	v_add_u32_e32 v38, 0x8ff34781, v26
	v_mad_u64_u32 v[16:17], s[2:3], v5, s15, 0
	v_xor_b32_e32 v5, v19, v8
	v_add_u32_e32 v39, 0x96a522ad, v27
	v_xor_b32_e32 v8, v38, v5
	v_xor_b32_e32 v5, v17, v6
	;; [unrolled: 1-line block ×3, first 2 shown]
	s_waitcnt vmcnt(0)
	v_lshlrev_b32_e32 v17, 16, v4
	v_pk_mov_b32 v[6:7], v[2:3], v[2:3] op_sel:[0,1]
	v_mov_b32_e32 v9, v18
	v_mov_b32_e32 v11, v16
	v_cmp_gt_f32_e32 vcc, 1.0, v17
	s_mov_b64 s[2:3], -1
	v_mov_b32_e32 v41, 1.0
	v_pk_mov_b32 v[4:5], v[0:1], v[0:1] op_sel:[0,1]
                                        ; implicit-def: $sgpr4
	s_and_saveexec_b64 s[22:23], vcc
	s_cbranch_execz .LBB143_14
; %bb.9:                                ;   in Loop: Header=BB143_4 Depth=1
	v_cmp_neq_f32_e32 vcc, 0, v17
	s_mov_b64 s[26:27], 0
	v_mov_b32_e32 v41, 1.0
                                        ; implicit-def: $vgpr4_vgpr5_vgpr6_vgpr7
	s_and_saveexec_b64 s[24:25], vcc
	s_cbranch_execz .LBB143_13
; %bb.10:                               ;   in Loop: Header=BB143_4 Depth=1
	v_add_u32_e32 v19, 1, v40
	v_pk_mov_b32 v[14:15], v[10:11], v[10:11] op_sel:[0,1]
	v_pk_mov_b32 v[6:7], v[2:3], v[2:3] op_sel:[0,1]
	v_cmp_eq_u32_e32 vcc, 4, v19
	v_pk_mov_b32 v[12:13], v[8:9], v[8:9] op_sel:[0,1]
	v_pk_mov_b32 v[4:5], v[0:1], v[0:1] op_sel:[0,1]
	s_and_saveexec_b64 s[2:3], vcc
	s_cbranch_execz .LBB143_12
; %bb.11:                               ;   in Loop: Header=BB143_4 Depth=1
	v_add_co_u32_e32 v4, vcc, 1, v0
	v_cndmask_b32_e64 v0, 0, 1, vcc
	v_addc_co_u32_e32 v5, vcc, 0, v1, vcc
	v_cmp_eq_u32_e32 vcc, 0, v5
	v_cndmask_b32_e32 v0, 0, v0, vcc
	v_add_u32_e32 v6, v0, v2
	v_cmp_eq_u32_e32 vcc, 0, v6
	v_cndmask_b32_e32 v7, 0, v0, vcc
	v_mad_u64_u32 v[0:1], s[4:5], v4, s15, 0
	v_mad_u64_u32 v[12:13], s[4:5], v6, s34, 0
	v_xor_b32_e32 v9, v13, v26
	v_xor_b32_e32 v1, v1, v27
	v_xor_b32_e32 v9, v5, v9
	v_xor_b32_e32 v1, v7, v1
	v_mad_u64_u32 v[14:15], s[4:5], v9, s15, 0
	v_mad_u64_u32 v[58:59], s[4:5], v1, s34, 0
	v_xor_b32_e32 v1, v43, v59
	v_xor_b32_e32 v9, v42, v15
	v_xor_b32_e32 v1, v1, v12
	v_xor_b32_e32 v9, v9, v0
	;; [unrolled: 6-line block ×9, first 2 shown]
	v_mad_u64_u32 v[42:43], s[4:5], v9, s15, 0
	v_mad_u64_u32 v[44:45], s[4:5], v1, s34, 0
	v_xor_b32_e32 v1, v45, v12
	v_xor_b32_e32 v0, v43, v0
	v_mov_b32_e32 v19, 0
	v_xor_b32_e32 v12, v38, v1
	v_xor_b32_e32 v14, v39, v0
	v_mov_b32_e32 v13, v44
	v_mov_b32_e32 v15, v42
.LBB143_12:                             ;   in Loop: Header=BB143_4 Depth=1
	s_or_b64 exec, exec, s[2:3]
	v_cmp_eq_u32_e32 vcc, 1, v40
	v_cndmask_b32_e32 v0, v8, v18, vcc
	v_cmp_eq_u32_e32 vcc, 2, v40
	v_cndmask_b32_e32 v0, v0, v10, vcc
	;; [unrolled: 2-line block ×3, first 2 shown]
	v_div_scale_f32 v1, s[2:3], v17, v17, 1.0
	v_cvt_f32_u32_e32 v0, v0
	v_rcp_f32_e32 v8, v1
	v_mov_b32_e32 v9, 0x2f800000
	s_mov_b64 s[26:27], exec
	v_fmac_f32_e32 v9, 0x2f800000, v0
	v_fma_f32 v0, -v1, v8, 1.0
	v_fmac_f32_e32 v8, v0, v8
	v_div_scale_f32 v0, vcc, 1.0, v17, 1.0
	v_sub_f32_e32 v18, 1.0, v9
	v_mul_f32_e32 v9, v0, v8
	v_fma_f32 v10, -v1, v9, v0
	v_fmac_f32_e32 v9, v10, v8
	v_fma_f32 v0, -v1, v9, v0
	v_div_fmas_f32 v0, v0, v8, v9
	v_div_fixup_f32 v50, v0, v17, 1.0
	v_cmp_eq_f32_e32 vcc, 1.0, v18
	v_cndmask_b32_e64 v51, v50, 1.0, vcc
	v_cmp_eq_f32_e64 s[2:3], 0, v51
	v_cndmask_b32_e64 v52, |v18|, 1.0, s[2:3]
	v_frexp_mant_f32_e32 v0, v52
	v_cmp_gt_f32_e64 s[4:5], s43, v0
	v_cndmask_b32_e64 v1, 1.0, 2.0, s[4:5]
	v_mul_f32_e32 v0, v0, v1
	v_add_f32_e32 v9, 1.0, v0
	v_rcp_f32_e32 v16, v9
	v_add_f32_e32 v1, -1.0, v9
	v_sub_f32_e32 v11, v0, v1
	v_add_f32_e32 v1, -1.0, v0
	v_mul_f32_e32 v42, v1, v16
	v_mul_f32_e32 v8, v9, v42
	v_fma_f32 v10, v42, v9, -v8
	v_fmac_f32_e32 v10, v42, v11
	v_add_f32_e32 v0, v8, v10
	v_sub_f32_e32 v9, v1, v0
	v_pk_add_f32 v[40:41], v[0:1], v[8:9] neg_lo:[0,1] neg_hi:[0,1]
	v_mov_b32_e32 v11, v0
	v_pk_add_f32 v[0:1], v[40:41], v[10:11] neg_lo:[0,1] neg_hi:[0,1]
	v_add_f32_e32 v0, v0, v1
	v_add_f32_e32 v0, v9, v0
	v_mul_f32_e32 v1, v16, v0
	v_add_f32_e32 v0, v42, v1
	v_sub_f32_e32 v8, v0, v42
	v_sub_f32_e32 v16, v1, v8
	v_mul_f32_e32 v1, v0, v0
	v_fma_f32 v9, v0, v0, -v1
	v_add_f32_e32 v8, v16, v16
	v_fmac_f32_e32 v9, v0, v8
	v_add_f32_e32 v8, v1, v9
	v_mov_b32_e32 v10, 0x3e91f4c4
	v_fmac_f32_e32 v10, 0x3e76c4e1, v8
	v_fma_f32 v10, v8, v10, v28
	v_sub_f32_e32 v1, v8, v1
	v_sub_f32_e32 v44, v9, v1
	v_mul_f32_e32 v1, v8, v10
	v_fma_f32 v9, v8, v10, -v1
	v_fmac_f32_e32 v9, v44, v10
	v_add_f32_e32 v10, v1, v9
	v_add_f32_e32 v11, 0x3f2aaaaa, v10
	v_sub_f32_e32 v1, v10, v1
	v_sub_f32_e32 v1, v9, v1
	v_add_f32_e32 v9, 0xbf2aaaaa, v11
	v_add_f32_e32 v1, 0x31739010, v1
	v_sub_f32_e32 v9, v10, v9
	v_pk_mul_f32 v[40:41], v[0:1], v[8:9]
	v_fma_f32 v10, v8, v0, -v40
	v_pk_add_f32 v[42:43], v[0:1], v[8:9]
	v_fmac_f32_e32 v10, v8, v16
	v_mov_b32_e32 v41, v43
	v_fmac_f32_e32 v10, v44, v0
	v_pk_add_f32 v[8:9], v[40:41], v[10:11]
	v_sub_f32_e32 v1, v8, v40
	v_sub_f32_e32 v1, v10, v1
	v_sub_f32_e32 v10, v11, v9
	v_add_f32_e32 v42, v43, v10
	v_mov_b32_e32 v10, v9
	v_pk_mul_f32 v[10:11], v[8:9], v[10:11]
	v_cvt_f64_f32_e32 v[40:41], v52
	v_frexp_exp_i32_f64_e32 v11, v[40:41]
	v_subbrev_co_u32_e64 v11, s[4:5], 0, v11, s[4:5]
	v_cvt_f32_i32_e32 v11, v11
	v_fma_f32 v40, v8, v9, -v10
	v_fmac_f32_e32 v40, v8, v42
	v_fmac_f32_e32 v40, v1, v9
	v_mul_f32_e32 v8, 0x3f317218, v11
	v_fma_f32 v42, v11, s44, -v8
	v_fmac_f32_e32 v42, 0xb102e308, v11
	v_ldexp_f32 v43, v0, 1
	v_add_f32_e32 v9, v10, v40
	v_pk_add_f32 v[0:1], v[8:9], v[42:43]
	v_mov_b32_e32 v44, v9
	v_mov_b32_e32 v45, v1
	;; [unrolled: 1-line block ×3, first 2 shown]
	v_pk_add_f32 v[10:11], v[44:45], v[10:11] neg_lo:[0,1] neg_hi:[0,1]
	v_mov_b32_e32 v41, v9
	v_ldexp_f32 v16, v16, 1
	v_pk_add_f32 v[10:11], v[40:41], v[10:11] neg_lo:[0,1] neg_hi:[0,1]
	v_add_f32_e32 v9, v16, v10
	v_add_f32_e32 v9, v9, v11
	v_pk_add_f32 v[10:11], v[0:1], v[8:9] neg_lo:[0,1] neg_hi:[0,1]
	v_pk_add_f32 v[40:41], v[0:1], v[8:9]
	v_mov_b32_e32 v44, v10
	v_mov_b32_e32 v45, v41
	;; [unrolled: 1-line block ×3, first 2 shown]
	v_pk_add_f32 v[44:45], v[42:43], v[44:45]
	v_mov_b32_e32 v8, v45
	v_pk_add_f32 v[46:47], v[8:9], v[0:1] neg_lo:[0,1] neg_hi:[0,1]
	v_mov_b32_e32 v47, v46
	v_mov_b32_e32 v44, v41
	;; [unrolled: 1-line block ×4, first 2 shown]
	v_pk_add_f32 v[10:11], v[42:43], v[10:11] neg_lo:[0,1] neg_hi:[0,1]
	v_pk_add_f32 v[48:49], v[40:41], v[46:47] neg_lo:[0,1] neg_hi:[0,1]
	;; [unrolled: 1-line block ×3, first 2 shown]
	v_mov_b32_e32 v42, v9
	v_pk_add_f32 v[0:1], v[42:43], v[0:1] neg_lo:[0,1] neg_hi:[0,1]
	v_mov_b32_e32 v48, v10
	v_pk_add_f32 v[40:41], v[48:49], v[0:1]
	v_mov_b32_e32 v16, v41
	v_pk_add_f32 v[42:43], v[40:41], v[16:17]
	v_pk_add_f32 v[8:9], v[8:9], v[42:43]
	v_mov_b32_e32 v11, v45
	v_mov_b32_e32 v41, v8
	v_pk_add_f32 v[44:45], v[40:41], v[10:11] neg_lo:[0,1] neg_hi:[0,1]
	v_mov_b32_e32 v1, v42
	v_sub_f32_e32 v9, v40, v44
	v_pk_add_f32 v[0:1], v[0:1], v[44:45] neg_lo:[0,1] neg_hi:[0,1]
	v_sub_f32_e32 v9, v10, v9
	v_add_f32_e32 v0, v0, v9
	v_add_f32_e32 v0, v0, v1
	;; [unrolled: 1-line block ×3, first 2 shown]
	v_sub_f32_e32 v8, v1, v8
	v_sub_f32_e32 v0, v0, v8
	v_mul_f32_e32 v8, v51, v1
	v_fma_f32 v1, v51, v1, -v8
	v_fmac_f32_e32 v1, v51, v0
	v_add_f32_e32 v0, v8, v1
	v_cmp_class_f32_e64 s[4:5], v8, s45
	v_sub_f32_e32 v9, v0, v8
	v_cndmask_b32_e64 v0, v0, v8, s[4:5]
	v_cmp_eq_f32_e64 s[4:5], s47, v0
	v_cndmask_b32_e64 v8, 0, v30, s[4:5]
	v_sub_f32_e32 v1, v1, v9
	v_sub_f32_e32 v9, v0, v8
	v_mul_f32_e32 v10, 0x3fb8aa3b, v9
	v_fma_f32 v11, v9, s48, -v10
	v_rndne_f32_e32 v16, v10
	v_fmac_f32_e32 v11, 0x32a5705f, v9
	v_sub_f32_e32 v10, v10, v16
	v_add_f32_e32 v10, v10, v11
	v_exp_f32_e32 v10, v10
	v_cvt_i32_f32_e32 v11, v16
	v_cmp_neq_f32_e64 s[4:5], |v0|, s46
	v_cndmask_b32_e64 v0, 0, v1, s[4:5]
	v_cmp_ngt_f32_e64 s[4:5], s49, v9
	v_ldexp_f32 v1, v10, v11
	v_cndmask_b32_e64 v1, 0, v1, s[4:5]
	v_cmp_nlt_f32_e64 s[4:5], s47, v9
	v_add_f32_e32 v0, v8, v0
	v_cndmask_b32_e64 v1, v31, v1, s[4:5]
	v_fma_f32 v0, v1, v0, v1
	v_cmp_class_f32_e64 s[4:5], v1, s45
	v_trunc_f32_e32 v8, v51
	v_cndmask_b32_e64 v0, v0, v1, s[4:5]
	v_cndmask_b32_e64 v1, v18, 1.0, s[2:3]
	v_cmp_eq_f32_e64 s[2:3], v8, v51
	v_mul_f32_e32 v8, 0.5, v51
	v_trunc_f32_e32 v9, v8
	v_cmp_neq_f32_e64 s[4:5], v9, v8
	s_and_b64 s[4:5], s[2:3], s[4:5]
	v_cndmask_b32_e64 v8, 1.0, v1, s[4:5]
	v_bfi_b32 v0, s50, v0, v8
	v_cndmask_b32_e64 v8, v32, v0, s[2:3]
	v_cmp_gt_f32_e64 s[2:3], 0, v1
	v_cndmask_b32_e64 v0, v0, v8, s[2:3]
	v_cndmask_b32_e64 v8, |v50|, 1.0, vcc
	v_cmp_neq_f32_e32 vcc, v51, v8
	v_cmp_gt_f32_e64 s[2:3], 1.0, v52
	s_xor_b64 s[2:3], vcc, s[2:3]
	v_cndmask_b32_e64 v9, v8, 0, s[2:3]
	v_cmp_eq_f32_e32 vcc, 1.0, v52
	v_cmp_eq_f32_e64 s[2:3], 0, v1
	v_cmp_gt_f32_e64 s[6:7], 0, v51
	v_cndmask_b32_e32 v9, v9, v52, vcc
	v_cmp_eq_f32_e32 vcc, s46, v8
	s_xor_b64 s[6:7], s[6:7], s[2:3]
	v_cndmask_b32_e32 v0, v0, v9, vcc
	v_cmp_eq_f32_e32 vcc, s46, v52
	v_cndmask_b32_e64 v8, v31, 0, s[6:7]
	v_cndmask_b32_e64 v1, 0, v1, s[4:5]
	v_bfi_b32 v1, s50, v8, v1
	s_or_b64 vcc, vcc, s[2:3]
	v_cndmask_b32_e32 v41, v0, v1, vcc
	v_add_f32_e32 v0, 1.0, v17
	v_bfe_u32 v1, v0, 16, 1
	v_add3_u32 v0, v0, v1, s51
	v_pk_mov_b32 v[8:9], v[12:13], v[12:13] op_sel:[0,1]
	v_and_b32_e32 v17, 0xffff0000, v0
	v_pk_mov_b32 v[10:11], v[14:15], v[14:15] op_sel:[0,1]
	v_mov_b32_e32 v40, v19
.LBB143_13:                             ;   in Loop: Header=BB143_4 Depth=1
	s_or_b64 exec, exec, s[24:25]
	s_mov_b32 s4, 0
	s_orn2_b64 s[2:3], s[26:27], exec
.LBB143_14:                             ;   in Loop: Header=BB143_4 Depth=1
	s_or_b64 exec, exec, s[22:23]
	v_mov_b32_e32 v0, s4
	s_and_saveexec_b64 s[4:5], s[2:3]
	s_cbranch_execz .LBB143_3
; %bb.15:                               ;   in Loop: Header=BB143_4 Depth=1
	v_add_f32_e32 v42, 0xbeaaaaab, v17
	v_mul_f32_e32 v0, 0x41100000, v42
	v_mul_f32_e32 v1, 0x4f800000, v0
	v_cmp_gt_f32_e32 vcc, s52, v0
	v_cndmask_b32_e32 v0, v0, v1, vcc
	v_sqrt_f32_e32 v1, v0
	v_add_u32_e32 v44, 0x9e3779b9, v26
	v_add_u32_e32 v45, 0xbb67ae85, v27
	v_add_u32_e32 v46, 0x3c6ef372, v26
	v_add_u32_e32 v12, -1, v1
	v_fma_f32 v14, -v12, v1, v0
	v_add_u32_e32 v13, 1, v1
	v_cmp_ge_f32_e64 s[2:3], 0, v14
	v_cndmask_b32_e64 v12, v1, v12, s[2:3]
	v_fma_f32 v1, -v13, v1, v0
	v_cmp_lt_f32_e64 s[2:3], 0, v1
	v_cndmask_b32_e64 v1, v12, v13, s[2:3]
	v_mul_f32_e32 v12, 0x37800000, v1
	v_cndmask_b32_e32 v1, v1, v12, vcc
	v_cmp_class_f32_e32 vcc, v0, v29
	v_cndmask_b32_e32 v0, v1, v0, vcc
	v_div_scale_f32 v1, s[2:3], v0, v0, 1.0
	v_rcp_f32_e32 v12, v1
	v_add_u32_e32 v47, 0x76cf5d0a, v27
	v_add_u32_e32 v48, 0xdaa66d2b, v26
	;; [unrolled: 1-line block ×3, first 2 shown]
	v_fma_f32 v13, -v1, v12, 1.0
	v_fmac_f32_e32 v12, v13, v12
	v_div_scale_f32 v13, vcc, 1.0, v0, 1.0
	v_mul_f32_e32 v14, v13, v12
	v_fma_f32 v15, -v1, v14, v13
	v_fmac_f32_e32 v14, v15, v12
	v_fma_f32 v1, -v1, v14, v13
	v_div_fmas_f32 v1, v1, v12, v14
	v_div_fixup_f32 v43, v1, v0, 1.0
	v_add_u32_e32 v50, 0x78dde6e4, v26
	v_add_u32_e32 v51, 0xed9eba14, v27
	;; [unrolled: 1-line block ×10, first 2 shown]
	s_mov_b64 s[6:7], 0
	v_mov_b32_e32 v60, 0
	s_mov_b64 s[26:27], 0
                                        ; implicit-def: $sgpr22_sgpr23
                                        ; implicit-def: $sgpr24_sgpr25
                                        ; implicit-def: $vgpr0
	s_branch .LBB143_17
.LBB143_16:                             ;   in Loop: Header=BB143_17 Depth=2
	s_or_b64 exec, exec, s[26:27]
	s_and_b64 s[2:3], exec, s[2:3]
	s_or_b64 s[6:7], s[2:3], s[6:7]
	s_andn2_b64 s[2:3], s[22:23], exec
	s_and_b64 s[22:23], s[24:25], exec
	v_pk_mov_b32 v[8:9], v[12:13], v[12:13] op_sel:[0,1]
	s_or_b64 s[22:23], s[2:3], s[22:23]
	s_mov_b64 s[26:27], 0
	v_mov_b32_e32 v40, v16
	v_pk_mov_b32 v[10:11], v[14:15], v[14:15] op_sel:[0,1]
	s_andn2_b64 exec, exec, s[6:7]
	s_cbranch_execz .LBB143_28
.LBB143_17:                             ;   Parent Loop BB143_4 Depth=1
                                        ; =>  This Inner Loop Header: Depth=2
	v_cmp_eq_u32_e32 vcc, 0, v60
	v_mov_b32_e32 v1, v0
	v_mov_b32_e32 v60, 0
	s_and_saveexec_b64 s[28:29], vcc
	s_cbranch_execz .LBB143_23
; %bb.18:                               ;   in Loop: Header=BB143_17 Depth=2
	v_add_u32_e32 v0, 1, v40
	v_pk_mov_b32 v[14:15], v[10:11], v[10:11] op_sel:[0,1]
	v_cmp_eq_u32_e32 vcc, 4, v0
	v_pk_mov_b32 v[12:13], v[8:9], v[8:9] op_sel:[0,1]
	s_and_saveexec_b64 s[2:3], vcc
	s_cbranch_execz .LBB143_20
; %bb.19:                               ;   in Loop: Header=BB143_17 Depth=2
	v_add_co_u32_e32 v4, vcc, 1, v4
	v_cndmask_b32_e64 v1, 0, 1, vcc
	v_addc_co_u32_e32 v5, vcc, 0, v5, vcc
	v_cmp_eq_u32_e32 vcc, 0, v5
	v_cndmask_b32_e32 v1, 0, v1, vcc
	v_add_u32_e32 v6, v1, v6
	v_cmp_eq_u32_e32 vcc, 0, v6
	v_cndmask_b32_e32 v1, 0, v1, vcc
	v_mad_u64_u32 v[12:13], s[64:65], v4, s15, 0
	v_mad_u64_u32 v[14:15], s[64:65], v6, s34, 0
	v_add_u32_e32 v7, v1, v7
	v_xor_b32_e32 v1, v15, v26
	v_xor_b32_e32 v13, v13, v27
	v_xor_b32_e32 v1, v5, v1
	v_xor_b32_e32 v13, v7, v13
	v_mad_u64_u32 v[16:17], s[64:65], v1, s15, 0
	v_mad_u64_u32 v[18:19], s[64:65], v13, s34, 0
	v_xor_b32_e32 v1, v19, v14
	v_xor_b32_e32 v12, v17, v12
	v_xor_b32_e32 v1, v44, v1
	v_xor_b32_e32 v14, v45, v12
	v_mad_u64_u32 v[12:13], s[64:65], v1, s15, 0
	v_mad_u64_u32 v[14:15], s[64:65], v14, s34, 0
	;; [unrolled: 6-line block ×9, first 2 shown]
	v_xor_b32_e32 v1, v19, v12
	v_xor_b32_e32 v12, v38, v1
	;; [unrolled: 1-line block ×3, first 2 shown]
	v_mov_b32_e32 v0, 0
	v_xor_b32_e32 v14, v39, v1
	v_mov_b32_e32 v13, v18
	v_mov_b32_e32 v15, v16
.LBB143_20:                             ;   in Loop: Header=BB143_17 Depth=2
	s_or_b64 exec, exec, s[2:3]
	v_add_u32_e32 v61, 1, v0
	v_pk_mov_b32 v[18:19], v[14:15], v[14:15] op_sel:[0,1]
	v_cmp_eq_u32_e32 vcc, 4, v61
	v_pk_mov_b32 v[16:17], v[12:13], v[12:13] op_sel:[0,1]
	s_and_saveexec_b64 s[2:3], vcc
	s_cbranch_execz .LBB143_22
; %bb.21:                               ;   in Loop: Header=BB143_17 Depth=2
	v_add_co_u32_e32 v4, vcc, 1, v4
	v_cndmask_b32_e64 v1, 0, 1, vcc
	v_addc_co_u32_e32 v5, vcc, 0, v5, vcc
	v_cmp_eq_u32_e32 vcc, 0, v5
	v_cndmask_b32_e32 v1, 0, v1, vcc
	v_add_u32_e32 v6, v1, v6
	v_cmp_eq_u32_e32 vcc, 0, v6
	v_cndmask_b32_e32 v1, 0, v1, vcc
	v_mad_u64_u32 v[16:17], s[64:65], v4, s15, 0
	v_mad_u64_u32 v[18:19], s[64:65], v6, s34, 0
	v_add_u32_e32 v7, v1, v7
	v_xor_b32_e32 v1, v19, v26
	v_xor_b32_e32 v17, v17, v27
	v_xor_b32_e32 v1, v5, v1
	v_xor_b32_e32 v17, v7, v17
	v_mad_u64_u32 v[62:63], s[64:65], v1, s15, 0
	v_mad_u64_u32 v[64:65], s[64:65], v17, s34, 0
	v_xor_b32_e32 v1, v65, v18
	v_xor_b32_e32 v16, v63, v16
	v_xor_b32_e32 v1, v44, v1
	v_xor_b32_e32 v18, v45, v16
	v_mad_u64_u32 v[16:17], s[64:65], v1, s15, 0
	v_mad_u64_u32 v[18:19], s[64:65], v18, s34, 0
	;; [unrolled: 6-line block ×9, first 2 shown]
	v_xor_b32_e32 v1, v65, v16
	v_xor_b32_e32 v16, v38, v1
	;; [unrolled: 1-line block ×3, first 2 shown]
	v_mov_b32_e32 v61, 0
	v_xor_b32_e32 v18, v39, v1
	v_mov_b32_e32 v17, v64
	v_mov_b32_e32 v19, v62
.LBB143_22:                             ;   in Loop: Header=BB143_17 Depth=2
	s_or_b64 exec, exec, s[2:3]
	v_cmp_eq_u32_e32 vcc, 1, v40
	v_cndmask_b32_e32 v1, v8, v9, vcc
	v_cmp_eq_u32_e32 vcc, 2, v40
	v_cndmask_b32_e32 v1, v1, v10, vcc
	;; [unrolled: 2-line block ×3, first 2 shown]
	v_cvt_f32_u32_e32 v1, v1
	v_cmp_eq_u32_e32 vcc, 1, v0
	v_mov_b32_e32 v9, 0x2f800000
	v_cndmask_b32_e32 v8, v12, v13, vcc
	v_cmp_eq_u32_e32 vcc, 2, v0
	v_fmac_f32_e32 v9, 0x2f800000, v1
	v_cndmask_b32_e32 v8, v8, v14, vcc
	v_cmp_gt_f32_e32 vcc, s57, v9
	v_cndmask_b32_e32 v1, 1.0, v33, vcc
	v_mul_f32_e32 v1, v9, v1
	v_log_f32_e32 v1, v1
	v_cmp_eq_u32_e64 s[2:3], 3, v0
	v_cndmask_b32_e64 v0, v8, v15, s[2:3]
	v_cvt_f32_u32_e32 v0, v0
	v_mul_f32_e32 v8, 0x3f317217, v1
	v_fma_f32 v9, v1, s58, -v8
	v_fmac_f32_e32 v9, 0x3377d1cf, v1
	v_add_f32_e32 v8, v8, v9
	v_cmp_lt_f32_e64 s[2:3], |v1|, s46
	v_cndmask_b32_e64 v1, v1, v8, s[2:3]
	v_cndmask_b32_e32 v8, 0, v34, vcc
	v_sub_f32_e32 v1, v1, v8
	v_mul_f32_e32 v1, -2.0, v1
	v_mul_f32_e32 v8, 0x4f800000, v1
	v_cmp_gt_f32_e32 vcc, s52, v1
	v_cndmask_b32_e32 v8, v1, v8, vcc
	v_sqrt_f32_e32 v1, v8
	v_mov_b32_e32 v9, 0x30c90fdb
	v_fmac_f32_e32 v9, 0x30c90fdb, v0
	v_mov_b32_e32 v60, 1
	v_add_u32_e32 v0, -1, v1
	v_fma_f32 v10, -v0, v1, v8
	v_cmp_ge_f32_e64 s[2:3], 0, v10
	v_add_u32_e32 v10, 1, v1
	v_cndmask_b32_e64 v0, v1, v0, s[2:3]
	v_fma_f32 v1, -v10, v1, v8
	v_cmp_lt_f32_e64 s[2:3], 0, v1
	v_cndmask_b32_e64 v10, v0, v10, s[2:3]
	v_mul_f32_e32 v0, 0.15915494, v9
	v_sin_f32_e32 v1, v0
	v_cos_f32_e32 v0, v0
	v_mul_f32_e32 v11, 0x37800000, v10
	v_cndmask_b32_e32 v9, v10, v11, vcc
	v_cmp_class_f32_e32 vcc, v8, v29
	v_cndmask_b32_e32 v8, v9, v8, vcc
	v_pk_mul_f32 v[0:1], v[8:9], v[0:1] op_sel_hi:[0,1]
	v_pk_mov_b32 v[8:9], v[16:17], v[16:17] op_sel:[0,1]
	v_pk_mov_b32 v[10:11], v[18:19], v[18:19] op_sel:[0,1]
	v_mov_b32_e32 v40, v61
.LBB143_23:                             ;   in Loop: Header=BB143_17 Depth=2
	s_or_b64 exec, exec, s[28:29]
	v_fma_f32 v17, v43, v1, 1.0
	v_cmp_nge_f32_e32 vcc, 0, v17
	s_or_b64 s[26:27], vcc, s[26:27]
	s_andn2_b64 exec, exec, s[26:27]
	s_cbranch_execnz .LBB143_17
; %bb.24:                               ;   in Loop: Header=BB143_17 Depth=2
	s_or_b64 exec, exec, s[26:27]
	v_add_u32_e32 v16, 1, v40
	v_pk_mov_b32 v[14:15], v[10:11], v[10:11] op_sel:[0,1]
	v_cmp_eq_u32_e32 vcc, 4, v16
	v_pk_mov_b32 v[12:13], v[8:9], v[8:9] op_sel:[0,1]
	s_and_saveexec_b64 s[2:3], vcc
	s_cbranch_execz .LBB143_26
; %bb.25:                               ;   in Loop: Header=BB143_17 Depth=2
	v_add_co_u32_e32 v4, vcc, 1, v4
	v_cndmask_b32_e64 v12, 0, 1, vcc
	v_addc_co_u32_e32 v5, vcc, 0, v5, vcc
	v_cmp_eq_u32_e32 vcc, 0, v5
	v_cndmask_b32_e32 v12, 0, v12, vcc
	v_add_u32_e32 v6, v12, v6
	v_cmp_eq_u32_e32 vcc, 0, v6
	v_cndmask_b32_e32 v12, 0, v12, vcc
	v_add_u32_e32 v7, v12, v7
	v_mad_u64_u32 v[12:13], s[26:27], v4, s15, 0
	v_mad_u64_u32 v[14:15], s[26:27], v6, s34, 0
	v_xor_b32_e32 v15, v15, v26
	v_xor_b32_e32 v13, v13, v27
	v_xor_b32_e32 v15, v5, v15
	v_xor_b32_e32 v13, v7, v13
	v_mad_u64_u32 v[18:19], s[26:27], v15, s15, 0
	v_mad_u64_u32 v[62:63], s[26:27], v13, s34, 0
	v_xor_b32_e32 v13, v63, v14
	v_xor_b32_e32 v12, v19, v12
	v_xor_b32_e32 v13, v44, v13
	v_xor_b32_e32 v14, v45, v12
	;; [unrolled: 6-line block ×9, first 2 shown]
	v_mad_u64_u32 v[18:19], s[26:27], v13, s15, 0
	v_mad_u64_u32 v[62:63], s[26:27], v15, s34, 0
	v_xor_b32_e32 v12, v63, v12
	v_xor_b32_e32 v13, v19, v14
	v_mov_b32_e32 v16, 0
	v_xor_b32_e32 v12, v38, v12
	v_xor_b32_e32 v14, v39, v13
	v_mov_b32_e32 v13, v62
	v_mov_b32_e32 v15, v18
.LBB143_26:                             ;   in Loop: Header=BB143_17 Depth=2
	s_or_b64 exec, exec, s[2:3]
	v_cmp_eq_u32_e32 vcc, 1, v40
	v_cndmask_b32_e32 v8, v8, v9, vcc
	v_cmp_eq_u32_e32 vcc, 2, v40
	v_cndmask_b32_e32 v8, v8, v10, vcc
	v_cmp_eq_u32_e32 vcc, 3, v40
	v_cndmask_b32_e32 v8, v8, v11, vcc
	v_cvt_f32_u32_e32 v8, v8
	v_mul_f32_e32 v9, v17, v17
	v_mul_f32_e32 v17, v17, v9
	v_mov_b32_e32 v9, 0x2f800000
	v_fmac_f32_e32 v9, 0x2f800000, v8
	v_mul_f32_e32 v1, v1, v1
	v_sub_f32_e32 v8, 1.0, v9
	v_mul_f32_e32 v9, 0xbd0793de, v1
	v_fma_f32 v9, v1, v9, 1.0
	v_cmp_nlt_f32_e32 vcc, v8, v9
	s_mov_b64 s[2:3], -1
	s_or_b64 s[24:25], s[24:25], exec
	s_and_saveexec_b64 s[26:27], vcc
	s_cbranch_execz .LBB143_16
; %bb.27:                               ;   in Loop: Header=BB143_17 Depth=2
	v_cmp_gt_f32_e32 vcc, s57, v8
	v_cndmask_b32_e32 v9, 1.0, v33, vcc
	v_mul_f32_e32 v8, v8, v9
	v_log_f32_e32 v8, v8
	s_andn2_b64 s[24:25], s[24:25], exec
	v_mul_f32_e32 v9, 0x3f317217, v8
	v_fma_f32 v10, v8, s58, -v9
	v_fmac_f32_e32 v10, 0x3377d1cf, v8
	v_add_f32_e32 v9, v9, v10
	v_cmp_lt_f32_e64 s[2:3], |v8|, s46
	v_cndmask_b32_e64 v8, v8, v9, s[2:3]
	v_cmp_gt_f32_e64 s[2:3], s57, v17
	v_cndmask_b32_e64 v9, 1.0, v33, s[2:3]
	v_mul_f32_e32 v9, v17, v9
	v_log_f32_e32 v9, v9
	v_cndmask_b32_e32 v10, 0, v34, vcc
	v_sub_f32_e32 v8, v8, v10
	v_sub_f32_e32 v10, 1.0, v17
	v_mul_f32_e32 v11, 0x3f317217, v9
	v_fma_f32 v18, v9, s58, -v11
	v_fmac_f32_e32 v18, 0x3377d1cf, v9
	v_add_f32_e32 v11, v11, v18
	v_cmp_lt_f32_e64 vcc, |v9|, s46
	v_cndmask_b32_e32 v9, v9, v11, vcc
	v_cndmask_b32_e64 v11, 0, v34, s[2:3]
	v_sub_f32_e32 v9, v9, v11
	v_add_f32_e32 v9, v10, v9
	v_mul_f32_e32 v9, v42, v9
	v_fmac_f32_e32 v9, 0.5, v1
	v_cmp_lt_f32_e32 vcc, v8, v9
	s_orn2_b64 s[2:3], vcc, exec
	s_branch .LBB143_16
.LBB143_28:                             ;   in Loop: Header=BB143_4 Depth=1
	s_or_b64 exec, exec, s[6:7]
	v_mul_f32_e32 v0, v41, v42
	s_xor_b64 s[2:3], s[22:23], -1
	v_mul_f32_e32 v1, v0, v17
                                        ; implicit-def: $vgpr0
	s_and_saveexec_b64 s[6:7], s[2:3]
	s_xor_b64 s[2:3], exec, s[6:7]
; %bb.29:                               ;   in Loop: Header=BB143_4 Depth=1
	v_bfe_u32 v0, v1, 16, 1
	v_add3_u32 v0, v1, v0, s51
	v_lshrrev_b32_e32 v0, 16, v0
	v_cmp_o_f32_e32 vcc, v1, v1
	v_cndmask_b32_e32 v0, v35, v0, vcc
                                        ; implicit-def: $vgpr1
; %bb.30:                               ;   in Loop: Header=BB143_4 Depth=1
	s_andn2_saveexec_b64 s[2:3], s[2:3]
	s_cbranch_execz .LBB143_2
; %bb.31:                               ;   in Loop: Header=BB143_4 Depth=1
	v_bfe_u32 v0, v1, 16, 1
	v_add3_u32 v0, v1, v0, s51
	v_lshrrev_b32_e32 v0, 16, v0
	v_cmp_o_f32_e32 vcc, v1, v1
	v_cndmask_b32_e32 v0, v35, v0, vcc
	s_branch .LBB143_2
.LBB143_32:
	s_endpgm
	.section	.rodata,"a",@progbits
	.p2align	6, 0x0
	.amdhsa_kernel _ZN2at4cuda12_GLOBAL__N_121kernelPointwiseApply2IZN12_GLOBAL__N_117gamma_cuda_kernelIN3c108BFloat16EEEvRKNS_10TensorBaseES9_NS_15PhiloxCudaStateEEUlRS6_RKS6_E_S6_S6_jLi1ELi2ELi1ELi256ELi2EEEvNS0_6detail10TensorInfoIT0_T2_EENSG_IT1_SI_EESI_T_
		.amdhsa_group_segment_fixed_size 0
		.amdhsa_private_segment_fixed_size 0
		.amdhsa_kernarg_size 728
		.amdhsa_user_sgpr_count 6
		.amdhsa_user_sgpr_private_segment_buffer 1
		.amdhsa_user_sgpr_dispatch_ptr 0
		.amdhsa_user_sgpr_queue_ptr 0
		.amdhsa_user_sgpr_kernarg_segment_ptr 1
		.amdhsa_user_sgpr_dispatch_id 0
		.amdhsa_user_sgpr_flat_scratch_init 0
		.amdhsa_user_sgpr_kernarg_preload_length 0
		.amdhsa_user_sgpr_kernarg_preload_offset 0
		.amdhsa_user_sgpr_private_segment_size 0
		.amdhsa_uses_dynamic_stack 0
		.amdhsa_system_sgpr_private_segment_wavefront_offset 0
		.amdhsa_system_sgpr_workgroup_id_x 1
		.amdhsa_system_sgpr_workgroup_id_y 0
		.amdhsa_system_sgpr_workgroup_id_z 0
		.amdhsa_system_sgpr_workgroup_info 0
		.amdhsa_system_vgpr_workitem_id 0
		.amdhsa_next_free_vgpr 66
		.amdhsa_next_free_sgpr 66
		.amdhsa_accum_offset 68
		.amdhsa_reserve_vcc 1
		.amdhsa_reserve_flat_scratch 0
		.amdhsa_float_round_mode_32 0
		.amdhsa_float_round_mode_16_64 0
		.amdhsa_float_denorm_mode_32 3
		.amdhsa_float_denorm_mode_16_64 3
		.amdhsa_dx10_clamp 1
		.amdhsa_ieee_mode 1
		.amdhsa_fp16_overflow 0
		.amdhsa_tg_split 0
		.amdhsa_exception_fp_ieee_invalid_op 0
		.amdhsa_exception_fp_denorm_src 0
		.amdhsa_exception_fp_ieee_div_zero 0
		.amdhsa_exception_fp_ieee_overflow 0
		.amdhsa_exception_fp_ieee_underflow 0
		.amdhsa_exception_fp_ieee_inexact 0
		.amdhsa_exception_int_div_zero 0
	.end_amdhsa_kernel
	.section	.text._ZN2at4cuda12_GLOBAL__N_121kernelPointwiseApply2IZN12_GLOBAL__N_117gamma_cuda_kernelIN3c108BFloat16EEEvRKNS_10TensorBaseES9_NS_15PhiloxCudaStateEEUlRS6_RKS6_E_S6_S6_jLi1ELi2ELi1ELi256ELi2EEEvNS0_6detail10TensorInfoIT0_T2_EENSG_IT1_SI_EESI_T_,"axG",@progbits,_ZN2at4cuda12_GLOBAL__N_121kernelPointwiseApply2IZN12_GLOBAL__N_117gamma_cuda_kernelIN3c108BFloat16EEEvRKNS_10TensorBaseES9_NS_15PhiloxCudaStateEEUlRS6_RKS6_E_S6_S6_jLi1ELi2ELi1ELi256ELi2EEEvNS0_6detail10TensorInfoIT0_T2_EENSG_IT1_SI_EESI_T_,comdat
.Lfunc_end143:
	.size	_ZN2at4cuda12_GLOBAL__N_121kernelPointwiseApply2IZN12_GLOBAL__N_117gamma_cuda_kernelIN3c108BFloat16EEEvRKNS_10TensorBaseES9_NS_15PhiloxCudaStateEEUlRS6_RKS6_E_S6_S6_jLi1ELi2ELi1ELi256ELi2EEEvNS0_6detail10TensorInfoIT0_T2_EENSG_IT1_SI_EESI_T_, .Lfunc_end143-_ZN2at4cuda12_GLOBAL__N_121kernelPointwiseApply2IZN12_GLOBAL__N_117gamma_cuda_kernelIN3c108BFloat16EEEvRKNS_10TensorBaseES9_NS_15PhiloxCudaStateEEUlRS6_RKS6_E_S6_S6_jLi1ELi2ELi1ELi256ELi2EEEvNS0_6detail10TensorInfoIT0_T2_EENSG_IT1_SI_EESI_T_
                                        ; -- End function
	.section	.AMDGPU.csdata,"",@progbits
; Kernel info:
; codeLenInByte = 5296
; NumSgprs: 70
; NumVgprs: 66
; NumAgprs: 0
; TotalNumVgprs: 66
; ScratchSize: 0
; MemoryBound: 0
; FloatMode: 240
; IeeeMode: 1
; LDSByteSize: 0 bytes/workgroup (compile time only)
; SGPRBlocks: 8
; VGPRBlocks: 8
; NumSGPRsForWavesPerEU: 70
; NumVGPRsForWavesPerEU: 66
; AccumOffset: 68
; Occupancy: 7
; WaveLimiterHint : 1
; COMPUTE_PGM_RSRC2:SCRATCH_EN: 0
; COMPUTE_PGM_RSRC2:USER_SGPR: 6
; COMPUTE_PGM_RSRC2:TRAP_HANDLER: 0
; COMPUTE_PGM_RSRC2:TGID_X_EN: 1
; COMPUTE_PGM_RSRC2:TGID_Y_EN: 0
; COMPUTE_PGM_RSRC2:TGID_Z_EN: 0
; COMPUTE_PGM_RSRC2:TIDIG_COMP_CNT: 0
; COMPUTE_PGM_RSRC3_GFX90A:ACCUM_OFFSET: 16
; COMPUTE_PGM_RSRC3_GFX90A:TG_SPLIT: 0
	.section	.text._ZN2at4cuda12_GLOBAL__N_121kernelPointwiseApply2IZN12_GLOBAL__N_117gamma_cuda_kernelIN3c108BFloat16EEEvRKNS_10TensorBaseES9_NS_15PhiloxCudaStateEEUlRS6_RKS6_E_S6_S6_jLi1ELin1ELi1ELi256ELi2EEEvNS0_6detail10TensorInfoIT0_T2_EENSG_IT1_SI_EESI_T_,"axG",@progbits,_ZN2at4cuda12_GLOBAL__N_121kernelPointwiseApply2IZN12_GLOBAL__N_117gamma_cuda_kernelIN3c108BFloat16EEEvRKNS_10TensorBaseES9_NS_15PhiloxCudaStateEEUlRS6_RKS6_E_S6_S6_jLi1ELin1ELi1ELi256ELi2EEEvNS0_6detail10TensorInfoIT0_T2_EENSG_IT1_SI_EESI_T_,comdat
	.globl	_ZN2at4cuda12_GLOBAL__N_121kernelPointwiseApply2IZN12_GLOBAL__N_117gamma_cuda_kernelIN3c108BFloat16EEEvRKNS_10TensorBaseES9_NS_15PhiloxCudaStateEEUlRS6_RKS6_E_S6_S6_jLi1ELin1ELi1ELi256ELi2EEEvNS0_6detail10TensorInfoIT0_T2_EENSG_IT1_SI_EESI_T_ ; -- Begin function _ZN2at4cuda12_GLOBAL__N_121kernelPointwiseApply2IZN12_GLOBAL__N_117gamma_cuda_kernelIN3c108BFloat16EEEvRKNS_10TensorBaseES9_NS_15PhiloxCudaStateEEUlRS6_RKS6_E_S6_S6_jLi1ELin1ELi1ELi256ELi2EEEvNS0_6detail10TensorInfoIT0_T2_EENSG_IT1_SI_EESI_T_
	.p2align	8
	.type	_ZN2at4cuda12_GLOBAL__N_121kernelPointwiseApply2IZN12_GLOBAL__N_117gamma_cuda_kernelIN3c108BFloat16EEEvRKNS_10TensorBaseES9_NS_15PhiloxCudaStateEEUlRS6_RKS6_E_S6_S6_jLi1ELin1ELi1ELi256ELi2EEEvNS0_6detail10TensorInfoIT0_T2_EENSG_IT1_SI_EESI_T_,@function
_ZN2at4cuda12_GLOBAL__N_121kernelPointwiseApply2IZN12_GLOBAL__N_117gamma_cuda_kernelIN3c108BFloat16EEEvRKNS_10TensorBaseES9_NS_15PhiloxCudaStateEEUlRS6_RKS6_E_S6_S6_jLi1ELin1ELi1ELi256ELi2EEEvNS0_6detail10TensorInfoIT0_T2_EENSG_IT1_SI_EESI_T_: ; @_ZN2at4cuda12_GLOBAL__N_121kernelPointwiseApply2IZN12_GLOBAL__N_117gamma_cuda_kernelIN3c108BFloat16EEEvRKNS_10TensorBaseES9_NS_15PhiloxCudaStateEEUlRS6_RKS6_E_S6_S6_jLi1ELin1ELi1ELi256ELi2EEEvNS0_6detail10TensorInfoIT0_T2_EENSG_IT1_SI_EESI_T_
; %bb.0:
	s_load_dword s2, s[4:5], 0x1e4
	s_load_dword s33, s[4:5], 0x1b0
	s_add_u32 s0, s4, 0x1d8
	s_addc_u32 s1, s5, 0
	s_waitcnt lgkmcnt(0)
	s_and_b32 s2, s2, 0xffff
	s_mul_i32 s6, s6, s2
	v_add_u32_e32 v2, s6, v0
	v_cmp_gt_u32_e32 vcc, s33, v2
	s_and_saveexec_b64 s[6:7], vcc
	s_cbranch_execz .LBB144_35
; %bb.1:
	s_load_dwordx4 s[12:15], s[4:5], 0x1b8
	s_load_dword s3, s[4:5], 0x1a8
	s_load_dwordx2 s[10:11], s[4:5], 0x0
	s_load_dword s34, s[4:5], 0x6c
	s_load_dword s37, s[0:1], 0x0
	s_load_dwordx2 s[16:17], s[4:5], 0x1c8
	s_load_dword s6, s[4:5], 0x1d0
	s_add_u32 s8, s4, 0xd8
	s_addc_u32 s9, s5, 0
	s_waitcnt lgkmcnt(0)
	s_cmp_gt_i32 s3, 1
	s_cselect_b64 s[0:1], -1, 0
	s_bitcmp1_b32 s6, 0
	s_load_dword s35, s[4:5], 0x144
	s_load_dwordx2 s[18:19], s[4:5], 0xd8
	s_cselect_b64 s[4:5], -1, 0
	s_mul_i32 s37, s37, s2
	s_add_i32 s38, s3, 1
	s_add_i32 s2, s3, -1
	s_mov_b32 s3, 0
	s_lshl_b64 s[2:3], s[2:3], 2
	s_add_u32 s2, s2, s8
	s_mov_b32 s36, 0xcd9e8d57
	s_addc_u32 s3, s3, s9
	v_cndmask_b32_e64 v0, 0, 1, s[0:1]
	v_mad_u64_u32 v[20:21], s[6:7], v2, s36, 0
	s_add_u32 s20, s2, 8
	v_cmp_ne_u32_e64 s[0:1], 1, v0
	v_cndmask_b32_e64 v0, 0, 1, s[4:5]
	v_mov_b32_e32 v3, 0
	v_mov_b32_e32 v22, v21
	s_addc_u32 s21, s3, 0
	s_mov_b64 s[22:23], 0
	s_waitcnt lgkmcnt(0)
	v_mov_b32_e32 v21, s19
	v_cmp_ne_u32_e64 s[2:3], 1, v0
	s_mov_b32 s19, 0xd2511f53
	s_mov_b32 s39, 0x3f2aaaab
	v_mov_b32_e32 v23, 0x3ecccdef
	s_mov_b32 s40, 0x3f317218
	s_movk_i32 s41, 0x204
	s_mov_b32 s42, 0x7f800000
	s_mov_b32 s43, 0x42b17218
	;; [unrolled: 1-line block ×4, first 2 shown]
	s_brev_b32 s46, -2
	s_movk_i32 s47, 0x7fff
	s_mov_b32 s48, 0xf800000
	v_mov_b32_e32 v28, 0x260
	s_mov_b32 s49, 0x3c6ef372
	s_mov_b32 s50, 0x76cf5d0a
	;; [unrolled: 1-line block ×17, first 2 shown]
	v_mov_b32_e32 v29, 0x37000000
	v_mov_b32_e32 v30, 0x7f800000
	;; [unrolled: 1-line block ×8, first 2 shown]
	s_branch .LBB144_4
.LBB144_2:                              ;   in Loop: Header=BB144_4 Depth=1
	s_or_b64 exec, exec, s[4:5]
.LBB144_3:                              ;   in Loop: Header=BB144_4 Depth=1
	s_or_b64 exec, exec, s[6:7]
	v_lshlrev_b64 v[4:5], 1, v[24:25]
	v_mov_b32_e32 v1, s11
	v_add_co_u32_e32 v4, vcc, s10, v4
	v_addc_co_u32_e32 v5, vcc, v1, v5, vcc
	v_lshlrev_b32_e32 v1, 16, v0
	v_cmp_ngt_f32_e32 vcc, s57, v1
	v_add_u32_e32 v36, s37, v36
	v_cndmask_b32_e32 v0, v35, v0, vcc
	v_cmp_le_u32_e32 vcc, s33, v36
	s_or_b64 s[22:23], vcc, s[22:23]
	global_store_short v[4:5], v0, off
	s_andn2_b64 exec, exec, s[22:23]
	s_cbranch_execz .LBB144_35
.LBB144_4:                              ; =>This Loop Header: Depth=1
                                        ;     Child Loop BB144_7 Depth 2
                                        ;     Child Loop BB144_20 Depth 2
	v_sub_u32_e32 v0, s33, v36
	v_cmp_lt_i32_e32 vcc, 0, v0
	v_pk_mov_b32 v[0:1], 0, 0
	v_pk_mov_b32 v[24:25], v[0:1], v[0:1] op_sel:[0,1]
	s_and_saveexec_b64 s[4:5], vcc
	s_cbranch_execz .LBB144_9
; %bb.5:                                ;   in Loop: Header=BB144_4 Depth=1
	s_and_b64 vcc, exec, s[0:1]
	v_mov_b32_e32 v0, 0
	v_mov_b32_e32 v4, v36
	s_cbranch_vccnz .LBB144_8
; %bb.6:                                ;   in Loop: Header=BB144_4 Depth=1
	v_mov_b32_e32 v0, 0
	s_mov_b64 s[6:7], s[20:21]
	s_mov_b32 s8, s38
	v_mov_b32_e32 v4, v36
.LBB144_7:                              ;   Parent Loop BB144_4 Depth=1
                                        ; =>  This Inner Loop Header: Depth=2
	s_load_dword s9, s[6:7], 0x0
	s_load_dword s24, s[6:7], 0x64
	v_mov_b32_e32 v1, v4
	s_add_i32 s8, s8, -1
	s_waitcnt lgkmcnt(0)
	v_cvt_f32_u32_e32 v4, s9
	s_sub_i32 s25, 0, s9
	s_add_u32 s6, s6, -4
	s_addc_u32 s7, s7, -1
	v_rcp_iflag_f32_e32 v4, v4
	s_cmp_gt_u32 s8, 2
	v_mul_f32_e32 v4, 0x4f7ffffe, v4
	v_cvt_u32_f32_e32 v4, v4
	v_mul_lo_u32 v5, s25, v4
	v_mul_hi_u32 v5, v4, v5
	v_add_u32_e32 v4, v4, v5
	v_mul_hi_u32 v4, v1, v4
	v_mul_lo_u32 v5, v4, s9
	v_sub_u32_e32 v5, v1, v5
	v_add_u32_e32 v6, 1, v4
	v_cmp_le_u32_e32 vcc, s9, v5
	v_cndmask_b32_e32 v4, v4, v6, vcc
	v_subrev_u32_e32 v6, s9, v5
	v_cndmask_b32_e32 v5, v5, v6, vcc
	v_add_u32_e32 v6, 1, v4
	v_cmp_le_u32_e32 vcc, s9, v5
	v_cndmask_b32_e32 v4, v4, v6, vcc
	v_mul_lo_u32 v5, v4, s9
	v_sub_u32_e32 v1, v1, v5
	v_mad_u64_u32 v[0:1], s[24:25], s24, v1, v[0:1]
	s_cbranch_scc1 .LBB144_7
.LBB144_8:                              ;   in Loop: Header=BB144_4 Depth=1
	v_mad_u64_u32 v[0:1], s[6:7], s35, v4, v[0:1]
	v_mul_lo_u32 v24, v36, s34
	v_mov_b32_e32 v25, v3
	v_mov_b32_e32 v1, v3
.LBB144_9:                              ;   in Loop: Header=BB144_4 Depth=1
	s_or_b64 exec, exec, s[4:5]
	v_lshlrev_b64 v[0:1], 1, v[0:1]
	v_add_co_u32_e32 v0, vcc, s18, v0
	v_addc_co_u32_e32 v1, vcc, v21, v1, vcc
	global_load_ushort v4, v[0:1], off
	s_and_b64 vcc, exec, s[2:3]
	v_pk_mov_b32 v[0:1], s[14:15], s[14:15] op_sel:[0,1]
	v_pk_mov_b32 v[26:27], s[12:13], s[12:13] op_sel:[0,1]
	s_cbranch_vccnz .LBB144_11
; %bb.10:                               ;   in Loop: Header=BB144_4 Depth=1
	v_pk_mov_b32 v[0:1], s[14:15], s[14:15] op_sel:[0,1]
	flat_load_dwordx2 v[0:1], v[0:1]
	v_pk_mov_b32 v[6:7], s[12:13], s[12:13] op_sel:[0,1]
	flat_load_dwordx2 v[26:27], v[6:7]
	v_mov_b32_e32 v5, s17
	s_waitcnt vmcnt(0) lgkmcnt(0)
	v_add_co_u32_e32 v0, vcc, s16, v0
	v_addc_co_u32_e32 v1, vcc, v1, v5, vcc
.LBB144_11:                             ;   in Loop: Header=BB144_4 Depth=1
	v_and_b32_e32 v39, 3, v0
	v_alignbit_b32 v0, v1, v0, 2
	v_mad_u64_u32 v[8:9], s[4:5], v0, s19, 0
	v_lshrrev_b32_e32 v1, 2, v1
	v_xor_b32_e32 v5, v9, v27
	v_xor_b32_e32 v7, v22, v26
	v_mov_b32_e32 v6, v27
	v_xor_b32_e32 v7, v7, v1
	v_mad_u64_u32 v[12:13], s[4:5], v5, s36, 0
	v_add_co_u32_e32 v42, vcc, 0x9e3779b9, v26
	v_add_co_u32_e32 v41, vcc, s59, v6
	v_mad_u64_u32 v[10:11], s[4:5], v7, s19, 0
	v_xor_b32_e32 v5, v20, v13
	v_xor_b32_e32 v5, v5, v42
	v_xor_b32_e32 v7, v41, v11
	v_xor_b32_e32 v7, v7, v8
	v_add_co_u32_e32 v43, vcc, s50, v6
	v_mad_u64_u32 v[8:9], s[4:5], v5, s19, 0
	v_add_co_u32_e32 v44, vcc, s49, v26
	v_mad_u64_u32 v[14:15], s[4:5], v7, s36, 0
	v_xor_b32_e32 v7, v43, v9
	v_xor_b32_e32 v5, v44, v15
	v_xor_b32_e32 v7, v7, v10
	v_xor_b32_e32 v5, v5, v12
	v_add_co_u32_e32 v46, vcc, s60, v26
	v_mad_u64_u32 v[12:13], s[4:5], v7, s36, 0
	;; [unrolled: 8-line block ×7, first 2 shown]
	v_add_co_u32_e32 v56, vcc, s64, v26
	v_mad_u64_u32 v[8:9], s[4:5], v8, s36, 0
	v_xor_b32_e32 v7, v55, v7
	v_xor_b32_e32 v5, v56, v9
	;; [unrolled: 1-line block ×4, first 2 shown]
	v_mad_u64_u32 v[18:19], s[4:5], v7, s36, 0
	v_add_u32_e32 v37, 0x8ff34781, v26
	v_mad_u64_u32 v[16:17], s[4:5], v5, s19, 0
	v_xor_b32_e32 v5, v19, v8
	v_add_u32_e32 v38, 0x96a522ad, v27
	v_xor_b32_e32 v8, v37, v5
	v_xor_b32_e32 v5, v17, v6
	;; [unrolled: 1-line block ×3, first 2 shown]
	s_waitcnt vmcnt(0)
	v_lshlrev_b32_e32 v17, 16, v4
	v_pk_mov_b32 v[6:7], v[2:3], v[2:3] op_sel:[0,1]
	v_mov_b32_e32 v9, v18
	v_mov_b32_e32 v11, v16
	v_cmp_gt_f32_e32 vcc, 1.0, v17
	s_mov_b64 s[4:5], -1
	v_mov_b32_e32 v40, 1.0
	v_pk_mov_b32 v[4:5], v[0:1], v[0:1] op_sel:[0,1]
                                        ; implicit-def: $sgpr6
	s_and_saveexec_b64 s[24:25], vcc
	s_cbranch_execz .LBB144_17
; %bb.12:                               ;   in Loop: Header=BB144_4 Depth=1
	v_cmp_neq_f32_e32 vcc, 0, v17
	s_mov_b64 s[28:29], 0
	v_mov_b32_e32 v40, 1.0
                                        ; implicit-def: $vgpr4_vgpr5_vgpr6_vgpr7
	s_and_saveexec_b64 s[26:27], vcc
	s_cbranch_execz .LBB144_16
; %bb.13:                               ;   in Loop: Header=BB144_4 Depth=1
	v_add_u32_e32 v19, 1, v39
	v_pk_mov_b32 v[14:15], v[10:11], v[10:11] op_sel:[0,1]
	v_pk_mov_b32 v[6:7], v[2:3], v[2:3] op_sel:[0,1]
	v_cmp_eq_u32_e32 vcc, 4, v19
	v_pk_mov_b32 v[12:13], v[8:9], v[8:9] op_sel:[0,1]
	v_pk_mov_b32 v[4:5], v[0:1], v[0:1] op_sel:[0,1]
	s_and_saveexec_b64 s[4:5], vcc
	s_cbranch_execz .LBB144_15
; %bb.14:                               ;   in Loop: Header=BB144_4 Depth=1
	v_add_co_u32_e32 v4, vcc, 1, v0
	v_cndmask_b32_e64 v0, 0, 1, vcc
	v_addc_co_u32_e32 v5, vcc, 0, v1, vcc
	v_cmp_eq_u32_e32 vcc, 0, v5
	v_cndmask_b32_e32 v0, 0, v0, vcc
	v_add_u32_e32 v6, v0, v2
	v_cmp_eq_u32_e32 vcc, 0, v6
	v_cndmask_b32_e32 v7, 0, v0, vcc
	v_mad_u64_u32 v[0:1], s[6:7], v4, s19, 0
	v_mad_u64_u32 v[12:13], s[6:7], v6, s36, 0
	v_xor_b32_e32 v9, v13, v26
	v_xor_b32_e32 v1, v1, v27
	v_xor_b32_e32 v9, v5, v9
	v_xor_b32_e32 v1, v7, v1
	v_mad_u64_u32 v[14:15], s[6:7], v9, s19, 0
	v_mad_u64_u32 v[58:59], s[6:7], v1, s36, 0
	v_xor_b32_e32 v1, v42, v59
	v_xor_b32_e32 v9, v41, v15
	v_xor_b32_e32 v1, v1, v12
	v_xor_b32_e32 v9, v9, v0
	v_mad_u64_u32 v[0:1], s[6:7], v1, s19, 0
	v_mad_u64_u32 v[12:13], s[6:7], v9, s36, 0
	v_xor_b32_e32 v9, v44, v13
	v_xor_b32_e32 v1, v43, v1
	v_xor_b32_e32 v9, v9, v58
	v_xor_b32_e32 v1, v1, v14
	v_mad_u64_u32 v[14:15], s[6:7], v9, s19, 0
	v_mad_u64_u32 v[40:41], s[6:7], v1, s36, 0
	v_xor_b32_e32 v1, v46, v41
	v_xor_b32_e32 v9, v45, v15
	v_xor_b32_e32 v1, v1, v12
	v_xor_b32_e32 v9, v9, v0
	v_mad_u64_u32 v[0:1], s[6:7], v1, s19, 0
	v_mad_u64_u32 v[12:13], s[6:7], v9, s36, 0
	v_xor_b32_e32 v9, v48, v13
	v_xor_b32_e32 v1, v47, v1
	v_xor_b32_e32 v9, v9, v40
	v_xor_b32_e32 v1, v1, v14
	v_mad_u64_u32 v[14:15], s[6:7], v9, s19, 0
	v_mad_u64_u32 v[40:41], s[6:7], v1, s36, 0
	v_xor_b32_e32 v1, v50, v41
	v_xor_b32_e32 v9, v49, v15
	v_xor_b32_e32 v1, v1, v12
	v_xor_b32_e32 v9, v9, v0
	v_mad_u64_u32 v[0:1], s[6:7], v1, s19, 0
	v_mad_u64_u32 v[12:13], s[6:7], v9, s36, 0
	v_xor_b32_e32 v9, v52, v13
	v_xor_b32_e32 v1, v51, v1
	v_xor_b32_e32 v9, v9, v40
	v_xor_b32_e32 v1, v1, v14
	v_mad_u64_u32 v[14:15], s[6:7], v9, s19, 0
	v_mad_u64_u32 v[40:41], s[6:7], v1, s36, 0
	v_xor_b32_e32 v1, v54, v41
	v_xor_b32_e32 v9, v53, v15
	v_xor_b32_e32 v1, v1, v12
	v_xor_b32_e32 v9, v9, v0
	v_mad_u64_u32 v[0:1], s[6:7], v1, s19, 0
	v_mad_u64_u32 v[12:13], s[6:7], v9, s36, 0
	v_xor_b32_e32 v9, v56, v13
	v_xor_b32_e32 v1, v55, v1
	v_xor_b32_e32 v9, v9, v40
	v_xor_b32_e32 v1, v1, v14
	v_mad_u64_u32 v[40:41], s[6:7], v9, s19, 0
	v_mad_u64_u32 v[42:43], s[6:7], v1, s36, 0
	v_xor_b32_e32 v1, v43, v12
	v_xor_b32_e32 v0, v41, v0
	v_mov_b32_e32 v19, 0
	v_xor_b32_e32 v12, v37, v1
	v_xor_b32_e32 v14, v38, v0
	v_mov_b32_e32 v13, v42
	v_mov_b32_e32 v15, v40
.LBB144_15:                             ;   in Loop: Header=BB144_4 Depth=1
	s_or_b64 exec, exec, s[4:5]
	v_cmp_eq_u32_e32 vcc, 1, v39
	v_cndmask_b32_e32 v0, v8, v18, vcc
	v_cmp_eq_u32_e32 vcc, 2, v39
	v_cndmask_b32_e32 v0, v0, v10, vcc
	;; [unrolled: 2-line block ×3, first 2 shown]
	v_div_scale_f32 v1, s[4:5], v17, v17, 1.0
	v_cvt_f32_u32_e32 v0, v0
	v_rcp_f32_e32 v8, v1
	v_mov_b32_e32 v9, 0x2f800000
	s_mov_b64 s[28:29], exec
	v_fmac_f32_e32 v9, 0x2f800000, v0
	v_fma_f32 v0, -v1, v8, 1.0
	v_fmac_f32_e32 v8, v0, v8
	v_div_scale_f32 v0, vcc, 1.0, v17, 1.0
	v_sub_f32_e32 v18, 1.0, v9
	v_mul_f32_e32 v9, v0, v8
	v_fma_f32 v10, -v1, v9, v0
	v_fmac_f32_e32 v9, v10, v8
	v_fma_f32 v0, -v1, v9, v0
	v_div_fmas_f32 v0, v0, v8, v9
	v_div_fixup_f32 v50, v0, v17, 1.0
	v_cmp_eq_f32_e32 vcc, 1.0, v18
	v_cndmask_b32_e64 v51, v50, 1.0, vcc
	v_cmp_eq_f32_e64 s[4:5], 0, v51
	v_cndmask_b32_e64 v52, |v18|, 1.0, s[4:5]
	v_frexp_mant_f32_e32 v0, v52
	v_cmp_gt_f32_e64 s[6:7], s39, v0
	v_cndmask_b32_e64 v1, 1.0, 2.0, s[6:7]
	v_mul_f32_e32 v0, v0, v1
	v_add_f32_e32 v9, 1.0, v0
	v_rcp_f32_e32 v16, v9
	v_add_f32_e32 v1, -1.0, v9
	v_sub_f32_e32 v11, v0, v1
	v_add_f32_e32 v1, -1.0, v0
	v_mul_f32_e32 v39, v1, v16
	v_mul_f32_e32 v8, v9, v39
	v_fma_f32 v10, v39, v9, -v8
	v_fmac_f32_e32 v10, v39, v11
	v_add_f32_e32 v0, v8, v10
	v_sub_f32_e32 v9, v1, v0
	v_pk_add_f32 v[40:41], v[0:1], v[8:9] neg_lo:[0,1] neg_hi:[0,1]
	v_mov_b32_e32 v11, v0
	v_pk_add_f32 v[0:1], v[40:41], v[10:11] neg_lo:[0,1] neg_hi:[0,1]
	v_add_f32_e32 v0, v0, v1
	v_add_f32_e32 v0, v9, v0
	v_mul_f32_e32 v1, v16, v0
	v_add_f32_e32 v0, v39, v1
	v_sub_f32_e32 v8, v0, v39
	v_sub_f32_e32 v16, v1, v8
	v_mul_f32_e32 v1, v0, v0
	v_fma_f32 v9, v0, v0, -v1
	v_add_f32_e32 v8, v16, v16
	v_fmac_f32_e32 v9, v0, v8
	v_add_f32_e32 v8, v1, v9
	v_mov_b32_e32 v10, 0x3e91f4c4
	v_fmac_f32_e32 v10, 0x3e76c4e1, v8
	v_fma_f32 v10, v8, v10, v23
	v_sub_f32_e32 v1, v8, v1
	v_sub_f32_e32 v39, v9, v1
	v_mul_f32_e32 v1, v8, v10
	v_fma_f32 v9, v8, v10, -v1
	v_fmac_f32_e32 v9, v39, v10
	v_add_f32_e32 v10, v1, v9
	v_add_f32_e32 v11, 0x3f2aaaaa, v10
	v_sub_f32_e32 v1, v10, v1
	v_sub_f32_e32 v1, v9, v1
	v_add_f32_e32 v9, 0xbf2aaaaa, v11
	v_add_f32_e32 v1, 0x31739010, v1
	v_sub_f32_e32 v9, v10, v9
	v_pk_mul_f32 v[40:41], v[0:1], v[8:9]
	v_fma_f32 v10, v8, v0, -v40
	v_pk_add_f32 v[42:43], v[0:1], v[8:9]
	v_fmac_f32_e32 v10, v8, v16
	v_mov_b32_e32 v41, v43
	v_fmac_f32_e32 v10, v39, v0
	v_pk_add_f32 v[8:9], v[40:41], v[10:11]
	v_sub_f32_e32 v1, v8, v40
	v_sub_f32_e32 v1, v10, v1
	;; [unrolled: 1-line block ×3, first 2 shown]
	v_add_f32_e32 v39, v43, v10
	v_mov_b32_e32 v10, v9
	v_pk_mul_f32 v[10:11], v[8:9], v[10:11]
	v_cvt_f64_f32_e32 v[40:41], v52
	v_frexp_exp_i32_f64_e32 v11, v[40:41]
	v_subbrev_co_u32_e64 v11, s[6:7], 0, v11, s[6:7]
	v_cvt_f32_i32_e32 v11, v11
	v_fma_f32 v40, v8, v9, -v10
	v_fmac_f32_e32 v40, v8, v39
	v_fmac_f32_e32 v40, v1, v9
	v_mul_f32_e32 v8, 0x3f317218, v11
	v_fma_f32 v42, v11, s40, -v8
	v_fmac_f32_e32 v42, 0xb102e308, v11
	v_ldexp_f32 v43, v0, 1
	v_add_f32_e32 v9, v10, v40
	v_pk_add_f32 v[0:1], v[8:9], v[42:43]
	v_mov_b32_e32 v44, v9
	v_mov_b32_e32 v45, v1
	;; [unrolled: 1-line block ×3, first 2 shown]
	v_pk_add_f32 v[10:11], v[44:45], v[10:11] neg_lo:[0,1] neg_hi:[0,1]
	v_mov_b32_e32 v41, v9
	v_ldexp_f32 v16, v16, 1
	v_pk_add_f32 v[10:11], v[40:41], v[10:11] neg_lo:[0,1] neg_hi:[0,1]
	v_add_f32_e32 v9, v16, v10
	v_add_f32_e32 v9, v9, v11
	v_pk_add_f32 v[10:11], v[0:1], v[8:9] neg_lo:[0,1] neg_hi:[0,1]
	v_pk_add_f32 v[40:41], v[0:1], v[8:9]
	v_mov_b32_e32 v44, v10
	v_mov_b32_e32 v45, v41
	;; [unrolled: 1-line block ×3, first 2 shown]
	v_pk_add_f32 v[44:45], v[42:43], v[44:45]
	v_mov_b32_e32 v8, v45
	v_pk_add_f32 v[46:47], v[8:9], v[0:1] neg_lo:[0,1] neg_hi:[0,1]
	v_mov_b32_e32 v39, v46
	v_mov_b32_e32 v44, v41
	;; [unrolled: 1-line block ×4, first 2 shown]
	v_pk_add_f32 v[10:11], v[42:43], v[10:11] neg_lo:[0,1] neg_hi:[0,1]
	v_pk_add_f32 v[48:49], v[40:41], v[38:39] neg_lo:[0,1] neg_hi:[0,1]
	;; [unrolled: 1-line block ×3, first 2 shown]
	v_mov_b32_e32 v42, v9
	v_pk_add_f32 v[0:1], v[42:43], v[0:1] neg_lo:[0,1] neg_hi:[0,1]
	v_mov_b32_e32 v48, v10
	v_pk_add_f32 v[40:41], v[48:49], v[0:1]
	v_mov_b32_e32 v16, v41
	v_pk_add_f32 v[42:43], v[40:41], v[16:17]
	v_pk_add_f32 v[8:9], v[8:9], v[42:43]
	v_mov_b32_e32 v11, v45
	v_mov_b32_e32 v41, v8
	v_pk_add_f32 v[44:45], v[40:41], v[10:11] neg_lo:[0,1] neg_hi:[0,1]
	v_mov_b32_e32 v1, v42
	v_sub_f32_e32 v9, v40, v44
	v_pk_add_f32 v[0:1], v[0:1], v[44:45] neg_lo:[0,1] neg_hi:[0,1]
	v_sub_f32_e32 v9, v10, v9
	v_add_f32_e32 v0, v0, v9
	v_add_f32_e32 v0, v0, v1
	;; [unrolled: 1-line block ×3, first 2 shown]
	v_sub_f32_e32 v8, v1, v8
	v_sub_f32_e32 v0, v0, v8
	v_mul_f32_e32 v8, v51, v1
	v_fma_f32 v1, v51, v1, -v8
	v_fmac_f32_e32 v1, v51, v0
	v_add_f32_e32 v0, v8, v1
	v_cmp_class_f32_e64 s[6:7], v8, s41
	v_sub_f32_e32 v9, v0, v8
	v_cndmask_b32_e64 v0, v0, v8, s[6:7]
	v_cmp_eq_f32_e64 s[6:7], s43, v0
	v_cndmask_b32_e64 v8, 0, v29, s[6:7]
	v_sub_f32_e32 v1, v1, v9
	v_sub_f32_e32 v9, v0, v8
	v_mul_f32_e32 v10, 0x3fb8aa3b, v9
	v_fma_f32 v11, v9, s44, -v10
	v_rndne_f32_e32 v16, v10
	v_fmac_f32_e32 v11, 0x32a5705f, v9
	v_sub_f32_e32 v10, v10, v16
	v_add_f32_e32 v10, v10, v11
	v_exp_f32_e32 v10, v10
	v_cvt_i32_f32_e32 v11, v16
	v_cmp_neq_f32_e64 s[6:7], |v0|, s42
	v_cndmask_b32_e64 v0, 0, v1, s[6:7]
	v_cmp_ngt_f32_e64 s[6:7], s45, v9
	v_ldexp_f32 v1, v10, v11
	v_cndmask_b32_e64 v1, 0, v1, s[6:7]
	v_cmp_nlt_f32_e64 s[6:7], s43, v9
	v_add_f32_e32 v0, v8, v0
	v_cndmask_b32_e64 v1, v30, v1, s[6:7]
	v_fma_f32 v0, v1, v0, v1
	v_cmp_class_f32_e64 s[6:7], v1, s41
	v_trunc_f32_e32 v8, v51
	v_cndmask_b32_e64 v0, v0, v1, s[6:7]
	v_cndmask_b32_e64 v1, v18, 1.0, s[4:5]
	v_cmp_eq_f32_e64 s[4:5], v8, v51
	v_mul_f32_e32 v8, 0.5, v51
	v_trunc_f32_e32 v9, v8
	v_cmp_neq_f32_e64 s[6:7], v9, v8
	s_and_b64 s[6:7], s[4:5], s[6:7]
	v_cndmask_b32_e64 v8, 1.0, v1, s[6:7]
	v_bfi_b32 v0, s46, v0, v8
	v_cndmask_b32_e64 v8, v31, v0, s[4:5]
	v_cmp_gt_f32_e64 s[4:5], 0, v1
	v_cndmask_b32_e64 v0, v0, v8, s[4:5]
	v_cndmask_b32_e64 v8, |v50|, 1.0, vcc
	v_cmp_neq_f32_e32 vcc, v51, v8
	v_cmp_gt_f32_e64 s[4:5], 1.0, v52
	s_xor_b64 s[4:5], vcc, s[4:5]
	v_cndmask_b32_e64 v9, v8, 0, s[4:5]
	v_cmp_eq_f32_e32 vcc, 1.0, v52
	v_cmp_eq_f32_e64 s[4:5], 0, v1
	v_cmp_gt_f32_e64 s[8:9], 0, v51
	v_cndmask_b32_e32 v9, v9, v52, vcc
	v_cmp_eq_f32_e32 vcc, s42, v8
	s_xor_b64 s[8:9], s[8:9], s[4:5]
	v_cndmask_b32_e32 v0, v0, v9, vcc
	v_cmp_eq_f32_e32 vcc, s42, v52
	v_cndmask_b32_e64 v8, v30, 0, s[8:9]
	v_cndmask_b32_e64 v1, 0, v1, s[6:7]
	v_bfi_b32 v1, s46, v8, v1
	s_or_b64 vcc, vcc, s[4:5]
	v_cndmask_b32_e32 v40, v0, v1, vcc
	v_add_f32_e32 v0, 1.0, v17
	v_bfe_u32 v1, v0, 16, 1
	v_add3_u32 v0, v0, v1, s47
	v_pk_mov_b32 v[8:9], v[12:13], v[12:13] op_sel:[0,1]
	v_and_b32_e32 v17, 0xffff0000, v0
	v_pk_mov_b32 v[10:11], v[14:15], v[14:15] op_sel:[0,1]
	v_mov_b32_e32 v39, v19
.LBB144_16:                             ;   in Loop: Header=BB144_4 Depth=1
	s_or_b64 exec, exec, s[26:27]
	s_mov_b32 s6, 0
	s_orn2_b64 s[4:5], s[28:29], exec
.LBB144_17:                             ;   in Loop: Header=BB144_4 Depth=1
	s_or_b64 exec, exec, s[24:25]
	v_mov_b32_e32 v0, s6
	s_and_saveexec_b64 s[6:7], s[4:5]
	s_cbranch_execz .LBB144_3
; %bb.18:                               ;   in Loop: Header=BB144_4 Depth=1
	v_add_f32_e32 v41, 0xbeaaaaab, v17
	v_mul_f32_e32 v0, 0x41100000, v41
	v_mul_f32_e32 v1, 0x4f800000, v0
	v_cmp_gt_f32_e32 vcc, s48, v0
	v_cndmask_b32_e32 v0, v0, v1, vcc
	v_sqrt_f32_e32 v1, v0
	v_add_u32_e32 v43, 0x9e3779b9, v26
	v_add_u32_e32 v44, 0xbb67ae85, v27
	;; [unrolled: 1-line block ×3, first 2 shown]
	v_add_u32_e32 v12, -1, v1
	v_fma_f32 v14, -v12, v1, v0
	v_add_u32_e32 v13, 1, v1
	v_cmp_ge_f32_e64 s[4:5], 0, v14
	v_cndmask_b32_e64 v12, v1, v12, s[4:5]
	v_fma_f32 v1, -v13, v1, v0
	v_cmp_lt_f32_e64 s[4:5], 0, v1
	v_cndmask_b32_e64 v1, v12, v13, s[4:5]
	v_mul_f32_e32 v12, 0x37800000, v1
	v_cndmask_b32_e32 v1, v1, v12, vcc
	v_cmp_class_f32_e32 vcc, v0, v28
	v_cndmask_b32_e32 v0, v1, v0, vcc
	v_div_scale_f32 v1, s[4:5], v0, v0, 1.0
	v_rcp_f32_e32 v12, v1
	v_add_u32_e32 v46, 0x76cf5d0a, v27
	v_add_u32_e32 v47, 0xdaa66d2b, v26
	v_add_u32_e32 v48, 0x32370b8f, v27
	v_fma_f32 v13, -v1, v12, 1.0
	v_fmac_f32_e32 v12, v13, v12
	v_div_scale_f32 v13, vcc, 1.0, v0, 1.0
	v_mul_f32_e32 v14, v13, v12
	v_fma_f32 v15, -v1, v14, v13
	v_fmac_f32_e32 v14, v15, v12
	v_fma_f32 v1, -v1, v14, v13
	v_div_fmas_f32 v1, v1, v12, v14
	v_div_fixup_f32 v42, v1, v0, 1.0
	v_add_u32_e32 v49, 0x78dde6e4, v26
	v_add_u32_e32 v50, 0xed9eba14, v27
	v_add_u32_e32 v51, 0x1715609d, v26
	v_add_u32_e32 v52, 0xa9066899, v27
	v_add_u32_e32 v53, 0xb54cda56, v26
	v_add_u32_e32 v54, 0x646e171e, v27
	v_add_u32_e32 v55, 0x5384540f, v26
	v_add_u32_e32 v56, 0x1fd5c5a3, v27
	v_add_u32_e32 v57, 0xf1bbcdc8, v26
	v_add_u32_e32 v58, 0xdb3d7428, v27
	s_mov_b64 s[8:9], 0
	v_mov_b32_e32 v59, 0
	s_mov_b64 s[28:29], 0
                                        ; implicit-def: $sgpr24_sgpr25
                                        ; implicit-def: $sgpr26_sgpr27
                                        ; implicit-def: $vgpr0
	s_branch .LBB144_20
.LBB144_19:                             ;   in Loop: Header=BB144_20 Depth=2
	s_or_b64 exec, exec, s[28:29]
	s_and_b64 s[4:5], exec, s[4:5]
	s_or_b64 s[8:9], s[4:5], s[8:9]
	s_andn2_b64 s[4:5], s[24:25], exec
	s_and_b64 s[24:25], s[26:27], exec
	v_pk_mov_b32 v[8:9], v[12:13], v[12:13] op_sel:[0,1]
	s_or_b64 s[24:25], s[4:5], s[24:25]
	s_mov_b64 s[28:29], 0
	v_mov_b32_e32 v39, v16
	v_pk_mov_b32 v[10:11], v[14:15], v[14:15] op_sel:[0,1]
	s_andn2_b64 exec, exec, s[8:9]
	s_cbranch_execz .LBB144_31
.LBB144_20:                             ;   Parent Loop BB144_4 Depth=1
                                        ; =>  This Inner Loop Header: Depth=2
	v_cmp_eq_u32_e32 vcc, 0, v59
	v_mov_b32_e32 v1, v0
	v_mov_b32_e32 v59, 0
	s_and_saveexec_b64 s[30:31], vcc
	s_cbranch_execz .LBB144_26
; %bb.21:                               ;   in Loop: Header=BB144_20 Depth=2
	v_add_u32_e32 v0, 1, v39
	v_pk_mov_b32 v[14:15], v[10:11], v[10:11] op_sel:[0,1]
	v_cmp_eq_u32_e32 vcc, 4, v0
	v_pk_mov_b32 v[12:13], v[8:9], v[8:9] op_sel:[0,1]
	s_and_saveexec_b64 s[4:5], vcc
	s_cbranch_execz .LBB144_23
; %bb.22:                               ;   in Loop: Header=BB144_20 Depth=2
	v_add_co_u32_e32 v4, vcc, 1, v4
	v_cndmask_b32_e64 v1, 0, 1, vcc
	v_addc_co_u32_e32 v5, vcc, 0, v5, vcc
	v_cmp_eq_u32_e32 vcc, 0, v5
	v_cndmask_b32_e32 v1, 0, v1, vcc
	v_add_u32_e32 v6, v1, v6
	v_cmp_eq_u32_e32 vcc, 0, v6
	v_cndmask_b32_e32 v1, 0, v1, vcc
	v_mad_u64_u32 v[12:13], s[66:67], v4, s19, 0
	v_mad_u64_u32 v[14:15], s[66:67], v6, s36, 0
	v_add_u32_e32 v7, v1, v7
	v_xor_b32_e32 v1, v15, v26
	v_xor_b32_e32 v13, v13, v27
	v_xor_b32_e32 v1, v5, v1
	v_xor_b32_e32 v13, v7, v13
	v_mad_u64_u32 v[16:17], s[66:67], v1, s19, 0
	v_mad_u64_u32 v[18:19], s[66:67], v13, s36, 0
	v_xor_b32_e32 v1, v19, v14
	v_xor_b32_e32 v12, v17, v12
	v_xor_b32_e32 v1, v43, v1
	v_xor_b32_e32 v14, v44, v12
	v_mad_u64_u32 v[12:13], s[66:67], v1, s19, 0
	v_mad_u64_u32 v[14:15], s[66:67], v14, s36, 0
	v_xor_b32_e32 v1, v15, v18
	v_xor_b32_e32 v13, v13, v16
	v_xor_b32_e32 v1, v45, v1
	v_xor_b32_e32 v13, v46, v13
	v_mad_u64_u32 v[16:17], s[66:67], v1, s19, 0
	v_mad_u64_u32 v[18:19], s[66:67], v13, s36, 0
	v_xor_b32_e32 v1, v19, v14
	v_xor_b32_e32 v12, v17, v12
	v_xor_b32_e32 v1, v47, v1
	v_xor_b32_e32 v14, v48, v12
	v_mad_u64_u32 v[12:13], s[66:67], v1, s19, 0
	v_mad_u64_u32 v[14:15], s[66:67], v14, s36, 0
	v_xor_b32_e32 v1, v15, v18
	v_xor_b32_e32 v13, v13, v16
	v_xor_b32_e32 v1, v49, v1
	v_xor_b32_e32 v13, v50, v13
	v_mad_u64_u32 v[16:17], s[66:67], v1, s19, 0
	v_mad_u64_u32 v[18:19], s[66:67], v13, s36, 0
	v_xor_b32_e32 v1, v19, v14
	v_xor_b32_e32 v12, v17, v12
	v_xor_b32_e32 v1, v51, v1
	v_xor_b32_e32 v14, v52, v12
	v_mad_u64_u32 v[12:13], s[66:67], v1, s19, 0
	v_mad_u64_u32 v[14:15], s[66:67], v14, s36, 0
	v_xor_b32_e32 v1, v15, v18
	v_xor_b32_e32 v13, v13, v16
	v_xor_b32_e32 v1, v53, v1
	v_xor_b32_e32 v13, v54, v13
	v_mad_u64_u32 v[16:17], s[66:67], v1, s19, 0
	v_mad_u64_u32 v[18:19], s[66:67], v13, s36, 0
	v_xor_b32_e32 v1, v19, v14
	v_xor_b32_e32 v12, v17, v12
	v_xor_b32_e32 v1, v55, v1
	v_xor_b32_e32 v12, v56, v12
	v_mad_u64_u32 v[14:15], s[66:67], v1, s19, 0
	v_mad_u64_u32 v[12:13], s[66:67], v12, s36, 0
	v_xor_b32_e32 v1, v13, v18
	v_xor_b32_e32 v13, v15, v16
	v_xor_b32_e32 v13, v58, v13
	v_xor_b32_e32 v1, v57, v1
	v_mad_u64_u32 v[18:19], s[66:67], v13, s36, 0
	v_mad_u64_u32 v[16:17], s[66:67], v1, s19, 0
	v_xor_b32_e32 v1, v19, v12
	v_xor_b32_e32 v12, v37, v1
	;; [unrolled: 1-line block ×3, first 2 shown]
	v_mov_b32_e32 v0, 0
	v_xor_b32_e32 v14, v38, v1
	v_mov_b32_e32 v13, v18
	v_mov_b32_e32 v15, v16
.LBB144_23:                             ;   in Loop: Header=BB144_20 Depth=2
	s_or_b64 exec, exec, s[4:5]
	v_add_u32_e32 v60, 1, v0
	v_pk_mov_b32 v[18:19], v[14:15], v[14:15] op_sel:[0,1]
	v_cmp_eq_u32_e32 vcc, 4, v60
	v_pk_mov_b32 v[16:17], v[12:13], v[12:13] op_sel:[0,1]
	s_and_saveexec_b64 s[4:5], vcc
	s_cbranch_execz .LBB144_25
; %bb.24:                               ;   in Loop: Header=BB144_20 Depth=2
	v_add_co_u32_e32 v4, vcc, 1, v4
	v_cndmask_b32_e64 v1, 0, 1, vcc
	v_addc_co_u32_e32 v5, vcc, 0, v5, vcc
	v_cmp_eq_u32_e32 vcc, 0, v5
	v_cndmask_b32_e32 v1, 0, v1, vcc
	v_add_u32_e32 v6, v1, v6
	v_cmp_eq_u32_e32 vcc, 0, v6
	v_cndmask_b32_e32 v1, 0, v1, vcc
	v_mad_u64_u32 v[16:17], s[66:67], v4, s19, 0
	v_mad_u64_u32 v[18:19], s[66:67], v6, s36, 0
	v_add_u32_e32 v7, v1, v7
	v_xor_b32_e32 v1, v19, v26
	v_xor_b32_e32 v17, v17, v27
	v_xor_b32_e32 v1, v5, v1
	v_xor_b32_e32 v17, v7, v17
	v_mad_u64_u32 v[62:63], s[66:67], v1, s19, 0
	v_mad_u64_u32 v[64:65], s[66:67], v17, s36, 0
	v_xor_b32_e32 v1, v65, v18
	v_xor_b32_e32 v16, v63, v16
	v_xor_b32_e32 v1, v43, v1
	v_xor_b32_e32 v18, v44, v16
	v_mad_u64_u32 v[16:17], s[66:67], v1, s19, 0
	v_mad_u64_u32 v[18:19], s[66:67], v18, s36, 0
	;; [unrolled: 6-line block ×9, first 2 shown]
	v_xor_b32_e32 v1, v65, v16
	v_xor_b32_e32 v16, v37, v1
	;; [unrolled: 1-line block ×3, first 2 shown]
	v_mov_b32_e32 v60, 0
	v_xor_b32_e32 v18, v38, v1
	v_mov_b32_e32 v17, v64
	v_mov_b32_e32 v19, v62
.LBB144_25:                             ;   in Loop: Header=BB144_20 Depth=2
	s_or_b64 exec, exec, s[4:5]
	v_cmp_eq_u32_e32 vcc, 1, v39
	v_cndmask_b32_e32 v1, v8, v9, vcc
	v_cmp_eq_u32_e32 vcc, 2, v39
	v_cndmask_b32_e32 v1, v1, v10, vcc
	;; [unrolled: 2-line block ×3, first 2 shown]
	v_cvt_f32_u32_e32 v1, v1
	v_cmp_eq_u32_e32 vcc, 1, v0
	v_mov_b32_e32 v9, 0x2f800000
	v_cndmask_b32_e32 v8, v12, v13, vcc
	v_cmp_eq_u32_e32 vcc, 2, v0
	v_fmac_f32_e32 v9, 0x2f800000, v1
	v_cndmask_b32_e32 v8, v8, v14, vcc
	v_cmp_gt_f32_e32 vcc, s57, v9
	v_cndmask_b32_e32 v1, 1.0, v32, vcc
	v_mul_f32_e32 v1, v9, v1
	v_log_f32_e32 v1, v1
	v_cmp_eq_u32_e64 s[4:5], 3, v0
	v_cndmask_b32_e64 v0, v8, v15, s[4:5]
	v_cvt_f32_u32_e32 v0, v0
	v_mul_f32_e32 v8, 0x3f317217, v1
	v_fma_f32 v9, v1, s58, -v8
	v_fmac_f32_e32 v9, 0x3377d1cf, v1
	v_add_f32_e32 v8, v8, v9
	v_cmp_lt_f32_e64 s[4:5], |v1|, s42
	v_cndmask_b32_e64 v1, v1, v8, s[4:5]
	v_cndmask_b32_e32 v8, 0, v33, vcc
	v_sub_f32_e32 v1, v1, v8
	v_mul_f32_e32 v1, -2.0, v1
	v_mul_f32_e32 v8, 0x4f800000, v1
	v_cmp_gt_f32_e32 vcc, s48, v1
	v_cndmask_b32_e32 v8, v1, v8, vcc
	v_sqrt_f32_e32 v1, v8
	v_mov_b32_e32 v9, 0x30c90fdb
	v_fmac_f32_e32 v9, 0x30c90fdb, v0
	v_mov_b32_e32 v59, 1
	v_add_u32_e32 v0, -1, v1
	v_fma_f32 v10, -v0, v1, v8
	v_cmp_ge_f32_e64 s[4:5], 0, v10
	v_add_u32_e32 v10, 1, v1
	v_cndmask_b32_e64 v0, v1, v0, s[4:5]
	v_fma_f32 v1, -v10, v1, v8
	v_cmp_lt_f32_e64 s[4:5], 0, v1
	v_cndmask_b32_e64 v10, v0, v10, s[4:5]
	v_mul_f32_e32 v0, 0.15915494, v9
	v_sin_f32_e32 v1, v0
	v_cos_f32_e32 v0, v0
	v_mul_f32_e32 v11, 0x37800000, v10
	v_cndmask_b32_e32 v9, v10, v11, vcc
	v_cmp_class_f32_e32 vcc, v8, v28
	v_cndmask_b32_e32 v8, v9, v8, vcc
	v_pk_mul_f32 v[0:1], v[8:9], v[0:1] op_sel_hi:[0,1]
	v_pk_mov_b32 v[8:9], v[16:17], v[16:17] op_sel:[0,1]
	v_pk_mov_b32 v[10:11], v[18:19], v[18:19] op_sel:[0,1]
	v_mov_b32_e32 v39, v60
.LBB144_26:                             ;   in Loop: Header=BB144_20 Depth=2
	s_or_b64 exec, exec, s[30:31]
	v_fma_f32 v17, v42, v1, 1.0
	v_cmp_nge_f32_e32 vcc, 0, v17
	s_or_b64 s[28:29], vcc, s[28:29]
	s_andn2_b64 exec, exec, s[28:29]
	s_cbranch_execnz .LBB144_20
; %bb.27:                               ;   in Loop: Header=BB144_20 Depth=2
	s_or_b64 exec, exec, s[28:29]
	v_add_u32_e32 v16, 1, v39
	v_pk_mov_b32 v[14:15], v[10:11], v[10:11] op_sel:[0,1]
	v_cmp_eq_u32_e32 vcc, 4, v16
	v_pk_mov_b32 v[12:13], v[8:9], v[8:9] op_sel:[0,1]
	s_and_saveexec_b64 s[4:5], vcc
	s_cbranch_execz .LBB144_29
; %bb.28:                               ;   in Loop: Header=BB144_20 Depth=2
	v_add_co_u32_e32 v4, vcc, 1, v4
	v_cndmask_b32_e64 v12, 0, 1, vcc
	v_addc_co_u32_e32 v5, vcc, 0, v5, vcc
	v_cmp_eq_u32_e32 vcc, 0, v5
	v_cndmask_b32_e32 v12, 0, v12, vcc
	v_add_u32_e32 v6, v12, v6
	v_cmp_eq_u32_e32 vcc, 0, v6
	v_cndmask_b32_e32 v12, 0, v12, vcc
	v_add_u32_e32 v7, v12, v7
	v_mad_u64_u32 v[12:13], s[28:29], v4, s19, 0
	v_mad_u64_u32 v[14:15], s[28:29], v6, s36, 0
	v_xor_b32_e32 v15, v15, v26
	v_xor_b32_e32 v13, v13, v27
	v_xor_b32_e32 v15, v5, v15
	v_xor_b32_e32 v13, v7, v13
	v_mad_u64_u32 v[18:19], s[28:29], v15, s19, 0
	v_mad_u64_u32 v[60:61], s[28:29], v13, s36, 0
	v_xor_b32_e32 v13, v61, v14
	v_xor_b32_e32 v12, v19, v12
	v_xor_b32_e32 v13, v43, v13
	v_xor_b32_e32 v14, v44, v12
	;; [unrolled: 6-line block ×9, first 2 shown]
	v_mad_u64_u32 v[18:19], s[28:29], v13, s19, 0
	v_mad_u64_u32 v[60:61], s[28:29], v15, s36, 0
	v_xor_b32_e32 v12, v61, v12
	v_xor_b32_e32 v13, v19, v14
	v_mov_b32_e32 v16, 0
	v_xor_b32_e32 v12, v37, v12
	v_xor_b32_e32 v14, v38, v13
	v_mov_b32_e32 v13, v60
	v_mov_b32_e32 v15, v18
.LBB144_29:                             ;   in Loop: Header=BB144_20 Depth=2
	s_or_b64 exec, exec, s[4:5]
	v_cmp_eq_u32_e32 vcc, 1, v39
	v_cndmask_b32_e32 v8, v8, v9, vcc
	v_cmp_eq_u32_e32 vcc, 2, v39
	v_cndmask_b32_e32 v8, v8, v10, vcc
	;; [unrolled: 2-line block ×3, first 2 shown]
	v_cvt_f32_u32_e32 v8, v8
	v_mul_f32_e32 v9, v17, v17
	v_mul_f32_e32 v17, v17, v9
	v_mov_b32_e32 v9, 0x2f800000
	v_fmac_f32_e32 v9, 0x2f800000, v8
	v_mul_f32_e32 v1, v1, v1
	v_sub_f32_e32 v8, 1.0, v9
	v_mul_f32_e32 v9, 0xbd0793de, v1
	v_fma_f32 v9, v1, v9, 1.0
	v_cmp_nlt_f32_e32 vcc, v8, v9
	s_mov_b64 s[4:5], -1
	s_or_b64 s[26:27], s[26:27], exec
	s_and_saveexec_b64 s[28:29], vcc
	s_cbranch_execz .LBB144_19
; %bb.30:                               ;   in Loop: Header=BB144_20 Depth=2
	v_cmp_gt_f32_e32 vcc, s57, v8
	v_cndmask_b32_e32 v9, 1.0, v32, vcc
	v_mul_f32_e32 v8, v8, v9
	v_log_f32_e32 v8, v8
	s_andn2_b64 s[26:27], s[26:27], exec
	v_mul_f32_e32 v9, 0x3f317217, v8
	v_fma_f32 v10, v8, s58, -v9
	v_fmac_f32_e32 v10, 0x3377d1cf, v8
	v_add_f32_e32 v9, v9, v10
	v_cmp_lt_f32_e64 s[4:5], |v8|, s42
	v_cndmask_b32_e64 v8, v8, v9, s[4:5]
	v_cmp_gt_f32_e64 s[4:5], s57, v17
	v_cndmask_b32_e64 v9, 1.0, v32, s[4:5]
	v_mul_f32_e32 v9, v17, v9
	v_log_f32_e32 v9, v9
	v_cndmask_b32_e32 v10, 0, v33, vcc
	v_sub_f32_e32 v8, v8, v10
	v_sub_f32_e32 v10, 1.0, v17
	v_mul_f32_e32 v11, 0x3f317217, v9
	v_fma_f32 v18, v9, s58, -v11
	v_fmac_f32_e32 v18, 0x3377d1cf, v9
	v_add_f32_e32 v11, v11, v18
	v_cmp_lt_f32_e64 vcc, |v9|, s42
	v_cndmask_b32_e32 v9, v9, v11, vcc
	v_cndmask_b32_e64 v11, 0, v33, s[4:5]
	v_sub_f32_e32 v9, v9, v11
	v_add_f32_e32 v9, v10, v9
	v_mul_f32_e32 v9, v41, v9
	v_fmac_f32_e32 v9, 0.5, v1
	v_cmp_lt_f32_e32 vcc, v8, v9
	s_orn2_b64 s[4:5], vcc, exec
	s_branch .LBB144_19
.LBB144_31:                             ;   in Loop: Header=BB144_4 Depth=1
	s_or_b64 exec, exec, s[8:9]
	v_mul_f32_e32 v0, v40, v41
	s_xor_b64 s[4:5], s[24:25], -1
	v_mul_f32_e32 v1, v0, v17
                                        ; implicit-def: $vgpr0
	s_and_saveexec_b64 s[8:9], s[4:5]
	s_xor_b64 s[4:5], exec, s[8:9]
; %bb.32:                               ;   in Loop: Header=BB144_4 Depth=1
	v_bfe_u32 v0, v1, 16, 1
	v_add3_u32 v0, v1, v0, s47
	v_lshrrev_b32_e32 v0, 16, v0
	v_cmp_o_f32_e32 vcc, v1, v1
	v_cndmask_b32_e32 v0, v34, v0, vcc
                                        ; implicit-def: $vgpr1
; %bb.33:                               ;   in Loop: Header=BB144_4 Depth=1
	s_andn2_saveexec_b64 s[4:5], s[4:5]
	s_cbranch_execz .LBB144_2
; %bb.34:                               ;   in Loop: Header=BB144_4 Depth=1
	v_bfe_u32 v0, v1, 16, 1
	v_add3_u32 v0, v1, v0, s47
	v_lshrrev_b32_e32 v0, 16, v0
	v_cmp_o_f32_e32 vcc, v1, v1
	v_cndmask_b32_e32 v0, v34, v0, vcc
	s_branch .LBB144_2
.LBB144_35:
	s_endpgm
	.section	.rodata,"a",@progbits
	.p2align	6, 0x0
	.amdhsa_kernel _ZN2at4cuda12_GLOBAL__N_121kernelPointwiseApply2IZN12_GLOBAL__N_117gamma_cuda_kernelIN3c108BFloat16EEEvRKNS_10TensorBaseES9_NS_15PhiloxCudaStateEEUlRS6_RKS6_E_S6_S6_jLi1ELin1ELi1ELi256ELi2EEEvNS0_6detail10TensorInfoIT0_T2_EENSG_IT1_SI_EESI_T_
		.amdhsa_group_segment_fixed_size 0
		.amdhsa_private_segment_fixed_size 0
		.amdhsa_kernarg_size 728
		.amdhsa_user_sgpr_count 6
		.amdhsa_user_sgpr_private_segment_buffer 1
		.amdhsa_user_sgpr_dispatch_ptr 0
		.amdhsa_user_sgpr_queue_ptr 0
		.amdhsa_user_sgpr_kernarg_segment_ptr 1
		.amdhsa_user_sgpr_dispatch_id 0
		.amdhsa_user_sgpr_flat_scratch_init 0
		.amdhsa_user_sgpr_kernarg_preload_length 0
		.amdhsa_user_sgpr_kernarg_preload_offset 0
		.amdhsa_user_sgpr_private_segment_size 0
		.amdhsa_uses_dynamic_stack 0
		.amdhsa_system_sgpr_private_segment_wavefront_offset 0
		.amdhsa_system_sgpr_workgroup_id_x 1
		.amdhsa_system_sgpr_workgroup_id_y 0
		.amdhsa_system_sgpr_workgroup_id_z 0
		.amdhsa_system_sgpr_workgroup_info 0
		.amdhsa_system_vgpr_workitem_id 0
		.amdhsa_next_free_vgpr 66
		.amdhsa_next_free_sgpr 68
		.amdhsa_accum_offset 68
		.amdhsa_reserve_vcc 1
		.amdhsa_reserve_flat_scratch 0
		.amdhsa_float_round_mode_32 0
		.amdhsa_float_round_mode_16_64 0
		.amdhsa_float_denorm_mode_32 3
		.amdhsa_float_denorm_mode_16_64 3
		.amdhsa_dx10_clamp 1
		.amdhsa_ieee_mode 1
		.amdhsa_fp16_overflow 0
		.amdhsa_tg_split 0
		.amdhsa_exception_fp_ieee_invalid_op 0
		.amdhsa_exception_fp_denorm_src 0
		.amdhsa_exception_fp_ieee_div_zero 0
		.amdhsa_exception_fp_ieee_overflow 0
		.amdhsa_exception_fp_ieee_underflow 0
		.amdhsa_exception_fp_ieee_inexact 0
		.amdhsa_exception_int_div_zero 0
	.end_amdhsa_kernel
	.section	.text._ZN2at4cuda12_GLOBAL__N_121kernelPointwiseApply2IZN12_GLOBAL__N_117gamma_cuda_kernelIN3c108BFloat16EEEvRKNS_10TensorBaseES9_NS_15PhiloxCudaStateEEUlRS6_RKS6_E_S6_S6_jLi1ELin1ELi1ELi256ELi2EEEvNS0_6detail10TensorInfoIT0_T2_EENSG_IT1_SI_EESI_T_,"axG",@progbits,_ZN2at4cuda12_GLOBAL__N_121kernelPointwiseApply2IZN12_GLOBAL__N_117gamma_cuda_kernelIN3c108BFloat16EEEvRKNS_10TensorBaseES9_NS_15PhiloxCudaStateEEUlRS6_RKS6_E_S6_S6_jLi1ELin1ELi1ELi256ELi2EEEvNS0_6detail10TensorInfoIT0_T2_EENSG_IT1_SI_EESI_T_,comdat
.Lfunc_end144:
	.size	_ZN2at4cuda12_GLOBAL__N_121kernelPointwiseApply2IZN12_GLOBAL__N_117gamma_cuda_kernelIN3c108BFloat16EEEvRKNS_10TensorBaseES9_NS_15PhiloxCudaStateEEUlRS6_RKS6_E_S6_S6_jLi1ELin1ELi1ELi256ELi2EEEvNS0_6detail10TensorInfoIT0_T2_EENSG_IT1_SI_EESI_T_, .Lfunc_end144-_ZN2at4cuda12_GLOBAL__N_121kernelPointwiseApply2IZN12_GLOBAL__N_117gamma_cuda_kernelIN3c108BFloat16EEEvRKNS_10TensorBaseES9_NS_15PhiloxCudaStateEEUlRS6_RKS6_E_S6_S6_jLi1ELin1ELi1ELi256ELi2EEEvNS0_6detail10TensorInfoIT0_T2_EENSG_IT1_SI_EESI_T_
                                        ; -- End function
	.section	.AMDGPU.csdata,"",@progbits
; Kernel info:
; codeLenInByte = 5436
; NumSgprs: 72
; NumVgprs: 66
; NumAgprs: 0
; TotalNumVgprs: 66
; ScratchSize: 0
; MemoryBound: 0
; FloatMode: 240
; IeeeMode: 1
; LDSByteSize: 0 bytes/workgroup (compile time only)
; SGPRBlocks: 8
; VGPRBlocks: 8
; NumSGPRsForWavesPerEU: 72
; NumVGPRsForWavesPerEU: 66
; AccumOffset: 68
; Occupancy: 7
; WaveLimiterHint : 1
; COMPUTE_PGM_RSRC2:SCRATCH_EN: 0
; COMPUTE_PGM_RSRC2:USER_SGPR: 6
; COMPUTE_PGM_RSRC2:TRAP_HANDLER: 0
; COMPUTE_PGM_RSRC2:TGID_X_EN: 1
; COMPUTE_PGM_RSRC2:TGID_Y_EN: 0
; COMPUTE_PGM_RSRC2:TGID_Z_EN: 0
; COMPUTE_PGM_RSRC2:TIDIG_COMP_CNT: 0
; COMPUTE_PGM_RSRC3_GFX90A:ACCUM_OFFSET: 16
; COMPUTE_PGM_RSRC3_GFX90A:TG_SPLIT: 0
	.section	.text._ZN2at4cuda12_GLOBAL__N_121kernelPointwiseApply2IZN12_GLOBAL__N_117gamma_cuda_kernelIN3c108BFloat16EEEvRKNS_10TensorBaseES9_NS_15PhiloxCudaStateEEUlRS6_RKS6_E_S6_S6_jLi2ELi1ELi1ELi256ELi2EEEvNS0_6detail10TensorInfoIT0_T2_EENSG_IT1_SI_EESI_T_,"axG",@progbits,_ZN2at4cuda12_GLOBAL__N_121kernelPointwiseApply2IZN12_GLOBAL__N_117gamma_cuda_kernelIN3c108BFloat16EEEvRKNS_10TensorBaseES9_NS_15PhiloxCudaStateEEUlRS6_RKS6_E_S6_S6_jLi2ELi1ELi1ELi256ELi2EEEvNS0_6detail10TensorInfoIT0_T2_EENSG_IT1_SI_EESI_T_,comdat
	.globl	_ZN2at4cuda12_GLOBAL__N_121kernelPointwiseApply2IZN12_GLOBAL__N_117gamma_cuda_kernelIN3c108BFloat16EEEvRKNS_10TensorBaseES9_NS_15PhiloxCudaStateEEUlRS6_RKS6_E_S6_S6_jLi2ELi1ELi1ELi256ELi2EEEvNS0_6detail10TensorInfoIT0_T2_EENSG_IT1_SI_EESI_T_ ; -- Begin function _ZN2at4cuda12_GLOBAL__N_121kernelPointwiseApply2IZN12_GLOBAL__N_117gamma_cuda_kernelIN3c108BFloat16EEEvRKNS_10TensorBaseES9_NS_15PhiloxCudaStateEEUlRS6_RKS6_E_S6_S6_jLi2ELi1ELi1ELi256ELi2EEEvNS0_6detail10TensorInfoIT0_T2_EENSG_IT1_SI_EESI_T_
	.p2align	8
	.type	_ZN2at4cuda12_GLOBAL__N_121kernelPointwiseApply2IZN12_GLOBAL__N_117gamma_cuda_kernelIN3c108BFloat16EEEvRKNS_10TensorBaseES9_NS_15PhiloxCudaStateEEUlRS6_RKS6_E_S6_S6_jLi2ELi1ELi1ELi256ELi2EEEvNS0_6detail10TensorInfoIT0_T2_EENSG_IT1_SI_EESI_T_,@function
_ZN2at4cuda12_GLOBAL__N_121kernelPointwiseApply2IZN12_GLOBAL__N_117gamma_cuda_kernelIN3c108BFloat16EEEvRKNS_10TensorBaseES9_NS_15PhiloxCudaStateEEUlRS6_RKS6_E_S6_S6_jLi2ELi1ELi1ELi256ELi2EEEvNS0_6detail10TensorInfoIT0_T2_EENSG_IT1_SI_EESI_T_: ; @_ZN2at4cuda12_GLOBAL__N_121kernelPointwiseApply2IZN12_GLOBAL__N_117gamma_cuda_kernelIN3c108BFloat16EEEvRKNS_10TensorBaseES9_NS_15PhiloxCudaStateEEUlRS6_RKS6_E_S6_S6_jLi2ELi1ELi1ELi256ELi2EEEvNS0_6detail10TensorInfoIT0_T2_EENSG_IT1_SI_EESI_T_
; %bb.0:
	s_load_dword s2, s[4:5], 0x1e4
	s_load_dword s30, s[4:5], 0x1b0
	s_add_u32 s0, s4, 0x1d8
	s_addc_u32 s1, s5, 0
	s_waitcnt lgkmcnt(0)
	s_and_b32 s2, s2, 0xffff
	s_mul_i32 s6, s6, s2
	v_add_u32_e32 v2, s6, v0
	v_cmp_gt_u32_e32 vcc, s30, v2
	s_and_saveexec_b64 s[6:7], vcc
	s_cbranch_execz .LBB145_32
; %bb.1:
	s_load_dwordx2 s[12:13], s[4:5], 0x0
	s_load_dword s31, s[4:5], 0xc
	s_load_dwordx2 s[14:15], s[4:5], 0x6c
	s_load_dwordx2 s[16:17], s[4:5], 0xd8
	;; [unrolled: 1-line block ×3, first 2 shown]
	s_load_dword s3, s[4:5], 0x1d0
	s_load_dword s33, s[4:5], 0x144
	s_load_dwordx4 s[8:11], s[4:5], 0x1b8
	s_waitcnt lgkmcnt(0)
	v_cvt_f32_u32_e32 v0, s31
	s_load_dword s35, s[0:1], 0x0
	s_mov_b32 s34, 0xcd9e8d57
	s_bitcmp1_b32 s3, 0
	v_rcp_iflag_f32_e32 v0, v0
	v_mad_u64_u32 v[20:21], s[0:1], v2, s34, 0
	s_waitcnt lgkmcnt(0)
	s_mul_i32 s35, s35, s2
	v_mul_f32_e32 v0, 0x4f7ffffe, v0
	v_cvt_u32_f32_e32 v0, v0
	s_cselect_b64 s[0:1], -1, 0
	s_sub_i32 s2, 0, s31
	v_mov_b32_e32 v22, v21
	v_mul_lo_u32 v1, s2, v0
	v_mul_hi_u32 v1, v0, v1
	v_add_u32_e32 v21, v0, v1
	v_cndmask_b32_e64 v0, 0, 1, s[0:1]
	v_mov_b32_e32 v3, 0
	s_mov_b64 s[20:21], 0
	v_mov_b32_e32 v23, s17
	v_cmp_ne_u32_e64 s[0:1], 1, v0
	s_mov_b32 s17, 0xd2511f53
	s_mov_b32 s36, 0x9e3779b9
	;; [unrolled: 1-line block ×8, first 2 shown]
	v_mov_b32_e32 v28, 0x3ecccdef
	s_mov_b32 s43, 0x3f317218
	s_movk_i32 s44, 0x204
	s_mov_b32 s45, 0x7f800000
	s_mov_b32 s46, 0x42b17218
	;; [unrolled: 1-line block ×4, first 2 shown]
	s_brev_b32 s49, -2
	s_movk_i32 s50, 0x7fff
	s_mov_b32 s51, 0xf800000
	v_mov_b32_e32 v29, 0x260
	s_mov_b32 s52, 0x78dde6e4
	s_mov_b32 s53, 0x1715609d
	;; [unrolled: 1-line block ×12, first 2 shown]
	v_mov_b32_e32 v30, 0x37000000
	v_mov_b32_e32 v31, 0x7f800000
	;; [unrolled: 1-line block ×8, first 2 shown]
	s_branch .LBB145_4
.LBB145_2:                              ;   in Loop: Header=BB145_4 Depth=1
	s_or_b64 exec, exec, s[2:3]
.LBB145_3:                              ;   in Loop: Header=BB145_4 Depth=1
	s_or_b64 exec, exec, s[4:5]
	v_lshlrev_b64 v[4:5], 1, v[24:25]
	v_mov_b32_e32 v1, s13
	v_add_co_u32_e32 v4, vcc, s12, v4
	v_addc_co_u32_e32 v5, vcc, v1, v5, vcc
	v_lshlrev_b32_e32 v1, 16, v0
	v_cmp_ngt_f32_e32 vcc, s57, v1
	v_add_u32_e32 v37, s35, v37
	v_cndmask_b32_e32 v0, v36, v0, vcc
	v_cmp_le_u32_e32 vcc, s30, v37
	s_or_b64 s[20:21], vcc, s[20:21]
	global_store_short v[4:5], v0, off
	s_andn2_b64 exec, exec, s[20:21]
	s_cbranch_execz .LBB145_32
.LBB145_4:                              ; =>This Loop Header: Depth=1
                                        ;     Child Loop BB145_17 Depth 2
	v_sub_u32_e32 v0, s30, v37
	v_cmp_lt_i32_e32 vcc, 0, v0
	v_pk_mov_b32 v[24:25], 0, 0
	s_and_saveexec_b64 s[4:5], vcc
	s_cbranch_execz .LBB145_6
; %bb.5:                                ;   in Loop: Header=BB145_4 Depth=1
	v_mul_hi_u32 v0, v37, v21
	v_mul_lo_u32 v1, v0, s31
	v_sub_u32_e32 v1, v37, v1
	v_add_u32_e32 v4, 1, v0
	v_cmp_le_u32_e64 s[2:3], s31, v1
	v_cndmask_b32_e64 v0, v0, v4, s[2:3]
	v_subrev_u32_e32 v4, s31, v1
	v_cndmask_b32_e64 v1, v1, v4, s[2:3]
	v_add_u32_e32 v4, 1, v0
	v_cmp_le_u32_e64 s[2:3], s31, v1
	v_cndmask_b32_e64 v1, v0, v4, s[2:3]
	v_mul_lo_u32 v0, v1, s31
	v_sub_u32_e32 v0, v37, v0
	v_mul_lo_u32 v0, v0, s15
	v_mad_u64_u32 v[24:25], s[2:3], v1, s14, v[0:1]
	v_mov_b32_e32 v25, v3
.LBB145_6:                              ;   in Loop: Header=BB145_4 Depth=1
	s_or_b64 exec, exec, s[4:5]
	v_mul_lo_u32 v0, v37, s33
	v_cndmask_b32_e32 v0, 0, v0, vcc
	v_mov_b32_e32 v1, v3
	v_lshlrev_b64 v[0:1], 1, v[0:1]
	v_add_co_u32_e32 v0, vcc, s16, v0
	v_addc_co_u32_e32 v1, vcc, v23, v1, vcc
	global_load_ushort v4, v[0:1], off
	s_and_b64 vcc, exec, s[0:1]
	v_pk_mov_b32 v[0:1], s[10:11], s[10:11] op_sel:[0,1]
	v_pk_mov_b32 v[26:27], s[8:9], s[8:9] op_sel:[0,1]
	s_cbranch_vccnz .LBB145_8
; %bb.7:                                ;   in Loop: Header=BB145_4 Depth=1
	v_pk_mov_b32 v[0:1], s[10:11], s[10:11] op_sel:[0,1]
	flat_load_dwordx2 v[0:1], v[0:1]
	v_pk_mov_b32 v[6:7], s[8:9], s[8:9] op_sel:[0,1]
	flat_load_dwordx2 v[26:27], v[6:7]
	v_mov_b32_e32 v5, s19
	s_waitcnt vmcnt(0) lgkmcnt(0)
	v_add_co_u32_e32 v0, vcc, s18, v0
	v_addc_co_u32_e32 v1, vcc, v1, v5, vcc
.LBB145_8:                              ;   in Loop: Header=BB145_4 Depth=1
	v_and_b32_e32 v40, 3, v0
	v_alignbit_b32 v0, v1, v0, 2
	v_mad_u64_u32 v[8:9], s[2:3], v0, s17, 0
	v_lshrrev_b32_e32 v1, 2, v1
	v_xor_b32_e32 v5, v9, v27
	v_xor_b32_e32 v7, v22, v26
	v_mov_b32_e32 v6, v27
	v_xor_b32_e32 v7, v7, v1
	v_mad_u64_u32 v[12:13], s[2:3], v5, s34, 0
	v_add_co_u32_e32 v43, vcc, s36, v26
	v_add_co_u32_e32 v42, vcc, s37, v6
	v_mad_u64_u32 v[10:11], s[2:3], v7, s17, 0
	v_xor_b32_e32 v5, v20, v13
	v_xor_b32_e32 v5, v5, v43
	v_xor_b32_e32 v7, v42, v11
	v_xor_b32_e32 v7, v7, v8
	v_add_co_u32_e32 v44, vcc, s39, v6
	v_mad_u64_u32 v[8:9], s[2:3], v5, s17, 0
	v_add_co_u32_e32 v45, vcc, s38, v26
	v_mad_u64_u32 v[14:15], s[2:3], v7, s34, 0
	v_xor_b32_e32 v7, v44, v9
	v_xor_b32_e32 v5, v45, v15
	v_xor_b32_e32 v7, v7, v10
	v_xor_b32_e32 v5, v5, v12
	v_add_co_u32_e32 v47, vcc, s40, v26
	v_mad_u64_u32 v[12:13], s[2:3], v7, s34, 0
	;; [unrolled: 8-line block ×7, first 2 shown]
	v_add_co_u32_e32 v57, vcc, s62, v26
	v_mad_u64_u32 v[8:9], s[2:3], v8, s34, 0
	v_xor_b32_e32 v7, v56, v7
	v_xor_b32_e32 v5, v57, v9
	;; [unrolled: 1-line block ×4, first 2 shown]
	v_mad_u64_u32 v[18:19], s[2:3], v7, s34, 0
	v_add_u32_e32 v38, 0x8ff34781, v26
	v_mad_u64_u32 v[16:17], s[2:3], v5, s17, 0
	v_xor_b32_e32 v5, v19, v8
	v_add_u32_e32 v39, 0x96a522ad, v27
	v_xor_b32_e32 v8, v38, v5
	v_xor_b32_e32 v5, v17, v6
	v_xor_b32_e32 v10, v39, v5
	s_waitcnt vmcnt(0)
	v_lshlrev_b32_e32 v17, 16, v4
	v_pk_mov_b32 v[6:7], v[2:3], v[2:3] op_sel:[0,1]
	v_mov_b32_e32 v9, v18
	v_mov_b32_e32 v11, v16
	v_cmp_gt_f32_e32 vcc, 1.0, v17
	s_mov_b64 s[2:3], -1
	v_mov_b32_e32 v41, 1.0
	v_pk_mov_b32 v[4:5], v[0:1], v[0:1] op_sel:[0,1]
                                        ; implicit-def: $sgpr4
	s_and_saveexec_b64 s[22:23], vcc
	s_cbranch_execz .LBB145_14
; %bb.9:                                ;   in Loop: Header=BB145_4 Depth=1
	v_cmp_neq_f32_e32 vcc, 0, v17
	s_mov_b64 s[26:27], 0
	v_mov_b32_e32 v41, 1.0
                                        ; implicit-def: $vgpr4_vgpr5_vgpr6_vgpr7
	s_and_saveexec_b64 s[24:25], vcc
	s_cbranch_execz .LBB145_13
; %bb.10:                               ;   in Loop: Header=BB145_4 Depth=1
	v_add_u32_e32 v19, 1, v40
	v_pk_mov_b32 v[14:15], v[10:11], v[10:11] op_sel:[0,1]
	v_pk_mov_b32 v[6:7], v[2:3], v[2:3] op_sel:[0,1]
	v_cmp_eq_u32_e32 vcc, 4, v19
	v_pk_mov_b32 v[12:13], v[8:9], v[8:9] op_sel:[0,1]
	v_pk_mov_b32 v[4:5], v[0:1], v[0:1] op_sel:[0,1]
	s_and_saveexec_b64 s[2:3], vcc
	s_cbranch_execz .LBB145_12
; %bb.11:                               ;   in Loop: Header=BB145_4 Depth=1
	v_add_co_u32_e32 v4, vcc, 1, v0
	v_cndmask_b32_e64 v0, 0, 1, vcc
	v_addc_co_u32_e32 v5, vcc, 0, v1, vcc
	v_cmp_eq_u32_e32 vcc, 0, v5
	v_cndmask_b32_e32 v0, 0, v0, vcc
	v_add_u32_e32 v6, v0, v2
	v_cmp_eq_u32_e32 vcc, 0, v6
	v_cndmask_b32_e32 v7, 0, v0, vcc
	v_mad_u64_u32 v[0:1], s[4:5], v4, s17, 0
	v_mad_u64_u32 v[12:13], s[4:5], v6, s34, 0
	v_xor_b32_e32 v9, v13, v26
	v_xor_b32_e32 v1, v1, v27
	v_xor_b32_e32 v9, v5, v9
	v_xor_b32_e32 v1, v7, v1
	v_mad_u64_u32 v[14:15], s[4:5], v9, s17, 0
	v_mad_u64_u32 v[58:59], s[4:5], v1, s34, 0
	v_xor_b32_e32 v1, v43, v59
	v_xor_b32_e32 v9, v42, v15
	v_xor_b32_e32 v1, v1, v12
	v_xor_b32_e32 v9, v9, v0
	;; [unrolled: 6-line block ×9, first 2 shown]
	v_mad_u64_u32 v[42:43], s[4:5], v9, s17, 0
	v_mad_u64_u32 v[44:45], s[4:5], v1, s34, 0
	v_xor_b32_e32 v1, v45, v12
	v_xor_b32_e32 v0, v43, v0
	v_mov_b32_e32 v19, 0
	v_xor_b32_e32 v12, v38, v1
	v_xor_b32_e32 v14, v39, v0
	v_mov_b32_e32 v13, v44
	v_mov_b32_e32 v15, v42
.LBB145_12:                             ;   in Loop: Header=BB145_4 Depth=1
	s_or_b64 exec, exec, s[2:3]
	v_cmp_eq_u32_e32 vcc, 1, v40
	v_cndmask_b32_e32 v0, v8, v18, vcc
	v_cmp_eq_u32_e32 vcc, 2, v40
	v_cndmask_b32_e32 v0, v0, v10, vcc
	v_cmp_eq_u32_e32 vcc, 3, v40
	v_cndmask_b32_e32 v0, v0, v16, vcc
	v_div_scale_f32 v1, s[2:3], v17, v17, 1.0
	v_cvt_f32_u32_e32 v0, v0
	v_rcp_f32_e32 v8, v1
	v_mov_b32_e32 v9, 0x2f800000
	s_mov_b64 s[26:27], exec
	v_fmac_f32_e32 v9, 0x2f800000, v0
	v_fma_f32 v0, -v1, v8, 1.0
	v_fmac_f32_e32 v8, v0, v8
	v_div_scale_f32 v0, vcc, 1.0, v17, 1.0
	v_sub_f32_e32 v18, 1.0, v9
	v_mul_f32_e32 v9, v0, v8
	v_fma_f32 v10, -v1, v9, v0
	v_fmac_f32_e32 v9, v10, v8
	v_fma_f32 v0, -v1, v9, v0
	v_div_fmas_f32 v0, v0, v8, v9
	v_div_fixup_f32 v50, v0, v17, 1.0
	v_cmp_eq_f32_e32 vcc, 1.0, v18
	v_cndmask_b32_e64 v51, v50, 1.0, vcc
	v_cmp_eq_f32_e64 s[2:3], 0, v51
	v_cndmask_b32_e64 v52, |v18|, 1.0, s[2:3]
	v_frexp_mant_f32_e32 v0, v52
	v_cmp_gt_f32_e64 s[4:5], s42, v0
	v_cndmask_b32_e64 v1, 1.0, 2.0, s[4:5]
	v_mul_f32_e32 v0, v0, v1
	v_add_f32_e32 v9, 1.0, v0
	v_rcp_f32_e32 v16, v9
	v_add_f32_e32 v1, -1.0, v9
	v_sub_f32_e32 v11, v0, v1
	v_add_f32_e32 v1, -1.0, v0
	v_mul_f32_e32 v42, v1, v16
	v_mul_f32_e32 v8, v9, v42
	v_fma_f32 v10, v42, v9, -v8
	v_fmac_f32_e32 v10, v42, v11
	v_add_f32_e32 v0, v8, v10
	v_sub_f32_e32 v9, v1, v0
	v_pk_add_f32 v[40:41], v[0:1], v[8:9] neg_lo:[0,1] neg_hi:[0,1]
	v_mov_b32_e32 v11, v0
	v_pk_add_f32 v[0:1], v[40:41], v[10:11] neg_lo:[0,1] neg_hi:[0,1]
	v_add_f32_e32 v0, v0, v1
	v_add_f32_e32 v0, v9, v0
	v_mul_f32_e32 v1, v16, v0
	v_add_f32_e32 v0, v42, v1
	v_sub_f32_e32 v8, v0, v42
	v_sub_f32_e32 v16, v1, v8
	v_mul_f32_e32 v1, v0, v0
	v_fma_f32 v9, v0, v0, -v1
	v_add_f32_e32 v8, v16, v16
	v_fmac_f32_e32 v9, v0, v8
	v_add_f32_e32 v8, v1, v9
	v_mov_b32_e32 v10, 0x3e91f4c4
	v_fmac_f32_e32 v10, 0x3e76c4e1, v8
	v_fma_f32 v10, v8, v10, v28
	v_sub_f32_e32 v1, v8, v1
	v_sub_f32_e32 v44, v9, v1
	v_mul_f32_e32 v1, v8, v10
	v_fma_f32 v9, v8, v10, -v1
	v_fmac_f32_e32 v9, v44, v10
	v_add_f32_e32 v10, v1, v9
	v_add_f32_e32 v11, 0x3f2aaaaa, v10
	v_sub_f32_e32 v1, v10, v1
	v_sub_f32_e32 v1, v9, v1
	v_add_f32_e32 v9, 0xbf2aaaaa, v11
	v_add_f32_e32 v1, 0x31739010, v1
	v_sub_f32_e32 v9, v10, v9
	v_pk_mul_f32 v[40:41], v[0:1], v[8:9]
	v_fma_f32 v10, v8, v0, -v40
	v_pk_add_f32 v[42:43], v[0:1], v[8:9]
	v_fmac_f32_e32 v10, v8, v16
	v_mov_b32_e32 v41, v43
	v_fmac_f32_e32 v10, v44, v0
	v_pk_add_f32 v[8:9], v[40:41], v[10:11]
	v_sub_f32_e32 v1, v8, v40
	v_sub_f32_e32 v1, v10, v1
	v_sub_f32_e32 v10, v11, v9
	v_add_f32_e32 v42, v43, v10
	v_mov_b32_e32 v10, v9
	v_pk_mul_f32 v[10:11], v[8:9], v[10:11]
	v_cvt_f64_f32_e32 v[40:41], v52
	v_frexp_exp_i32_f64_e32 v11, v[40:41]
	v_subbrev_co_u32_e64 v11, s[4:5], 0, v11, s[4:5]
	v_cvt_f32_i32_e32 v11, v11
	v_fma_f32 v40, v8, v9, -v10
	v_fmac_f32_e32 v40, v8, v42
	v_fmac_f32_e32 v40, v1, v9
	v_mul_f32_e32 v8, 0x3f317218, v11
	v_fma_f32 v42, v11, s43, -v8
	v_fmac_f32_e32 v42, 0xb102e308, v11
	v_ldexp_f32 v43, v0, 1
	v_add_f32_e32 v9, v10, v40
	v_pk_add_f32 v[0:1], v[8:9], v[42:43]
	v_mov_b32_e32 v44, v9
	v_mov_b32_e32 v45, v1
	;; [unrolled: 1-line block ×3, first 2 shown]
	v_pk_add_f32 v[10:11], v[44:45], v[10:11] neg_lo:[0,1] neg_hi:[0,1]
	v_mov_b32_e32 v41, v9
	v_ldexp_f32 v16, v16, 1
	v_pk_add_f32 v[10:11], v[40:41], v[10:11] neg_lo:[0,1] neg_hi:[0,1]
	v_add_f32_e32 v9, v16, v10
	v_add_f32_e32 v9, v9, v11
	v_pk_add_f32 v[10:11], v[0:1], v[8:9] neg_lo:[0,1] neg_hi:[0,1]
	v_pk_add_f32 v[40:41], v[0:1], v[8:9]
	v_mov_b32_e32 v44, v10
	v_mov_b32_e32 v45, v41
	;; [unrolled: 1-line block ×3, first 2 shown]
	v_pk_add_f32 v[44:45], v[42:43], v[44:45]
	v_mov_b32_e32 v8, v45
	v_pk_add_f32 v[46:47], v[8:9], v[0:1] neg_lo:[0,1] neg_hi:[0,1]
	v_mov_b32_e32 v47, v46
	v_mov_b32_e32 v44, v41
	;; [unrolled: 1-line block ×4, first 2 shown]
	v_pk_add_f32 v[10:11], v[42:43], v[10:11] neg_lo:[0,1] neg_hi:[0,1]
	v_pk_add_f32 v[48:49], v[40:41], v[46:47] neg_lo:[0,1] neg_hi:[0,1]
	;; [unrolled: 1-line block ×3, first 2 shown]
	v_mov_b32_e32 v42, v9
	v_pk_add_f32 v[0:1], v[42:43], v[0:1] neg_lo:[0,1] neg_hi:[0,1]
	v_mov_b32_e32 v48, v10
	v_pk_add_f32 v[40:41], v[48:49], v[0:1]
	v_mov_b32_e32 v16, v41
	v_pk_add_f32 v[42:43], v[40:41], v[16:17]
	v_pk_add_f32 v[8:9], v[8:9], v[42:43]
	v_mov_b32_e32 v11, v45
	v_mov_b32_e32 v41, v8
	v_pk_add_f32 v[44:45], v[40:41], v[10:11] neg_lo:[0,1] neg_hi:[0,1]
	v_mov_b32_e32 v1, v42
	v_sub_f32_e32 v9, v40, v44
	v_pk_add_f32 v[0:1], v[0:1], v[44:45] neg_lo:[0,1] neg_hi:[0,1]
	v_sub_f32_e32 v9, v10, v9
	v_add_f32_e32 v0, v0, v9
	v_add_f32_e32 v0, v0, v1
	v_add_f32_e32 v1, v8, v0
	v_sub_f32_e32 v8, v1, v8
	v_sub_f32_e32 v0, v0, v8
	v_mul_f32_e32 v8, v51, v1
	v_fma_f32 v1, v51, v1, -v8
	v_fmac_f32_e32 v1, v51, v0
	v_add_f32_e32 v0, v8, v1
	v_cmp_class_f32_e64 s[4:5], v8, s44
	v_sub_f32_e32 v9, v0, v8
	v_cndmask_b32_e64 v0, v0, v8, s[4:5]
	v_cmp_eq_f32_e64 s[4:5], s46, v0
	v_cndmask_b32_e64 v8, 0, v30, s[4:5]
	v_sub_f32_e32 v1, v1, v9
	v_sub_f32_e32 v9, v0, v8
	v_mul_f32_e32 v10, 0x3fb8aa3b, v9
	v_fma_f32 v11, v9, s47, -v10
	v_rndne_f32_e32 v16, v10
	v_fmac_f32_e32 v11, 0x32a5705f, v9
	v_sub_f32_e32 v10, v10, v16
	v_add_f32_e32 v10, v10, v11
	v_exp_f32_e32 v10, v10
	v_cvt_i32_f32_e32 v11, v16
	v_cmp_neq_f32_e64 s[4:5], |v0|, s45
	v_cndmask_b32_e64 v0, 0, v1, s[4:5]
	v_cmp_ngt_f32_e64 s[4:5], s48, v9
	v_ldexp_f32 v1, v10, v11
	v_cndmask_b32_e64 v1, 0, v1, s[4:5]
	v_cmp_nlt_f32_e64 s[4:5], s46, v9
	v_add_f32_e32 v0, v8, v0
	v_cndmask_b32_e64 v1, v31, v1, s[4:5]
	v_fma_f32 v0, v1, v0, v1
	v_cmp_class_f32_e64 s[4:5], v1, s44
	v_trunc_f32_e32 v8, v51
	v_cndmask_b32_e64 v0, v0, v1, s[4:5]
	v_cndmask_b32_e64 v1, v18, 1.0, s[2:3]
	v_cmp_eq_f32_e64 s[2:3], v8, v51
	v_mul_f32_e32 v8, 0.5, v51
	v_trunc_f32_e32 v9, v8
	v_cmp_neq_f32_e64 s[4:5], v9, v8
	s_and_b64 s[4:5], s[2:3], s[4:5]
	v_cndmask_b32_e64 v8, 1.0, v1, s[4:5]
	v_bfi_b32 v0, s49, v0, v8
	v_cndmask_b32_e64 v8, v32, v0, s[2:3]
	v_cmp_gt_f32_e64 s[2:3], 0, v1
	v_cndmask_b32_e64 v0, v0, v8, s[2:3]
	v_cndmask_b32_e64 v8, |v50|, 1.0, vcc
	v_cmp_neq_f32_e32 vcc, v51, v8
	v_cmp_gt_f32_e64 s[2:3], 1.0, v52
	s_xor_b64 s[2:3], vcc, s[2:3]
	v_cndmask_b32_e64 v9, v8, 0, s[2:3]
	v_cmp_eq_f32_e32 vcc, 1.0, v52
	v_cmp_eq_f32_e64 s[2:3], 0, v1
	v_cmp_gt_f32_e64 s[6:7], 0, v51
	v_cndmask_b32_e32 v9, v9, v52, vcc
	v_cmp_eq_f32_e32 vcc, s45, v8
	s_xor_b64 s[6:7], s[6:7], s[2:3]
	v_cndmask_b32_e32 v0, v0, v9, vcc
	v_cmp_eq_f32_e32 vcc, s45, v52
	v_cndmask_b32_e64 v8, v31, 0, s[6:7]
	v_cndmask_b32_e64 v1, 0, v1, s[4:5]
	v_bfi_b32 v1, s49, v8, v1
	s_or_b64 vcc, vcc, s[2:3]
	v_cndmask_b32_e32 v41, v0, v1, vcc
	v_add_f32_e32 v0, 1.0, v17
	v_bfe_u32 v1, v0, 16, 1
	v_add3_u32 v0, v0, v1, s50
	v_pk_mov_b32 v[8:9], v[12:13], v[12:13] op_sel:[0,1]
	v_and_b32_e32 v17, 0xffff0000, v0
	v_pk_mov_b32 v[10:11], v[14:15], v[14:15] op_sel:[0,1]
	v_mov_b32_e32 v40, v19
.LBB145_13:                             ;   in Loop: Header=BB145_4 Depth=1
	s_or_b64 exec, exec, s[24:25]
	s_mov_b32 s4, 0
	s_orn2_b64 s[2:3], s[26:27], exec
.LBB145_14:                             ;   in Loop: Header=BB145_4 Depth=1
	s_or_b64 exec, exec, s[22:23]
	v_mov_b32_e32 v0, s4
	s_and_saveexec_b64 s[4:5], s[2:3]
	s_cbranch_execz .LBB145_3
; %bb.15:                               ;   in Loop: Header=BB145_4 Depth=1
	v_add_f32_e32 v42, 0xbeaaaaab, v17
	v_mul_f32_e32 v0, 0x41100000, v42
	v_mul_f32_e32 v1, 0x4f800000, v0
	v_cmp_gt_f32_e32 vcc, s51, v0
	v_cndmask_b32_e32 v0, v0, v1, vcc
	v_sqrt_f32_e32 v1, v0
	v_add_u32_e32 v44, 0x9e3779b9, v26
	v_add_u32_e32 v45, 0xbb67ae85, v27
	v_add_u32_e32 v46, 0x3c6ef372, v26
	v_add_u32_e32 v12, -1, v1
	v_fma_f32 v14, -v12, v1, v0
	v_add_u32_e32 v13, 1, v1
	v_cmp_ge_f32_e64 s[2:3], 0, v14
	v_cndmask_b32_e64 v12, v1, v12, s[2:3]
	v_fma_f32 v1, -v13, v1, v0
	v_cmp_lt_f32_e64 s[2:3], 0, v1
	v_cndmask_b32_e64 v1, v12, v13, s[2:3]
	v_mul_f32_e32 v12, 0x37800000, v1
	v_cndmask_b32_e32 v1, v1, v12, vcc
	v_cmp_class_f32_e32 vcc, v0, v29
	v_cndmask_b32_e32 v0, v1, v0, vcc
	v_div_scale_f32 v1, s[2:3], v0, v0, 1.0
	v_rcp_f32_e32 v12, v1
	v_add_u32_e32 v47, 0x76cf5d0a, v27
	v_add_u32_e32 v48, 0xdaa66d2b, v26
	;; [unrolled: 1-line block ×3, first 2 shown]
	v_fma_f32 v13, -v1, v12, 1.0
	v_fmac_f32_e32 v12, v13, v12
	v_div_scale_f32 v13, vcc, 1.0, v0, 1.0
	v_mul_f32_e32 v14, v13, v12
	v_fma_f32 v15, -v1, v14, v13
	v_fmac_f32_e32 v14, v15, v12
	v_fma_f32 v1, -v1, v14, v13
	v_div_fmas_f32 v1, v1, v12, v14
	v_div_fixup_f32 v43, v1, v0, 1.0
	v_add_u32_e32 v50, 0x78dde6e4, v26
	v_add_u32_e32 v51, 0xed9eba14, v27
	v_add_u32_e32 v52, 0x1715609d, v26
	v_add_u32_e32 v53, 0xa9066899, v27
	v_add_u32_e32 v54, 0xb54cda56, v26
	v_add_u32_e32 v55, 0x646e171e, v27
	v_add_u32_e32 v56, 0x5384540f, v26
	v_add_u32_e32 v57, 0x1fd5c5a3, v27
	v_add_u32_e32 v58, 0xf1bbcdc8, v26
	v_add_u32_e32 v59, 0xdb3d7428, v27
	s_mov_b64 s[6:7], 0
	v_mov_b32_e32 v60, 0
	s_mov_b64 s[26:27], 0
                                        ; implicit-def: $sgpr22_sgpr23
                                        ; implicit-def: $sgpr24_sgpr25
                                        ; implicit-def: $vgpr0
	s_branch .LBB145_17
.LBB145_16:                             ;   in Loop: Header=BB145_17 Depth=2
	s_or_b64 exec, exec, s[26:27]
	s_and_b64 s[2:3], exec, s[2:3]
	s_or_b64 s[6:7], s[2:3], s[6:7]
	s_andn2_b64 s[2:3], s[22:23], exec
	s_and_b64 s[22:23], s[24:25], exec
	v_pk_mov_b32 v[8:9], v[12:13], v[12:13] op_sel:[0,1]
	s_or_b64 s[22:23], s[2:3], s[22:23]
	s_mov_b64 s[26:27], 0
	v_mov_b32_e32 v40, v16
	v_pk_mov_b32 v[10:11], v[14:15], v[14:15] op_sel:[0,1]
	s_andn2_b64 exec, exec, s[6:7]
	s_cbranch_execz .LBB145_28
.LBB145_17:                             ;   Parent Loop BB145_4 Depth=1
                                        ; =>  This Inner Loop Header: Depth=2
	v_cmp_eq_u32_e32 vcc, 0, v60
	v_mov_b32_e32 v1, v0
	v_mov_b32_e32 v60, 0
	s_and_saveexec_b64 s[28:29], vcc
	s_cbranch_execz .LBB145_23
; %bb.18:                               ;   in Loop: Header=BB145_17 Depth=2
	v_add_u32_e32 v0, 1, v40
	v_pk_mov_b32 v[14:15], v[10:11], v[10:11] op_sel:[0,1]
	v_cmp_eq_u32_e32 vcc, 4, v0
	v_pk_mov_b32 v[12:13], v[8:9], v[8:9] op_sel:[0,1]
	s_and_saveexec_b64 s[2:3], vcc
	s_cbranch_execz .LBB145_20
; %bb.19:                               ;   in Loop: Header=BB145_17 Depth=2
	v_add_co_u32_e32 v4, vcc, 1, v4
	v_cndmask_b32_e64 v1, 0, 1, vcc
	v_addc_co_u32_e32 v5, vcc, 0, v5, vcc
	v_cmp_eq_u32_e32 vcc, 0, v5
	v_cndmask_b32_e32 v1, 0, v1, vcc
	v_add_u32_e32 v6, v1, v6
	v_cmp_eq_u32_e32 vcc, 0, v6
	v_cndmask_b32_e32 v1, 0, v1, vcc
	v_mad_u64_u32 v[12:13], s[64:65], v4, s17, 0
	v_mad_u64_u32 v[14:15], s[64:65], v6, s34, 0
	v_add_u32_e32 v7, v1, v7
	v_xor_b32_e32 v1, v15, v26
	v_xor_b32_e32 v13, v13, v27
	v_xor_b32_e32 v1, v5, v1
	v_xor_b32_e32 v13, v7, v13
	v_mad_u64_u32 v[16:17], s[64:65], v1, s17, 0
	v_mad_u64_u32 v[18:19], s[64:65], v13, s34, 0
	v_xor_b32_e32 v1, v19, v14
	v_xor_b32_e32 v12, v17, v12
	v_xor_b32_e32 v1, v44, v1
	v_xor_b32_e32 v14, v45, v12
	v_mad_u64_u32 v[12:13], s[64:65], v1, s17, 0
	v_mad_u64_u32 v[14:15], s[64:65], v14, s34, 0
	;; [unrolled: 6-line block ×9, first 2 shown]
	v_xor_b32_e32 v1, v19, v12
	v_xor_b32_e32 v12, v38, v1
	;; [unrolled: 1-line block ×3, first 2 shown]
	v_mov_b32_e32 v0, 0
	v_xor_b32_e32 v14, v39, v1
	v_mov_b32_e32 v13, v18
	v_mov_b32_e32 v15, v16
.LBB145_20:                             ;   in Loop: Header=BB145_17 Depth=2
	s_or_b64 exec, exec, s[2:3]
	v_add_u32_e32 v61, 1, v0
	v_pk_mov_b32 v[18:19], v[14:15], v[14:15] op_sel:[0,1]
	v_cmp_eq_u32_e32 vcc, 4, v61
	v_pk_mov_b32 v[16:17], v[12:13], v[12:13] op_sel:[0,1]
	s_and_saveexec_b64 s[2:3], vcc
	s_cbranch_execz .LBB145_22
; %bb.21:                               ;   in Loop: Header=BB145_17 Depth=2
	v_add_co_u32_e32 v4, vcc, 1, v4
	v_cndmask_b32_e64 v1, 0, 1, vcc
	v_addc_co_u32_e32 v5, vcc, 0, v5, vcc
	v_cmp_eq_u32_e32 vcc, 0, v5
	v_cndmask_b32_e32 v1, 0, v1, vcc
	v_add_u32_e32 v6, v1, v6
	v_cmp_eq_u32_e32 vcc, 0, v6
	v_cndmask_b32_e32 v1, 0, v1, vcc
	v_mad_u64_u32 v[16:17], s[64:65], v4, s17, 0
	v_mad_u64_u32 v[18:19], s[64:65], v6, s34, 0
	v_add_u32_e32 v7, v1, v7
	v_xor_b32_e32 v1, v19, v26
	v_xor_b32_e32 v17, v17, v27
	v_xor_b32_e32 v1, v5, v1
	v_xor_b32_e32 v17, v7, v17
	v_mad_u64_u32 v[62:63], s[64:65], v1, s17, 0
	v_mad_u64_u32 v[64:65], s[64:65], v17, s34, 0
	v_xor_b32_e32 v1, v65, v18
	v_xor_b32_e32 v16, v63, v16
	v_xor_b32_e32 v1, v44, v1
	v_xor_b32_e32 v18, v45, v16
	v_mad_u64_u32 v[16:17], s[64:65], v1, s17, 0
	v_mad_u64_u32 v[18:19], s[64:65], v18, s34, 0
	v_xor_b32_e32 v1, v19, v64
	v_xor_b32_e32 v17, v17, v62
	v_xor_b32_e32 v1, v46, v1
	v_xor_b32_e32 v17, v47, v17
	v_mad_u64_u32 v[62:63], s[64:65], v1, s17, 0
	v_mad_u64_u32 v[64:65], s[64:65], v17, s34, 0
	v_xor_b32_e32 v1, v65, v18
	v_xor_b32_e32 v16, v63, v16
	v_xor_b32_e32 v1, v48, v1
	v_xor_b32_e32 v18, v49, v16
	v_mad_u64_u32 v[16:17], s[64:65], v1, s17, 0
	v_mad_u64_u32 v[18:19], s[64:65], v18, s34, 0
	v_xor_b32_e32 v1, v19, v64
	v_xor_b32_e32 v17, v17, v62
	v_xor_b32_e32 v1, v50, v1
	v_xor_b32_e32 v17, v51, v17
	v_mad_u64_u32 v[62:63], s[64:65], v1, s17, 0
	v_mad_u64_u32 v[64:65], s[64:65], v17, s34, 0
	v_xor_b32_e32 v1, v65, v18
	v_xor_b32_e32 v16, v63, v16
	v_xor_b32_e32 v1, v52, v1
	v_xor_b32_e32 v18, v53, v16
	v_mad_u64_u32 v[16:17], s[64:65], v1, s17, 0
	v_mad_u64_u32 v[18:19], s[64:65], v18, s34, 0
	v_xor_b32_e32 v1, v19, v64
	v_xor_b32_e32 v17, v17, v62
	v_xor_b32_e32 v1, v54, v1
	v_xor_b32_e32 v17, v55, v17
	v_mad_u64_u32 v[62:63], s[64:65], v1, s17, 0
	v_mad_u64_u32 v[64:65], s[64:65], v17, s34, 0
	v_xor_b32_e32 v1, v65, v18
	v_xor_b32_e32 v16, v63, v16
	v_xor_b32_e32 v1, v56, v1
	v_xor_b32_e32 v16, v57, v16
	v_mad_u64_u32 v[18:19], s[64:65], v1, s17, 0
	v_mad_u64_u32 v[16:17], s[64:65], v16, s34, 0
	v_xor_b32_e32 v1, v17, v64
	v_xor_b32_e32 v17, v19, v62
	v_xor_b32_e32 v17, v59, v17
	v_xor_b32_e32 v1, v58, v1
	v_mad_u64_u32 v[64:65], s[64:65], v17, s34, 0
	v_mad_u64_u32 v[62:63], s[64:65], v1, s17, 0
	v_xor_b32_e32 v1, v65, v16
	v_xor_b32_e32 v16, v38, v1
	;; [unrolled: 1-line block ×3, first 2 shown]
	v_mov_b32_e32 v61, 0
	v_xor_b32_e32 v18, v39, v1
	v_mov_b32_e32 v17, v64
	v_mov_b32_e32 v19, v62
.LBB145_22:                             ;   in Loop: Header=BB145_17 Depth=2
	s_or_b64 exec, exec, s[2:3]
	v_cmp_eq_u32_e32 vcc, 1, v40
	v_cndmask_b32_e32 v1, v8, v9, vcc
	v_cmp_eq_u32_e32 vcc, 2, v40
	v_cndmask_b32_e32 v1, v1, v10, vcc
	;; [unrolled: 2-line block ×3, first 2 shown]
	v_cvt_f32_u32_e32 v1, v1
	v_cmp_eq_u32_e32 vcc, 1, v0
	v_mov_b32_e32 v9, 0x2f800000
	v_cndmask_b32_e32 v8, v12, v13, vcc
	v_cmp_eq_u32_e32 vcc, 2, v0
	v_fmac_f32_e32 v9, 0x2f800000, v1
	v_cndmask_b32_e32 v8, v8, v14, vcc
	v_cmp_gt_f32_e32 vcc, s57, v9
	v_cndmask_b32_e32 v1, 1.0, v33, vcc
	v_mul_f32_e32 v1, v9, v1
	v_log_f32_e32 v1, v1
	v_cmp_eq_u32_e64 s[2:3], 3, v0
	v_cndmask_b32_e64 v0, v8, v15, s[2:3]
	v_cvt_f32_u32_e32 v0, v0
	v_mul_f32_e32 v8, 0x3f317217, v1
	v_fma_f32 v9, v1, s58, -v8
	v_fmac_f32_e32 v9, 0x3377d1cf, v1
	v_add_f32_e32 v8, v8, v9
	v_cmp_lt_f32_e64 s[2:3], |v1|, s45
	v_cndmask_b32_e64 v1, v1, v8, s[2:3]
	v_cndmask_b32_e32 v8, 0, v34, vcc
	v_sub_f32_e32 v1, v1, v8
	v_mul_f32_e32 v1, -2.0, v1
	v_mul_f32_e32 v8, 0x4f800000, v1
	v_cmp_gt_f32_e32 vcc, s51, v1
	v_cndmask_b32_e32 v8, v1, v8, vcc
	v_sqrt_f32_e32 v1, v8
	v_mov_b32_e32 v9, 0x30c90fdb
	v_fmac_f32_e32 v9, 0x30c90fdb, v0
	v_mov_b32_e32 v60, 1
	v_add_u32_e32 v0, -1, v1
	v_fma_f32 v10, -v0, v1, v8
	v_cmp_ge_f32_e64 s[2:3], 0, v10
	v_add_u32_e32 v10, 1, v1
	v_cndmask_b32_e64 v0, v1, v0, s[2:3]
	v_fma_f32 v1, -v10, v1, v8
	v_cmp_lt_f32_e64 s[2:3], 0, v1
	v_cndmask_b32_e64 v10, v0, v10, s[2:3]
	v_mul_f32_e32 v0, 0.15915494, v9
	v_sin_f32_e32 v1, v0
	v_cos_f32_e32 v0, v0
	v_mul_f32_e32 v11, 0x37800000, v10
	v_cndmask_b32_e32 v9, v10, v11, vcc
	v_cmp_class_f32_e32 vcc, v8, v29
	v_cndmask_b32_e32 v8, v9, v8, vcc
	v_pk_mul_f32 v[0:1], v[8:9], v[0:1] op_sel_hi:[0,1]
	v_pk_mov_b32 v[8:9], v[16:17], v[16:17] op_sel:[0,1]
	v_pk_mov_b32 v[10:11], v[18:19], v[18:19] op_sel:[0,1]
	v_mov_b32_e32 v40, v61
.LBB145_23:                             ;   in Loop: Header=BB145_17 Depth=2
	s_or_b64 exec, exec, s[28:29]
	v_fma_f32 v17, v43, v1, 1.0
	v_cmp_nge_f32_e32 vcc, 0, v17
	s_or_b64 s[26:27], vcc, s[26:27]
	s_andn2_b64 exec, exec, s[26:27]
	s_cbranch_execnz .LBB145_17
; %bb.24:                               ;   in Loop: Header=BB145_17 Depth=2
	s_or_b64 exec, exec, s[26:27]
	v_add_u32_e32 v16, 1, v40
	v_pk_mov_b32 v[14:15], v[10:11], v[10:11] op_sel:[0,1]
	v_cmp_eq_u32_e32 vcc, 4, v16
	v_pk_mov_b32 v[12:13], v[8:9], v[8:9] op_sel:[0,1]
	s_and_saveexec_b64 s[2:3], vcc
	s_cbranch_execz .LBB145_26
; %bb.25:                               ;   in Loop: Header=BB145_17 Depth=2
	v_add_co_u32_e32 v4, vcc, 1, v4
	v_cndmask_b32_e64 v12, 0, 1, vcc
	v_addc_co_u32_e32 v5, vcc, 0, v5, vcc
	v_cmp_eq_u32_e32 vcc, 0, v5
	v_cndmask_b32_e32 v12, 0, v12, vcc
	v_add_u32_e32 v6, v12, v6
	v_cmp_eq_u32_e32 vcc, 0, v6
	v_cndmask_b32_e32 v12, 0, v12, vcc
	v_add_u32_e32 v7, v12, v7
	v_mad_u64_u32 v[12:13], s[26:27], v4, s17, 0
	v_mad_u64_u32 v[14:15], s[26:27], v6, s34, 0
	v_xor_b32_e32 v15, v15, v26
	v_xor_b32_e32 v13, v13, v27
	v_xor_b32_e32 v15, v5, v15
	v_xor_b32_e32 v13, v7, v13
	v_mad_u64_u32 v[18:19], s[26:27], v15, s17, 0
	v_mad_u64_u32 v[62:63], s[26:27], v13, s34, 0
	v_xor_b32_e32 v13, v63, v14
	v_xor_b32_e32 v12, v19, v12
	v_xor_b32_e32 v13, v44, v13
	v_xor_b32_e32 v14, v45, v12
	v_mad_u64_u32 v[12:13], s[26:27], v13, s17, 0
	v_mad_u64_u32 v[14:15], s[26:27], v14, s34, 0
	v_xor_b32_e32 v15, v15, v62
	v_xor_b32_e32 v13, v13, v18
	v_xor_b32_e32 v15, v46, v15
	v_xor_b32_e32 v13, v47, v13
	v_mad_u64_u32 v[18:19], s[26:27], v15, s17, 0
	v_mad_u64_u32 v[62:63], s[26:27], v13, s34, 0
	v_xor_b32_e32 v13, v63, v14
	v_xor_b32_e32 v12, v19, v12
	v_xor_b32_e32 v13, v48, v13
	v_xor_b32_e32 v14, v49, v12
	v_mad_u64_u32 v[12:13], s[26:27], v13, s17, 0
	v_mad_u64_u32 v[14:15], s[26:27], v14, s34, 0
	v_xor_b32_e32 v15, v15, v62
	v_xor_b32_e32 v13, v13, v18
	v_xor_b32_e32 v15, v50, v15
	v_xor_b32_e32 v13, v51, v13
	v_mad_u64_u32 v[18:19], s[26:27], v15, s17, 0
	v_mad_u64_u32 v[62:63], s[26:27], v13, s34, 0
	v_xor_b32_e32 v13, v63, v14
	v_xor_b32_e32 v12, v19, v12
	v_xor_b32_e32 v13, v52, v13
	v_xor_b32_e32 v14, v53, v12
	v_mad_u64_u32 v[12:13], s[26:27], v13, s17, 0
	v_mad_u64_u32 v[14:15], s[26:27], v14, s34, 0
	v_xor_b32_e32 v15, v15, v62
	v_xor_b32_e32 v13, v13, v18
	v_xor_b32_e32 v15, v54, v15
	v_xor_b32_e32 v13, v55, v13
	v_mad_u64_u32 v[18:19], s[26:27], v15, s17, 0
	v_mad_u64_u32 v[62:63], s[26:27], v13, s34, 0
	v_xor_b32_e32 v13, v63, v14
	v_xor_b32_e32 v12, v19, v12
	v_xor_b32_e32 v13, v56, v13
	v_xor_b32_e32 v12, v57, v12
	v_mad_u64_u32 v[14:15], s[26:27], v13, s17, 0
	v_mad_u64_u32 v[12:13], s[26:27], v12, s34, 0
	v_xor_b32_e32 v13, v13, v62
	v_xor_b32_e32 v15, v15, v18
	v_xor_b32_e32 v13, v58, v13
	v_xor_b32_e32 v15, v59, v15
	v_mad_u64_u32 v[18:19], s[26:27], v13, s17, 0
	v_mad_u64_u32 v[62:63], s[26:27], v15, s34, 0
	v_xor_b32_e32 v12, v63, v12
	v_xor_b32_e32 v13, v19, v14
	v_mov_b32_e32 v16, 0
	v_xor_b32_e32 v12, v38, v12
	v_xor_b32_e32 v14, v39, v13
	v_mov_b32_e32 v13, v62
	v_mov_b32_e32 v15, v18
.LBB145_26:                             ;   in Loop: Header=BB145_17 Depth=2
	s_or_b64 exec, exec, s[2:3]
	v_cmp_eq_u32_e32 vcc, 1, v40
	v_cndmask_b32_e32 v8, v8, v9, vcc
	v_cmp_eq_u32_e32 vcc, 2, v40
	v_cndmask_b32_e32 v8, v8, v10, vcc
	;; [unrolled: 2-line block ×3, first 2 shown]
	v_cvt_f32_u32_e32 v8, v8
	v_mul_f32_e32 v9, v17, v17
	v_mul_f32_e32 v17, v17, v9
	v_mov_b32_e32 v9, 0x2f800000
	v_fmac_f32_e32 v9, 0x2f800000, v8
	v_mul_f32_e32 v1, v1, v1
	v_sub_f32_e32 v8, 1.0, v9
	v_mul_f32_e32 v9, 0xbd0793de, v1
	v_fma_f32 v9, v1, v9, 1.0
	v_cmp_nlt_f32_e32 vcc, v8, v9
	s_mov_b64 s[2:3], -1
	s_or_b64 s[24:25], s[24:25], exec
	s_and_saveexec_b64 s[26:27], vcc
	s_cbranch_execz .LBB145_16
; %bb.27:                               ;   in Loop: Header=BB145_17 Depth=2
	v_cmp_gt_f32_e32 vcc, s57, v8
	v_cndmask_b32_e32 v9, 1.0, v33, vcc
	v_mul_f32_e32 v8, v8, v9
	v_log_f32_e32 v8, v8
	s_andn2_b64 s[24:25], s[24:25], exec
	v_mul_f32_e32 v9, 0x3f317217, v8
	v_fma_f32 v10, v8, s58, -v9
	v_fmac_f32_e32 v10, 0x3377d1cf, v8
	v_add_f32_e32 v9, v9, v10
	v_cmp_lt_f32_e64 s[2:3], |v8|, s45
	v_cndmask_b32_e64 v8, v8, v9, s[2:3]
	v_cmp_gt_f32_e64 s[2:3], s57, v17
	v_cndmask_b32_e64 v9, 1.0, v33, s[2:3]
	v_mul_f32_e32 v9, v17, v9
	v_log_f32_e32 v9, v9
	v_cndmask_b32_e32 v10, 0, v34, vcc
	v_sub_f32_e32 v8, v8, v10
	v_sub_f32_e32 v10, 1.0, v17
	v_mul_f32_e32 v11, 0x3f317217, v9
	v_fma_f32 v18, v9, s58, -v11
	v_fmac_f32_e32 v18, 0x3377d1cf, v9
	v_add_f32_e32 v11, v11, v18
	v_cmp_lt_f32_e64 vcc, |v9|, s45
	v_cndmask_b32_e32 v9, v9, v11, vcc
	v_cndmask_b32_e64 v11, 0, v34, s[2:3]
	v_sub_f32_e32 v9, v9, v11
	v_add_f32_e32 v9, v10, v9
	v_mul_f32_e32 v9, v42, v9
	v_fmac_f32_e32 v9, 0.5, v1
	v_cmp_lt_f32_e32 vcc, v8, v9
	s_orn2_b64 s[2:3], vcc, exec
	s_branch .LBB145_16
.LBB145_28:                             ;   in Loop: Header=BB145_4 Depth=1
	s_or_b64 exec, exec, s[6:7]
	v_mul_f32_e32 v0, v41, v42
	s_xor_b64 s[2:3], s[22:23], -1
	v_mul_f32_e32 v1, v0, v17
                                        ; implicit-def: $vgpr0
	s_and_saveexec_b64 s[6:7], s[2:3]
	s_xor_b64 s[2:3], exec, s[6:7]
; %bb.29:                               ;   in Loop: Header=BB145_4 Depth=1
	v_bfe_u32 v0, v1, 16, 1
	v_add3_u32 v0, v1, v0, s50
	v_lshrrev_b32_e32 v0, 16, v0
	v_cmp_o_f32_e32 vcc, v1, v1
	v_cndmask_b32_e32 v0, v35, v0, vcc
                                        ; implicit-def: $vgpr1
; %bb.30:                               ;   in Loop: Header=BB145_4 Depth=1
	s_andn2_saveexec_b64 s[2:3], s[2:3]
	s_cbranch_execz .LBB145_2
; %bb.31:                               ;   in Loop: Header=BB145_4 Depth=1
	v_bfe_u32 v0, v1, 16, 1
	v_add3_u32 v0, v1, v0, s50
	v_lshrrev_b32_e32 v0, 16, v0
	v_cmp_o_f32_e32 vcc, v1, v1
	v_cndmask_b32_e32 v0, v35, v0, vcc
	s_branch .LBB145_2
.LBB145_32:
	s_endpgm
	.section	.rodata,"a",@progbits
	.p2align	6, 0x0
	.amdhsa_kernel _ZN2at4cuda12_GLOBAL__N_121kernelPointwiseApply2IZN12_GLOBAL__N_117gamma_cuda_kernelIN3c108BFloat16EEEvRKNS_10TensorBaseES9_NS_15PhiloxCudaStateEEUlRS6_RKS6_E_S6_S6_jLi2ELi1ELi1ELi256ELi2EEEvNS0_6detail10TensorInfoIT0_T2_EENSG_IT1_SI_EESI_T_
		.amdhsa_group_segment_fixed_size 0
		.amdhsa_private_segment_fixed_size 0
		.amdhsa_kernarg_size 728
		.amdhsa_user_sgpr_count 6
		.amdhsa_user_sgpr_private_segment_buffer 1
		.amdhsa_user_sgpr_dispatch_ptr 0
		.amdhsa_user_sgpr_queue_ptr 0
		.amdhsa_user_sgpr_kernarg_segment_ptr 1
		.amdhsa_user_sgpr_dispatch_id 0
		.amdhsa_user_sgpr_flat_scratch_init 0
		.amdhsa_user_sgpr_kernarg_preload_length 0
		.amdhsa_user_sgpr_kernarg_preload_offset 0
		.amdhsa_user_sgpr_private_segment_size 0
		.amdhsa_uses_dynamic_stack 0
		.amdhsa_system_sgpr_private_segment_wavefront_offset 0
		.amdhsa_system_sgpr_workgroup_id_x 1
		.amdhsa_system_sgpr_workgroup_id_y 0
		.amdhsa_system_sgpr_workgroup_id_z 0
		.amdhsa_system_sgpr_workgroup_info 0
		.amdhsa_system_vgpr_workitem_id 0
		.amdhsa_next_free_vgpr 66
		.amdhsa_next_free_sgpr 66
		.amdhsa_accum_offset 68
		.amdhsa_reserve_vcc 1
		.amdhsa_reserve_flat_scratch 0
		.amdhsa_float_round_mode_32 0
		.amdhsa_float_round_mode_16_64 0
		.amdhsa_float_denorm_mode_32 3
		.amdhsa_float_denorm_mode_16_64 3
		.amdhsa_dx10_clamp 1
		.amdhsa_ieee_mode 1
		.amdhsa_fp16_overflow 0
		.amdhsa_tg_split 0
		.amdhsa_exception_fp_ieee_invalid_op 0
		.amdhsa_exception_fp_denorm_src 0
		.amdhsa_exception_fp_ieee_div_zero 0
		.amdhsa_exception_fp_ieee_overflow 0
		.amdhsa_exception_fp_ieee_underflow 0
		.amdhsa_exception_fp_ieee_inexact 0
		.amdhsa_exception_int_div_zero 0
	.end_amdhsa_kernel
	.section	.text._ZN2at4cuda12_GLOBAL__N_121kernelPointwiseApply2IZN12_GLOBAL__N_117gamma_cuda_kernelIN3c108BFloat16EEEvRKNS_10TensorBaseES9_NS_15PhiloxCudaStateEEUlRS6_RKS6_E_S6_S6_jLi2ELi1ELi1ELi256ELi2EEEvNS0_6detail10TensorInfoIT0_T2_EENSG_IT1_SI_EESI_T_,"axG",@progbits,_ZN2at4cuda12_GLOBAL__N_121kernelPointwiseApply2IZN12_GLOBAL__N_117gamma_cuda_kernelIN3c108BFloat16EEEvRKNS_10TensorBaseES9_NS_15PhiloxCudaStateEEUlRS6_RKS6_E_S6_S6_jLi2ELi1ELi1ELi256ELi2EEEvNS0_6detail10TensorInfoIT0_T2_EENSG_IT1_SI_EESI_T_,comdat
.Lfunc_end145:
	.size	_ZN2at4cuda12_GLOBAL__N_121kernelPointwiseApply2IZN12_GLOBAL__N_117gamma_cuda_kernelIN3c108BFloat16EEEvRKNS_10TensorBaseES9_NS_15PhiloxCudaStateEEUlRS6_RKS6_E_S6_S6_jLi2ELi1ELi1ELi256ELi2EEEvNS0_6detail10TensorInfoIT0_T2_EENSG_IT1_SI_EESI_T_, .Lfunc_end145-_ZN2at4cuda12_GLOBAL__N_121kernelPointwiseApply2IZN12_GLOBAL__N_117gamma_cuda_kernelIN3c108BFloat16EEEvRKNS_10TensorBaseES9_NS_15PhiloxCudaStateEEUlRS6_RKS6_E_S6_S6_jLi2ELi1ELi1ELi256ELi2EEEvNS0_6detail10TensorInfoIT0_T2_EENSG_IT1_SI_EESI_T_
                                        ; -- End function
	.section	.AMDGPU.csdata,"",@progbits
; Kernel info:
; codeLenInByte = 5312
; NumSgprs: 70
; NumVgprs: 66
; NumAgprs: 0
; TotalNumVgprs: 66
; ScratchSize: 0
; MemoryBound: 0
; FloatMode: 240
; IeeeMode: 1
; LDSByteSize: 0 bytes/workgroup (compile time only)
; SGPRBlocks: 8
; VGPRBlocks: 8
; NumSGPRsForWavesPerEU: 70
; NumVGPRsForWavesPerEU: 66
; AccumOffset: 68
; Occupancy: 7
; WaveLimiterHint : 1
; COMPUTE_PGM_RSRC2:SCRATCH_EN: 0
; COMPUTE_PGM_RSRC2:USER_SGPR: 6
; COMPUTE_PGM_RSRC2:TRAP_HANDLER: 0
; COMPUTE_PGM_RSRC2:TGID_X_EN: 1
; COMPUTE_PGM_RSRC2:TGID_Y_EN: 0
; COMPUTE_PGM_RSRC2:TGID_Z_EN: 0
; COMPUTE_PGM_RSRC2:TIDIG_COMP_CNT: 0
; COMPUTE_PGM_RSRC3_GFX90A:ACCUM_OFFSET: 16
; COMPUTE_PGM_RSRC3_GFX90A:TG_SPLIT: 0
	.section	.text._ZN2at4cuda12_GLOBAL__N_121kernelPointwiseApply2IZN12_GLOBAL__N_117gamma_cuda_kernelIN3c108BFloat16EEEvRKNS_10TensorBaseES9_NS_15PhiloxCudaStateEEUlRS6_RKS6_E_S6_S6_jLi2ELi2ELi1ELi256ELi2EEEvNS0_6detail10TensorInfoIT0_T2_EENSG_IT1_SI_EESI_T_,"axG",@progbits,_ZN2at4cuda12_GLOBAL__N_121kernelPointwiseApply2IZN12_GLOBAL__N_117gamma_cuda_kernelIN3c108BFloat16EEEvRKNS_10TensorBaseES9_NS_15PhiloxCudaStateEEUlRS6_RKS6_E_S6_S6_jLi2ELi2ELi1ELi256ELi2EEEvNS0_6detail10TensorInfoIT0_T2_EENSG_IT1_SI_EESI_T_,comdat
	.globl	_ZN2at4cuda12_GLOBAL__N_121kernelPointwiseApply2IZN12_GLOBAL__N_117gamma_cuda_kernelIN3c108BFloat16EEEvRKNS_10TensorBaseES9_NS_15PhiloxCudaStateEEUlRS6_RKS6_E_S6_S6_jLi2ELi2ELi1ELi256ELi2EEEvNS0_6detail10TensorInfoIT0_T2_EENSG_IT1_SI_EESI_T_ ; -- Begin function _ZN2at4cuda12_GLOBAL__N_121kernelPointwiseApply2IZN12_GLOBAL__N_117gamma_cuda_kernelIN3c108BFloat16EEEvRKNS_10TensorBaseES9_NS_15PhiloxCudaStateEEUlRS6_RKS6_E_S6_S6_jLi2ELi2ELi1ELi256ELi2EEEvNS0_6detail10TensorInfoIT0_T2_EENSG_IT1_SI_EESI_T_
	.p2align	8
	.type	_ZN2at4cuda12_GLOBAL__N_121kernelPointwiseApply2IZN12_GLOBAL__N_117gamma_cuda_kernelIN3c108BFloat16EEEvRKNS_10TensorBaseES9_NS_15PhiloxCudaStateEEUlRS6_RKS6_E_S6_S6_jLi2ELi2ELi1ELi256ELi2EEEvNS0_6detail10TensorInfoIT0_T2_EENSG_IT1_SI_EESI_T_,@function
_ZN2at4cuda12_GLOBAL__N_121kernelPointwiseApply2IZN12_GLOBAL__N_117gamma_cuda_kernelIN3c108BFloat16EEEvRKNS_10TensorBaseES9_NS_15PhiloxCudaStateEEUlRS6_RKS6_E_S6_S6_jLi2ELi2ELi1ELi256ELi2EEEvNS0_6detail10TensorInfoIT0_T2_EENSG_IT1_SI_EESI_T_: ; @_ZN2at4cuda12_GLOBAL__N_121kernelPointwiseApply2IZN12_GLOBAL__N_117gamma_cuda_kernelIN3c108BFloat16EEEvRKNS_10TensorBaseES9_NS_15PhiloxCudaStateEEUlRS6_RKS6_E_S6_S6_jLi2ELi2ELi1ELi256ELi2EEEvNS0_6detail10TensorInfoIT0_T2_EENSG_IT1_SI_EESI_T_
; %bb.0:
	s_load_dword s2, s[4:5], 0x1e4
	s_load_dword s33, s[4:5], 0x1b0
	s_add_u32 s0, s4, 0x1d8
	s_addc_u32 s1, s5, 0
	s_waitcnt lgkmcnt(0)
	s_and_b32 s2, s2, 0xffff
	s_mul_i32 s6, s6, s2
	v_add_u32_e32 v2, s6, v0
	v_cmp_gt_u32_e32 vcc, s33, v2
	s_and_saveexec_b64 s[6:7], vcc
	s_cbranch_execz .LBB146_34
; %bb.1:
	s_load_dwordx2 s[12:13], s[4:5], 0x0
	s_load_dword s34, s[4:5], 0xc
	s_load_dwordx2 s[14:15], s[4:5], 0x6c
	s_load_dwordx2 s[16:17], s[4:5], 0xd8
	s_load_dword s3, s[4:5], 0x1d0
	s_load_dword s35, s[4:5], 0xe4
	s_load_dwordx2 s[18:19], s[4:5], 0x144
	s_load_dwordx2 s[20:21], s[4:5], 0x1c8
	s_load_dwordx4 s[8:11], s[4:5], 0x1b8
	s_load_dword s37, s[0:1], 0x0
	s_waitcnt lgkmcnt(0)
	v_cvt_f32_u32_e32 v0, s34
	v_cvt_f32_u32_e32 v1, s35
	s_mov_b32 s36, 0xcd9e8d57
	s_bitcmp1_b32 s3, 0
	v_rcp_iflag_f32_e32 v0, v0
	v_rcp_iflag_f32_e32 v1, v1
	v_mad_u64_u32 v[20:21], s[0:1], v2, s36, 0
	v_mul_f32_e32 v0, 0x4f7ffffe, v0
	v_cvt_u32_f32_e32 v0, v0
	v_mul_f32_e32 v1, 0x4f7ffffe, v1
	v_cvt_u32_f32_e32 v1, v1
	s_mul_i32 s37, s37, s2
	s_cselect_b64 s[0:1], -1, 0
	s_sub_i32 s2, 0, s34
	v_mul_lo_u32 v4, s2, v0
	v_mul_hi_u32 v4, v0, v4
	s_sub_i32 s2, 0, s35
	v_mov_b32_e32 v22, v21
	v_add_u32_e32 v21, v0, v4
	v_mul_lo_u32 v0, s2, v1
	v_mul_hi_u32 v0, v1, v0
	v_add_u32_e32 v23, v1, v0
	v_cndmask_b32_e64 v0, 0, 1, s[0:1]
	v_mov_b32_e32 v3, 0
	s_mov_b64 s[22:23], 0
	v_mov_b32_e32 v28, s17
	v_cmp_ne_u32_e64 s[0:1], 1, v0
	s_mov_b32 s17, 0xd2511f53
	s_mov_b32 s38, 0x9e3779b9
	;; [unrolled: 1-line block ×6, first 2 shown]
	v_mov_b32_e32 v29, 0x3ecccdef
	s_mov_b32 s43, 0x3f317218
	s_movk_i32 s44, 0x204
	s_mov_b32 s45, 0x7f800000
	s_mov_b32 s46, 0x42b17218
	;; [unrolled: 1-line block ×4, first 2 shown]
	s_brev_b32 s49, -2
	s_movk_i32 s50, 0x7fff
	s_mov_b32 s51, 0xf800000
	v_mov_b32_e32 v30, 0x260
	s_mov_b32 s52, 0x32370b8f
	s_mov_b32 s53, 0x78dde6e4
	;; [unrolled: 1-line block ×14, first 2 shown]
	v_mov_b32_e32 v31, 0x37000000
	v_mov_b32_e32 v32, 0x7f800000
	;; [unrolled: 1-line block ×8, first 2 shown]
	s_branch .LBB146_4
.LBB146_2:                              ;   in Loop: Header=BB146_4 Depth=1
	s_or_b64 exec, exec, s[2:3]
.LBB146_3:                              ;   in Loop: Header=BB146_4 Depth=1
	s_or_b64 exec, exec, s[4:5]
	v_lshlrev_b64 v[4:5], 1, v[24:25]
	v_mov_b32_e32 v1, s13
	v_add_co_u32_e32 v4, vcc, s12, v4
	v_addc_co_u32_e32 v5, vcc, v1, v5, vcc
	v_lshlrev_b32_e32 v1, 16, v0
	v_cmp_ngt_f32_e32 vcc, s58, v1
	v_add_u32_e32 v38, s37, v38
	v_cndmask_b32_e32 v0, v37, v0, vcc
	v_cmp_le_u32_e32 vcc, s33, v38
	s_or_b64 s[22:23], vcc, s[22:23]
	global_store_short v[4:5], v0, off
	s_andn2_b64 exec, exec, s[22:23]
	s_cbranch_execz .LBB146_34
.LBB146_4:                              ; =>This Loop Header: Depth=1
                                        ;     Child Loop BB146_19 Depth 2
	v_sub_u32_e32 v0, s33, v38
	v_cmp_lt_i32_e32 vcc, 0, v0
	v_pk_mov_b32 v[0:1], 0, 0
	v_pk_mov_b32 v[24:25], v[0:1], v[0:1] op_sel:[0,1]
	s_and_saveexec_b64 s[4:5], vcc
	s_cbranch_execz .LBB146_6
; %bb.5:                                ;   in Loop: Header=BB146_4 Depth=1
	v_mul_hi_u32 v4, v38, v21
	v_mul_lo_u32 v5, v4, s34
	v_sub_u32_e32 v5, v38, v5
	v_add_u32_e32 v6, 1, v4
	v_cmp_le_u32_e64 s[2:3], s34, v5
	v_cndmask_b32_e64 v4, v4, v6, s[2:3]
	v_subrev_u32_e32 v6, s34, v5
	v_cndmask_b32_e64 v5, v5, v6, s[2:3]
	v_add_u32_e32 v6, 1, v4
	v_cmp_le_u32_e64 s[2:3], s34, v5
	v_cndmask_b32_e64 v5, v4, v6, s[2:3]
	v_mul_lo_u32 v4, v5, s34
	v_sub_u32_e32 v4, v38, v4
	v_mul_lo_u32 v4, v4, s15
	v_mad_u64_u32 v[24:25], s[2:3], v5, s14, v[4:5]
	v_mov_b32_e32 v25, v3
.LBB146_6:                              ;   in Loop: Header=BB146_4 Depth=1
	s_or_b64 exec, exec, s[4:5]
	s_and_saveexec_b64 s[2:3], vcc
	s_cbranch_execz .LBB146_8
; %bb.7:                                ;   in Loop: Header=BB146_4 Depth=1
	v_mul_hi_u32 v0, v38, v23
	v_mul_lo_u32 v1, v0, s35
	v_sub_u32_e32 v1, v38, v1
	v_add_u32_e32 v4, 1, v0
	v_cmp_le_u32_e32 vcc, s35, v1
	v_cndmask_b32_e32 v0, v0, v4, vcc
	v_subrev_u32_e32 v4, s35, v1
	v_cndmask_b32_e32 v1, v1, v4, vcc
	v_add_u32_e32 v4, 1, v0
	v_cmp_le_u32_e32 vcc, s35, v1
	v_cndmask_b32_e32 v1, v0, v4, vcc
	v_mul_lo_u32 v0, v1, s35
	v_sub_u32_e32 v0, v38, v0
	v_mul_lo_u32 v0, v0, s19
	v_mad_u64_u32 v[0:1], s[4:5], v1, s18, v[0:1]
	v_mov_b32_e32 v1, v3
.LBB146_8:                              ;   in Loop: Header=BB146_4 Depth=1
	s_or_b64 exec, exec, s[2:3]
	v_lshlrev_b64 v[0:1], 1, v[0:1]
	v_add_co_u32_e32 v0, vcc, s16, v0
	v_addc_co_u32_e32 v1, vcc, v28, v1, vcc
	global_load_ushort v4, v[0:1], off
	s_and_b64 vcc, exec, s[0:1]
	v_pk_mov_b32 v[0:1], s[10:11], s[10:11] op_sel:[0,1]
	v_pk_mov_b32 v[26:27], s[8:9], s[8:9] op_sel:[0,1]
	s_cbranch_vccnz .LBB146_10
; %bb.9:                                ;   in Loop: Header=BB146_4 Depth=1
	v_pk_mov_b32 v[0:1], s[10:11], s[10:11] op_sel:[0,1]
	flat_load_dwordx2 v[0:1], v[0:1]
	v_pk_mov_b32 v[6:7], s[8:9], s[8:9] op_sel:[0,1]
	flat_load_dwordx2 v[26:27], v[6:7]
	v_mov_b32_e32 v5, s21
	s_waitcnt vmcnt(0) lgkmcnt(0)
	v_add_co_u32_e32 v0, vcc, s20, v0
	v_addc_co_u32_e32 v1, vcc, v1, v5, vcc
.LBB146_10:                             ;   in Loop: Header=BB146_4 Depth=1
	v_and_b32_e32 v41, 3, v0
	v_alignbit_b32 v0, v1, v0, 2
	v_mad_u64_u32 v[8:9], s[2:3], v0, s17, 0
	v_lshrrev_b32_e32 v1, 2, v1
	v_xor_b32_e32 v5, v9, v27
	v_xor_b32_e32 v7, v22, v26
	v_mov_b32_e32 v6, v27
	v_xor_b32_e32 v7, v7, v1
	v_mad_u64_u32 v[12:13], s[2:3], v5, s36, 0
	v_add_co_u32_e32 v44, vcc, s38, v26
	v_add_co_u32_e32 v43, vcc, s39, v6
	v_mad_u64_u32 v[10:11], s[2:3], v7, s17, 0
	v_xor_b32_e32 v5, v20, v13
	v_xor_b32_e32 v5, v5, v44
	v_xor_b32_e32 v7, v43, v11
	v_xor_b32_e32 v7, v7, v8
	v_add_co_u32_e32 v45, vcc, s41, v6
	v_mad_u64_u32 v[8:9], s[2:3], v5, s17, 0
	v_add_co_u32_e32 v46, vcc, s40, v26
	v_mad_u64_u32 v[14:15], s[2:3], v7, s36, 0
	v_xor_b32_e32 v7, v45, v9
	v_xor_b32_e32 v5, v46, v15
	v_xor_b32_e32 v7, v7, v10
	v_xor_b32_e32 v5, v5, v12
	v_add_co_u32_e32 v48, vcc, s60, v26
	v_mad_u64_u32 v[12:13], s[2:3], v7, s36, 0
	;; [unrolled: 8-line block ×7, first 2 shown]
	v_add_co_u32_e32 v58, vcc, s64, v26
	v_mad_u64_u32 v[8:9], s[2:3], v8, s36, 0
	v_xor_b32_e32 v7, v57, v7
	v_xor_b32_e32 v5, v58, v9
	;; [unrolled: 1-line block ×4, first 2 shown]
	v_mad_u64_u32 v[18:19], s[2:3], v7, s36, 0
	v_add_u32_e32 v39, 0x8ff34781, v26
	v_mad_u64_u32 v[16:17], s[2:3], v5, s17, 0
	v_xor_b32_e32 v5, v19, v8
	v_add_u32_e32 v40, 0x96a522ad, v27
	v_xor_b32_e32 v8, v39, v5
	v_xor_b32_e32 v5, v17, v6
	;; [unrolled: 1-line block ×3, first 2 shown]
	s_waitcnt vmcnt(0)
	v_lshlrev_b32_e32 v17, 16, v4
	v_pk_mov_b32 v[6:7], v[2:3], v[2:3] op_sel:[0,1]
	v_mov_b32_e32 v9, v18
	v_mov_b32_e32 v11, v16
	v_cmp_gt_f32_e32 vcc, 1.0, v17
	s_mov_b64 s[2:3], -1
	v_mov_b32_e32 v42, 1.0
	v_pk_mov_b32 v[4:5], v[0:1], v[0:1] op_sel:[0,1]
                                        ; implicit-def: $sgpr4
	s_and_saveexec_b64 s[24:25], vcc
	s_cbranch_execz .LBB146_16
; %bb.11:                               ;   in Loop: Header=BB146_4 Depth=1
	v_cmp_neq_f32_e32 vcc, 0, v17
	s_mov_b64 s[28:29], 0
	v_mov_b32_e32 v42, 1.0
                                        ; implicit-def: $vgpr4_vgpr5_vgpr6_vgpr7
	s_and_saveexec_b64 s[26:27], vcc
	s_cbranch_execz .LBB146_15
; %bb.12:                               ;   in Loop: Header=BB146_4 Depth=1
	v_add_u32_e32 v19, 1, v41
	v_pk_mov_b32 v[14:15], v[10:11], v[10:11] op_sel:[0,1]
	v_pk_mov_b32 v[6:7], v[2:3], v[2:3] op_sel:[0,1]
	v_cmp_eq_u32_e32 vcc, 4, v19
	v_pk_mov_b32 v[12:13], v[8:9], v[8:9] op_sel:[0,1]
	v_pk_mov_b32 v[4:5], v[0:1], v[0:1] op_sel:[0,1]
	s_and_saveexec_b64 s[2:3], vcc
	s_cbranch_execz .LBB146_14
; %bb.13:                               ;   in Loop: Header=BB146_4 Depth=1
	v_add_co_u32_e32 v4, vcc, 1, v0
	v_cndmask_b32_e64 v0, 0, 1, vcc
	v_addc_co_u32_e32 v5, vcc, 0, v1, vcc
	v_cmp_eq_u32_e32 vcc, 0, v5
	v_cndmask_b32_e32 v0, 0, v0, vcc
	v_add_u32_e32 v6, v0, v2
	v_cmp_eq_u32_e32 vcc, 0, v6
	v_cndmask_b32_e32 v7, 0, v0, vcc
	v_mad_u64_u32 v[0:1], s[4:5], v4, s17, 0
	v_mad_u64_u32 v[12:13], s[4:5], v6, s36, 0
	v_xor_b32_e32 v9, v13, v26
	v_xor_b32_e32 v1, v1, v27
	v_xor_b32_e32 v9, v5, v9
	v_xor_b32_e32 v1, v7, v1
	v_mad_u64_u32 v[14:15], s[4:5], v9, s17, 0
	v_mad_u64_u32 v[60:61], s[4:5], v1, s36, 0
	v_xor_b32_e32 v1, v44, v61
	v_xor_b32_e32 v9, v43, v15
	v_xor_b32_e32 v1, v1, v12
	v_xor_b32_e32 v9, v9, v0
	v_mad_u64_u32 v[0:1], s[4:5], v1, s17, 0
	v_mad_u64_u32 v[12:13], s[4:5], v9, s36, 0
	v_xor_b32_e32 v9, v46, v13
	v_xor_b32_e32 v1, v45, v1
	v_xor_b32_e32 v9, v9, v60
	v_xor_b32_e32 v1, v1, v14
	v_mad_u64_u32 v[14:15], s[4:5], v9, s17, 0
	v_mad_u64_u32 v[42:43], s[4:5], v1, s36, 0
	v_xor_b32_e32 v1, v48, v43
	v_xor_b32_e32 v9, v47, v15
	v_xor_b32_e32 v1, v1, v12
	v_xor_b32_e32 v9, v9, v0
	v_mad_u64_u32 v[0:1], s[4:5], v1, s17, 0
	v_mad_u64_u32 v[12:13], s[4:5], v9, s36, 0
	v_xor_b32_e32 v9, v50, v13
	v_xor_b32_e32 v1, v49, v1
	v_xor_b32_e32 v9, v9, v42
	v_xor_b32_e32 v1, v1, v14
	v_mad_u64_u32 v[14:15], s[4:5], v9, s17, 0
	v_mad_u64_u32 v[42:43], s[4:5], v1, s36, 0
	v_xor_b32_e32 v1, v52, v43
	v_xor_b32_e32 v9, v51, v15
	v_xor_b32_e32 v1, v1, v12
	v_xor_b32_e32 v9, v9, v0
	v_mad_u64_u32 v[0:1], s[4:5], v1, s17, 0
	v_mad_u64_u32 v[12:13], s[4:5], v9, s36, 0
	v_xor_b32_e32 v9, v54, v13
	v_xor_b32_e32 v1, v53, v1
	v_xor_b32_e32 v9, v9, v42
	v_xor_b32_e32 v1, v1, v14
	v_mad_u64_u32 v[14:15], s[4:5], v9, s17, 0
	v_mad_u64_u32 v[42:43], s[4:5], v1, s36, 0
	v_xor_b32_e32 v1, v56, v43
	v_xor_b32_e32 v9, v55, v15
	v_xor_b32_e32 v1, v1, v12
	v_xor_b32_e32 v9, v9, v0
	v_mad_u64_u32 v[0:1], s[4:5], v1, s17, 0
	v_mad_u64_u32 v[12:13], s[4:5], v9, s36, 0
	v_xor_b32_e32 v9, v58, v13
	v_xor_b32_e32 v1, v57, v1
	v_xor_b32_e32 v9, v9, v42
	v_xor_b32_e32 v1, v1, v14
	v_mad_u64_u32 v[42:43], s[4:5], v9, s17, 0
	v_mad_u64_u32 v[44:45], s[4:5], v1, s36, 0
	v_xor_b32_e32 v1, v45, v12
	v_xor_b32_e32 v0, v43, v0
	v_mov_b32_e32 v19, 0
	v_xor_b32_e32 v12, v39, v1
	v_xor_b32_e32 v14, v40, v0
	v_mov_b32_e32 v13, v44
	v_mov_b32_e32 v15, v42
.LBB146_14:                             ;   in Loop: Header=BB146_4 Depth=1
	s_or_b64 exec, exec, s[2:3]
	v_cmp_eq_u32_e32 vcc, 1, v41
	v_cndmask_b32_e32 v0, v8, v18, vcc
	v_cmp_eq_u32_e32 vcc, 2, v41
	v_cndmask_b32_e32 v0, v0, v10, vcc
	v_cmp_eq_u32_e32 vcc, 3, v41
	v_cndmask_b32_e32 v0, v0, v16, vcc
	v_div_scale_f32 v1, s[2:3], v17, v17, 1.0
	v_cvt_f32_u32_e32 v0, v0
	v_rcp_f32_e32 v8, v1
	v_mov_b32_e32 v9, 0x2f800000
	s_mov_b64 s[28:29], exec
	v_fmac_f32_e32 v9, 0x2f800000, v0
	v_fma_f32 v0, -v1, v8, 1.0
	v_fmac_f32_e32 v8, v0, v8
	v_div_scale_f32 v0, vcc, 1.0, v17, 1.0
	v_sub_f32_e32 v18, 1.0, v9
	v_mul_f32_e32 v9, v0, v8
	v_fma_f32 v10, -v1, v9, v0
	v_fmac_f32_e32 v9, v10, v8
	v_fma_f32 v0, -v1, v9, v0
	v_div_fmas_f32 v0, v0, v8, v9
	v_div_fixup_f32 v52, v0, v17, 1.0
	v_cmp_eq_f32_e32 vcc, 1.0, v18
	v_cndmask_b32_e64 v53, v52, 1.0, vcc
	v_cmp_eq_f32_e64 s[2:3], 0, v53
	v_cndmask_b32_e64 v54, |v18|, 1.0, s[2:3]
	v_frexp_mant_f32_e32 v0, v54
	v_cmp_gt_f32_e64 s[4:5], s42, v0
	v_cndmask_b32_e64 v1, 1.0, 2.0, s[4:5]
	v_mul_f32_e32 v0, v0, v1
	v_add_f32_e32 v9, 1.0, v0
	v_rcp_f32_e32 v16, v9
	v_add_f32_e32 v1, -1.0, v9
	v_sub_f32_e32 v11, v0, v1
	v_add_f32_e32 v1, -1.0, v0
	v_mul_f32_e32 v41, v1, v16
	v_mul_f32_e32 v8, v9, v41
	v_fma_f32 v10, v41, v9, -v8
	v_fmac_f32_e32 v10, v41, v11
	v_add_f32_e32 v0, v8, v10
	v_sub_f32_e32 v9, v1, v0
	v_pk_add_f32 v[42:43], v[0:1], v[8:9] neg_lo:[0,1] neg_hi:[0,1]
	v_mov_b32_e32 v11, v0
	v_pk_add_f32 v[0:1], v[42:43], v[10:11] neg_lo:[0,1] neg_hi:[0,1]
	v_add_f32_e32 v0, v0, v1
	v_add_f32_e32 v0, v9, v0
	v_mul_f32_e32 v1, v16, v0
	v_add_f32_e32 v0, v41, v1
	v_sub_f32_e32 v8, v0, v41
	v_sub_f32_e32 v16, v1, v8
	v_mul_f32_e32 v1, v0, v0
	v_fma_f32 v9, v0, v0, -v1
	v_add_f32_e32 v8, v16, v16
	v_fmac_f32_e32 v9, v0, v8
	v_add_f32_e32 v8, v1, v9
	v_mov_b32_e32 v10, 0x3e91f4c4
	v_fmac_f32_e32 v10, 0x3e76c4e1, v8
	v_fma_f32 v10, v8, v10, v29
	v_sub_f32_e32 v1, v8, v1
	v_sub_f32_e32 v41, v9, v1
	v_mul_f32_e32 v1, v8, v10
	v_fma_f32 v9, v8, v10, -v1
	v_fmac_f32_e32 v9, v41, v10
	v_add_f32_e32 v10, v1, v9
	v_add_f32_e32 v11, 0x3f2aaaaa, v10
	v_sub_f32_e32 v1, v10, v1
	v_sub_f32_e32 v1, v9, v1
	v_add_f32_e32 v9, 0xbf2aaaaa, v11
	v_add_f32_e32 v1, 0x31739010, v1
	v_sub_f32_e32 v9, v10, v9
	v_pk_mul_f32 v[42:43], v[0:1], v[8:9]
	v_fma_f32 v10, v8, v0, -v42
	v_pk_add_f32 v[44:45], v[0:1], v[8:9]
	v_fmac_f32_e32 v10, v8, v16
	v_mov_b32_e32 v43, v45
	v_fmac_f32_e32 v10, v41, v0
	v_pk_add_f32 v[8:9], v[42:43], v[10:11]
	v_sub_f32_e32 v1, v8, v42
	v_sub_f32_e32 v1, v10, v1
	;; [unrolled: 1-line block ×3, first 2 shown]
	v_add_f32_e32 v41, v45, v10
	v_mov_b32_e32 v10, v9
	v_pk_mul_f32 v[10:11], v[8:9], v[10:11]
	v_cvt_f64_f32_e32 v[42:43], v54
	v_frexp_exp_i32_f64_e32 v11, v[42:43]
	v_subbrev_co_u32_e64 v11, s[4:5], 0, v11, s[4:5]
	v_cvt_f32_i32_e32 v11, v11
	v_fma_f32 v42, v8, v9, -v10
	v_fmac_f32_e32 v42, v8, v41
	v_fmac_f32_e32 v42, v1, v9
	v_mul_f32_e32 v8, 0x3f317218, v11
	v_fma_f32 v44, v11, s43, -v8
	v_fmac_f32_e32 v44, 0xb102e308, v11
	v_ldexp_f32 v45, v0, 1
	v_add_f32_e32 v9, v10, v42
	v_pk_add_f32 v[0:1], v[8:9], v[44:45]
	v_mov_b32_e32 v46, v9
	v_mov_b32_e32 v47, v1
	;; [unrolled: 1-line block ×3, first 2 shown]
	v_pk_add_f32 v[10:11], v[46:47], v[10:11] neg_lo:[0,1] neg_hi:[0,1]
	v_mov_b32_e32 v43, v9
	v_ldexp_f32 v16, v16, 1
	v_pk_add_f32 v[10:11], v[42:43], v[10:11] neg_lo:[0,1] neg_hi:[0,1]
	v_add_f32_e32 v9, v16, v10
	v_add_f32_e32 v9, v9, v11
	v_pk_add_f32 v[10:11], v[0:1], v[8:9] neg_lo:[0,1] neg_hi:[0,1]
	v_pk_add_f32 v[42:43], v[0:1], v[8:9]
	v_mov_b32_e32 v46, v10
	v_mov_b32_e32 v47, v43
	;; [unrolled: 1-line block ×3, first 2 shown]
	v_pk_add_f32 v[46:47], v[44:45], v[46:47]
	v_mov_b32_e32 v8, v47
	v_pk_add_f32 v[48:49], v[8:9], v[0:1] neg_lo:[0,1] neg_hi:[0,1]
	v_mov_b32_e32 v41, v48
	v_mov_b32_e32 v46, v43
	;; [unrolled: 1-line block ×4, first 2 shown]
	v_pk_add_f32 v[10:11], v[44:45], v[10:11] neg_lo:[0,1] neg_hi:[0,1]
	v_pk_add_f32 v[50:51], v[42:43], v[40:41] neg_lo:[0,1] neg_hi:[0,1]
	;; [unrolled: 1-line block ×3, first 2 shown]
	v_mov_b32_e32 v44, v9
	v_pk_add_f32 v[0:1], v[44:45], v[0:1] neg_lo:[0,1] neg_hi:[0,1]
	v_mov_b32_e32 v50, v10
	v_pk_add_f32 v[42:43], v[50:51], v[0:1]
	v_mov_b32_e32 v16, v43
	v_pk_add_f32 v[44:45], v[42:43], v[16:17]
	v_pk_add_f32 v[8:9], v[8:9], v[44:45]
	v_mov_b32_e32 v11, v47
	v_mov_b32_e32 v43, v8
	v_pk_add_f32 v[46:47], v[42:43], v[10:11] neg_lo:[0,1] neg_hi:[0,1]
	v_mov_b32_e32 v1, v44
	v_sub_f32_e32 v9, v42, v46
	v_pk_add_f32 v[0:1], v[0:1], v[46:47] neg_lo:[0,1] neg_hi:[0,1]
	v_sub_f32_e32 v9, v10, v9
	v_add_f32_e32 v0, v0, v9
	v_add_f32_e32 v0, v0, v1
	;; [unrolled: 1-line block ×3, first 2 shown]
	v_sub_f32_e32 v8, v1, v8
	v_sub_f32_e32 v0, v0, v8
	v_mul_f32_e32 v8, v53, v1
	v_fma_f32 v1, v53, v1, -v8
	v_fmac_f32_e32 v1, v53, v0
	v_add_f32_e32 v0, v8, v1
	v_cmp_class_f32_e64 s[4:5], v8, s44
	v_sub_f32_e32 v9, v0, v8
	v_cndmask_b32_e64 v0, v0, v8, s[4:5]
	v_cmp_eq_f32_e64 s[4:5], s46, v0
	v_cndmask_b32_e64 v8, 0, v31, s[4:5]
	v_sub_f32_e32 v1, v1, v9
	v_sub_f32_e32 v9, v0, v8
	v_mul_f32_e32 v10, 0x3fb8aa3b, v9
	v_fma_f32 v11, v9, s47, -v10
	v_rndne_f32_e32 v16, v10
	v_fmac_f32_e32 v11, 0x32a5705f, v9
	v_sub_f32_e32 v10, v10, v16
	v_add_f32_e32 v10, v10, v11
	v_exp_f32_e32 v10, v10
	v_cvt_i32_f32_e32 v11, v16
	v_cmp_neq_f32_e64 s[4:5], |v0|, s45
	v_cndmask_b32_e64 v0, 0, v1, s[4:5]
	v_cmp_ngt_f32_e64 s[4:5], s48, v9
	v_ldexp_f32 v1, v10, v11
	v_cndmask_b32_e64 v1, 0, v1, s[4:5]
	v_cmp_nlt_f32_e64 s[4:5], s46, v9
	v_add_f32_e32 v0, v8, v0
	v_cndmask_b32_e64 v1, v32, v1, s[4:5]
	v_fma_f32 v0, v1, v0, v1
	v_cmp_class_f32_e64 s[4:5], v1, s44
	v_trunc_f32_e32 v8, v53
	v_cndmask_b32_e64 v0, v0, v1, s[4:5]
	v_cndmask_b32_e64 v1, v18, 1.0, s[2:3]
	v_cmp_eq_f32_e64 s[2:3], v8, v53
	v_mul_f32_e32 v8, 0.5, v53
	v_trunc_f32_e32 v9, v8
	v_cmp_neq_f32_e64 s[4:5], v9, v8
	s_and_b64 s[4:5], s[2:3], s[4:5]
	v_cndmask_b32_e64 v8, 1.0, v1, s[4:5]
	v_bfi_b32 v0, s49, v0, v8
	v_cndmask_b32_e64 v8, v33, v0, s[2:3]
	v_cmp_gt_f32_e64 s[2:3], 0, v1
	v_cndmask_b32_e64 v0, v0, v8, s[2:3]
	v_cndmask_b32_e64 v8, |v52|, 1.0, vcc
	v_cmp_neq_f32_e32 vcc, v53, v8
	v_cmp_gt_f32_e64 s[2:3], 1.0, v54
	s_xor_b64 s[2:3], vcc, s[2:3]
	v_cndmask_b32_e64 v9, v8, 0, s[2:3]
	v_cmp_eq_f32_e32 vcc, 1.0, v54
	v_cmp_eq_f32_e64 s[2:3], 0, v1
	v_cmp_gt_f32_e64 s[6:7], 0, v53
	v_cndmask_b32_e32 v9, v9, v54, vcc
	v_cmp_eq_f32_e32 vcc, s45, v8
	s_xor_b64 s[6:7], s[6:7], s[2:3]
	v_cndmask_b32_e32 v0, v0, v9, vcc
	v_cmp_eq_f32_e32 vcc, s45, v54
	v_cndmask_b32_e64 v8, v32, 0, s[6:7]
	v_cndmask_b32_e64 v1, 0, v1, s[4:5]
	v_bfi_b32 v1, s49, v8, v1
	s_or_b64 vcc, vcc, s[2:3]
	v_cndmask_b32_e32 v42, v0, v1, vcc
	v_add_f32_e32 v0, 1.0, v17
	v_bfe_u32 v1, v0, 16, 1
	v_add3_u32 v0, v0, v1, s50
	v_pk_mov_b32 v[8:9], v[12:13], v[12:13] op_sel:[0,1]
	v_and_b32_e32 v17, 0xffff0000, v0
	v_pk_mov_b32 v[10:11], v[14:15], v[14:15] op_sel:[0,1]
	v_mov_b32_e32 v41, v19
.LBB146_15:                             ;   in Loop: Header=BB146_4 Depth=1
	s_or_b64 exec, exec, s[26:27]
	s_mov_b32 s4, 0
	s_orn2_b64 s[2:3], s[28:29], exec
.LBB146_16:                             ;   in Loop: Header=BB146_4 Depth=1
	s_or_b64 exec, exec, s[24:25]
	v_mov_b32_e32 v0, s4
	s_and_saveexec_b64 s[4:5], s[2:3]
	s_cbranch_execz .LBB146_3
; %bb.17:                               ;   in Loop: Header=BB146_4 Depth=1
	v_add_f32_e32 v43, 0xbeaaaaab, v17
	v_mul_f32_e32 v0, 0x41100000, v43
	v_mul_f32_e32 v1, 0x4f800000, v0
	v_cmp_gt_f32_e32 vcc, s51, v0
	v_cndmask_b32_e32 v0, v0, v1, vcc
	v_sqrt_f32_e32 v1, v0
	v_add_u32_e32 v45, 0x9e3779b9, v26
	v_add_u32_e32 v46, 0xbb67ae85, v27
	;; [unrolled: 1-line block ×3, first 2 shown]
	v_add_u32_e32 v12, -1, v1
	v_fma_f32 v14, -v12, v1, v0
	v_add_u32_e32 v13, 1, v1
	v_cmp_ge_f32_e64 s[2:3], 0, v14
	v_cndmask_b32_e64 v12, v1, v12, s[2:3]
	v_fma_f32 v1, -v13, v1, v0
	v_cmp_lt_f32_e64 s[2:3], 0, v1
	v_cndmask_b32_e64 v1, v12, v13, s[2:3]
	v_mul_f32_e32 v12, 0x37800000, v1
	v_cndmask_b32_e32 v1, v1, v12, vcc
	v_cmp_class_f32_e32 vcc, v0, v30
	v_cndmask_b32_e32 v0, v1, v0, vcc
	v_div_scale_f32 v1, s[2:3], v0, v0, 1.0
	v_rcp_f32_e32 v12, v1
	v_add_u32_e32 v48, 0x76cf5d0a, v27
	v_add_u32_e32 v49, 0xdaa66d2b, v26
	;; [unrolled: 1-line block ×3, first 2 shown]
	v_fma_f32 v13, -v1, v12, 1.0
	v_fmac_f32_e32 v12, v13, v12
	v_div_scale_f32 v13, vcc, 1.0, v0, 1.0
	v_mul_f32_e32 v14, v13, v12
	v_fma_f32 v15, -v1, v14, v13
	v_fmac_f32_e32 v14, v15, v12
	v_fma_f32 v1, -v1, v14, v13
	v_div_fmas_f32 v1, v1, v12, v14
	v_div_fixup_f32 v44, v1, v0, 1.0
	v_add_u32_e32 v51, 0x78dde6e4, v26
	v_add_u32_e32 v52, 0xed9eba14, v27
	;; [unrolled: 1-line block ×10, first 2 shown]
	s_mov_b64 s[6:7], 0
	v_mov_b32_e32 v61, 0
	s_mov_b64 s[28:29], 0
                                        ; implicit-def: $sgpr24_sgpr25
                                        ; implicit-def: $sgpr26_sgpr27
                                        ; implicit-def: $vgpr0
	s_branch .LBB146_19
.LBB146_18:                             ;   in Loop: Header=BB146_19 Depth=2
	s_or_b64 exec, exec, s[28:29]
	s_and_b64 s[2:3], exec, s[2:3]
	s_or_b64 s[6:7], s[2:3], s[6:7]
	s_andn2_b64 s[2:3], s[24:25], exec
	s_and_b64 s[24:25], s[26:27], exec
	v_pk_mov_b32 v[8:9], v[12:13], v[12:13] op_sel:[0,1]
	s_or_b64 s[24:25], s[2:3], s[24:25]
	s_mov_b64 s[28:29], 0
	v_mov_b32_e32 v41, v16
	v_pk_mov_b32 v[10:11], v[14:15], v[14:15] op_sel:[0,1]
	s_andn2_b64 exec, exec, s[6:7]
	s_cbranch_execz .LBB146_30
.LBB146_19:                             ;   Parent Loop BB146_4 Depth=1
                                        ; =>  This Inner Loop Header: Depth=2
	v_cmp_eq_u32_e32 vcc, 0, v61
	v_mov_b32_e32 v1, v0
	v_mov_b32_e32 v61, 0
	s_and_saveexec_b64 s[30:31], vcc
	s_cbranch_execz .LBB146_25
; %bb.20:                               ;   in Loop: Header=BB146_19 Depth=2
	v_add_u32_e32 v0, 1, v41
	v_pk_mov_b32 v[14:15], v[10:11], v[10:11] op_sel:[0,1]
	v_cmp_eq_u32_e32 vcc, 4, v0
	v_pk_mov_b32 v[12:13], v[8:9], v[8:9] op_sel:[0,1]
	s_and_saveexec_b64 s[2:3], vcc
	s_cbranch_execz .LBB146_22
; %bb.21:                               ;   in Loop: Header=BB146_19 Depth=2
	v_add_co_u32_e32 v4, vcc, 1, v4
	v_cndmask_b32_e64 v1, 0, 1, vcc
	v_addc_co_u32_e32 v5, vcc, 0, v5, vcc
	v_cmp_eq_u32_e32 vcc, 0, v5
	v_cndmask_b32_e32 v1, 0, v1, vcc
	v_add_u32_e32 v6, v1, v6
	v_cmp_eq_u32_e32 vcc, 0, v6
	v_cndmask_b32_e32 v1, 0, v1, vcc
	v_mad_u64_u32 v[12:13], s[66:67], v4, s17, 0
	v_mad_u64_u32 v[14:15], s[66:67], v6, s36, 0
	v_add_u32_e32 v7, v1, v7
	v_xor_b32_e32 v1, v15, v26
	v_xor_b32_e32 v13, v13, v27
	v_xor_b32_e32 v1, v5, v1
	v_xor_b32_e32 v13, v7, v13
	v_mad_u64_u32 v[16:17], s[66:67], v1, s17, 0
	v_mad_u64_u32 v[18:19], s[66:67], v13, s36, 0
	v_xor_b32_e32 v1, v19, v14
	v_xor_b32_e32 v12, v17, v12
	v_xor_b32_e32 v1, v45, v1
	v_xor_b32_e32 v14, v46, v12
	v_mad_u64_u32 v[12:13], s[66:67], v1, s17, 0
	v_mad_u64_u32 v[14:15], s[66:67], v14, s36, 0
	;; [unrolled: 6-line block ×9, first 2 shown]
	v_xor_b32_e32 v1, v19, v12
	v_xor_b32_e32 v12, v39, v1
	v_xor_b32_e32 v1, v17, v14
	v_mov_b32_e32 v0, 0
	v_xor_b32_e32 v14, v40, v1
	v_mov_b32_e32 v13, v18
	v_mov_b32_e32 v15, v16
.LBB146_22:                             ;   in Loop: Header=BB146_19 Depth=2
	s_or_b64 exec, exec, s[2:3]
	v_add_u32_e32 v62, 1, v0
	v_pk_mov_b32 v[18:19], v[14:15], v[14:15] op_sel:[0,1]
	v_cmp_eq_u32_e32 vcc, 4, v62
	v_pk_mov_b32 v[16:17], v[12:13], v[12:13] op_sel:[0,1]
	s_and_saveexec_b64 s[2:3], vcc
	s_cbranch_execz .LBB146_24
; %bb.23:                               ;   in Loop: Header=BB146_19 Depth=2
	v_add_co_u32_e32 v4, vcc, 1, v4
	v_cndmask_b32_e64 v1, 0, 1, vcc
	v_addc_co_u32_e32 v5, vcc, 0, v5, vcc
	v_cmp_eq_u32_e32 vcc, 0, v5
	v_cndmask_b32_e32 v1, 0, v1, vcc
	v_add_u32_e32 v6, v1, v6
	v_cmp_eq_u32_e32 vcc, 0, v6
	v_cndmask_b32_e32 v1, 0, v1, vcc
	v_mad_u64_u32 v[16:17], s[66:67], v4, s17, 0
	v_mad_u64_u32 v[18:19], s[66:67], v6, s36, 0
	v_add_u32_e32 v7, v1, v7
	v_xor_b32_e32 v1, v19, v26
	v_xor_b32_e32 v17, v17, v27
	v_xor_b32_e32 v1, v5, v1
	v_xor_b32_e32 v17, v7, v17
	v_mad_u64_u32 v[64:65], s[66:67], v1, s17, 0
	v_mad_u64_u32 v[66:67], s[66:67], v17, s36, 0
	v_xor_b32_e32 v1, v67, v18
	v_xor_b32_e32 v16, v65, v16
	v_xor_b32_e32 v1, v45, v1
	v_xor_b32_e32 v18, v46, v16
	v_mad_u64_u32 v[16:17], s[66:67], v1, s17, 0
	v_mad_u64_u32 v[18:19], s[66:67], v18, s36, 0
	;; [unrolled: 6-line block ×9, first 2 shown]
	v_xor_b32_e32 v1, v67, v16
	v_xor_b32_e32 v16, v39, v1
	;; [unrolled: 1-line block ×3, first 2 shown]
	v_mov_b32_e32 v62, 0
	v_xor_b32_e32 v18, v40, v1
	v_mov_b32_e32 v17, v66
	v_mov_b32_e32 v19, v64
.LBB146_24:                             ;   in Loop: Header=BB146_19 Depth=2
	s_or_b64 exec, exec, s[2:3]
	v_cmp_eq_u32_e32 vcc, 1, v41
	v_cndmask_b32_e32 v1, v8, v9, vcc
	v_cmp_eq_u32_e32 vcc, 2, v41
	v_cndmask_b32_e32 v1, v1, v10, vcc
	;; [unrolled: 2-line block ×3, first 2 shown]
	v_cvt_f32_u32_e32 v1, v1
	v_cmp_eq_u32_e32 vcc, 1, v0
	v_mov_b32_e32 v9, 0x2f800000
	v_cndmask_b32_e32 v8, v12, v13, vcc
	v_cmp_eq_u32_e32 vcc, 2, v0
	v_fmac_f32_e32 v9, 0x2f800000, v1
	v_cndmask_b32_e32 v8, v8, v14, vcc
	v_cmp_gt_f32_e32 vcc, s58, v9
	v_cndmask_b32_e32 v1, 1.0, v34, vcc
	v_mul_f32_e32 v1, v9, v1
	v_log_f32_e32 v1, v1
	v_cmp_eq_u32_e64 s[2:3], 3, v0
	v_cndmask_b32_e64 v0, v8, v15, s[2:3]
	v_cvt_f32_u32_e32 v0, v0
	v_mul_f32_e32 v8, 0x3f317217, v1
	v_fma_f32 v9, v1, s59, -v8
	v_fmac_f32_e32 v9, 0x3377d1cf, v1
	v_add_f32_e32 v8, v8, v9
	v_cmp_lt_f32_e64 s[2:3], |v1|, s45
	v_cndmask_b32_e64 v1, v1, v8, s[2:3]
	v_cndmask_b32_e32 v8, 0, v35, vcc
	v_sub_f32_e32 v1, v1, v8
	v_mul_f32_e32 v1, -2.0, v1
	v_mul_f32_e32 v8, 0x4f800000, v1
	v_cmp_gt_f32_e32 vcc, s51, v1
	v_cndmask_b32_e32 v8, v1, v8, vcc
	v_sqrt_f32_e32 v1, v8
	v_mov_b32_e32 v9, 0x30c90fdb
	v_fmac_f32_e32 v9, 0x30c90fdb, v0
	v_mov_b32_e32 v61, 1
	v_add_u32_e32 v0, -1, v1
	v_fma_f32 v10, -v0, v1, v8
	v_cmp_ge_f32_e64 s[2:3], 0, v10
	v_add_u32_e32 v10, 1, v1
	v_cndmask_b32_e64 v0, v1, v0, s[2:3]
	v_fma_f32 v1, -v10, v1, v8
	v_cmp_lt_f32_e64 s[2:3], 0, v1
	v_cndmask_b32_e64 v10, v0, v10, s[2:3]
	v_mul_f32_e32 v0, 0.15915494, v9
	v_sin_f32_e32 v1, v0
	v_cos_f32_e32 v0, v0
	v_mul_f32_e32 v11, 0x37800000, v10
	v_cndmask_b32_e32 v9, v10, v11, vcc
	v_cmp_class_f32_e32 vcc, v8, v30
	v_cndmask_b32_e32 v8, v9, v8, vcc
	v_pk_mul_f32 v[0:1], v[8:9], v[0:1] op_sel_hi:[0,1]
	v_pk_mov_b32 v[8:9], v[16:17], v[16:17] op_sel:[0,1]
	v_pk_mov_b32 v[10:11], v[18:19], v[18:19] op_sel:[0,1]
	v_mov_b32_e32 v41, v62
.LBB146_25:                             ;   in Loop: Header=BB146_19 Depth=2
	s_or_b64 exec, exec, s[30:31]
	v_fma_f32 v17, v44, v1, 1.0
	v_cmp_nge_f32_e32 vcc, 0, v17
	s_or_b64 s[28:29], vcc, s[28:29]
	s_andn2_b64 exec, exec, s[28:29]
	s_cbranch_execnz .LBB146_19
; %bb.26:                               ;   in Loop: Header=BB146_19 Depth=2
	s_or_b64 exec, exec, s[28:29]
	v_add_u32_e32 v16, 1, v41
	v_pk_mov_b32 v[14:15], v[10:11], v[10:11] op_sel:[0,1]
	v_cmp_eq_u32_e32 vcc, 4, v16
	v_pk_mov_b32 v[12:13], v[8:9], v[8:9] op_sel:[0,1]
	s_and_saveexec_b64 s[2:3], vcc
	s_cbranch_execz .LBB146_28
; %bb.27:                               ;   in Loop: Header=BB146_19 Depth=2
	v_add_co_u32_e32 v4, vcc, 1, v4
	v_cndmask_b32_e64 v12, 0, 1, vcc
	v_addc_co_u32_e32 v5, vcc, 0, v5, vcc
	v_cmp_eq_u32_e32 vcc, 0, v5
	v_cndmask_b32_e32 v12, 0, v12, vcc
	v_add_u32_e32 v6, v12, v6
	v_cmp_eq_u32_e32 vcc, 0, v6
	v_cndmask_b32_e32 v12, 0, v12, vcc
	v_add_u32_e32 v7, v12, v7
	v_mad_u64_u32 v[12:13], s[28:29], v4, s17, 0
	v_mad_u64_u32 v[14:15], s[28:29], v6, s36, 0
	v_xor_b32_e32 v15, v15, v26
	v_xor_b32_e32 v13, v13, v27
	v_xor_b32_e32 v15, v5, v15
	v_xor_b32_e32 v13, v7, v13
	v_mad_u64_u32 v[18:19], s[28:29], v15, s17, 0
	v_mad_u64_u32 v[62:63], s[28:29], v13, s36, 0
	v_xor_b32_e32 v13, v63, v14
	v_xor_b32_e32 v12, v19, v12
	v_xor_b32_e32 v13, v45, v13
	v_xor_b32_e32 v14, v46, v12
	;; [unrolled: 6-line block ×9, first 2 shown]
	v_mad_u64_u32 v[18:19], s[28:29], v13, s17, 0
	v_mad_u64_u32 v[62:63], s[28:29], v15, s36, 0
	v_xor_b32_e32 v12, v63, v12
	v_xor_b32_e32 v13, v19, v14
	v_mov_b32_e32 v16, 0
	v_xor_b32_e32 v12, v39, v12
	v_xor_b32_e32 v14, v40, v13
	v_mov_b32_e32 v13, v62
	v_mov_b32_e32 v15, v18
.LBB146_28:                             ;   in Loop: Header=BB146_19 Depth=2
	s_or_b64 exec, exec, s[2:3]
	v_cmp_eq_u32_e32 vcc, 1, v41
	v_cndmask_b32_e32 v8, v8, v9, vcc
	v_cmp_eq_u32_e32 vcc, 2, v41
	v_cndmask_b32_e32 v8, v8, v10, vcc
	v_cmp_eq_u32_e32 vcc, 3, v41
	v_cndmask_b32_e32 v8, v8, v11, vcc
	v_cvt_f32_u32_e32 v8, v8
	v_mul_f32_e32 v9, v17, v17
	v_mul_f32_e32 v17, v17, v9
	v_mov_b32_e32 v9, 0x2f800000
	v_fmac_f32_e32 v9, 0x2f800000, v8
	v_mul_f32_e32 v1, v1, v1
	v_sub_f32_e32 v8, 1.0, v9
	v_mul_f32_e32 v9, 0xbd0793de, v1
	v_fma_f32 v9, v1, v9, 1.0
	v_cmp_nlt_f32_e32 vcc, v8, v9
	s_mov_b64 s[2:3], -1
	s_or_b64 s[26:27], s[26:27], exec
	s_and_saveexec_b64 s[28:29], vcc
	s_cbranch_execz .LBB146_18
; %bb.29:                               ;   in Loop: Header=BB146_19 Depth=2
	v_cmp_gt_f32_e32 vcc, s58, v8
	v_cndmask_b32_e32 v9, 1.0, v34, vcc
	v_mul_f32_e32 v8, v8, v9
	v_log_f32_e32 v8, v8
	s_andn2_b64 s[26:27], s[26:27], exec
	v_mul_f32_e32 v9, 0x3f317217, v8
	v_fma_f32 v10, v8, s59, -v9
	v_fmac_f32_e32 v10, 0x3377d1cf, v8
	v_add_f32_e32 v9, v9, v10
	v_cmp_lt_f32_e64 s[2:3], |v8|, s45
	v_cndmask_b32_e64 v8, v8, v9, s[2:3]
	v_cmp_gt_f32_e64 s[2:3], s58, v17
	v_cndmask_b32_e64 v9, 1.0, v34, s[2:3]
	v_mul_f32_e32 v9, v17, v9
	v_log_f32_e32 v9, v9
	v_cndmask_b32_e32 v10, 0, v35, vcc
	v_sub_f32_e32 v8, v8, v10
	v_sub_f32_e32 v10, 1.0, v17
	v_mul_f32_e32 v11, 0x3f317217, v9
	v_fma_f32 v18, v9, s59, -v11
	v_fmac_f32_e32 v18, 0x3377d1cf, v9
	v_add_f32_e32 v11, v11, v18
	v_cmp_lt_f32_e64 vcc, |v9|, s45
	v_cndmask_b32_e32 v9, v9, v11, vcc
	v_cndmask_b32_e64 v11, 0, v35, s[2:3]
	v_sub_f32_e32 v9, v9, v11
	v_add_f32_e32 v9, v10, v9
	v_mul_f32_e32 v9, v43, v9
	v_fmac_f32_e32 v9, 0.5, v1
	v_cmp_lt_f32_e32 vcc, v8, v9
	s_orn2_b64 s[2:3], vcc, exec
	s_branch .LBB146_18
.LBB146_30:                             ;   in Loop: Header=BB146_4 Depth=1
	s_or_b64 exec, exec, s[6:7]
	v_mul_f32_e32 v0, v42, v43
	s_xor_b64 s[2:3], s[24:25], -1
	v_mul_f32_e32 v1, v0, v17
                                        ; implicit-def: $vgpr0
	s_and_saveexec_b64 s[6:7], s[2:3]
	s_xor_b64 s[2:3], exec, s[6:7]
; %bb.31:                               ;   in Loop: Header=BB146_4 Depth=1
	v_bfe_u32 v0, v1, 16, 1
	v_add3_u32 v0, v1, v0, s50
	v_lshrrev_b32_e32 v0, 16, v0
	v_cmp_o_f32_e32 vcc, v1, v1
	v_cndmask_b32_e32 v0, v36, v0, vcc
                                        ; implicit-def: $vgpr1
; %bb.32:                               ;   in Loop: Header=BB146_4 Depth=1
	s_andn2_saveexec_b64 s[2:3], s[2:3]
	s_cbranch_execz .LBB146_2
; %bb.33:                               ;   in Loop: Header=BB146_4 Depth=1
	v_bfe_u32 v0, v1, 16, 1
	v_add3_u32 v0, v1, v0, s50
	v_lshrrev_b32_e32 v0, 16, v0
	v_cmp_o_f32_e32 vcc, v1, v1
	v_cndmask_b32_e32 v0, v36, v0, vcc
	s_branch .LBB146_2
.LBB146_34:
	s_endpgm
	.section	.rodata,"a",@progbits
	.p2align	6, 0x0
	.amdhsa_kernel _ZN2at4cuda12_GLOBAL__N_121kernelPointwiseApply2IZN12_GLOBAL__N_117gamma_cuda_kernelIN3c108BFloat16EEEvRKNS_10TensorBaseES9_NS_15PhiloxCudaStateEEUlRS6_RKS6_E_S6_S6_jLi2ELi2ELi1ELi256ELi2EEEvNS0_6detail10TensorInfoIT0_T2_EENSG_IT1_SI_EESI_T_
		.amdhsa_group_segment_fixed_size 0
		.amdhsa_private_segment_fixed_size 0
		.amdhsa_kernarg_size 728
		.amdhsa_user_sgpr_count 6
		.amdhsa_user_sgpr_private_segment_buffer 1
		.amdhsa_user_sgpr_dispatch_ptr 0
		.amdhsa_user_sgpr_queue_ptr 0
		.amdhsa_user_sgpr_kernarg_segment_ptr 1
		.amdhsa_user_sgpr_dispatch_id 0
		.amdhsa_user_sgpr_flat_scratch_init 0
		.amdhsa_user_sgpr_kernarg_preload_length 0
		.amdhsa_user_sgpr_kernarg_preload_offset 0
		.amdhsa_user_sgpr_private_segment_size 0
		.amdhsa_uses_dynamic_stack 0
		.amdhsa_system_sgpr_private_segment_wavefront_offset 0
		.amdhsa_system_sgpr_workgroup_id_x 1
		.amdhsa_system_sgpr_workgroup_id_y 0
		.amdhsa_system_sgpr_workgroup_id_z 0
		.amdhsa_system_sgpr_workgroup_info 0
		.amdhsa_system_vgpr_workitem_id 0
		.amdhsa_next_free_vgpr 68
		.amdhsa_next_free_sgpr 68
		.amdhsa_accum_offset 68
		.amdhsa_reserve_vcc 1
		.amdhsa_reserve_flat_scratch 0
		.amdhsa_float_round_mode_32 0
		.amdhsa_float_round_mode_16_64 0
		.amdhsa_float_denorm_mode_32 3
		.amdhsa_float_denorm_mode_16_64 3
		.amdhsa_dx10_clamp 1
		.amdhsa_ieee_mode 1
		.amdhsa_fp16_overflow 0
		.amdhsa_tg_split 0
		.amdhsa_exception_fp_ieee_invalid_op 0
		.amdhsa_exception_fp_denorm_src 0
		.amdhsa_exception_fp_ieee_div_zero 0
		.amdhsa_exception_fp_ieee_overflow 0
		.amdhsa_exception_fp_ieee_underflow 0
		.amdhsa_exception_fp_ieee_inexact 0
		.amdhsa_exception_int_div_zero 0
	.end_amdhsa_kernel
	.section	.text._ZN2at4cuda12_GLOBAL__N_121kernelPointwiseApply2IZN12_GLOBAL__N_117gamma_cuda_kernelIN3c108BFloat16EEEvRKNS_10TensorBaseES9_NS_15PhiloxCudaStateEEUlRS6_RKS6_E_S6_S6_jLi2ELi2ELi1ELi256ELi2EEEvNS0_6detail10TensorInfoIT0_T2_EENSG_IT1_SI_EESI_T_,"axG",@progbits,_ZN2at4cuda12_GLOBAL__N_121kernelPointwiseApply2IZN12_GLOBAL__N_117gamma_cuda_kernelIN3c108BFloat16EEEvRKNS_10TensorBaseES9_NS_15PhiloxCudaStateEEUlRS6_RKS6_E_S6_S6_jLi2ELi2ELi1ELi256ELi2EEEvNS0_6detail10TensorInfoIT0_T2_EENSG_IT1_SI_EESI_T_,comdat
.Lfunc_end146:
	.size	_ZN2at4cuda12_GLOBAL__N_121kernelPointwiseApply2IZN12_GLOBAL__N_117gamma_cuda_kernelIN3c108BFloat16EEEvRKNS_10TensorBaseES9_NS_15PhiloxCudaStateEEUlRS6_RKS6_E_S6_S6_jLi2ELi2ELi1ELi256ELi2EEEvNS0_6detail10TensorInfoIT0_T2_EENSG_IT1_SI_EESI_T_, .Lfunc_end146-_ZN2at4cuda12_GLOBAL__N_121kernelPointwiseApply2IZN12_GLOBAL__N_117gamma_cuda_kernelIN3c108BFloat16EEEvRKNS_10TensorBaseES9_NS_15PhiloxCudaStateEEUlRS6_RKS6_E_S6_S6_jLi2ELi2ELi1ELi256ELi2EEEvNS0_6detail10TensorInfoIT0_T2_EENSG_IT1_SI_EESI_T_
                                        ; -- End function
	.section	.AMDGPU.csdata,"",@progbits
; Kernel info:
; codeLenInByte = 5448
; NumSgprs: 72
; NumVgprs: 68
; NumAgprs: 0
; TotalNumVgprs: 68
; ScratchSize: 0
; MemoryBound: 0
; FloatMode: 240
; IeeeMode: 1
; LDSByteSize: 0 bytes/workgroup (compile time only)
; SGPRBlocks: 8
; VGPRBlocks: 8
; NumSGPRsForWavesPerEU: 72
; NumVGPRsForWavesPerEU: 68
; AccumOffset: 68
; Occupancy: 7
; WaveLimiterHint : 1
; COMPUTE_PGM_RSRC2:SCRATCH_EN: 0
; COMPUTE_PGM_RSRC2:USER_SGPR: 6
; COMPUTE_PGM_RSRC2:TRAP_HANDLER: 0
; COMPUTE_PGM_RSRC2:TGID_X_EN: 1
; COMPUTE_PGM_RSRC2:TGID_Y_EN: 0
; COMPUTE_PGM_RSRC2:TGID_Z_EN: 0
; COMPUTE_PGM_RSRC2:TIDIG_COMP_CNT: 0
; COMPUTE_PGM_RSRC3_GFX90A:ACCUM_OFFSET: 16
; COMPUTE_PGM_RSRC3_GFX90A:TG_SPLIT: 0
	.section	.text._ZN2at4cuda12_GLOBAL__N_121kernelPointwiseApply2IZN12_GLOBAL__N_117gamma_cuda_kernelIN3c108BFloat16EEEvRKNS_10TensorBaseES9_NS_15PhiloxCudaStateEEUlRS6_RKS6_E_S6_S6_jLi2ELin1ELi1ELi256ELi2EEEvNS0_6detail10TensorInfoIT0_T2_EENSG_IT1_SI_EESI_T_,"axG",@progbits,_ZN2at4cuda12_GLOBAL__N_121kernelPointwiseApply2IZN12_GLOBAL__N_117gamma_cuda_kernelIN3c108BFloat16EEEvRKNS_10TensorBaseES9_NS_15PhiloxCudaStateEEUlRS6_RKS6_E_S6_S6_jLi2ELin1ELi1ELi256ELi2EEEvNS0_6detail10TensorInfoIT0_T2_EENSG_IT1_SI_EESI_T_,comdat
	.globl	_ZN2at4cuda12_GLOBAL__N_121kernelPointwiseApply2IZN12_GLOBAL__N_117gamma_cuda_kernelIN3c108BFloat16EEEvRKNS_10TensorBaseES9_NS_15PhiloxCudaStateEEUlRS6_RKS6_E_S6_S6_jLi2ELin1ELi1ELi256ELi2EEEvNS0_6detail10TensorInfoIT0_T2_EENSG_IT1_SI_EESI_T_ ; -- Begin function _ZN2at4cuda12_GLOBAL__N_121kernelPointwiseApply2IZN12_GLOBAL__N_117gamma_cuda_kernelIN3c108BFloat16EEEvRKNS_10TensorBaseES9_NS_15PhiloxCudaStateEEUlRS6_RKS6_E_S6_S6_jLi2ELin1ELi1ELi256ELi2EEEvNS0_6detail10TensorInfoIT0_T2_EENSG_IT1_SI_EESI_T_
	.p2align	8
	.type	_ZN2at4cuda12_GLOBAL__N_121kernelPointwiseApply2IZN12_GLOBAL__N_117gamma_cuda_kernelIN3c108BFloat16EEEvRKNS_10TensorBaseES9_NS_15PhiloxCudaStateEEUlRS6_RKS6_E_S6_S6_jLi2ELin1ELi1ELi256ELi2EEEvNS0_6detail10TensorInfoIT0_T2_EENSG_IT1_SI_EESI_T_,@function
_ZN2at4cuda12_GLOBAL__N_121kernelPointwiseApply2IZN12_GLOBAL__N_117gamma_cuda_kernelIN3c108BFloat16EEEvRKNS_10TensorBaseES9_NS_15PhiloxCudaStateEEUlRS6_RKS6_E_S6_S6_jLi2ELin1ELi1ELi256ELi2EEEvNS0_6detail10TensorInfoIT0_T2_EENSG_IT1_SI_EESI_T_: ; @_ZN2at4cuda12_GLOBAL__N_121kernelPointwiseApply2IZN12_GLOBAL__N_117gamma_cuda_kernelIN3c108BFloat16EEEvRKNS_10TensorBaseES9_NS_15PhiloxCudaStateEEUlRS6_RKS6_E_S6_S6_jLi2ELin1ELi1ELi256ELi2EEEvNS0_6detail10TensorInfoIT0_T2_EENSG_IT1_SI_EESI_T_
; %bb.0:
	s_load_dword s2, s[4:5], 0x1e4
	s_load_dword s33, s[4:5], 0x1b0
	s_add_u32 s0, s4, 0x1d8
	s_addc_u32 s1, s5, 0
	s_waitcnt lgkmcnt(0)
	s_and_b32 s2, s2, 0xffff
	s_mul_i32 s6, s6, s2
	v_add_u32_e32 v2, s6, v0
	v_cmp_gt_u32_e32 vcc, s33, v2
	s_and_saveexec_b64 s[6:7], vcc
	s_cbranch_execz .LBB147_37
; %bb.1:
	s_load_dwordx2 s[12:13], s[4:5], 0x1c8
	s_load_dwordx4 s[8:11], s[4:5], 0x1b8
	s_load_dword s22, s[4:5], 0x1a8
	s_load_dwordx2 s[14:15], s[4:5], 0x0
	s_load_dword s36, s[4:5], 0xc
	s_load_dword s39, s[0:1], 0x0
	;; [unrolled: 1-line block ×4, first 2 shown]
	s_add_u32 s6, s4, 0xd8
	s_waitcnt lgkmcnt(0)
	v_cvt_f32_u32_e32 v0, s36
	s_addc_u32 s7, s5, 0
	s_cmp_gt_i32 s22, 1
	s_cselect_b64 s[0:1], -1, 0
	v_rcp_iflag_f32_e32 v0, v0
	s_bitcmp1_b32 s3, 0
	s_cselect_b64 s[20:21], -1, 0
	s_mul_i32 s39, s39, s2
	v_mul_f32_e32 v0, 0x4f7ffffe, v0
	v_cvt_u32_f32_e32 v0, v0
	s_sub_i32 s2, 0, s36
	s_load_dwordx2 s[16:17], s[4:5], 0x6c
	s_load_dwordx2 s[18:19], s[4:5], 0xd8
	s_mov_b32 s3, 0
	v_mul_lo_u32 v1, s2, v0
	s_add_i32 s2, s22, -1
	s_add_i32 s40, s22, 1
	s_lshl_b64 s[2:3], s[2:3], 2
	s_mov_b32 s38, 0xcd9e8d57
	s_add_u32 s2, s2, s6
	v_mad_u64_u32 v[20:21], s[4:5], v2, s38, 0
	v_mul_hi_u32 v1, v0, v1
	s_addc_u32 s3, s3, s7
	v_mov_b32_e32 v22, v21
	v_add_u32_e32 v21, v0, v1
	s_add_u32 s22, s2, 8
	v_cndmask_b32_e64 v0, 0, 1, s[0:1]
	v_mov_b32_e32 v3, 0
	s_addc_u32 s23, s3, 0
	s_mov_b64 s[24:25], 0
	v_cmp_ne_u32_e64 s[0:1], 1, v0
	s_waitcnt lgkmcnt(0)
	v_mov_b32_e32 v23, s19
	s_mov_b32 s19, 0xd2511f53
	s_mov_b32 s41, 0x3f2aaaab
	v_mov_b32_e32 v28, 0x3ecccdef
	s_mov_b32 s42, 0x3f317218
	s_movk_i32 s43, 0x204
	s_mov_b32 s44, 0x7f800000
	s_mov_b32 s45, 0x42b17218
	;; [unrolled: 1-line block ×4, first 2 shown]
	s_brev_b32 s48, -2
	s_movk_i32 s49, 0x7fff
	s_mov_b32 s50, 0xf800000
	v_mov_b32_e32 v29, 0x260
	s_mov_b32 s51, 0x3c6ef372
	s_mov_b32 s52, 0x76cf5d0a
	;; [unrolled: 1-line block ×17, first 2 shown]
	v_mov_b32_e32 v30, 0x37000000
	v_mov_b32_e32 v31, 0x7f800000
	v_mov_b32_e32 v32, 0x7fc00000
	v_mov_b32_e32 v33, 0x4f800000
	v_mov_b32_e32 v34, 0x41b17218
	v_mov_b32_e32 v35, 0x7fc0
	v_mov_b32_e32 v36, 0x80
	v_mov_b32_e32 v37, v2
	s_branch .LBB147_4
.LBB147_2:                              ;   in Loop: Header=BB147_4 Depth=1
	s_or_b64 exec, exec, s[2:3]
.LBB147_3:                              ;   in Loop: Header=BB147_4 Depth=1
	s_or_b64 exec, exec, s[4:5]
	v_lshlrev_b64 v[4:5], 1, v[24:25]
	v_mov_b32_e32 v1, s15
	v_add_co_u32_e32 v4, vcc, s14, v4
	v_addc_co_u32_e32 v5, vcc, v1, v5, vcc
	v_lshlrev_b32_e32 v1, 16, v0
	v_cmp_ngt_f32_e32 vcc, s59, v1
	v_add_u32_e32 v37, s39, v37
	v_cndmask_b32_e32 v0, v36, v0, vcc
	v_cmp_le_u32_e32 vcc, s33, v37
	s_or_b64 s[24:25], vcc, s[24:25]
	global_store_short v[4:5], v0, off
	s_andn2_b64 exec, exec, s[24:25]
	s_cbranch_execz .LBB147_37
.LBB147_4:                              ; =>This Loop Header: Depth=1
                                        ;     Child Loop BB147_9 Depth 2
                                        ;     Child Loop BB147_22 Depth 2
	v_sub_u32_e32 v0, s33, v37
	v_cmp_lt_i32_e32 vcc, 0, v0
	v_pk_mov_b32 v[0:1], 0, 0
	v_pk_mov_b32 v[24:25], v[0:1], v[0:1] op_sel:[0,1]
	s_and_saveexec_b64 s[4:5], vcc
	s_cbranch_execz .LBB147_6
; %bb.5:                                ;   in Loop: Header=BB147_4 Depth=1
	v_mul_hi_u32 v4, v37, v21
	v_mul_lo_u32 v5, v4, s36
	v_sub_u32_e32 v5, v37, v5
	v_add_u32_e32 v6, 1, v4
	v_cmp_le_u32_e64 s[2:3], s36, v5
	v_cndmask_b32_e64 v4, v4, v6, s[2:3]
	v_subrev_u32_e32 v6, s36, v5
	v_cndmask_b32_e64 v5, v5, v6, s[2:3]
	v_add_u32_e32 v6, 1, v4
	v_cmp_le_u32_e64 s[2:3], s36, v5
	v_cndmask_b32_e64 v5, v4, v6, s[2:3]
	v_mul_lo_u32 v4, v5, s36
	v_sub_u32_e32 v4, v37, v4
	v_mul_lo_u32 v4, v4, s17
	v_mad_u64_u32 v[24:25], s[2:3], v5, s16, v[4:5]
	v_mov_b32_e32 v25, v3
.LBB147_6:                              ;   in Loop: Header=BB147_4 Depth=1
	s_or_b64 exec, exec, s[4:5]
	s_and_saveexec_b64 s[2:3], vcc
	s_cbranch_execz .LBB147_11
; %bb.7:                                ;   in Loop: Header=BB147_4 Depth=1
	s_and_b64 vcc, exec, s[0:1]
	v_mov_b32_e32 v0, 0
	v_mov_b32_e32 v4, v37
	s_cbranch_vccnz .LBB147_10
; %bb.8:                                ;   in Loop: Header=BB147_4 Depth=1
	v_mov_b32_e32 v0, 0
	s_mov_b64 s[4:5], s[22:23]
	s_mov_b32 s6, s40
	v_mov_b32_e32 v4, v37
.LBB147_9:                              ;   Parent Loop BB147_4 Depth=1
                                        ; =>  This Inner Loop Header: Depth=2
	s_load_dword s7, s[4:5], 0x0
	s_load_dword s26, s[4:5], 0x64
	v_mov_b32_e32 v1, v4
	s_add_i32 s6, s6, -1
	s_waitcnt lgkmcnt(0)
	v_cvt_f32_u32_e32 v4, s7
	s_sub_i32 s27, 0, s7
	s_add_u32 s4, s4, -4
	s_addc_u32 s5, s5, -1
	v_rcp_iflag_f32_e32 v4, v4
	s_cmp_gt_u32 s6, 2
	v_mul_f32_e32 v4, 0x4f7ffffe, v4
	v_cvt_u32_f32_e32 v4, v4
	v_mul_lo_u32 v5, s27, v4
	v_mul_hi_u32 v5, v4, v5
	v_add_u32_e32 v4, v4, v5
	v_mul_hi_u32 v4, v1, v4
	v_mul_lo_u32 v5, v4, s7
	v_sub_u32_e32 v5, v1, v5
	v_add_u32_e32 v6, 1, v4
	v_cmp_le_u32_e32 vcc, s7, v5
	v_cndmask_b32_e32 v4, v4, v6, vcc
	v_subrev_u32_e32 v6, s7, v5
	v_cndmask_b32_e32 v5, v5, v6, vcc
	v_add_u32_e32 v6, 1, v4
	v_cmp_le_u32_e32 vcc, s7, v5
	v_cndmask_b32_e32 v4, v4, v6, vcc
	v_mul_lo_u32 v5, v4, s7
	v_sub_u32_e32 v1, v1, v5
	v_mad_u64_u32 v[0:1], s[26:27], s26, v1, v[0:1]
	s_cbranch_scc1 .LBB147_9
.LBB147_10:                             ;   in Loop: Header=BB147_4 Depth=1
	v_mad_u64_u32 v[0:1], s[4:5], s37, v4, v[0:1]
	v_mov_b32_e32 v1, v3
.LBB147_11:                             ;   in Loop: Header=BB147_4 Depth=1
	s_or_b64 exec, exec, s[2:3]
	v_lshlrev_b64 v[0:1], 1, v[0:1]
	v_add_co_u32_e32 v0, vcc, s18, v0
	v_addc_co_u32_e32 v1, vcc, v23, v1, vcc
	global_load_ushort v4, v[0:1], off
	s_andn2_b64 vcc, exec, s[20:21]
	v_pk_mov_b32 v[0:1], s[10:11], s[10:11] op_sel:[0,1]
	v_pk_mov_b32 v[26:27], s[8:9], s[8:9] op_sel:[0,1]
	s_cbranch_vccnz .LBB147_13
; %bb.12:                               ;   in Loop: Header=BB147_4 Depth=1
	v_pk_mov_b32 v[0:1], s[10:11], s[10:11] op_sel:[0,1]
	flat_load_dwordx2 v[0:1], v[0:1]
	v_pk_mov_b32 v[6:7], s[8:9], s[8:9] op_sel:[0,1]
	flat_load_dwordx2 v[26:27], v[6:7]
	v_mov_b32_e32 v5, s13
	s_waitcnt vmcnt(0) lgkmcnt(0)
	v_add_co_u32_e32 v0, vcc, s12, v0
	v_addc_co_u32_e32 v1, vcc, v1, v5, vcc
.LBB147_13:                             ;   in Loop: Header=BB147_4 Depth=1
	v_and_b32_e32 v40, 3, v0
	v_alignbit_b32 v0, v1, v0, 2
	v_mad_u64_u32 v[8:9], s[2:3], v0, s19, 0
	v_lshrrev_b32_e32 v1, 2, v1
	v_xor_b32_e32 v5, v9, v27
	v_xor_b32_e32 v7, v22, v26
	v_mov_b32_e32 v6, v27
	v_xor_b32_e32 v7, v7, v1
	v_mad_u64_u32 v[12:13], s[2:3], v5, s38, 0
	v_add_co_u32_e32 v43, vcc, 0x9e3779b9, v26
	v_add_co_u32_e32 v42, vcc, s61, v6
	v_mad_u64_u32 v[10:11], s[2:3], v7, s19, 0
	v_xor_b32_e32 v5, v20, v13
	v_xor_b32_e32 v5, v5, v43
	v_xor_b32_e32 v7, v42, v11
	v_xor_b32_e32 v7, v7, v8
	v_add_co_u32_e32 v44, vcc, s52, v6
	v_mad_u64_u32 v[8:9], s[2:3], v5, s19, 0
	v_add_co_u32_e32 v45, vcc, s51, v26
	v_mad_u64_u32 v[14:15], s[2:3], v7, s38, 0
	v_xor_b32_e32 v7, v44, v9
	v_xor_b32_e32 v5, v45, v15
	v_xor_b32_e32 v7, v7, v10
	v_xor_b32_e32 v5, v5, v12
	v_add_co_u32_e32 v47, vcc, s62, v26
	v_mad_u64_u32 v[12:13], s[2:3], v7, s38, 0
	;; [unrolled: 8-line block ×7, first 2 shown]
	v_add_co_u32_e32 v57, vcc, s66, v26
	v_mad_u64_u32 v[8:9], s[2:3], v8, s38, 0
	v_xor_b32_e32 v7, v56, v7
	v_xor_b32_e32 v5, v57, v9
	;; [unrolled: 1-line block ×4, first 2 shown]
	v_mad_u64_u32 v[18:19], s[2:3], v7, s38, 0
	v_add_u32_e32 v38, 0x8ff34781, v26
	v_mad_u64_u32 v[16:17], s[2:3], v5, s19, 0
	v_xor_b32_e32 v5, v19, v8
	v_add_u32_e32 v39, 0x96a522ad, v27
	v_xor_b32_e32 v8, v38, v5
	v_xor_b32_e32 v5, v17, v6
	;; [unrolled: 1-line block ×3, first 2 shown]
	s_waitcnt vmcnt(0)
	v_lshlrev_b32_e32 v17, 16, v4
	v_pk_mov_b32 v[6:7], v[2:3], v[2:3] op_sel:[0,1]
	v_mov_b32_e32 v9, v18
	v_mov_b32_e32 v11, v16
	v_cmp_gt_f32_e32 vcc, 1.0, v17
	s_mov_b64 s[2:3], -1
	v_mov_b32_e32 v41, 1.0
	v_pk_mov_b32 v[4:5], v[0:1], v[0:1] op_sel:[0,1]
                                        ; implicit-def: $sgpr4
	s_and_saveexec_b64 s[26:27], vcc
	s_cbranch_execz .LBB147_19
; %bb.14:                               ;   in Loop: Header=BB147_4 Depth=1
	v_cmp_neq_f32_e32 vcc, 0, v17
	s_mov_b64 s[30:31], 0
	v_mov_b32_e32 v41, 1.0
                                        ; implicit-def: $vgpr4_vgpr5_vgpr6_vgpr7
	s_and_saveexec_b64 s[28:29], vcc
	s_cbranch_execz .LBB147_18
; %bb.15:                               ;   in Loop: Header=BB147_4 Depth=1
	v_add_u32_e32 v19, 1, v40
	v_pk_mov_b32 v[14:15], v[10:11], v[10:11] op_sel:[0,1]
	v_pk_mov_b32 v[6:7], v[2:3], v[2:3] op_sel:[0,1]
	v_cmp_eq_u32_e32 vcc, 4, v19
	v_pk_mov_b32 v[12:13], v[8:9], v[8:9] op_sel:[0,1]
	v_pk_mov_b32 v[4:5], v[0:1], v[0:1] op_sel:[0,1]
	s_and_saveexec_b64 s[2:3], vcc
	s_cbranch_execz .LBB147_17
; %bb.16:                               ;   in Loop: Header=BB147_4 Depth=1
	v_add_co_u32_e32 v4, vcc, 1, v0
	v_cndmask_b32_e64 v0, 0, 1, vcc
	v_addc_co_u32_e32 v5, vcc, 0, v1, vcc
	v_cmp_eq_u32_e32 vcc, 0, v5
	v_cndmask_b32_e32 v0, 0, v0, vcc
	v_add_u32_e32 v6, v0, v2
	v_cmp_eq_u32_e32 vcc, 0, v6
	v_cndmask_b32_e32 v7, 0, v0, vcc
	v_mad_u64_u32 v[0:1], s[4:5], v4, s19, 0
	v_mad_u64_u32 v[12:13], s[4:5], v6, s38, 0
	v_xor_b32_e32 v9, v13, v26
	v_xor_b32_e32 v1, v1, v27
	v_xor_b32_e32 v9, v5, v9
	v_xor_b32_e32 v1, v7, v1
	v_mad_u64_u32 v[14:15], s[4:5], v9, s19, 0
	v_mad_u64_u32 v[58:59], s[4:5], v1, s38, 0
	v_xor_b32_e32 v1, v43, v59
	v_xor_b32_e32 v9, v42, v15
	v_xor_b32_e32 v1, v1, v12
	v_xor_b32_e32 v9, v9, v0
	;; [unrolled: 6-line block ×9, first 2 shown]
	v_mad_u64_u32 v[42:43], s[4:5], v9, s19, 0
	v_mad_u64_u32 v[44:45], s[4:5], v1, s38, 0
	v_xor_b32_e32 v1, v45, v12
	v_xor_b32_e32 v0, v43, v0
	v_mov_b32_e32 v19, 0
	v_xor_b32_e32 v12, v38, v1
	v_xor_b32_e32 v14, v39, v0
	v_mov_b32_e32 v13, v44
	v_mov_b32_e32 v15, v42
.LBB147_17:                             ;   in Loop: Header=BB147_4 Depth=1
	s_or_b64 exec, exec, s[2:3]
	v_cmp_eq_u32_e32 vcc, 1, v40
	v_cndmask_b32_e32 v0, v8, v18, vcc
	v_cmp_eq_u32_e32 vcc, 2, v40
	v_cndmask_b32_e32 v0, v0, v10, vcc
	;; [unrolled: 2-line block ×3, first 2 shown]
	v_div_scale_f32 v1, s[2:3], v17, v17, 1.0
	v_cvt_f32_u32_e32 v0, v0
	v_rcp_f32_e32 v8, v1
	v_mov_b32_e32 v9, 0x2f800000
	s_mov_b64 s[30:31], exec
	v_fmac_f32_e32 v9, 0x2f800000, v0
	v_fma_f32 v0, -v1, v8, 1.0
	v_fmac_f32_e32 v8, v0, v8
	v_div_scale_f32 v0, vcc, 1.0, v17, 1.0
	v_sub_f32_e32 v18, 1.0, v9
	v_mul_f32_e32 v9, v0, v8
	v_fma_f32 v10, -v1, v9, v0
	v_fmac_f32_e32 v9, v10, v8
	v_fma_f32 v0, -v1, v9, v0
	v_div_fmas_f32 v0, v0, v8, v9
	v_div_fixup_f32 v50, v0, v17, 1.0
	v_cmp_eq_f32_e32 vcc, 1.0, v18
	v_cndmask_b32_e64 v51, v50, 1.0, vcc
	v_cmp_eq_f32_e64 s[2:3], 0, v51
	v_cndmask_b32_e64 v52, |v18|, 1.0, s[2:3]
	v_frexp_mant_f32_e32 v0, v52
	v_cmp_gt_f32_e64 s[4:5], s41, v0
	v_cndmask_b32_e64 v1, 1.0, 2.0, s[4:5]
	v_mul_f32_e32 v0, v0, v1
	v_add_f32_e32 v9, 1.0, v0
	v_rcp_f32_e32 v16, v9
	v_add_f32_e32 v1, -1.0, v9
	v_sub_f32_e32 v11, v0, v1
	v_add_f32_e32 v1, -1.0, v0
	v_mul_f32_e32 v42, v1, v16
	v_mul_f32_e32 v8, v9, v42
	v_fma_f32 v10, v42, v9, -v8
	v_fmac_f32_e32 v10, v42, v11
	v_add_f32_e32 v0, v8, v10
	v_sub_f32_e32 v9, v1, v0
	v_pk_add_f32 v[40:41], v[0:1], v[8:9] neg_lo:[0,1] neg_hi:[0,1]
	v_mov_b32_e32 v11, v0
	v_pk_add_f32 v[0:1], v[40:41], v[10:11] neg_lo:[0,1] neg_hi:[0,1]
	v_add_f32_e32 v0, v0, v1
	v_add_f32_e32 v0, v9, v0
	v_mul_f32_e32 v1, v16, v0
	v_add_f32_e32 v0, v42, v1
	v_sub_f32_e32 v8, v0, v42
	v_sub_f32_e32 v16, v1, v8
	v_mul_f32_e32 v1, v0, v0
	v_fma_f32 v9, v0, v0, -v1
	v_add_f32_e32 v8, v16, v16
	v_fmac_f32_e32 v9, v0, v8
	v_add_f32_e32 v8, v1, v9
	v_mov_b32_e32 v10, 0x3e91f4c4
	v_fmac_f32_e32 v10, 0x3e76c4e1, v8
	v_fma_f32 v10, v8, v10, v28
	v_sub_f32_e32 v1, v8, v1
	v_sub_f32_e32 v44, v9, v1
	v_mul_f32_e32 v1, v8, v10
	v_fma_f32 v9, v8, v10, -v1
	v_fmac_f32_e32 v9, v44, v10
	v_add_f32_e32 v10, v1, v9
	v_add_f32_e32 v11, 0x3f2aaaaa, v10
	v_sub_f32_e32 v1, v10, v1
	v_sub_f32_e32 v1, v9, v1
	v_add_f32_e32 v9, 0xbf2aaaaa, v11
	v_add_f32_e32 v1, 0x31739010, v1
	v_sub_f32_e32 v9, v10, v9
	v_pk_mul_f32 v[40:41], v[0:1], v[8:9]
	v_fma_f32 v10, v8, v0, -v40
	v_pk_add_f32 v[42:43], v[0:1], v[8:9]
	v_fmac_f32_e32 v10, v8, v16
	v_mov_b32_e32 v41, v43
	v_fmac_f32_e32 v10, v44, v0
	v_pk_add_f32 v[8:9], v[40:41], v[10:11]
	v_sub_f32_e32 v1, v8, v40
	v_sub_f32_e32 v1, v10, v1
	;; [unrolled: 1-line block ×3, first 2 shown]
	v_add_f32_e32 v42, v43, v10
	v_mov_b32_e32 v10, v9
	v_pk_mul_f32 v[10:11], v[8:9], v[10:11]
	v_cvt_f64_f32_e32 v[40:41], v52
	v_frexp_exp_i32_f64_e32 v11, v[40:41]
	v_subbrev_co_u32_e64 v11, s[4:5], 0, v11, s[4:5]
	v_cvt_f32_i32_e32 v11, v11
	v_fma_f32 v40, v8, v9, -v10
	v_fmac_f32_e32 v40, v8, v42
	v_fmac_f32_e32 v40, v1, v9
	v_mul_f32_e32 v8, 0x3f317218, v11
	v_fma_f32 v42, v11, s42, -v8
	v_fmac_f32_e32 v42, 0xb102e308, v11
	v_ldexp_f32 v43, v0, 1
	v_add_f32_e32 v9, v10, v40
	v_pk_add_f32 v[0:1], v[8:9], v[42:43]
	v_mov_b32_e32 v44, v9
	v_mov_b32_e32 v45, v1
	;; [unrolled: 1-line block ×3, first 2 shown]
	v_pk_add_f32 v[10:11], v[44:45], v[10:11] neg_lo:[0,1] neg_hi:[0,1]
	v_mov_b32_e32 v41, v9
	v_ldexp_f32 v16, v16, 1
	v_pk_add_f32 v[10:11], v[40:41], v[10:11] neg_lo:[0,1] neg_hi:[0,1]
	v_add_f32_e32 v9, v16, v10
	v_add_f32_e32 v9, v9, v11
	v_pk_add_f32 v[10:11], v[0:1], v[8:9] neg_lo:[0,1] neg_hi:[0,1]
	v_pk_add_f32 v[40:41], v[0:1], v[8:9]
	v_mov_b32_e32 v44, v10
	v_mov_b32_e32 v45, v41
	;; [unrolled: 1-line block ×3, first 2 shown]
	v_pk_add_f32 v[44:45], v[42:43], v[44:45]
	v_mov_b32_e32 v8, v45
	v_pk_add_f32 v[46:47], v[8:9], v[0:1] neg_lo:[0,1] neg_hi:[0,1]
	v_mov_b32_e32 v47, v46
	v_mov_b32_e32 v44, v41
	;; [unrolled: 1-line block ×4, first 2 shown]
	v_pk_add_f32 v[10:11], v[42:43], v[10:11] neg_lo:[0,1] neg_hi:[0,1]
	v_pk_add_f32 v[48:49], v[40:41], v[46:47] neg_lo:[0,1] neg_hi:[0,1]
	v_pk_add_f32 v[0:1], v[44:45], v[0:1] neg_lo:[0,1] neg_hi:[0,1]
	v_mov_b32_e32 v42, v9
	v_pk_add_f32 v[0:1], v[42:43], v[0:1] neg_lo:[0,1] neg_hi:[0,1]
	v_mov_b32_e32 v48, v10
	v_pk_add_f32 v[40:41], v[48:49], v[0:1]
	v_mov_b32_e32 v16, v41
	v_pk_add_f32 v[42:43], v[40:41], v[16:17]
	v_pk_add_f32 v[8:9], v[8:9], v[42:43]
	v_mov_b32_e32 v11, v45
	v_mov_b32_e32 v41, v8
	v_pk_add_f32 v[44:45], v[40:41], v[10:11] neg_lo:[0,1] neg_hi:[0,1]
	v_mov_b32_e32 v1, v42
	v_sub_f32_e32 v9, v40, v44
	v_pk_add_f32 v[0:1], v[0:1], v[44:45] neg_lo:[0,1] neg_hi:[0,1]
	v_sub_f32_e32 v9, v10, v9
	v_add_f32_e32 v0, v0, v9
	v_add_f32_e32 v0, v0, v1
	;; [unrolled: 1-line block ×3, first 2 shown]
	v_sub_f32_e32 v8, v1, v8
	v_sub_f32_e32 v0, v0, v8
	v_mul_f32_e32 v8, v51, v1
	v_fma_f32 v1, v51, v1, -v8
	v_fmac_f32_e32 v1, v51, v0
	v_add_f32_e32 v0, v8, v1
	v_cmp_class_f32_e64 s[4:5], v8, s43
	v_sub_f32_e32 v9, v0, v8
	v_cndmask_b32_e64 v0, v0, v8, s[4:5]
	v_cmp_eq_f32_e64 s[4:5], s45, v0
	v_cndmask_b32_e64 v8, 0, v30, s[4:5]
	v_sub_f32_e32 v1, v1, v9
	v_sub_f32_e32 v9, v0, v8
	v_mul_f32_e32 v10, 0x3fb8aa3b, v9
	v_fma_f32 v11, v9, s46, -v10
	v_rndne_f32_e32 v16, v10
	v_fmac_f32_e32 v11, 0x32a5705f, v9
	v_sub_f32_e32 v10, v10, v16
	v_add_f32_e32 v10, v10, v11
	v_exp_f32_e32 v10, v10
	v_cvt_i32_f32_e32 v11, v16
	v_cmp_neq_f32_e64 s[4:5], |v0|, s44
	v_cndmask_b32_e64 v0, 0, v1, s[4:5]
	v_cmp_ngt_f32_e64 s[4:5], s47, v9
	v_ldexp_f32 v1, v10, v11
	v_cndmask_b32_e64 v1, 0, v1, s[4:5]
	v_cmp_nlt_f32_e64 s[4:5], s45, v9
	v_add_f32_e32 v0, v8, v0
	v_cndmask_b32_e64 v1, v31, v1, s[4:5]
	v_fma_f32 v0, v1, v0, v1
	v_cmp_class_f32_e64 s[4:5], v1, s43
	v_trunc_f32_e32 v8, v51
	v_cndmask_b32_e64 v0, v0, v1, s[4:5]
	v_cndmask_b32_e64 v1, v18, 1.0, s[2:3]
	v_cmp_eq_f32_e64 s[2:3], v8, v51
	v_mul_f32_e32 v8, 0.5, v51
	v_trunc_f32_e32 v9, v8
	v_cmp_neq_f32_e64 s[4:5], v9, v8
	s_and_b64 s[4:5], s[2:3], s[4:5]
	v_cndmask_b32_e64 v8, 1.0, v1, s[4:5]
	v_bfi_b32 v0, s48, v0, v8
	v_cndmask_b32_e64 v8, v32, v0, s[2:3]
	v_cmp_gt_f32_e64 s[2:3], 0, v1
	v_cndmask_b32_e64 v0, v0, v8, s[2:3]
	v_cndmask_b32_e64 v8, |v50|, 1.0, vcc
	v_cmp_neq_f32_e32 vcc, v51, v8
	v_cmp_gt_f32_e64 s[2:3], 1.0, v52
	s_xor_b64 s[2:3], vcc, s[2:3]
	v_cndmask_b32_e64 v9, v8, 0, s[2:3]
	v_cmp_eq_f32_e32 vcc, 1.0, v52
	v_cmp_eq_f32_e64 s[2:3], 0, v1
	v_cmp_gt_f32_e64 s[6:7], 0, v51
	v_cndmask_b32_e32 v9, v9, v52, vcc
	v_cmp_eq_f32_e32 vcc, s44, v8
	s_xor_b64 s[6:7], s[6:7], s[2:3]
	v_cndmask_b32_e32 v0, v0, v9, vcc
	v_cmp_eq_f32_e32 vcc, s44, v52
	v_cndmask_b32_e64 v8, v31, 0, s[6:7]
	v_cndmask_b32_e64 v1, 0, v1, s[4:5]
	v_bfi_b32 v1, s48, v8, v1
	s_or_b64 vcc, vcc, s[2:3]
	v_cndmask_b32_e32 v41, v0, v1, vcc
	v_add_f32_e32 v0, 1.0, v17
	v_bfe_u32 v1, v0, 16, 1
	v_add3_u32 v0, v0, v1, s49
	v_pk_mov_b32 v[8:9], v[12:13], v[12:13] op_sel:[0,1]
	v_and_b32_e32 v17, 0xffff0000, v0
	v_pk_mov_b32 v[10:11], v[14:15], v[14:15] op_sel:[0,1]
	v_mov_b32_e32 v40, v19
.LBB147_18:                             ;   in Loop: Header=BB147_4 Depth=1
	s_or_b64 exec, exec, s[28:29]
	s_mov_b32 s4, 0
	s_orn2_b64 s[2:3], s[30:31], exec
.LBB147_19:                             ;   in Loop: Header=BB147_4 Depth=1
	s_or_b64 exec, exec, s[26:27]
	v_mov_b32_e32 v0, s4
	s_and_saveexec_b64 s[4:5], s[2:3]
	s_cbranch_execz .LBB147_3
; %bb.20:                               ;   in Loop: Header=BB147_4 Depth=1
	v_add_f32_e32 v42, 0xbeaaaaab, v17
	v_mul_f32_e32 v0, 0x41100000, v42
	v_mul_f32_e32 v1, 0x4f800000, v0
	v_cmp_gt_f32_e32 vcc, s50, v0
	v_cndmask_b32_e32 v0, v0, v1, vcc
	v_sqrt_f32_e32 v1, v0
	v_add_u32_e32 v44, 0x9e3779b9, v26
	v_add_u32_e32 v45, 0xbb67ae85, v27
	;; [unrolled: 1-line block ×3, first 2 shown]
	v_add_u32_e32 v12, -1, v1
	v_fma_f32 v14, -v12, v1, v0
	v_add_u32_e32 v13, 1, v1
	v_cmp_ge_f32_e64 s[2:3], 0, v14
	v_cndmask_b32_e64 v12, v1, v12, s[2:3]
	v_fma_f32 v1, -v13, v1, v0
	v_cmp_lt_f32_e64 s[2:3], 0, v1
	v_cndmask_b32_e64 v1, v12, v13, s[2:3]
	v_mul_f32_e32 v12, 0x37800000, v1
	v_cndmask_b32_e32 v1, v1, v12, vcc
	v_cmp_class_f32_e32 vcc, v0, v29
	v_cndmask_b32_e32 v0, v1, v0, vcc
	v_div_scale_f32 v1, s[2:3], v0, v0, 1.0
	v_rcp_f32_e32 v12, v1
	v_add_u32_e32 v47, 0x76cf5d0a, v27
	v_add_u32_e32 v48, 0xdaa66d2b, v26
	;; [unrolled: 1-line block ×3, first 2 shown]
	v_fma_f32 v13, -v1, v12, 1.0
	v_fmac_f32_e32 v12, v13, v12
	v_div_scale_f32 v13, vcc, 1.0, v0, 1.0
	v_mul_f32_e32 v14, v13, v12
	v_fma_f32 v15, -v1, v14, v13
	v_fmac_f32_e32 v14, v15, v12
	v_fma_f32 v1, -v1, v14, v13
	v_div_fmas_f32 v1, v1, v12, v14
	v_div_fixup_f32 v43, v1, v0, 1.0
	v_add_u32_e32 v50, 0x78dde6e4, v26
	v_add_u32_e32 v51, 0xed9eba14, v27
	;; [unrolled: 1-line block ×10, first 2 shown]
	s_mov_b64 s[6:7], 0
	v_mov_b32_e32 v60, 0
	s_mov_b64 s[30:31], 0
                                        ; implicit-def: $sgpr26_sgpr27
                                        ; implicit-def: $sgpr28_sgpr29
                                        ; implicit-def: $vgpr0
	s_branch .LBB147_22
.LBB147_21:                             ;   in Loop: Header=BB147_22 Depth=2
	s_or_b64 exec, exec, s[30:31]
	s_and_b64 s[2:3], exec, s[2:3]
	s_or_b64 s[6:7], s[2:3], s[6:7]
	s_andn2_b64 s[2:3], s[26:27], exec
	s_and_b64 s[26:27], s[28:29], exec
	v_pk_mov_b32 v[8:9], v[12:13], v[12:13] op_sel:[0,1]
	s_or_b64 s[26:27], s[2:3], s[26:27]
	s_mov_b64 s[30:31], 0
	v_mov_b32_e32 v40, v16
	v_pk_mov_b32 v[10:11], v[14:15], v[14:15] op_sel:[0,1]
	s_andn2_b64 exec, exec, s[6:7]
	s_cbranch_execz .LBB147_33
.LBB147_22:                             ;   Parent Loop BB147_4 Depth=1
                                        ; =>  This Inner Loop Header: Depth=2
	v_cmp_eq_u32_e32 vcc, 0, v60
	v_mov_b32_e32 v1, v0
	v_mov_b32_e32 v60, 0
	s_and_saveexec_b64 s[34:35], vcc
	s_cbranch_execz .LBB147_28
; %bb.23:                               ;   in Loop: Header=BB147_22 Depth=2
	v_add_u32_e32 v0, 1, v40
	v_pk_mov_b32 v[14:15], v[10:11], v[10:11] op_sel:[0,1]
	v_cmp_eq_u32_e32 vcc, 4, v0
	v_pk_mov_b32 v[12:13], v[8:9], v[8:9] op_sel:[0,1]
	s_and_saveexec_b64 s[2:3], vcc
	s_cbranch_execz .LBB147_25
; %bb.24:                               ;   in Loop: Header=BB147_22 Depth=2
	v_add_co_u32_e32 v4, vcc, 1, v4
	v_cndmask_b32_e64 v1, 0, 1, vcc
	v_addc_co_u32_e32 v5, vcc, 0, v5, vcc
	v_cmp_eq_u32_e32 vcc, 0, v5
	v_cndmask_b32_e32 v1, 0, v1, vcc
	v_add_u32_e32 v6, v1, v6
	v_cmp_eq_u32_e32 vcc, 0, v6
	v_cndmask_b32_e32 v1, 0, v1, vcc
	v_mad_u64_u32 v[12:13], s[68:69], v4, s19, 0
	v_mad_u64_u32 v[14:15], s[68:69], v6, s38, 0
	v_add_u32_e32 v7, v1, v7
	v_xor_b32_e32 v1, v15, v26
	v_xor_b32_e32 v13, v13, v27
	v_xor_b32_e32 v1, v5, v1
	v_xor_b32_e32 v13, v7, v13
	v_mad_u64_u32 v[16:17], s[68:69], v1, s19, 0
	v_mad_u64_u32 v[18:19], s[68:69], v13, s38, 0
	v_xor_b32_e32 v1, v19, v14
	v_xor_b32_e32 v12, v17, v12
	v_xor_b32_e32 v1, v44, v1
	v_xor_b32_e32 v14, v45, v12
	v_mad_u64_u32 v[12:13], s[68:69], v1, s19, 0
	v_mad_u64_u32 v[14:15], s[68:69], v14, s38, 0
	;; [unrolled: 6-line block ×9, first 2 shown]
	v_xor_b32_e32 v1, v19, v12
	v_xor_b32_e32 v12, v38, v1
	;; [unrolled: 1-line block ×3, first 2 shown]
	v_mov_b32_e32 v0, 0
	v_xor_b32_e32 v14, v39, v1
	v_mov_b32_e32 v13, v18
	v_mov_b32_e32 v15, v16
.LBB147_25:                             ;   in Loop: Header=BB147_22 Depth=2
	s_or_b64 exec, exec, s[2:3]
	v_add_u32_e32 v61, 1, v0
	v_pk_mov_b32 v[18:19], v[14:15], v[14:15] op_sel:[0,1]
	v_cmp_eq_u32_e32 vcc, 4, v61
	v_pk_mov_b32 v[16:17], v[12:13], v[12:13] op_sel:[0,1]
	s_and_saveexec_b64 s[2:3], vcc
	s_cbranch_execz .LBB147_27
; %bb.26:                               ;   in Loop: Header=BB147_22 Depth=2
	v_add_co_u32_e32 v4, vcc, 1, v4
	v_cndmask_b32_e64 v1, 0, 1, vcc
	v_addc_co_u32_e32 v5, vcc, 0, v5, vcc
	v_cmp_eq_u32_e32 vcc, 0, v5
	v_cndmask_b32_e32 v1, 0, v1, vcc
	v_add_u32_e32 v6, v1, v6
	v_cmp_eq_u32_e32 vcc, 0, v6
	v_cndmask_b32_e32 v1, 0, v1, vcc
	v_mad_u64_u32 v[16:17], s[68:69], v4, s19, 0
	v_mad_u64_u32 v[18:19], s[68:69], v6, s38, 0
	v_add_u32_e32 v7, v1, v7
	v_xor_b32_e32 v1, v19, v26
	v_xor_b32_e32 v17, v17, v27
	v_xor_b32_e32 v1, v5, v1
	v_xor_b32_e32 v17, v7, v17
	v_mad_u64_u32 v[62:63], s[68:69], v1, s19, 0
	v_mad_u64_u32 v[64:65], s[68:69], v17, s38, 0
	v_xor_b32_e32 v1, v65, v18
	v_xor_b32_e32 v16, v63, v16
	v_xor_b32_e32 v1, v44, v1
	v_xor_b32_e32 v18, v45, v16
	v_mad_u64_u32 v[16:17], s[68:69], v1, s19, 0
	v_mad_u64_u32 v[18:19], s[68:69], v18, s38, 0
	;; [unrolled: 6-line block ×9, first 2 shown]
	v_xor_b32_e32 v1, v65, v16
	v_xor_b32_e32 v16, v38, v1
	v_xor_b32_e32 v1, v63, v18
	v_mov_b32_e32 v61, 0
	v_xor_b32_e32 v18, v39, v1
	v_mov_b32_e32 v17, v64
	v_mov_b32_e32 v19, v62
.LBB147_27:                             ;   in Loop: Header=BB147_22 Depth=2
	s_or_b64 exec, exec, s[2:3]
	v_cmp_eq_u32_e32 vcc, 1, v40
	v_cndmask_b32_e32 v1, v8, v9, vcc
	v_cmp_eq_u32_e32 vcc, 2, v40
	v_cndmask_b32_e32 v1, v1, v10, vcc
	;; [unrolled: 2-line block ×3, first 2 shown]
	v_cvt_f32_u32_e32 v1, v1
	v_cmp_eq_u32_e32 vcc, 1, v0
	v_mov_b32_e32 v9, 0x2f800000
	v_cndmask_b32_e32 v8, v12, v13, vcc
	v_cmp_eq_u32_e32 vcc, 2, v0
	v_fmac_f32_e32 v9, 0x2f800000, v1
	v_cndmask_b32_e32 v8, v8, v14, vcc
	v_cmp_gt_f32_e32 vcc, s59, v9
	v_cndmask_b32_e32 v1, 1.0, v33, vcc
	v_mul_f32_e32 v1, v9, v1
	v_log_f32_e32 v1, v1
	v_cmp_eq_u32_e64 s[2:3], 3, v0
	v_cndmask_b32_e64 v0, v8, v15, s[2:3]
	v_cvt_f32_u32_e32 v0, v0
	v_mul_f32_e32 v8, 0x3f317217, v1
	v_fma_f32 v9, v1, s60, -v8
	v_fmac_f32_e32 v9, 0x3377d1cf, v1
	v_add_f32_e32 v8, v8, v9
	v_cmp_lt_f32_e64 s[2:3], |v1|, s44
	v_cndmask_b32_e64 v1, v1, v8, s[2:3]
	v_cndmask_b32_e32 v8, 0, v34, vcc
	v_sub_f32_e32 v1, v1, v8
	v_mul_f32_e32 v1, -2.0, v1
	v_mul_f32_e32 v8, 0x4f800000, v1
	v_cmp_gt_f32_e32 vcc, s50, v1
	v_cndmask_b32_e32 v8, v1, v8, vcc
	v_sqrt_f32_e32 v1, v8
	v_mov_b32_e32 v9, 0x30c90fdb
	v_fmac_f32_e32 v9, 0x30c90fdb, v0
	v_mov_b32_e32 v60, 1
	v_add_u32_e32 v0, -1, v1
	v_fma_f32 v10, -v0, v1, v8
	v_cmp_ge_f32_e64 s[2:3], 0, v10
	v_add_u32_e32 v10, 1, v1
	v_cndmask_b32_e64 v0, v1, v0, s[2:3]
	v_fma_f32 v1, -v10, v1, v8
	v_cmp_lt_f32_e64 s[2:3], 0, v1
	v_cndmask_b32_e64 v10, v0, v10, s[2:3]
	v_mul_f32_e32 v0, 0.15915494, v9
	v_sin_f32_e32 v1, v0
	v_cos_f32_e32 v0, v0
	v_mul_f32_e32 v11, 0x37800000, v10
	v_cndmask_b32_e32 v9, v10, v11, vcc
	v_cmp_class_f32_e32 vcc, v8, v29
	v_cndmask_b32_e32 v8, v9, v8, vcc
	v_pk_mul_f32 v[0:1], v[8:9], v[0:1] op_sel_hi:[0,1]
	v_pk_mov_b32 v[8:9], v[16:17], v[16:17] op_sel:[0,1]
	v_pk_mov_b32 v[10:11], v[18:19], v[18:19] op_sel:[0,1]
	v_mov_b32_e32 v40, v61
.LBB147_28:                             ;   in Loop: Header=BB147_22 Depth=2
	s_or_b64 exec, exec, s[34:35]
	v_fma_f32 v17, v43, v1, 1.0
	v_cmp_nge_f32_e32 vcc, 0, v17
	s_or_b64 s[30:31], vcc, s[30:31]
	s_andn2_b64 exec, exec, s[30:31]
	s_cbranch_execnz .LBB147_22
; %bb.29:                               ;   in Loop: Header=BB147_22 Depth=2
	s_or_b64 exec, exec, s[30:31]
	v_add_u32_e32 v16, 1, v40
	v_pk_mov_b32 v[14:15], v[10:11], v[10:11] op_sel:[0,1]
	v_cmp_eq_u32_e32 vcc, 4, v16
	v_pk_mov_b32 v[12:13], v[8:9], v[8:9] op_sel:[0,1]
	s_and_saveexec_b64 s[2:3], vcc
	s_cbranch_execz .LBB147_31
; %bb.30:                               ;   in Loop: Header=BB147_22 Depth=2
	v_add_co_u32_e32 v4, vcc, 1, v4
	v_cndmask_b32_e64 v12, 0, 1, vcc
	v_addc_co_u32_e32 v5, vcc, 0, v5, vcc
	v_cmp_eq_u32_e32 vcc, 0, v5
	v_cndmask_b32_e32 v12, 0, v12, vcc
	v_add_u32_e32 v6, v12, v6
	v_cmp_eq_u32_e32 vcc, 0, v6
	v_cndmask_b32_e32 v12, 0, v12, vcc
	v_add_u32_e32 v7, v12, v7
	v_mad_u64_u32 v[12:13], s[30:31], v4, s19, 0
	v_mad_u64_u32 v[14:15], s[30:31], v6, s38, 0
	v_xor_b32_e32 v15, v15, v26
	v_xor_b32_e32 v13, v13, v27
	v_xor_b32_e32 v15, v5, v15
	v_xor_b32_e32 v13, v7, v13
	v_mad_u64_u32 v[18:19], s[30:31], v15, s19, 0
	v_mad_u64_u32 v[62:63], s[30:31], v13, s38, 0
	v_xor_b32_e32 v13, v63, v14
	v_xor_b32_e32 v12, v19, v12
	v_xor_b32_e32 v13, v44, v13
	v_xor_b32_e32 v14, v45, v12
	;; [unrolled: 6-line block ×9, first 2 shown]
	v_mad_u64_u32 v[18:19], s[30:31], v13, s19, 0
	v_mad_u64_u32 v[62:63], s[30:31], v15, s38, 0
	v_xor_b32_e32 v12, v63, v12
	v_xor_b32_e32 v13, v19, v14
	v_mov_b32_e32 v16, 0
	v_xor_b32_e32 v12, v38, v12
	v_xor_b32_e32 v14, v39, v13
	v_mov_b32_e32 v13, v62
	v_mov_b32_e32 v15, v18
.LBB147_31:                             ;   in Loop: Header=BB147_22 Depth=2
	s_or_b64 exec, exec, s[2:3]
	v_cmp_eq_u32_e32 vcc, 1, v40
	v_cndmask_b32_e32 v8, v8, v9, vcc
	v_cmp_eq_u32_e32 vcc, 2, v40
	v_cndmask_b32_e32 v8, v8, v10, vcc
	;; [unrolled: 2-line block ×3, first 2 shown]
	v_cvt_f32_u32_e32 v8, v8
	v_mul_f32_e32 v9, v17, v17
	v_mul_f32_e32 v17, v17, v9
	v_mov_b32_e32 v9, 0x2f800000
	v_fmac_f32_e32 v9, 0x2f800000, v8
	v_mul_f32_e32 v1, v1, v1
	v_sub_f32_e32 v8, 1.0, v9
	v_mul_f32_e32 v9, 0xbd0793de, v1
	v_fma_f32 v9, v1, v9, 1.0
	v_cmp_nlt_f32_e32 vcc, v8, v9
	s_mov_b64 s[2:3], -1
	s_or_b64 s[28:29], s[28:29], exec
	s_and_saveexec_b64 s[30:31], vcc
	s_cbranch_execz .LBB147_21
; %bb.32:                               ;   in Loop: Header=BB147_22 Depth=2
	v_cmp_gt_f32_e32 vcc, s59, v8
	v_cndmask_b32_e32 v9, 1.0, v33, vcc
	v_mul_f32_e32 v8, v8, v9
	v_log_f32_e32 v8, v8
	s_andn2_b64 s[28:29], s[28:29], exec
	v_mul_f32_e32 v9, 0x3f317217, v8
	v_fma_f32 v10, v8, s60, -v9
	v_fmac_f32_e32 v10, 0x3377d1cf, v8
	v_add_f32_e32 v9, v9, v10
	v_cmp_lt_f32_e64 s[2:3], |v8|, s44
	v_cndmask_b32_e64 v8, v8, v9, s[2:3]
	v_cmp_gt_f32_e64 s[2:3], s59, v17
	v_cndmask_b32_e64 v9, 1.0, v33, s[2:3]
	v_mul_f32_e32 v9, v17, v9
	v_log_f32_e32 v9, v9
	v_cndmask_b32_e32 v10, 0, v34, vcc
	v_sub_f32_e32 v8, v8, v10
	v_sub_f32_e32 v10, 1.0, v17
	v_mul_f32_e32 v11, 0x3f317217, v9
	v_fma_f32 v18, v9, s60, -v11
	v_fmac_f32_e32 v18, 0x3377d1cf, v9
	v_add_f32_e32 v11, v11, v18
	v_cmp_lt_f32_e64 vcc, |v9|, s44
	v_cndmask_b32_e32 v9, v9, v11, vcc
	v_cndmask_b32_e64 v11, 0, v34, s[2:3]
	v_sub_f32_e32 v9, v9, v11
	v_add_f32_e32 v9, v10, v9
	v_mul_f32_e32 v9, v42, v9
	v_fmac_f32_e32 v9, 0.5, v1
	v_cmp_lt_f32_e32 vcc, v8, v9
	s_orn2_b64 s[2:3], vcc, exec
	s_branch .LBB147_21
.LBB147_33:                             ;   in Loop: Header=BB147_4 Depth=1
	s_or_b64 exec, exec, s[6:7]
	v_mul_f32_e32 v0, v41, v42
	s_xor_b64 s[2:3], s[26:27], -1
	v_mul_f32_e32 v1, v0, v17
                                        ; implicit-def: $vgpr0
	s_and_saveexec_b64 s[6:7], s[2:3]
	s_xor_b64 s[2:3], exec, s[6:7]
; %bb.34:                               ;   in Loop: Header=BB147_4 Depth=1
	v_bfe_u32 v0, v1, 16, 1
	v_add3_u32 v0, v1, v0, s49
	v_lshrrev_b32_e32 v0, 16, v0
	v_cmp_o_f32_e32 vcc, v1, v1
	v_cndmask_b32_e32 v0, v35, v0, vcc
                                        ; implicit-def: $vgpr1
; %bb.35:                               ;   in Loop: Header=BB147_4 Depth=1
	s_andn2_saveexec_b64 s[2:3], s[2:3]
	s_cbranch_execz .LBB147_2
; %bb.36:                               ;   in Loop: Header=BB147_4 Depth=1
	v_bfe_u32 v0, v1, 16, 1
	v_add3_u32 v0, v1, v0, s49
	v_lshrrev_b32_e32 v0, 16, v0
	v_cmp_o_f32_e32 vcc, v1, v1
	v_cndmask_b32_e32 v0, v35, v0, vcc
	s_branch .LBB147_2
.LBB147_37:
	s_endpgm
	.section	.rodata,"a",@progbits
	.p2align	6, 0x0
	.amdhsa_kernel _ZN2at4cuda12_GLOBAL__N_121kernelPointwiseApply2IZN12_GLOBAL__N_117gamma_cuda_kernelIN3c108BFloat16EEEvRKNS_10TensorBaseES9_NS_15PhiloxCudaStateEEUlRS6_RKS6_E_S6_S6_jLi2ELin1ELi1ELi256ELi2EEEvNS0_6detail10TensorInfoIT0_T2_EENSG_IT1_SI_EESI_T_
		.amdhsa_group_segment_fixed_size 0
		.amdhsa_private_segment_fixed_size 0
		.amdhsa_kernarg_size 728
		.amdhsa_user_sgpr_count 6
		.amdhsa_user_sgpr_private_segment_buffer 1
		.amdhsa_user_sgpr_dispatch_ptr 0
		.amdhsa_user_sgpr_queue_ptr 0
		.amdhsa_user_sgpr_kernarg_segment_ptr 1
		.amdhsa_user_sgpr_dispatch_id 0
		.amdhsa_user_sgpr_flat_scratch_init 0
		.amdhsa_user_sgpr_kernarg_preload_length 0
		.amdhsa_user_sgpr_kernarg_preload_offset 0
		.amdhsa_user_sgpr_private_segment_size 0
		.amdhsa_uses_dynamic_stack 0
		.amdhsa_system_sgpr_private_segment_wavefront_offset 0
		.amdhsa_system_sgpr_workgroup_id_x 1
		.amdhsa_system_sgpr_workgroup_id_y 0
		.amdhsa_system_sgpr_workgroup_id_z 0
		.amdhsa_system_sgpr_workgroup_info 0
		.amdhsa_system_vgpr_workitem_id 0
		.amdhsa_next_free_vgpr 66
		.amdhsa_next_free_sgpr 70
		.amdhsa_accum_offset 68
		.amdhsa_reserve_vcc 1
		.amdhsa_reserve_flat_scratch 0
		.amdhsa_float_round_mode_32 0
		.amdhsa_float_round_mode_16_64 0
		.amdhsa_float_denorm_mode_32 3
		.amdhsa_float_denorm_mode_16_64 3
		.amdhsa_dx10_clamp 1
		.amdhsa_ieee_mode 1
		.amdhsa_fp16_overflow 0
		.amdhsa_tg_split 0
		.amdhsa_exception_fp_ieee_invalid_op 0
		.amdhsa_exception_fp_denorm_src 0
		.amdhsa_exception_fp_ieee_div_zero 0
		.amdhsa_exception_fp_ieee_overflow 0
		.amdhsa_exception_fp_ieee_underflow 0
		.amdhsa_exception_fp_ieee_inexact 0
		.amdhsa_exception_int_div_zero 0
	.end_amdhsa_kernel
	.section	.text._ZN2at4cuda12_GLOBAL__N_121kernelPointwiseApply2IZN12_GLOBAL__N_117gamma_cuda_kernelIN3c108BFloat16EEEvRKNS_10TensorBaseES9_NS_15PhiloxCudaStateEEUlRS6_RKS6_E_S6_S6_jLi2ELin1ELi1ELi256ELi2EEEvNS0_6detail10TensorInfoIT0_T2_EENSG_IT1_SI_EESI_T_,"axG",@progbits,_ZN2at4cuda12_GLOBAL__N_121kernelPointwiseApply2IZN12_GLOBAL__N_117gamma_cuda_kernelIN3c108BFloat16EEEvRKNS_10TensorBaseES9_NS_15PhiloxCudaStateEEUlRS6_RKS6_E_S6_S6_jLi2ELin1ELi1ELi256ELi2EEEvNS0_6detail10TensorInfoIT0_T2_EENSG_IT1_SI_EESI_T_,comdat
.Lfunc_end147:
	.size	_ZN2at4cuda12_GLOBAL__N_121kernelPointwiseApply2IZN12_GLOBAL__N_117gamma_cuda_kernelIN3c108BFloat16EEEvRKNS_10TensorBaseES9_NS_15PhiloxCudaStateEEUlRS6_RKS6_E_S6_S6_jLi2ELin1ELi1ELi256ELi2EEEvNS0_6detail10TensorInfoIT0_T2_EENSG_IT1_SI_EESI_T_, .Lfunc_end147-_ZN2at4cuda12_GLOBAL__N_121kernelPointwiseApply2IZN12_GLOBAL__N_117gamma_cuda_kernelIN3c108BFloat16EEEvRKNS_10TensorBaseES9_NS_15PhiloxCudaStateEEUlRS6_RKS6_E_S6_S6_jLi2ELin1ELi1ELi256ELi2EEEvNS0_6detail10TensorInfoIT0_T2_EENSG_IT1_SI_EESI_T_
                                        ; -- End function
	.section	.AMDGPU.csdata,"",@progbits
; Kernel info:
; codeLenInByte = 5576
; NumSgprs: 74
; NumVgprs: 66
; NumAgprs: 0
; TotalNumVgprs: 66
; ScratchSize: 0
; MemoryBound: 0
; FloatMode: 240
; IeeeMode: 1
; LDSByteSize: 0 bytes/workgroup (compile time only)
; SGPRBlocks: 9
; VGPRBlocks: 8
; NumSGPRsForWavesPerEU: 74
; NumVGPRsForWavesPerEU: 66
; AccumOffset: 68
; Occupancy: 7
; WaveLimiterHint : 1
; COMPUTE_PGM_RSRC2:SCRATCH_EN: 0
; COMPUTE_PGM_RSRC2:USER_SGPR: 6
; COMPUTE_PGM_RSRC2:TRAP_HANDLER: 0
; COMPUTE_PGM_RSRC2:TGID_X_EN: 1
; COMPUTE_PGM_RSRC2:TGID_Y_EN: 0
; COMPUTE_PGM_RSRC2:TGID_Z_EN: 0
; COMPUTE_PGM_RSRC2:TIDIG_COMP_CNT: 0
; COMPUTE_PGM_RSRC3_GFX90A:ACCUM_OFFSET: 16
; COMPUTE_PGM_RSRC3_GFX90A:TG_SPLIT: 0
	.section	.text._ZN2at4cuda12_GLOBAL__N_121kernelPointwiseApply2IZN12_GLOBAL__N_117gamma_cuda_kernelIN3c108BFloat16EEEvRKNS_10TensorBaseES9_NS_15PhiloxCudaStateEEUlRS6_RKS6_E_S6_S6_jLin1ELi1ELi1ELi256ELi2EEEvNS0_6detail10TensorInfoIT0_T2_EENSG_IT1_SI_EESI_T_,"axG",@progbits,_ZN2at4cuda12_GLOBAL__N_121kernelPointwiseApply2IZN12_GLOBAL__N_117gamma_cuda_kernelIN3c108BFloat16EEEvRKNS_10TensorBaseES9_NS_15PhiloxCudaStateEEUlRS6_RKS6_E_S6_S6_jLin1ELi1ELi1ELi256ELi2EEEvNS0_6detail10TensorInfoIT0_T2_EENSG_IT1_SI_EESI_T_,comdat
	.globl	_ZN2at4cuda12_GLOBAL__N_121kernelPointwiseApply2IZN12_GLOBAL__N_117gamma_cuda_kernelIN3c108BFloat16EEEvRKNS_10TensorBaseES9_NS_15PhiloxCudaStateEEUlRS6_RKS6_E_S6_S6_jLin1ELi1ELi1ELi256ELi2EEEvNS0_6detail10TensorInfoIT0_T2_EENSG_IT1_SI_EESI_T_ ; -- Begin function _ZN2at4cuda12_GLOBAL__N_121kernelPointwiseApply2IZN12_GLOBAL__N_117gamma_cuda_kernelIN3c108BFloat16EEEvRKNS_10TensorBaseES9_NS_15PhiloxCudaStateEEUlRS6_RKS6_E_S6_S6_jLin1ELi1ELi1ELi256ELi2EEEvNS0_6detail10TensorInfoIT0_T2_EENSG_IT1_SI_EESI_T_
	.p2align	8
	.type	_ZN2at4cuda12_GLOBAL__N_121kernelPointwiseApply2IZN12_GLOBAL__N_117gamma_cuda_kernelIN3c108BFloat16EEEvRKNS_10TensorBaseES9_NS_15PhiloxCudaStateEEUlRS6_RKS6_E_S6_S6_jLin1ELi1ELi1ELi256ELi2EEEvNS0_6detail10TensorInfoIT0_T2_EENSG_IT1_SI_EESI_T_,@function
_ZN2at4cuda12_GLOBAL__N_121kernelPointwiseApply2IZN12_GLOBAL__N_117gamma_cuda_kernelIN3c108BFloat16EEEvRKNS_10TensorBaseES9_NS_15PhiloxCudaStateEEUlRS6_RKS6_E_S6_S6_jLin1ELi1ELi1ELi256ELi2EEEvNS0_6detail10TensorInfoIT0_T2_EENSG_IT1_SI_EESI_T_: ; @_ZN2at4cuda12_GLOBAL__N_121kernelPointwiseApply2IZN12_GLOBAL__N_117gamma_cuda_kernelIN3c108BFloat16EEEvRKNS_10TensorBaseES9_NS_15PhiloxCudaStateEEUlRS6_RKS6_E_S6_S6_jLin1ELi1ELi1ELi256ELi2EEEvNS0_6detail10TensorInfoIT0_T2_EENSG_IT1_SI_EESI_T_
; %bb.0:
	s_load_dword s2, s[4:5], 0x1e4
	s_load_dword s33, s[4:5], 0x1b0
	s_add_u32 s0, s4, 0x1d8
	s_addc_u32 s1, s5, 0
	s_waitcnt lgkmcnt(0)
	s_and_b32 s2, s2, 0xffff
	s_mul_i32 s6, s6, s2
	v_add_u32_e32 v2, s6, v0
	v_cmp_gt_u32_e32 vcc, s33, v2
	s_and_saveexec_b64 s[6:7], vcc
	s_cbranch_execz .LBB148_35
; %bb.1:
	s_load_dword s34, s[4:5], 0x144
	s_load_dwordx4 s[12:15], s[4:5], 0x1b8
	s_load_dwordx2 s[10:11], s[4:5], 0xd8
	s_load_dword s3, s[4:5], 0xd0
	s_load_dword s37, s[0:1], 0x0
	s_load_dwordx2 s[16:17], s[4:5], 0x1c8
	s_load_dword s6, s[4:5], 0x1d0
	s_load_dword s35, s[4:5], 0x6c
	s_waitcnt lgkmcnt(0)
	s_cmp_gt_i32 s3, 1
	s_cselect_b64 s[0:1], -1, 0
	s_mul_i32 s37, s37, s2
	s_bitcmp1_b32 s6, 0
	s_cselect_b64 s[6:7], -1, 0
	s_add_i32 s38, s3, 1
	s_add_i32 s2, s3, -1
	s_mov_b32 s3, 0
	s_load_dwordx2 s[18:19], s[4:5], 0x0
	s_lshl_b64 s[2:3], s[2:3], 2
	s_add_u32 s2, s2, s4
	s_mov_b32 s36, 0xcd9e8d57
	s_addc_u32 s3, s3, s5
	v_cndmask_b32_e64 v0, 0, 1, s[0:1]
	v_mad_u64_u32 v[20:21], s[8:9], v2, s36, 0
	s_add_u32 s20, s2, 8
	v_cmp_ne_u32_e64 s[0:1], 1, v0
	v_cndmask_b32_e64 v0, 0, 1, s[6:7]
	v_mov_b32_e32 v3, 0
	v_mov_b32_e32 v22, v21
	s_addc_u32 s21, s3, 0
	s_mov_b64 s[22:23], 0
	v_mov_b32_e32 v21, s11
	v_cmp_ne_u32_e64 s[2:3], 1, v0
	s_mov_b32 s11, 0xd2511f53
	s_mov_b32 s39, 0x3f2aaaab
	v_mov_b32_e32 v23, 0x3ecccdef
	s_mov_b32 s40, 0x3f317218
	s_movk_i32 s41, 0x204
	s_mov_b32 s42, 0x7f800000
	s_mov_b32 s43, 0x42b17218
	;; [unrolled: 1-line block ×4, first 2 shown]
	s_brev_b32 s46, -2
	s_movk_i32 s47, 0x7fff
	s_mov_b32 s48, 0xf800000
	v_mov_b32_e32 v28, 0x260
	s_mov_b32 s49, 0x3c6ef372
	s_mov_b32 s50, 0x76cf5d0a
	;; [unrolled: 1-line block ×17, first 2 shown]
	v_mov_b32_e32 v29, 0x37000000
	v_mov_b32_e32 v30, 0x7f800000
	;; [unrolled: 1-line block ×8, first 2 shown]
	s_branch .LBB148_4
.LBB148_2:                              ;   in Loop: Header=BB148_4 Depth=1
	s_or_b64 exec, exec, s[4:5]
.LBB148_3:                              ;   in Loop: Header=BB148_4 Depth=1
	s_or_b64 exec, exec, s[6:7]
	v_lshlrev_b64 v[4:5], 1, v[24:25]
	s_waitcnt lgkmcnt(0)
	v_mov_b32_e32 v1, s19
	v_add_co_u32_e32 v4, vcc, s18, v4
	v_addc_co_u32_e32 v5, vcc, v1, v5, vcc
	v_lshlrev_b32_e32 v1, 16, v0
	v_cmp_ngt_f32_e32 vcc, s57, v1
	v_add_u32_e32 v36, s37, v36
	v_cndmask_b32_e32 v0, v35, v0, vcc
	v_cmp_le_u32_e32 vcc, s33, v36
	s_or_b64 s[22:23], vcc, s[22:23]
	global_store_short v[4:5], v0, off
	s_andn2_b64 exec, exec, s[22:23]
	s_cbranch_execz .LBB148_35
.LBB148_4:                              ; =>This Loop Header: Depth=1
                                        ;     Child Loop BB148_7 Depth 2
                                        ;     Child Loop BB148_20 Depth 2
	v_sub_u32_e32 v0, s33, v36
	v_cmp_lt_i32_e64 s[4:5], 0, v0
	v_pk_mov_b32 v[24:25], 0, 0
	s_and_saveexec_b64 s[6:7], s[4:5]
	s_cbranch_execz .LBB148_9
; %bb.5:                                ;   in Loop: Header=BB148_4 Depth=1
	s_and_b64 vcc, exec, s[0:1]
	v_mov_b32_e32 v0, 0
	v_mov_b32_e32 v4, v36
	s_cbranch_vccnz .LBB148_8
; %bb.6:                                ;   in Loop: Header=BB148_4 Depth=1
	v_mov_b32_e32 v0, 0
	s_mov_b64 s[8:9], s[20:21]
	s_mov_b32 s24, s38
	v_mov_b32_e32 v4, v36
.LBB148_7:                              ;   Parent Loop BB148_4 Depth=1
                                        ; =>  This Inner Loop Header: Depth=2
	s_load_dword s25, s[8:9], 0x0
	s_load_dword s26, s[8:9], 0x64
	v_mov_b32_e32 v1, v4
	s_add_i32 s24, s24, -1
	s_waitcnt lgkmcnt(0)
	v_cvt_f32_u32_e32 v4, s25
	s_sub_i32 s27, 0, s25
	s_add_u32 s8, s8, -4
	s_addc_u32 s9, s9, -1
	v_rcp_iflag_f32_e32 v4, v4
	s_cmp_gt_u32 s24, 2
	v_mul_f32_e32 v4, 0x4f7ffffe, v4
	v_cvt_u32_f32_e32 v4, v4
	v_mul_lo_u32 v5, s27, v4
	v_mul_hi_u32 v5, v4, v5
	v_add_u32_e32 v4, v4, v5
	v_mul_hi_u32 v4, v1, v4
	v_mul_lo_u32 v5, v4, s25
	v_sub_u32_e32 v5, v1, v5
	v_add_u32_e32 v6, 1, v4
	v_cmp_le_u32_e32 vcc, s25, v5
	v_cndmask_b32_e32 v4, v4, v6, vcc
	v_subrev_u32_e32 v6, s25, v5
	v_cndmask_b32_e32 v5, v5, v6, vcc
	v_add_u32_e32 v6, 1, v4
	v_cmp_le_u32_e32 vcc, s25, v5
	v_cndmask_b32_e32 v4, v4, v6, vcc
	v_mul_lo_u32 v5, v4, s25
	v_sub_u32_e32 v1, v1, v5
	v_mad_u64_u32 v[0:1], s[26:27], s26, v1, v[0:1]
	s_cbranch_scc1 .LBB148_7
.LBB148_8:                              ;   in Loop: Header=BB148_4 Depth=1
	v_mad_u64_u32 v[24:25], s[8:9], s35, v4, v[0:1]
	v_mov_b32_e32 v25, v3
.LBB148_9:                              ;   in Loop: Header=BB148_4 Depth=1
	s_or_b64 exec, exec, s[6:7]
	v_mul_lo_u32 v0, v36, s34
	v_cndmask_b32_e64 v0, 0, v0, s[4:5]
	v_mov_b32_e32 v1, v3
	v_lshlrev_b64 v[0:1], 1, v[0:1]
	v_add_co_u32_e32 v0, vcc, s10, v0
	v_addc_co_u32_e32 v1, vcc, v21, v1, vcc
	global_load_ushort v4, v[0:1], off
	s_and_b64 vcc, exec, s[2:3]
	v_pk_mov_b32 v[0:1], s[14:15], s[14:15] op_sel:[0,1]
	v_pk_mov_b32 v[26:27], s[12:13], s[12:13] op_sel:[0,1]
	s_cbranch_vccnz .LBB148_11
; %bb.10:                               ;   in Loop: Header=BB148_4 Depth=1
	v_pk_mov_b32 v[0:1], s[14:15], s[14:15] op_sel:[0,1]
	flat_load_dwordx2 v[0:1], v[0:1]
	v_pk_mov_b32 v[6:7], s[12:13], s[12:13] op_sel:[0,1]
	flat_load_dwordx2 v[26:27], v[6:7]
	v_mov_b32_e32 v5, s17
	s_waitcnt vmcnt(0) lgkmcnt(0)
	v_add_co_u32_e32 v0, vcc, s16, v0
	v_addc_co_u32_e32 v1, vcc, v1, v5, vcc
.LBB148_11:                             ;   in Loop: Header=BB148_4 Depth=1
	v_and_b32_e32 v39, 3, v0
	v_alignbit_b32 v0, v1, v0, 2
	v_mad_u64_u32 v[8:9], s[4:5], v0, s11, 0
	v_lshrrev_b32_e32 v1, 2, v1
	v_xor_b32_e32 v5, v9, v27
	v_xor_b32_e32 v7, v22, v26
	v_mov_b32_e32 v6, v27
	v_xor_b32_e32 v7, v7, v1
	v_mad_u64_u32 v[12:13], s[4:5], v5, s36, 0
	v_add_co_u32_e32 v42, vcc, 0x9e3779b9, v26
	v_add_co_u32_e32 v41, vcc, s59, v6
	v_mad_u64_u32 v[10:11], s[4:5], v7, s11, 0
	v_xor_b32_e32 v5, v20, v13
	v_xor_b32_e32 v5, v5, v42
	v_xor_b32_e32 v7, v41, v11
	v_xor_b32_e32 v7, v7, v8
	v_add_co_u32_e32 v43, vcc, s50, v6
	v_mad_u64_u32 v[8:9], s[4:5], v5, s11, 0
	v_add_co_u32_e32 v44, vcc, s49, v26
	v_mad_u64_u32 v[14:15], s[4:5], v7, s36, 0
	v_xor_b32_e32 v7, v43, v9
	v_xor_b32_e32 v5, v44, v15
	v_xor_b32_e32 v7, v7, v10
	v_xor_b32_e32 v5, v5, v12
	v_add_co_u32_e32 v46, vcc, s60, v26
	v_mad_u64_u32 v[12:13], s[4:5], v7, s36, 0
	v_add_co_u32_e32 v45, vcc, s51, v6
	v_mad_u64_u32 v[10:11], s[4:5], v5, s11, 0
	v_xor_b32_e32 v5, v46, v13
	v_xor_b32_e32 v5, v5, v14
	v_xor_b32_e32 v7, v45, v11
	v_xor_b32_e32 v7, v7, v8
	v_add_co_u32_e32 v47, vcc, s61, v6
	v_mad_u64_u32 v[8:9], s[4:5], v5, s11, 0
	v_add_co_u32_e32 v48, vcc, s52, v26
	v_mad_u64_u32 v[14:15], s[4:5], v7, s36, 0
	v_xor_b32_e32 v7, v47, v9
	v_xor_b32_e32 v5, v48, v15
	v_xor_b32_e32 v7, v7, v10
	v_xor_b32_e32 v5, v5, v12
	v_add_co_u32_e32 v50, vcc, s53, v26
	v_mad_u64_u32 v[12:13], s[4:5], v7, s36, 0
	v_add_co_u32_e32 v49, vcc, s62, v6
	v_mad_u64_u32 v[10:11], s[4:5], v5, s11, 0
	v_xor_b32_e32 v5, v50, v13
	v_xor_b32_e32 v5, v5, v14
	v_xor_b32_e32 v7, v49, v11
	v_xor_b32_e32 v7, v7, v8
	v_add_co_u32_e32 v51, vcc, s54, v6
	v_mad_u64_u32 v[8:9], s[4:5], v5, s11, 0
	v_add_co_u32_e32 v52, vcc, s63, v26
	v_mad_u64_u32 v[14:15], s[4:5], v7, s36, 0
	v_xor_b32_e32 v7, v51, v9
	v_xor_b32_e32 v5, v52, v15
	v_xor_b32_e32 v7, v7, v10
	v_xor_b32_e32 v5, v5, v12
	v_add_co_u32_e32 v54, vcc, s55, v26
	v_mad_u64_u32 v[12:13], s[4:5], v7, s36, 0
	v_add_co_u32_e32 v53, vcc, s56, v6
	v_mad_u64_u32 v[10:11], s[4:5], v5, s11, 0
	v_xor_b32_e32 v5, v54, v13
	v_xor_b32_e32 v5, v5, v14
	v_xor_b32_e32 v7, v53, v11
	v_xor_b32_e32 v8, v7, v8
	v_add_co_u32_e32 v55, vcc, s65, v6
	v_mad_u64_u32 v[6:7], s[4:5], v5, s11, 0
	v_add_co_u32_e32 v56, vcc, s64, v26
	v_mad_u64_u32 v[8:9], s[4:5], v8, s36, 0
	v_xor_b32_e32 v7, v55, v7
	v_xor_b32_e32 v5, v56, v9
	;; [unrolled: 1-line block ×4, first 2 shown]
	v_mad_u64_u32 v[18:19], s[4:5], v7, s36, 0
	v_add_u32_e32 v37, 0x8ff34781, v26
	v_mad_u64_u32 v[16:17], s[4:5], v5, s11, 0
	v_xor_b32_e32 v5, v19, v8
	v_add_u32_e32 v38, 0x96a522ad, v27
	v_xor_b32_e32 v8, v37, v5
	v_xor_b32_e32 v5, v17, v6
	;; [unrolled: 1-line block ×3, first 2 shown]
	s_waitcnt vmcnt(0)
	v_lshlrev_b32_e32 v17, 16, v4
	v_pk_mov_b32 v[6:7], v[2:3], v[2:3] op_sel:[0,1]
	v_mov_b32_e32 v9, v18
	v_mov_b32_e32 v11, v16
	v_cmp_gt_f32_e32 vcc, 1.0, v17
	s_mov_b64 s[4:5], -1
	v_mov_b32_e32 v40, 1.0
	v_pk_mov_b32 v[4:5], v[0:1], v[0:1] op_sel:[0,1]
                                        ; implicit-def: $sgpr6
	s_and_saveexec_b64 s[24:25], vcc
	s_cbranch_execz .LBB148_17
; %bb.12:                               ;   in Loop: Header=BB148_4 Depth=1
	v_cmp_neq_f32_e32 vcc, 0, v17
	s_mov_b64 s[28:29], 0
	v_mov_b32_e32 v40, 1.0
                                        ; implicit-def: $vgpr4_vgpr5_vgpr6_vgpr7
	s_and_saveexec_b64 s[26:27], vcc
	s_cbranch_execz .LBB148_16
; %bb.13:                               ;   in Loop: Header=BB148_4 Depth=1
	v_add_u32_e32 v19, 1, v39
	v_pk_mov_b32 v[14:15], v[10:11], v[10:11] op_sel:[0,1]
	v_pk_mov_b32 v[6:7], v[2:3], v[2:3] op_sel:[0,1]
	v_cmp_eq_u32_e32 vcc, 4, v19
	v_pk_mov_b32 v[12:13], v[8:9], v[8:9] op_sel:[0,1]
	v_pk_mov_b32 v[4:5], v[0:1], v[0:1] op_sel:[0,1]
	s_and_saveexec_b64 s[4:5], vcc
	s_cbranch_execz .LBB148_15
; %bb.14:                               ;   in Loop: Header=BB148_4 Depth=1
	v_add_co_u32_e32 v4, vcc, 1, v0
	v_cndmask_b32_e64 v0, 0, 1, vcc
	v_addc_co_u32_e32 v5, vcc, 0, v1, vcc
	v_cmp_eq_u32_e32 vcc, 0, v5
	v_cndmask_b32_e32 v0, 0, v0, vcc
	v_add_u32_e32 v6, v0, v2
	v_cmp_eq_u32_e32 vcc, 0, v6
	v_cndmask_b32_e32 v7, 0, v0, vcc
	v_mad_u64_u32 v[0:1], s[6:7], v4, s11, 0
	v_mad_u64_u32 v[12:13], s[6:7], v6, s36, 0
	v_xor_b32_e32 v9, v13, v26
	v_xor_b32_e32 v1, v1, v27
	v_xor_b32_e32 v9, v5, v9
	v_xor_b32_e32 v1, v7, v1
	v_mad_u64_u32 v[14:15], s[6:7], v9, s11, 0
	v_mad_u64_u32 v[58:59], s[6:7], v1, s36, 0
	v_xor_b32_e32 v1, v42, v59
	v_xor_b32_e32 v9, v41, v15
	v_xor_b32_e32 v1, v1, v12
	v_xor_b32_e32 v9, v9, v0
	;; [unrolled: 6-line block ×9, first 2 shown]
	v_mad_u64_u32 v[40:41], s[6:7], v9, s11, 0
	v_mad_u64_u32 v[42:43], s[6:7], v1, s36, 0
	v_xor_b32_e32 v1, v43, v12
	v_xor_b32_e32 v0, v41, v0
	v_mov_b32_e32 v19, 0
	v_xor_b32_e32 v12, v37, v1
	v_xor_b32_e32 v14, v38, v0
	v_mov_b32_e32 v13, v42
	v_mov_b32_e32 v15, v40
.LBB148_15:                             ;   in Loop: Header=BB148_4 Depth=1
	s_or_b64 exec, exec, s[4:5]
	v_cmp_eq_u32_e32 vcc, 1, v39
	v_cndmask_b32_e32 v0, v8, v18, vcc
	v_cmp_eq_u32_e32 vcc, 2, v39
	v_cndmask_b32_e32 v0, v0, v10, vcc
	;; [unrolled: 2-line block ×3, first 2 shown]
	v_div_scale_f32 v1, s[4:5], v17, v17, 1.0
	v_cvt_f32_u32_e32 v0, v0
	v_rcp_f32_e32 v8, v1
	v_mov_b32_e32 v9, 0x2f800000
	s_mov_b64 s[28:29], exec
	v_fmac_f32_e32 v9, 0x2f800000, v0
	v_fma_f32 v0, -v1, v8, 1.0
	v_fmac_f32_e32 v8, v0, v8
	v_div_scale_f32 v0, vcc, 1.0, v17, 1.0
	v_sub_f32_e32 v18, 1.0, v9
	v_mul_f32_e32 v9, v0, v8
	v_fma_f32 v10, -v1, v9, v0
	v_fmac_f32_e32 v9, v10, v8
	v_fma_f32 v0, -v1, v9, v0
	v_div_fmas_f32 v0, v0, v8, v9
	v_div_fixup_f32 v50, v0, v17, 1.0
	v_cmp_eq_f32_e32 vcc, 1.0, v18
	v_cndmask_b32_e64 v51, v50, 1.0, vcc
	v_cmp_eq_f32_e64 s[4:5], 0, v51
	v_cndmask_b32_e64 v52, |v18|, 1.0, s[4:5]
	v_frexp_mant_f32_e32 v0, v52
	v_cmp_gt_f32_e64 s[6:7], s39, v0
	v_cndmask_b32_e64 v1, 1.0, 2.0, s[6:7]
	v_mul_f32_e32 v0, v0, v1
	v_add_f32_e32 v9, 1.0, v0
	v_rcp_f32_e32 v16, v9
	v_add_f32_e32 v1, -1.0, v9
	v_sub_f32_e32 v11, v0, v1
	v_add_f32_e32 v1, -1.0, v0
	v_mul_f32_e32 v39, v1, v16
	v_mul_f32_e32 v8, v9, v39
	v_fma_f32 v10, v39, v9, -v8
	v_fmac_f32_e32 v10, v39, v11
	v_add_f32_e32 v0, v8, v10
	v_sub_f32_e32 v9, v1, v0
	v_pk_add_f32 v[40:41], v[0:1], v[8:9] neg_lo:[0,1] neg_hi:[0,1]
	v_mov_b32_e32 v11, v0
	v_pk_add_f32 v[0:1], v[40:41], v[10:11] neg_lo:[0,1] neg_hi:[0,1]
	v_add_f32_e32 v0, v0, v1
	v_add_f32_e32 v0, v9, v0
	v_mul_f32_e32 v1, v16, v0
	v_add_f32_e32 v0, v39, v1
	v_sub_f32_e32 v8, v0, v39
	v_sub_f32_e32 v16, v1, v8
	v_mul_f32_e32 v1, v0, v0
	v_fma_f32 v9, v0, v0, -v1
	v_add_f32_e32 v8, v16, v16
	v_fmac_f32_e32 v9, v0, v8
	v_add_f32_e32 v8, v1, v9
	v_mov_b32_e32 v10, 0x3e91f4c4
	v_fmac_f32_e32 v10, 0x3e76c4e1, v8
	v_fma_f32 v10, v8, v10, v23
	v_sub_f32_e32 v1, v8, v1
	v_sub_f32_e32 v39, v9, v1
	v_mul_f32_e32 v1, v8, v10
	v_fma_f32 v9, v8, v10, -v1
	v_fmac_f32_e32 v9, v39, v10
	v_add_f32_e32 v10, v1, v9
	v_add_f32_e32 v11, 0x3f2aaaaa, v10
	v_sub_f32_e32 v1, v10, v1
	v_sub_f32_e32 v1, v9, v1
	v_add_f32_e32 v9, 0xbf2aaaaa, v11
	v_add_f32_e32 v1, 0x31739010, v1
	v_sub_f32_e32 v9, v10, v9
	v_pk_mul_f32 v[40:41], v[0:1], v[8:9]
	v_fma_f32 v10, v8, v0, -v40
	v_pk_add_f32 v[42:43], v[0:1], v[8:9]
	v_fmac_f32_e32 v10, v8, v16
	v_mov_b32_e32 v41, v43
	v_fmac_f32_e32 v10, v39, v0
	v_pk_add_f32 v[8:9], v[40:41], v[10:11]
	v_sub_f32_e32 v1, v8, v40
	v_sub_f32_e32 v1, v10, v1
	;; [unrolled: 1-line block ×3, first 2 shown]
	v_add_f32_e32 v39, v43, v10
	v_mov_b32_e32 v10, v9
	v_pk_mul_f32 v[10:11], v[8:9], v[10:11]
	v_cvt_f64_f32_e32 v[40:41], v52
	v_frexp_exp_i32_f64_e32 v11, v[40:41]
	v_subbrev_co_u32_e64 v11, s[6:7], 0, v11, s[6:7]
	v_cvt_f32_i32_e32 v11, v11
	v_fma_f32 v40, v8, v9, -v10
	v_fmac_f32_e32 v40, v8, v39
	v_fmac_f32_e32 v40, v1, v9
	v_mul_f32_e32 v8, 0x3f317218, v11
	v_fma_f32 v42, v11, s40, -v8
	v_fmac_f32_e32 v42, 0xb102e308, v11
	v_ldexp_f32 v43, v0, 1
	v_add_f32_e32 v9, v10, v40
	v_pk_add_f32 v[0:1], v[8:9], v[42:43]
	v_mov_b32_e32 v44, v9
	v_mov_b32_e32 v45, v1
	;; [unrolled: 1-line block ×3, first 2 shown]
	v_pk_add_f32 v[10:11], v[44:45], v[10:11] neg_lo:[0,1] neg_hi:[0,1]
	v_mov_b32_e32 v41, v9
	v_ldexp_f32 v16, v16, 1
	v_pk_add_f32 v[10:11], v[40:41], v[10:11] neg_lo:[0,1] neg_hi:[0,1]
	v_add_f32_e32 v9, v16, v10
	v_add_f32_e32 v9, v9, v11
	v_pk_add_f32 v[10:11], v[0:1], v[8:9] neg_lo:[0,1] neg_hi:[0,1]
	v_pk_add_f32 v[40:41], v[0:1], v[8:9]
	v_mov_b32_e32 v44, v10
	v_mov_b32_e32 v45, v41
	;; [unrolled: 1-line block ×3, first 2 shown]
	v_pk_add_f32 v[44:45], v[42:43], v[44:45]
	v_mov_b32_e32 v8, v45
	v_pk_add_f32 v[46:47], v[8:9], v[0:1] neg_lo:[0,1] neg_hi:[0,1]
	v_mov_b32_e32 v39, v46
	v_mov_b32_e32 v44, v41
	;; [unrolled: 1-line block ×4, first 2 shown]
	v_pk_add_f32 v[10:11], v[42:43], v[10:11] neg_lo:[0,1] neg_hi:[0,1]
	v_pk_add_f32 v[48:49], v[40:41], v[38:39] neg_lo:[0,1] neg_hi:[0,1]
	;; [unrolled: 1-line block ×3, first 2 shown]
	v_mov_b32_e32 v42, v9
	v_pk_add_f32 v[0:1], v[42:43], v[0:1] neg_lo:[0,1] neg_hi:[0,1]
	v_mov_b32_e32 v48, v10
	v_pk_add_f32 v[40:41], v[48:49], v[0:1]
	v_mov_b32_e32 v16, v41
	v_pk_add_f32 v[42:43], v[40:41], v[16:17]
	v_pk_add_f32 v[8:9], v[8:9], v[42:43]
	v_mov_b32_e32 v11, v45
	v_mov_b32_e32 v41, v8
	v_pk_add_f32 v[44:45], v[40:41], v[10:11] neg_lo:[0,1] neg_hi:[0,1]
	v_mov_b32_e32 v1, v42
	v_sub_f32_e32 v9, v40, v44
	v_pk_add_f32 v[0:1], v[0:1], v[44:45] neg_lo:[0,1] neg_hi:[0,1]
	v_sub_f32_e32 v9, v10, v9
	v_add_f32_e32 v0, v0, v9
	v_add_f32_e32 v0, v0, v1
	;; [unrolled: 1-line block ×3, first 2 shown]
	v_sub_f32_e32 v8, v1, v8
	v_sub_f32_e32 v0, v0, v8
	v_mul_f32_e32 v8, v51, v1
	v_fma_f32 v1, v51, v1, -v8
	v_fmac_f32_e32 v1, v51, v0
	v_add_f32_e32 v0, v8, v1
	v_cmp_class_f32_e64 s[6:7], v8, s41
	v_sub_f32_e32 v9, v0, v8
	v_cndmask_b32_e64 v0, v0, v8, s[6:7]
	v_cmp_eq_f32_e64 s[6:7], s43, v0
	v_cndmask_b32_e64 v8, 0, v29, s[6:7]
	v_sub_f32_e32 v1, v1, v9
	v_sub_f32_e32 v9, v0, v8
	v_mul_f32_e32 v10, 0x3fb8aa3b, v9
	v_fma_f32 v11, v9, s44, -v10
	v_rndne_f32_e32 v16, v10
	v_fmac_f32_e32 v11, 0x32a5705f, v9
	v_sub_f32_e32 v10, v10, v16
	v_add_f32_e32 v10, v10, v11
	v_exp_f32_e32 v10, v10
	v_cvt_i32_f32_e32 v11, v16
	v_cmp_neq_f32_e64 s[6:7], |v0|, s42
	v_cndmask_b32_e64 v0, 0, v1, s[6:7]
	v_cmp_ngt_f32_e64 s[6:7], s45, v9
	v_ldexp_f32 v1, v10, v11
	v_cndmask_b32_e64 v1, 0, v1, s[6:7]
	v_cmp_nlt_f32_e64 s[6:7], s43, v9
	v_add_f32_e32 v0, v8, v0
	v_cndmask_b32_e64 v1, v30, v1, s[6:7]
	v_fma_f32 v0, v1, v0, v1
	v_cmp_class_f32_e64 s[6:7], v1, s41
	v_trunc_f32_e32 v8, v51
	v_cndmask_b32_e64 v0, v0, v1, s[6:7]
	v_cndmask_b32_e64 v1, v18, 1.0, s[4:5]
	v_cmp_eq_f32_e64 s[4:5], v8, v51
	v_mul_f32_e32 v8, 0.5, v51
	v_trunc_f32_e32 v9, v8
	v_cmp_neq_f32_e64 s[6:7], v9, v8
	s_and_b64 s[6:7], s[4:5], s[6:7]
	v_cndmask_b32_e64 v8, 1.0, v1, s[6:7]
	v_bfi_b32 v0, s46, v0, v8
	v_cndmask_b32_e64 v8, v31, v0, s[4:5]
	v_cmp_gt_f32_e64 s[4:5], 0, v1
	v_cndmask_b32_e64 v0, v0, v8, s[4:5]
	v_cndmask_b32_e64 v8, |v50|, 1.0, vcc
	v_cmp_neq_f32_e32 vcc, v51, v8
	v_cmp_gt_f32_e64 s[4:5], 1.0, v52
	s_xor_b64 s[4:5], vcc, s[4:5]
	v_cndmask_b32_e64 v9, v8, 0, s[4:5]
	v_cmp_eq_f32_e32 vcc, 1.0, v52
	v_cmp_eq_f32_e64 s[4:5], 0, v1
	v_cmp_gt_f32_e64 s[8:9], 0, v51
	v_cndmask_b32_e32 v9, v9, v52, vcc
	v_cmp_eq_f32_e32 vcc, s42, v8
	s_xor_b64 s[8:9], s[8:9], s[4:5]
	v_cndmask_b32_e32 v0, v0, v9, vcc
	v_cmp_eq_f32_e32 vcc, s42, v52
	v_cndmask_b32_e64 v8, v30, 0, s[8:9]
	v_cndmask_b32_e64 v1, 0, v1, s[6:7]
	v_bfi_b32 v1, s46, v8, v1
	s_or_b64 vcc, vcc, s[4:5]
	v_cndmask_b32_e32 v40, v0, v1, vcc
	v_add_f32_e32 v0, 1.0, v17
	v_bfe_u32 v1, v0, 16, 1
	v_add3_u32 v0, v0, v1, s47
	v_pk_mov_b32 v[8:9], v[12:13], v[12:13] op_sel:[0,1]
	v_and_b32_e32 v17, 0xffff0000, v0
	v_pk_mov_b32 v[10:11], v[14:15], v[14:15] op_sel:[0,1]
	v_mov_b32_e32 v39, v19
.LBB148_16:                             ;   in Loop: Header=BB148_4 Depth=1
	s_or_b64 exec, exec, s[26:27]
	s_mov_b32 s6, 0
	s_orn2_b64 s[4:5], s[28:29], exec
.LBB148_17:                             ;   in Loop: Header=BB148_4 Depth=1
	s_or_b64 exec, exec, s[24:25]
	v_mov_b32_e32 v0, s6
	s_and_saveexec_b64 s[6:7], s[4:5]
	s_cbranch_execz .LBB148_3
; %bb.18:                               ;   in Loop: Header=BB148_4 Depth=1
	v_add_f32_e32 v41, 0xbeaaaaab, v17
	v_mul_f32_e32 v0, 0x41100000, v41
	v_mul_f32_e32 v1, 0x4f800000, v0
	v_cmp_gt_f32_e32 vcc, s48, v0
	v_cndmask_b32_e32 v0, v0, v1, vcc
	v_sqrt_f32_e32 v1, v0
	v_add_u32_e32 v43, 0x9e3779b9, v26
	v_add_u32_e32 v44, 0xbb67ae85, v27
	;; [unrolled: 1-line block ×3, first 2 shown]
	v_add_u32_e32 v12, -1, v1
	v_fma_f32 v14, -v12, v1, v0
	v_add_u32_e32 v13, 1, v1
	v_cmp_ge_f32_e64 s[4:5], 0, v14
	v_cndmask_b32_e64 v12, v1, v12, s[4:5]
	v_fma_f32 v1, -v13, v1, v0
	v_cmp_lt_f32_e64 s[4:5], 0, v1
	v_cndmask_b32_e64 v1, v12, v13, s[4:5]
	v_mul_f32_e32 v12, 0x37800000, v1
	v_cndmask_b32_e32 v1, v1, v12, vcc
	v_cmp_class_f32_e32 vcc, v0, v28
	v_cndmask_b32_e32 v0, v1, v0, vcc
	v_div_scale_f32 v1, s[4:5], v0, v0, 1.0
	v_rcp_f32_e32 v12, v1
	v_add_u32_e32 v46, 0x76cf5d0a, v27
	v_add_u32_e32 v47, 0xdaa66d2b, v26
	v_add_u32_e32 v48, 0x32370b8f, v27
	v_fma_f32 v13, -v1, v12, 1.0
	v_fmac_f32_e32 v12, v13, v12
	v_div_scale_f32 v13, vcc, 1.0, v0, 1.0
	v_mul_f32_e32 v14, v13, v12
	v_fma_f32 v15, -v1, v14, v13
	v_fmac_f32_e32 v14, v15, v12
	v_fma_f32 v1, -v1, v14, v13
	v_div_fmas_f32 v1, v1, v12, v14
	v_div_fixup_f32 v42, v1, v0, 1.0
	v_add_u32_e32 v49, 0x78dde6e4, v26
	v_add_u32_e32 v50, 0xed9eba14, v27
	;; [unrolled: 1-line block ×10, first 2 shown]
	s_mov_b64 s[8:9], 0
	v_mov_b32_e32 v59, 0
	s_mov_b64 s[28:29], 0
                                        ; implicit-def: $sgpr24_sgpr25
                                        ; implicit-def: $sgpr26_sgpr27
                                        ; implicit-def: $vgpr0
	s_branch .LBB148_20
.LBB148_19:                             ;   in Loop: Header=BB148_20 Depth=2
	s_or_b64 exec, exec, s[28:29]
	s_and_b64 s[4:5], exec, s[4:5]
	s_or_b64 s[8:9], s[4:5], s[8:9]
	s_andn2_b64 s[4:5], s[24:25], exec
	s_and_b64 s[24:25], s[26:27], exec
	v_pk_mov_b32 v[8:9], v[12:13], v[12:13] op_sel:[0,1]
	s_or_b64 s[24:25], s[4:5], s[24:25]
	s_mov_b64 s[28:29], 0
	v_mov_b32_e32 v39, v16
	v_pk_mov_b32 v[10:11], v[14:15], v[14:15] op_sel:[0,1]
	s_andn2_b64 exec, exec, s[8:9]
	s_cbranch_execz .LBB148_31
.LBB148_20:                             ;   Parent Loop BB148_4 Depth=1
                                        ; =>  This Inner Loop Header: Depth=2
	v_cmp_eq_u32_e32 vcc, 0, v59
	v_mov_b32_e32 v1, v0
	v_mov_b32_e32 v59, 0
	s_and_saveexec_b64 s[30:31], vcc
	s_cbranch_execz .LBB148_26
; %bb.21:                               ;   in Loop: Header=BB148_20 Depth=2
	v_add_u32_e32 v0, 1, v39
	v_pk_mov_b32 v[14:15], v[10:11], v[10:11] op_sel:[0,1]
	v_cmp_eq_u32_e32 vcc, 4, v0
	v_pk_mov_b32 v[12:13], v[8:9], v[8:9] op_sel:[0,1]
	s_and_saveexec_b64 s[4:5], vcc
	s_cbranch_execz .LBB148_23
; %bb.22:                               ;   in Loop: Header=BB148_20 Depth=2
	v_add_co_u32_e32 v4, vcc, 1, v4
	v_cndmask_b32_e64 v1, 0, 1, vcc
	v_addc_co_u32_e32 v5, vcc, 0, v5, vcc
	v_cmp_eq_u32_e32 vcc, 0, v5
	v_cndmask_b32_e32 v1, 0, v1, vcc
	v_add_u32_e32 v6, v1, v6
	v_cmp_eq_u32_e32 vcc, 0, v6
	v_cndmask_b32_e32 v1, 0, v1, vcc
	v_mad_u64_u32 v[12:13], s[66:67], v4, s11, 0
	v_mad_u64_u32 v[14:15], s[66:67], v6, s36, 0
	v_add_u32_e32 v7, v1, v7
	v_xor_b32_e32 v1, v15, v26
	v_xor_b32_e32 v13, v13, v27
	v_xor_b32_e32 v1, v5, v1
	v_xor_b32_e32 v13, v7, v13
	v_mad_u64_u32 v[16:17], s[66:67], v1, s11, 0
	v_mad_u64_u32 v[18:19], s[66:67], v13, s36, 0
	v_xor_b32_e32 v1, v19, v14
	v_xor_b32_e32 v12, v17, v12
	v_xor_b32_e32 v1, v43, v1
	v_xor_b32_e32 v14, v44, v12
	v_mad_u64_u32 v[12:13], s[66:67], v1, s11, 0
	v_mad_u64_u32 v[14:15], s[66:67], v14, s36, 0
	;; [unrolled: 6-line block ×9, first 2 shown]
	v_xor_b32_e32 v1, v19, v12
	v_xor_b32_e32 v12, v37, v1
	;; [unrolled: 1-line block ×3, first 2 shown]
	v_mov_b32_e32 v0, 0
	v_xor_b32_e32 v14, v38, v1
	v_mov_b32_e32 v13, v18
	v_mov_b32_e32 v15, v16
.LBB148_23:                             ;   in Loop: Header=BB148_20 Depth=2
	s_or_b64 exec, exec, s[4:5]
	v_add_u32_e32 v60, 1, v0
	v_pk_mov_b32 v[18:19], v[14:15], v[14:15] op_sel:[0,1]
	v_cmp_eq_u32_e32 vcc, 4, v60
	v_pk_mov_b32 v[16:17], v[12:13], v[12:13] op_sel:[0,1]
	s_and_saveexec_b64 s[4:5], vcc
	s_cbranch_execz .LBB148_25
; %bb.24:                               ;   in Loop: Header=BB148_20 Depth=2
	v_add_co_u32_e32 v4, vcc, 1, v4
	v_cndmask_b32_e64 v1, 0, 1, vcc
	v_addc_co_u32_e32 v5, vcc, 0, v5, vcc
	v_cmp_eq_u32_e32 vcc, 0, v5
	v_cndmask_b32_e32 v1, 0, v1, vcc
	v_add_u32_e32 v6, v1, v6
	v_cmp_eq_u32_e32 vcc, 0, v6
	v_cndmask_b32_e32 v1, 0, v1, vcc
	v_mad_u64_u32 v[16:17], s[66:67], v4, s11, 0
	v_mad_u64_u32 v[18:19], s[66:67], v6, s36, 0
	v_add_u32_e32 v7, v1, v7
	v_xor_b32_e32 v1, v19, v26
	v_xor_b32_e32 v17, v17, v27
	v_xor_b32_e32 v1, v5, v1
	v_xor_b32_e32 v17, v7, v17
	v_mad_u64_u32 v[62:63], s[66:67], v1, s11, 0
	v_mad_u64_u32 v[64:65], s[66:67], v17, s36, 0
	v_xor_b32_e32 v1, v65, v18
	v_xor_b32_e32 v16, v63, v16
	v_xor_b32_e32 v1, v43, v1
	v_xor_b32_e32 v18, v44, v16
	v_mad_u64_u32 v[16:17], s[66:67], v1, s11, 0
	v_mad_u64_u32 v[18:19], s[66:67], v18, s36, 0
	v_xor_b32_e32 v1, v19, v64
	v_xor_b32_e32 v17, v17, v62
	v_xor_b32_e32 v1, v45, v1
	v_xor_b32_e32 v17, v46, v17
	v_mad_u64_u32 v[62:63], s[66:67], v1, s11, 0
	v_mad_u64_u32 v[64:65], s[66:67], v17, s36, 0
	v_xor_b32_e32 v1, v65, v18
	v_xor_b32_e32 v16, v63, v16
	v_xor_b32_e32 v1, v47, v1
	v_xor_b32_e32 v18, v48, v16
	v_mad_u64_u32 v[16:17], s[66:67], v1, s11, 0
	v_mad_u64_u32 v[18:19], s[66:67], v18, s36, 0
	v_xor_b32_e32 v1, v19, v64
	v_xor_b32_e32 v17, v17, v62
	v_xor_b32_e32 v1, v49, v1
	v_xor_b32_e32 v17, v50, v17
	v_mad_u64_u32 v[62:63], s[66:67], v1, s11, 0
	v_mad_u64_u32 v[64:65], s[66:67], v17, s36, 0
	v_xor_b32_e32 v1, v65, v18
	v_xor_b32_e32 v16, v63, v16
	v_xor_b32_e32 v1, v51, v1
	v_xor_b32_e32 v18, v52, v16
	v_mad_u64_u32 v[16:17], s[66:67], v1, s11, 0
	v_mad_u64_u32 v[18:19], s[66:67], v18, s36, 0
	v_xor_b32_e32 v1, v19, v64
	v_xor_b32_e32 v17, v17, v62
	v_xor_b32_e32 v1, v53, v1
	v_xor_b32_e32 v17, v54, v17
	v_mad_u64_u32 v[62:63], s[66:67], v1, s11, 0
	v_mad_u64_u32 v[64:65], s[66:67], v17, s36, 0
	v_xor_b32_e32 v1, v65, v18
	v_xor_b32_e32 v16, v63, v16
	v_xor_b32_e32 v1, v55, v1
	v_xor_b32_e32 v16, v56, v16
	v_mad_u64_u32 v[18:19], s[66:67], v1, s11, 0
	v_mad_u64_u32 v[16:17], s[66:67], v16, s36, 0
	v_xor_b32_e32 v1, v17, v64
	v_xor_b32_e32 v17, v19, v62
	v_xor_b32_e32 v17, v58, v17
	v_xor_b32_e32 v1, v57, v1
	v_mad_u64_u32 v[64:65], s[66:67], v17, s36, 0
	v_mad_u64_u32 v[62:63], s[66:67], v1, s11, 0
	v_xor_b32_e32 v1, v65, v16
	v_xor_b32_e32 v16, v37, v1
	;; [unrolled: 1-line block ×3, first 2 shown]
	v_mov_b32_e32 v60, 0
	v_xor_b32_e32 v18, v38, v1
	v_mov_b32_e32 v17, v64
	v_mov_b32_e32 v19, v62
.LBB148_25:                             ;   in Loop: Header=BB148_20 Depth=2
	s_or_b64 exec, exec, s[4:5]
	v_cmp_eq_u32_e32 vcc, 1, v39
	v_cndmask_b32_e32 v1, v8, v9, vcc
	v_cmp_eq_u32_e32 vcc, 2, v39
	v_cndmask_b32_e32 v1, v1, v10, vcc
	;; [unrolled: 2-line block ×3, first 2 shown]
	v_cvt_f32_u32_e32 v1, v1
	v_cmp_eq_u32_e32 vcc, 1, v0
	v_mov_b32_e32 v9, 0x2f800000
	v_cndmask_b32_e32 v8, v12, v13, vcc
	v_cmp_eq_u32_e32 vcc, 2, v0
	v_fmac_f32_e32 v9, 0x2f800000, v1
	v_cndmask_b32_e32 v8, v8, v14, vcc
	v_cmp_gt_f32_e32 vcc, s57, v9
	v_cndmask_b32_e32 v1, 1.0, v32, vcc
	v_mul_f32_e32 v1, v9, v1
	v_log_f32_e32 v1, v1
	v_cmp_eq_u32_e64 s[4:5], 3, v0
	v_cndmask_b32_e64 v0, v8, v15, s[4:5]
	v_cvt_f32_u32_e32 v0, v0
	v_mul_f32_e32 v8, 0x3f317217, v1
	v_fma_f32 v9, v1, s58, -v8
	v_fmac_f32_e32 v9, 0x3377d1cf, v1
	v_add_f32_e32 v8, v8, v9
	v_cmp_lt_f32_e64 s[4:5], |v1|, s42
	v_cndmask_b32_e64 v1, v1, v8, s[4:5]
	v_cndmask_b32_e32 v8, 0, v33, vcc
	v_sub_f32_e32 v1, v1, v8
	v_mul_f32_e32 v1, -2.0, v1
	v_mul_f32_e32 v8, 0x4f800000, v1
	v_cmp_gt_f32_e32 vcc, s48, v1
	v_cndmask_b32_e32 v8, v1, v8, vcc
	v_sqrt_f32_e32 v1, v8
	v_mov_b32_e32 v9, 0x30c90fdb
	v_fmac_f32_e32 v9, 0x30c90fdb, v0
	v_mov_b32_e32 v59, 1
	v_add_u32_e32 v0, -1, v1
	v_fma_f32 v10, -v0, v1, v8
	v_cmp_ge_f32_e64 s[4:5], 0, v10
	v_add_u32_e32 v10, 1, v1
	v_cndmask_b32_e64 v0, v1, v0, s[4:5]
	v_fma_f32 v1, -v10, v1, v8
	v_cmp_lt_f32_e64 s[4:5], 0, v1
	v_cndmask_b32_e64 v10, v0, v10, s[4:5]
	v_mul_f32_e32 v0, 0.15915494, v9
	v_sin_f32_e32 v1, v0
	v_cos_f32_e32 v0, v0
	v_mul_f32_e32 v11, 0x37800000, v10
	v_cndmask_b32_e32 v9, v10, v11, vcc
	v_cmp_class_f32_e32 vcc, v8, v28
	v_cndmask_b32_e32 v8, v9, v8, vcc
	v_pk_mul_f32 v[0:1], v[8:9], v[0:1] op_sel_hi:[0,1]
	v_pk_mov_b32 v[8:9], v[16:17], v[16:17] op_sel:[0,1]
	v_pk_mov_b32 v[10:11], v[18:19], v[18:19] op_sel:[0,1]
	v_mov_b32_e32 v39, v60
.LBB148_26:                             ;   in Loop: Header=BB148_20 Depth=2
	s_or_b64 exec, exec, s[30:31]
	v_fma_f32 v17, v42, v1, 1.0
	v_cmp_nge_f32_e32 vcc, 0, v17
	s_or_b64 s[28:29], vcc, s[28:29]
	s_andn2_b64 exec, exec, s[28:29]
	s_cbranch_execnz .LBB148_20
; %bb.27:                               ;   in Loop: Header=BB148_20 Depth=2
	s_or_b64 exec, exec, s[28:29]
	v_add_u32_e32 v16, 1, v39
	v_pk_mov_b32 v[14:15], v[10:11], v[10:11] op_sel:[0,1]
	v_cmp_eq_u32_e32 vcc, 4, v16
	v_pk_mov_b32 v[12:13], v[8:9], v[8:9] op_sel:[0,1]
	s_and_saveexec_b64 s[4:5], vcc
	s_cbranch_execz .LBB148_29
; %bb.28:                               ;   in Loop: Header=BB148_20 Depth=2
	v_add_co_u32_e32 v4, vcc, 1, v4
	v_cndmask_b32_e64 v12, 0, 1, vcc
	v_addc_co_u32_e32 v5, vcc, 0, v5, vcc
	v_cmp_eq_u32_e32 vcc, 0, v5
	v_cndmask_b32_e32 v12, 0, v12, vcc
	v_add_u32_e32 v6, v12, v6
	v_cmp_eq_u32_e32 vcc, 0, v6
	v_cndmask_b32_e32 v12, 0, v12, vcc
	v_add_u32_e32 v7, v12, v7
	v_mad_u64_u32 v[12:13], s[28:29], v4, s11, 0
	v_mad_u64_u32 v[14:15], s[28:29], v6, s36, 0
	v_xor_b32_e32 v15, v15, v26
	v_xor_b32_e32 v13, v13, v27
	v_xor_b32_e32 v15, v5, v15
	v_xor_b32_e32 v13, v7, v13
	v_mad_u64_u32 v[18:19], s[28:29], v15, s11, 0
	v_mad_u64_u32 v[60:61], s[28:29], v13, s36, 0
	v_xor_b32_e32 v13, v61, v14
	v_xor_b32_e32 v12, v19, v12
	v_xor_b32_e32 v13, v43, v13
	v_xor_b32_e32 v14, v44, v12
	;; [unrolled: 6-line block ×9, first 2 shown]
	v_mad_u64_u32 v[18:19], s[28:29], v13, s11, 0
	v_mad_u64_u32 v[60:61], s[28:29], v15, s36, 0
	v_xor_b32_e32 v12, v61, v12
	v_xor_b32_e32 v13, v19, v14
	v_mov_b32_e32 v16, 0
	v_xor_b32_e32 v12, v37, v12
	v_xor_b32_e32 v14, v38, v13
	v_mov_b32_e32 v13, v60
	v_mov_b32_e32 v15, v18
.LBB148_29:                             ;   in Loop: Header=BB148_20 Depth=2
	s_or_b64 exec, exec, s[4:5]
	v_cmp_eq_u32_e32 vcc, 1, v39
	v_cndmask_b32_e32 v8, v8, v9, vcc
	v_cmp_eq_u32_e32 vcc, 2, v39
	v_cndmask_b32_e32 v8, v8, v10, vcc
	v_cmp_eq_u32_e32 vcc, 3, v39
	v_cndmask_b32_e32 v8, v8, v11, vcc
	v_cvt_f32_u32_e32 v8, v8
	v_mul_f32_e32 v9, v17, v17
	v_mul_f32_e32 v17, v17, v9
	v_mov_b32_e32 v9, 0x2f800000
	v_fmac_f32_e32 v9, 0x2f800000, v8
	v_mul_f32_e32 v1, v1, v1
	v_sub_f32_e32 v8, 1.0, v9
	v_mul_f32_e32 v9, 0xbd0793de, v1
	v_fma_f32 v9, v1, v9, 1.0
	v_cmp_nlt_f32_e32 vcc, v8, v9
	s_mov_b64 s[4:5], -1
	s_or_b64 s[26:27], s[26:27], exec
	s_and_saveexec_b64 s[28:29], vcc
	s_cbranch_execz .LBB148_19
; %bb.30:                               ;   in Loop: Header=BB148_20 Depth=2
	v_cmp_gt_f32_e32 vcc, s57, v8
	v_cndmask_b32_e32 v9, 1.0, v32, vcc
	v_mul_f32_e32 v8, v8, v9
	v_log_f32_e32 v8, v8
	s_andn2_b64 s[26:27], s[26:27], exec
	v_mul_f32_e32 v9, 0x3f317217, v8
	v_fma_f32 v10, v8, s58, -v9
	v_fmac_f32_e32 v10, 0x3377d1cf, v8
	v_add_f32_e32 v9, v9, v10
	v_cmp_lt_f32_e64 s[4:5], |v8|, s42
	v_cndmask_b32_e64 v8, v8, v9, s[4:5]
	v_cmp_gt_f32_e64 s[4:5], s57, v17
	v_cndmask_b32_e64 v9, 1.0, v32, s[4:5]
	v_mul_f32_e32 v9, v17, v9
	v_log_f32_e32 v9, v9
	v_cndmask_b32_e32 v10, 0, v33, vcc
	v_sub_f32_e32 v8, v8, v10
	v_sub_f32_e32 v10, 1.0, v17
	v_mul_f32_e32 v11, 0x3f317217, v9
	v_fma_f32 v18, v9, s58, -v11
	v_fmac_f32_e32 v18, 0x3377d1cf, v9
	v_add_f32_e32 v11, v11, v18
	v_cmp_lt_f32_e64 vcc, |v9|, s42
	v_cndmask_b32_e32 v9, v9, v11, vcc
	v_cndmask_b32_e64 v11, 0, v33, s[4:5]
	v_sub_f32_e32 v9, v9, v11
	v_add_f32_e32 v9, v10, v9
	v_mul_f32_e32 v9, v41, v9
	v_fmac_f32_e32 v9, 0.5, v1
	v_cmp_lt_f32_e32 vcc, v8, v9
	s_orn2_b64 s[4:5], vcc, exec
	s_branch .LBB148_19
.LBB148_31:                             ;   in Loop: Header=BB148_4 Depth=1
	s_or_b64 exec, exec, s[8:9]
	v_mul_f32_e32 v0, v40, v41
	s_xor_b64 s[4:5], s[24:25], -1
	v_mul_f32_e32 v1, v0, v17
                                        ; implicit-def: $vgpr0
	s_and_saveexec_b64 s[8:9], s[4:5]
	s_xor_b64 s[4:5], exec, s[8:9]
; %bb.32:                               ;   in Loop: Header=BB148_4 Depth=1
	v_bfe_u32 v0, v1, 16, 1
	v_add3_u32 v0, v1, v0, s47
	v_lshrrev_b32_e32 v0, 16, v0
	v_cmp_o_f32_e32 vcc, v1, v1
	v_cndmask_b32_e32 v0, v34, v0, vcc
                                        ; implicit-def: $vgpr1
; %bb.33:                               ;   in Loop: Header=BB148_4 Depth=1
	s_andn2_saveexec_b64 s[4:5], s[4:5]
	s_cbranch_execz .LBB148_2
; %bb.34:                               ;   in Loop: Header=BB148_4 Depth=1
	v_bfe_u32 v0, v1, 16, 1
	v_add3_u32 v0, v1, v0, s47
	v_lshrrev_b32_e32 v0, 16, v0
	v_cmp_o_f32_e32 vcc, v1, v1
	v_cndmask_b32_e32 v0, v34, v0, vcc
	s_branch .LBB148_2
.LBB148_35:
	s_endpgm
	.section	.rodata,"a",@progbits
	.p2align	6, 0x0
	.amdhsa_kernel _ZN2at4cuda12_GLOBAL__N_121kernelPointwiseApply2IZN12_GLOBAL__N_117gamma_cuda_kernelIN3c108BFloat16EEEvRKNS_10TensorBaseES9_NS_15PhiloxCudaStateEEUlRS6_RKS6_E_S6_S6_jLin1ELi1ELi1ELi256ELi2EEEvNS0_6detail10TensorInfoIT0_T2_EENSG_IT1_SI_EESI_T_
		.amdhsa_group_segment_fixed_size 0
		.amdhsa_private_segment_fixed_size 0
		.amdhsa_kernarg_size 728
		.amdhsa_user_sgpr_count 6
		.amdhsa_user_sgpr_private_segment_buffer 1
		.amdhsa_user_sgpr_dispatch_ptr 0
		.amdhsa_user_sgpr_queue_ptr 0
		.amdhsa_user_sgpr_kernarg_segment_ptr 1
		.amdhsa_user_sgpr_dispatch_id 0
		.amdhsa_user_sgpr_flat_scratch_init 0
		.amdhsa_user_sgpr_kernarg_preload_length 0
		.amdhsa_user_sgpr_kernarg_preload_offset 0
		.amdhsa_user_sgpr_private_segment_size 0
		.amdhsa_uses_dynamic_stack 0
		.amdhsa_system_sgpr_private_segment_wavefront_offset 0
		.amdhsa_system_sgpr_workgroup_id_x 1
		.amdhsa_system_sgpr_workgroup_id_y 0
		.amdhsa_system_sgpr_workgroup_id_z 0
		.amdhsa_system_sgpr_workgroup_info 0
		.amdhsa_system_vgpr_workitem_id 0
		.amdhsa_next_free_vgpr 66
		.amdhsa_next_free_sgpr 68
		.amdhsa_accum_offset 68
		.amdhsa_reserve_vcc 1
		.amdhsa_reserve_flat_scratch 0
		.amdhsa_float_round_mode_32 0
		.amdhsa_float_round_mode_16_64 0
		.amdhsa_float_denorm_mode_32 3
		.amdhsa_float_denorm_mode_16_64 3
		.amdhsa_dx10_clamp 1
		.amdhsa_ieee_mode 1
		.amdhsa_fp16_overflow 0
		.amdhsa_tg_split 0
		.amdhsa_exception_fp_ieee_invalid_op 0
		.amdhsa_exception_fp_denorm_src 0
		.amdhsa_exception_fp_ieee_div_zero 0
		.amdhsa_exception_fp_ieee_overflow 0
		.amdhsa_exception_fp_ieee_underflow 0
		.amdhsa_exception_fp_ieee_inexact 0
		.amdhsa_exception_int_div_zero 0
	.end_amdhsa_kernel
	.section	.text._ZN2at4cuda12_GLOBAL__N_121kernelPointwiseApply2IZN12_GLOBAL__N_117gamma_cuda_kernelIN3c108BFloat16EEEvRKNS_10TensorBaseES9_NS_15PhiloxCudaStateEEUlRS6_RKS6_E_S6_S6_jLin1ELi1ELi1ELi256ELi2EEEvNS0_6detail10TensorInfoIT0_T2_EENSG_IT1_SI_EESI_T_,"axG",@progbits,_ZN2at4cuda12_GLOBAL__N_121kernelPointwiseApply2IZN12_GLOBAL__N_117gamma_cuda_kernelIN3c108BFloat16EEEvRKNS_10TensorBaseES9_NS_15PhiloxCudaStateEEUlRS6_RKS6_E_S6_S6_jLin1ELi1ELi1ELi256ELi2EEEvNS0_6detail10TensorInfoIT0_T2_EENSG_IT1_SI_EESI_T_,comdat
.Lfunc_end148:
	.size	_ZN2at4cuda12_GLOBAL__N_121kernelPointwiseApply2IZN12_GLOBAL__N_117gamma_cuda_kernelIN3c108BFloat16EEEvRKNS_10TensorBaseES9_NS_15PhiloxCudaStateEEUlRS6_RKS6_E_S6_S6_jLin1ELi1ELi1ELi256ELi2EEEvNS0_6detail10TensorInfoIT0_T2_EENSG_IT1_SI_EESI_T_, .Lfunc_end148-_ZN2at4cuda12_GLOBAL__N_121kernelPointwiseApply2IZN12_GLOBAL__N_117gamma_cuda_kernelIN3c108BFloat16EEEvRKNS_10TensorBaseES9_NS_15PhiloxCudaStateEEUlRS6_RKS6_E_S6_S6_jLin1ELi1ELi1ELi256ELi2EEEvNS0_6detail10TensorInfoIT0_T2_EENSG_IT1_SI_EESI_T_
                                        ; -- End function
	.section	.AMDGPU.csdata,"",@progbits
; Kernel info:
; codeLenInByte = 5428
; NumSgprs: 72
; NumVgprs: 66
; NumAgprs: 0
; TotalNumVgprs: 66
; ScratchSize: 0
; MemoryBound: 0
; FloatMode: 240
; IeeeMode: 1
; LDSByteSize: 0 bytes/workgroup (compile time only)
; SGPRBlocks: 8
; VGPRBlocks: 8
; NumSGPRsForWavesPerEU: 72
; NumVGPRsForWavesPerEU: 66
; AccumOffset: 68
; Occupancy: 7
; WaveLimiterHint : 1
; COMPUTE_PGM_RSRC2:SCRATCH_EN: 0
; COMPUTE_PGM_RSRC2:USER_SGPR: 6
; COMPUTE_PGM_RSRC2:TRAP_HANDLER: 0
; COMPUTE_PGM_RSRC2:TGID_X_EN: 1
; COMPUTE_PGM_RSRC2:TGID_Y_EN: 0
; COMPUTE_PGM_RSRC2:TGID_Z_EN: 0
; COMPUTE_PGM_RSRC2:TIDIG_COMP_CNT: 0
; COMPUTE_PGM_RSRC3_GFX90A:ACCUM_OFFSET: 16
; COMPUTE_PGM_RSRC3_GFX90A:TG_SPLIT: 0
	.section	.text._ZN2at4cuda12_GLOBAL__N_121kernelPointwiseApply2IZN12_GLOBAL__N_117gamma_cuda_kernelIN3c108BFloat16EEEvRKNS_10TensorBaseES9_NS_15PhiloxCudaStateEEUlRS6_RKS6_E_S6_S6_jLin1ELi2ELi1ELi256ELi2EEEvNS0_6detail10TensorInfoIT0_T2_EENSG_IT1_SI_EESI_T_,"axG",@progbits,_ZN2at4cuda12_GLOBAL__N_121kernelPointwiseApply2IZN12_GLOBAL__N_117gamma_cuda_kernelIN3c108BFloat16EEEvRKNS_10TensorBaseES9_NS_15PhiloxCudaStateEEUlRS6_RKS6_E_S6_S6_jLin1ELi2ELi1ELi256ELi2EEEvNS0_6detail10TensorInfoIT0_T2_EENSG_IT1_SI_EESI_T_,comdat
	.globl	_ZN2at4cuda12_GLOBAL__N_121kernelPointwiseApply2IZN12_GLOBAL__N_117gamma_cuda_kernelIN3c108BFloat16EEEvRKNS_10TensorBaseES9_NS_15PhiloxCudaStateEEUlRS6_RKS6_E_S6_S6_jLin1ELi2ELi1ELi256ELi2EEEvNS0_6detail10TensorInfoIT0_T2_EENSG_IT1_SI_EESI_T_ ; -- Begin function _ZN2at4cuda12_GLOBAL__N_121kernelPointwiseApply2IZN12_GLOBAL__N_117gamma_cuda_kernelIN3c108BFloat16EEEvRKNS_10TensorBaseES9_NS_15PhiloxCudaStateEEUlRS6_RKS6_E_S6_S6_jLin1ELi2ELi1ELi256ELi2EEEvNS0_6detail10TensorInfoIT0_T2_EENSG_IT1_SI_EESI_T_
	.p2align	8
	.type	_ZN2at4cuda12_GLOBAL__N_121kernelPointwiseApply2IZN12_GLOBAL__N_117gamma_cuda_kernelIN3c108BFloat16EEEvRKNS_10TensorBaseES9_NS_15PhiloxCudaStateEEUlRS6_RKS6_E_S6_S6_jLin1ELi2ELi1ELi256ELi2EEEvNS0_6detail10TensorInfoIT0_T2_EENSG_IT1_SI_EESI_T_,@function
_ZN2at4cuda12_GLOBAL__N_121kernelPointwiseApply2IZN12_GLOBAL__N_117gamma_cuda_kernelIN3c108BFloat16EEEvRKNS_10TensorBaseES9_NS_15PhiloxCudaStateEEUlRS6_RKS6_E_S6_S6_jLin1ELi2ELi1ELi256ELi2EEEvNS0_6detail10TensorInfoIT0_T2_EENSG_IT1_SI_EESI_T_: ; @_ZN2at4cuda12_GLOBAL__N_121kernelPointwiseApply2IZN12_GLOBAL__N_117gamma_cuda_kernelIN3c108BFloat16EEEvRKNS_10TensorBaseES9_NS_15PhiloxCudaStateEEUlRS6_RKS6_E_S6_S6_jLin1ELi2ELi1ELi256ELi2EEEvNS0_6detail10TensorInfoIT0_T2_EENSG_IT1_SI_EESI_T_
; %bb.0:
	s_load_dword s2, s[4:5], 0x1e4
	s_load_dword s33, s[4:5], 0x1b0
	s_add_u32 s0, s4, 0x1d8
	s_addc_u32 s1, s5, 0
	s_waitcnt lgkmcnt(0)
	s_and_b32 s2, s2, 0xffff
	s_mul_i32 s6, s6, s2
	v_add_u32_e32 v2, s6, v0
	v_cmp_gt_u32_e32 vcc, s33, v2
	s_and_saveexec_b64 s[6:7], vcc
	s_cbranch_execz .LBB149_37
; %bb.1:
	s_load_dword s36, s[4:5], 0xe4
	s_load_dwordx2 s[12:13], s[4:5], 0x144
	s_load_dwordx2 s[14:15], s[4:5], 0xd8
	s_load_dword s22, s[4:5], 0xd0
	s_load_dwordx2 s[16:17], s[4:5], 0x1c8
	s_load_dwordx4 s[8:11], s[4:5], 0x1b8
	s_load_dword s39, s[0:1], 0x0
	s_load_dword s3, s[4:5], 0x1d0
	;; [unrolled: 1-line block ×3, first 2 shown]
	s_waitcnt lgkmcnt(0)
	v_cvt_f32_u32_e32 v0, s36
	s_cmp_gt_i32 s22, 1
	s_cselect_b64 s[0:1], -1, 0
	s_bitcmp1_b32 s3, 0
	v_rcp_iflag_f32_e32 v0, v0
	s_cselect_b64 s[20:21], -1, 0
	s_mul_i32 s39, s39, s2
	s_sub_i32 s2, 0, s36
	v_mul_f32_e32 v0, 0x4f7ffffe, v0
	v_cvt_u32_f32_e32 v0, v0
	s_mov_b32 s3, 0
	s_load_dwordx2 s[18:19], s[4:5], 0x0
	s_add_i32 s40, s22, 1
	v_mul_lo_u32 v1, s2, v0
	s_add_i32 s2, s22, -1
	s_lshl_b64 s[2:3], s[2:3], 2
	s_mov_b32 s38, 0xcd9e8d57
	s_add_u32 s2, s2, s4
	v_mad_u64_u32 v[20:21], s[6:7], v2, s38, 0
	v_mul_hi_u32 v1, v0, v1
	s_addc_u32 s3, s3, s5
	v_mov_b32_e32 v22, v21
	v_add_u32_e32 v21, v0, v1
	s_add_u32 s22, s2, 8
	v_cndmask_b32_e64 v0, 0, 1, s[0:1]
	v_mov_b32_e32 v3, 0
	s_addc_u32 s23, s3, 0
	s_mov_b64 s[24:25], 0
	v_cmp_ne_u32_e64 s[0:1], 1, v0
	v_mov_b32_e32 v23, s15
	s_mov_b32 s15, 0xd2511f53
	s_mov_b32 s41, 0x3f2aaaab
	v_mov_b32_e32 v28, 0x3ecccdef
	s_mov_b32 s42, 0x3f317218
	s_movk_i32 s43, 0x204
	s_mov_b32 s44, 0x7f800000
	s_mov_b32 s45, 0x42b17218
	;; [unrolled: 1-line block ×4, first 2 shown]
	s_brev_b32 s48, -2
	s_movk_i32 s49, 0x7fff
	s_mov_b32 s50, 0xf800000
	v_mov_b32_e32 v29, 0x260
	s_mov_b32 s51, 0x3c6ef372
	s_mov_b32 s52, 0x76cf5d0a
	;; [unrolled: 1-line block ×17, first 2 shown]
	v_mov_b32_e32 v30, 0x37000000
	v_mov_b32_e32 v31, 0x7f800000
	;; [unrolled: 1-line block ×8, first 2 shown]
	s_branch .LBB149_4
.LBB149_2:                              ;   in Loop: Header=BB149_4 Depth=1
	s_or_b64 exec, exec, s[2:3]
.LBB149_3:                              ;   in Loop: Header=BB149_4 Depth=1
	s_or_b64 exec, exec, s[4:5]
	v_lshlrev_b64 v[4:5], 1, v[24:25]
	s_waitcnt lgkmcnt(0)
	v_mov_b32_e32 v1, s19
	v_add_co_u32_e32 v4, vcc, s18, v4
	v_addc_co_u32_e32 v5, vcc, v1, v5, vcc
	v_lshlrev_b32_e32 v1, 16, v0
	v_cmp_ngt_f32_e32 vcc, s59, v1
	v_add_u32_e32 v37, s39, v37
	v_cndmask_b32_e32 v0, v36, v0, vcc
	v_cmp_le_u32_e32 vcc, s33, v37
	s_or_b64 s[24:25], vcc, s[24:25]
	global_store_short v[4:5], v0, off
	s_andn2_b64 exec, exec, s[24:25]
	s_cbranch_execz .LBB149_37
.LBB149_4:                              ; =>This Loop Header: Depth=1
                                        ;     Child Loop BB149_7 Depth 2
                                        ;     Child Loop BB149_22 Depth 2
	v_sub_u32_e32 v0, s33, v37
	v_cmp_lt_i32_e64 s[2:3], 0, v0
	v_pk_mov_b32 v[24:25], 0, 0
	s_and_saveexec_b64 s[4:5], s[2:3]
	s_cbranch_execz .LBB149_9
; %bb.5:                                ;   in Loop: Header=BB149_4 Depth=1
	s_and_b64 vcc, exec, s[0:1]
	v_mov_b32_e32 v0, 0
	v_mov_b32_e32 v4, v37
	s_cbranch_vccnz .LBB149_8
; %bb.6:                                ;   in Loop: Header=BB149_4 Depth=1
	v_mov_b32_e32 v0, 0
	s_mov_b64 s[6:7], s[22:23]
	s_mov_b32 s26, s40
	v_mov_b32_e32 v4, v37
.LBB149_7:                              ;   Parent Loop BB149_4 Depth=1
                                        ; =>  This Inner Loop Header: Depth=2
	s_load_dword s27, s[6:7], 0x0
	s_load_dword s28, s[6:7], 0x64
	v_mov_b32_e32 v1, v4
	s_add_i32 s26, s26, -1
	s_waitcnt lgkmcnt(0)
	v_cvt_f32_u32_e32 v4, s27
	s_sub_i32 s29, 0, s27
	s_add_u32 s6, s6, -4
	s_addc_u32 s7, s7, -1
	v_rcp_iflag_f32_e32 v4, v4
	s_cmp_gt_u32 s26, 2
	v_mul_f32_e32 v4, 0x4f7ffffe, v4
	v_cvt_u32_f32_e32 v4, v4
	v_mul_lo_u32 v5, s29, v4
	v_mul_hi_u32 v5, v4, v5
	v_add_u32_e32 v4, v4, v5
	v_mul_hi_u32 v4, v1, v4
	v_mul_lo_u32 v5, v4, s27
	v_sub_u32_e32 v5, v1, v5
	v_add_u32_e32 v6, 1, v4
	v_cmp_le_u32_e32 vcc, s27, v5
	v_cndmask_b32_e32 v4, v4, v6, vcc
	v_subrev_u32_e32 v6, s27, v5
	v_cndmask_b32_e32 v5, v5, v6, vcc
	v_add_u32_e32 v6, 1, v4
	v_cmp_le_u32_e32 vcc, s27, v5
	v_cndmask_b32_e32 v4, v4, v6, vcc
	v_mul_lo_u32 v5, v4, s27
	v_sub_u32_e32 v1, v1, v5
	v_mad_u64_u32 v[0:1], s[28:29], s28, v1, v[0:1]
	s_cbranch_scc1 .LBB149_7
.LBB149_8:                              ;   in Loop: Header=BB149_4 Depth=1
	v_mad_u64_u32 v[24:25], s[6:7], s37, v4, v[0:1]
	v_mov_b32_e32 v25, v3
.LBB149_9:                              ;   in Loop: Header=BB149_4 Depth=1
	s_or_b64 exec, exec, s[4:5]
	v_pk_mov_b32 v[0:1], 0, 0
	s_and_saveexec_b64 s[4:5], s[2:3]
	s_cbranch_execz .LBB149_11
; %bb.10:                               ;   in Loop: Header=BB149_4 Depth=1
	v_mul_hi_u32 v0, v37, v21
	v_mul_lo_u32 v1, v0, s36
	v_sub_u32_e32 v1, v37, v1
	v_add_u32_e32 v4, 1, v0
	v_cmp_le_u32_e32 vcc, s36, v1
	v_cndmask_b32_e32 v0, v0, v4, vcc
	v_subrev_u32_e32 v4, s36, v1
	v_cndmask_b32_e32 v1, v1, v4, vcc
	v_add_u32_e32 v4, 1, v0
	v_cmp_le_u32_e32 vcc, s36, v1
	v_cndmask_b32_e32 v1, v0, v4, vcc
	v_mul_lo_u32 v0, v1, s36
	v_sub_u32_e32 v0, v37, v0
	v_mul_lo_u32 v0, v0, s13
	v_mad_u64_u32 v[0:1], s[2:3], v1, s12, v[0:1]
	v_mov_b32_e32 v1, v3
.LBB149_11:                             ;   in Loop: Header=BB149_4 Depth=1
	s_or_b64 exec, exec, s[4:5]
	v_lshlrev_b64 v[0:1], 1, v[0:1]
	v_add_co_u32_e32 v0, vcc, s14, v0
	v_addc_co_u32_e32 v1, vcc, v23, v1, vcc
	global_load_ushort v4, v[0:1], off
	s_andn2_b64 vcc, exec, s[20:21]
	v_pk_mov_b32 v[0:1], s[10:11], s[10:11] op_sel:[0,1]
	v_pk_mov_b32 v[26:27], s[8:9], s[8:9] op_sel:[0,1]
	s_cbranch_vccnz .LBB149_13
; %bb.12:                               ;   in Loop: Header=BB149_4 Depth=1
	v_pk_mov_b32 v[0:1], s[10:11], s[10:11] op_sel:[0,1]
	flat_load_dwordx2 v[0:1], v[0:1]
	v_pk_mov_b32 v[6:7], s[8:9], s[8:9] op_sel:[0,1]
	flat_load_dwordx2 v[26:27], v[6:7]
	v_mov_b32_e32 v5, s17
	s_waitcnt vmcnt(0) lgkmcnt(0)
	v_add_co_u32_e32 v0, vcc, s16, v0
	v_addc_co_u32_e32 v1, vcc, v1, v5, vcc
.LBB149_13:                             ;   in Loop: Header=BB149_4 Depth=1
	v_and_b32_e32 v40, 3, v0
	v_alignbit_b32 v0, v1, v0, 2
	v_mad_u64_u32 v[8:9], s[2:3], v0, s15, 0
	v_lshrrev_b32_e32 v1, 2, v1
	v_xor_b32_e32 v5, v9, v27
	v_xor_b32_e32 v7, v22, v26
	v_mov_b32_e32 v6, v27
	v_xor_b32_e32 v7, v7, v1
	v_mad_u64_u32 v[12:13], s[2:3], v5, s38, 0
	v_add_co_u32_e32 v43, vcc, 0x9e3779b9, v26
	v_add_co_u32_e32 v42, vcc, s61, v6
	v_mad_u64_u32 v[10:11], s[2:3], v7, s15, 0
	v_xor_b32_e32 v5, v20, v13
	v_xor_b32_e32 v5, v5, v43
	v_xor_b32_e32 v7, v42, v11
	v_xor_b32_e32 v7, v7, v8
	v_add_co_u32_e32 v44, vcc, s52, v6
	v_mad_u64_u32 v[8:9], s[2:3], v5, s15, 0
	v_add_co_u32_e32 v45, vcc, s51, v26
	v_mad_u64_u32 v[14:15], s[2:3], v7, s38, 0
	v_xor_b32_e32 v7, v44, v9
	v_xor_b32_e32 v5, v45, v15
	v_xor_b32_e32 v7, v7, v10
	v_xor_b32_e32 v5, v5, v12
	v_add_co_u32_e32 v47, vcc, s62, v26
	v_mad_u64_u32 v[12:13], s[2:3], v7, s38, 0
	;; [unrolled: 8-line block ×7, first 2 shown]
	v_add_co_u32_e32 v57, vcc, s66, v26
	v_mad_u64_u32 v[8:9], s[2:3], v8, s38, 0
	v_xor_b32_e32 v7, v56, v7
	v_xor_b32_e32 v5, v57, v9
	;; [unrolled: 1-line block ×4, first 2 shown]
	v_mad_u64_u32 v[18:19], s[2:3], v7, s38, 0
	v_add_u32_e32 v38, 0x8ff34781, v26
	v_mad_u64_u32 v[16:17], s[2:3], v5, s15, 0
	v_xor_b32_e32 v5, v19, v8
	v_add_u32_e32 v39, 0x96a522ad, v27
	v_xor_b32_e32 v8, v38, v5
	v_xor_b32_e32 v5, v17, v6
	;; [unrolled: 1-line block ×3, first 2 shown]
	s_waitcnt vmcnt(0)
	v_lshlrev_b32_e32 v17, 16, v4
	v_pk_mov_b32 v[6:7], v[2:3], v[2:3] op_sel:[0,1]
	v_mov_b32_e32 v9, v18
	v_mov_b32_e32 v11, v16
	v_cmp_gt_f32_e32 vcc, 1.0, v17
	s_mov_b64 s[2:3], -1
	v_mov_b32_e32 v41, 1.0
	v_pk_mov_b32 v[4:5], v[0:1], v[0:1] op_sel:[0,1]
                                        ; implicit-def: $sgpr4
	s_and_saveexec_b64 s[26:27], vcc
	s_cbranch_execz .LBB149_19
; %bb.14:                               ;   in Loop: Header=BB149_4 Depth=1
	v_cmp_neq_f32_e32 vcc, 0, v17
	s_mov_b64 s[30:31], 0
	v_mov_b32_e32 v41, 1.0
                                        ; implicit-def: $vgpr4_vgpr5_vgpr6_vgpr7
	s_and_saveexec_b64 s[28:29], vcc
	s_cbranch_execz .LBB149_18
; %bb.15:                               ;   in Loop: Header=BB149_4 Depth=1
	v_add_u32_e32 v19, 1, v40
	v_pk_mov_b32 v[14:15], v[10:11], v[10:11] op_sel:[0,1]
	v_pk_mov_b32 v[6:7], v[2:3], v[2:3] op_sel:[0,1]
	v_cmp_eq_u32_e32 vcc, 4, v19
	v_pk_mov_b32 v[12:13], v[8:9], v[8:9] op_sel:[0,1]
	v_pk_mov_b32 v[4:5], v[0:1], v[0:1] op_sel:[0,1]
	s_and_saveexec_b64 s[2:3], vcc
	s_cbranch_execz .LBB149_17
; %bb.16:                               ;   in Loop: Header=BB149_4 Depth=1
	v_add_co_u32_e32 v4, vcc, 1, v0
	v_cndmask_b32_e64 v0, 0, 1, vcc
	v_addc_co_u32_e32 v5, vcc, 0, v1, vcc
	v_cmp_eq_u32_e32 vcc, 0, v5
	v_cndmask_b32_e32 v0, 0, v0, vcc
	v_add_u32_e32 v6, v0, v2
	v_cmp_eq_u32_e32 vcc, 0, v6
	v_cndmask_b32_e32 v7, 0, v0, vcc
	v_mad_u64_u32 v[0:1], s[4:5], v4, s15, 0
	v_mad_u64_u32 v[12:13], s[4:5], v6, s38, 0
	v_xor_b32_e32 v9, v13, v26
	v_xor_b32_e32 v1, v1, v27
	v_xor_b32_e32 v9, v5, v9
	v_xor_b32_e32 v1, v7, v1
	v_mad_u64_u32 v[14:15], s[4:5], v9, s15, 0
	v_mad_u64_u32 v[58:59], s[4:5], v1, s38, 0
	v_xor_b32_e32 v1, v43, v59
	v_xor_b32_e32 v9, v42, v15
	v_xor_b32_e32 v1, v1, v12
	v_xor_b32_e32 v9, v9, v0
	v_mad_u64_u32 v[0:1], s[4:5], v1, s15, 0
	v_mad_u64_u32 v[12:13], s[4:5], v9, s38, 0
	v_xor_b32_e32 v9, v45, v13
	v_xor_b32_e32 v1, v44, v1
	v_xor_b32_e32 v9, v9, v58
	v_xor_b32_e32 v1, v1, v14
	v_mad_u64_u32 v[14:15], s[4:5], v9, s15, 0
	v_mad_u64_u32 v[42:43], s[4:5], v1, s38, 0
	v_xor_b32_e32 v1, v47, v43
	v_xor_b32_e32 v9, v46, v15
	v_xor_b32_e32 v1, v1, v12
	v_xor_b32_e32 v9, v9, v0
	v_mad_u64_u32 v[0:1], s[4:5], v1, s15, 0
	v_mad_u64_u32 v[12:13], s[4:5], v9, s38, 0
	v_xor_b32_e32 v9, v49, v13
	v_xor_b32_e32 v1, v48, v1
	v_xor_b32_e32 v9, v9, v42
	v_xor_b32_e32 v1, v1, v14
	v_mad_u64_u32 v[14:15], s[4:5], v9, s15, 0
	v_mad_u64_u32 v[42:43], s[4:5], v1, s38, 0
	v_xor_b32_e32 v1, v51, v43
	v_xor_b32_e32 v9, v50, v15
	v_xor_b32_e32 v1, v1, v12
	v_xor_b32_e32 v9, v9, v0
	v_mad_u64_u32 v[0:1], s[4:5], v1, s15, 0
	v_mad_u64_u32 v[12:13], s[4:5], v9, s38, 0
	v_xor_b32_e32 v9, v53, v13
	v_xor_b32_e32 v1, v52, v1
	v_xor_b32_e32 v9, v9, v42
	v_xor_b32_e32 v1, v1, v14
	v_mad_u64_u32 v[14:15], s[4:5], v9, s15, 0
	v_mad_u64_u32 v[42:43], s[4:5], v1, s38, 0
	v_xor_b32_e32 v1, v55, v43
	v_xor_b32_e32 v9, v54, v15
	v_xor_b32_e32 v1, v1, v12
	v_xor_b32_e32 v9, v9, v0
	v_mad_u64_u32 v[0:1], s[4:5], v1, s15, 0
	v_mad_u64_u32 v[12:13], s[4:5], v9, s38, 0
	v_xor_b32_e32 v9, v57, v13
	v_xor_b32_e32 v1, v56, v1
	v_xor_b32_e32 v9, v9, v42
	v_xor_b32_e32 v1, v1, v14
	v_mad_u64_u32 v[42:43], s[4:5], v9, s15, 0
	v_mad_u64_u32 v[44:45], s[4:5], v1, s38, 0
	v_xor_b32_e32 v1, v45, v12
	v_xor_b32_e32 v0, v43, v0
	v_mov_b32_e32 v19, 0
	v_xor_b32_e32 v12, v38, v1
	v_xor_b32_e32 v14, v39, v0
	v_mov_b32_e32 v13, v44
	v_mov_b32_e32 v15, v42
.LBB149_17:                             ;   in Loop: Header=BB149_4 Depth=1
	s_or_b64 exec, exec, s[2:3]
	v_cmp_eq_u32_e32 vcc, 1, v40
	v_cndmask_b32_e32 v0, v8, v18, vcc
	v_cmp_eq_u32_e32 vcc, 2, v40
	v_cndmask_b32_e32 v0, v0, v10, vcc
	;; [unrolled: 2-line block ×3, first 2 shown]
	v_div_scale_f32 v1, s[2:3], v17, v17, 1.0
	v_cvt_f32_u32_e32 v0, v0
	v_rcp_f32_e32 v8, v1
	v_mov_b32_e32 v9, 0x2f800000
	s_mov_b64 s[30:31], exec
	v_fmac_f32_e32 v9, 0x2f800000, v0
	v_fma_f32 v0, -v1, v8, 1.0
	v_fmac_f32_e32 v8, v0, v8
	v_div_scale_f32 v0, vcc, 1.0, v17, 1.0
	v_sub_f32_e32 v18, 1.0, v9
	v_mul_f32_e32 v9, v0, v8
	v_fma_f32 v10, -v1, v9, v0
	v_fmac_f32_e32 v9, v10, v8
	v_fma_f32 v0, -v1, v9, v0
	v_div_fmas_f32 v0, v0, v8, v9
	v_div_fixup_f32 v50, v0, v17, 1.0
	v_cmp_eq_f32_e32 vcc, 1.0, v18
	v_cndmask_b32_e64 v51, v50, 1.0, vcc
	v_cmp_eq_f32_e64 s[2:3], 0, v51
	v_cndmask_b32_e64 v52, |v18|, 1.0, s[2:3]
	v_frexp_mant_f32_e32 v0, v52
	v_cmp_gt_f32_e64 s[4:5], s41, v0
	v_cndmask_b32_e64 v1, 1.0, 2.0, s[4:5]
	v_mul_f32_e32 v0, v0, v1
	v_add_f32_e32 v9, 1.0, v0
	v_rcp_f32_e32 v16, v9
	v_add_f32_e32 v1, -1.0, v9
	v_sub_f32_e32 v11, v0, v1
	v_add_f32_e32 v1, -1.0, v0
	v_mul_f32_e32 v42, v1, v16
	v_mul_f32_e32 v8, v9, v42
	v_fma_f32 v10, v42, v9, -v8
	v_fmac_f32_e32 v10, v42, v11
	v_add_f32_e32 v0, v8, v10
	v_sub_f32_e32 v9, v1, v0
	v_pk_add_f32 v[40:41], v[0:1], v[8:9] neg_lo:[0,1] neg_hi:[0,1]
	v_mov_b32_e32 v11, v0
	v_pk_add_f32 v[0:1], v[40:41], v[10:11] neg_lo:[0,1] neg_hi:[0,1]
	v_add_f32_e32 v0, v0, v1
	v_add_f32_e32 v0, v9, v0
	v_mul_f32_e32 v1, v16, v0
	v_add_f32_e32 v0, v42, v1
	v_sub_f32_e32 v8, v0, v42
	v_sub_f32_e32 v16, v1, v8
	v_mul_f32_e32 v1, v0, v0
	v_fma_f32 v9, v0, v0, -v1
	v_add_f32_e32 v8, v16, v16
	v_fmac_f32_e32 v9, v0, v8
	v_add_f32_e32 v8, v1, v9
	v_mov_b32_e32 v10, 0x3e91f4c4
	v_fmac_f32_e32 v10, 0x3e76c4e1, v8
	v_fma_f32 v10, v8, v10, v28
	v_sub_f32_e32 v1, v8, v1
	v_sub_f32_e32 v44, v9, v1
	v_mul_f32_e32 v1, v8, v10
	v_fma_f32 v9, v8, v10, -v1
	v_fmac_f32_e32 v9, v44, v10
	v_add_f32_e32 v10, v1, v9
	v_add_f32_e32 v11, 0x3f2aaaaa, v10
	v_sub_f32_e32 v1, v10, v1
	v_sub_f32_e32 v1, v9, v1
	v_add_f32_e32 v9, 0xbf2aaaaa, v11
	v_add_f32_e32 v1, 0x31739010, v1
	v_sub_f32_e32 v9, v10, v9
	v_pk_mul_f32 v[40:41], v[0:1], v[8:9]
	v_fma_f32 v10, v8, v0, -v40
	v_pk_add_f32 v[42:43], v[0:1], v[8:9]
	v_fmac_f32_e32 v10, v8, v16
	v_mov_b32_e32 v41, v43
	v_fmac_f32_e32 v10, v44, v0
	v_pk_add_f32 v[8:9], v[40:41], v[10:11]
	v_sub_f32_e32 v1, v8, v40
	v_sub_f32_e32 v1, v10, v1
	v_sub_f32_e32 v10, v11, v9
	v_add_f32_e32 v42, v43, v10
	v_mov_b32_e32 v10, v9
	v_pk_mul_f32 v[10:11], v[8:9], v[10:11]
	v_cvt_f64_f32_e32 v[40:41], v52
	v_frexp_exp_i32_f64_e32 v11, v[40:41]
	v_subbrev_co_u32_e64 v11, s[4:5], 0, v11, s[4:5]
	v_cvt_f32_i32_e32 v11, v11
	v_fma_f32 v40, v8, v9, -v10
	v_fmac_f32_e32 v40, v8, v42
	v_fmac_f32_e32 v40, v1, v9
	v_mul_f32_e32 v8, 0x3f317218, v11
	v_fma_f32 v42, v11, s42, -v8
	v_fmac_f32_e32 v42, 0xb102e308, v11
	v_ldexp_f32 v43, v0, 1
	v_add_f32_e32 v9, v10, v40
	v_pk_add_f32 v[0:1], v[8:9], v[42:43]
	v_mov_b32_e32 v44, v9
	v_mov_b32_e32 v45, v1
	;; [unrolled: 1-line block ×3, first 2 shown]
	v_pk_add_f32 v[10:11], v[44:45], v[10:11] neg_lo:[0,1] neg_hi:[0,1]
	v_mov_b32_e32 v41, v9
	v_ldexp_f32 v16, v16, 1
	v_pk_add_f32 v[10:11], v[40:41], v[10:11] neg_lo:[0,1] neg_hi:[0,1]
	v_add_f32_e32 v9, v16, v10
	v_add_f32_e32 v9, v9, v11
	v_pk_add_f32 v[10:11], v[0:1], v[8:9] neg_lo:[0,1] neg_hi:[0,1]
	v_pk_add_f32 v[40:41], v[0:1], v[8:9]
	v_mov_b32_e32 v44, v10
	v_mov_b32_e32 v45, v41
	;; [unrolled: 1-line block ×3, first 2 shown]
	v_pk_add_f32 v[44:45], v[42:43], v[44:45]
	v_mov_b32_e32 v8, v45
	v_pk_add_f32 v[46:47], v[8:9], v[0:1] neg_lo:[0,1] neg_hi:[0,1]
	v_mov_b32_e32 v47, v46
	v_mov_b32_e32 v44, v41
	;; [unrolled: 1-line block ×4, first 2 shown]
	v_pk_add_f32 v[10:11], v[42:43], v[10:11] neg_lo:[0,1] neg_hi:[0,1]
	v_pk_add_f32 v[48:49], v[40:41], v[46:47] neg_lo:[0,1] neg_hi:[0,1]
	;; [unrolled: 1-line block ×3, first 2 shown]
	v_mov_b32_e32 v42, v9
	v_pk_add_f32 v[0:1], v[42:43], v[0:1] neg_lo:[0,1] neg_hi:[0,1]
	v_mov_b32_e32 v48, v10
	v_pk_add_f32 v[40:41], v[48:49], v[0:1]
	v_mov_b32_e32 v16, v41
	v_pk_add_f32 v[42:43], v[40:41], v[16:17]
	v_pk_add_f32 v[8:9], v[8:9], v[42:43]
	v_mov_b32_e32 v11, v45
	v_mov_b32_e32 v41, v8
	v_pk_add_f32 v[44:45], v[40:41], v[10:11] neg_lo:[0,1] neg_hi:[0,1]
	v_mov_b32_e32 v1, v42
	v_sub_f32_e32 v9, v40, v44
	v_pk_add_f32 v[0:1], v[0:1], v[44:45] neg_lo:[0,1] neg_hi:[0,1]
	v_sub_f32_e32 v9, v10, v9
	v_add_f32_e32 v0, v0, v9
	v_add_f32_e32 v0, v0, v1
	;; [unrolled: 1-line block ×3, first 2 shown]
	v_sub_f32_e32 v8, v1, v8
	v_sub_f32_e32 v0, v0, v8
	v_mul_f32_e32 v8, v51, v1
	v_fma_f32 v1, v51, v1, -v8
	v_fmac_f32_e32 v1, v51, v0
	v_add_f32_e32 v0, v8, v1
	v_cmp_class_f32_e64 s[4:5], v8, s43
	v_sub_f32_e32 v9, v0, v8
	v_cndmask_b32_e64 v0, v0, v8, s[4:5]
	v_cmp_eq_f32_e64 s[4:5], s45, v0
	v_cndmask_b32_e64 v8, 0, v30, s[4:5]
	v_sub_f32_e32 v1, v1, v9
	v_sub_f32_e32 v9, v0, v8
	v_mul_f32_e32 v10, 0x3fb8aa3b, v9
	v_fma_f32 v11, v9, s46, -v10
	v_rndne_f32_e32 v16, v10
	v_fmac_f32_e32 v11, 0x32a5705f, v9
	v_sub_f32_e32 v10, v10, v16
	v_add_f32_e32 v10, v10, v11
	v_exp_f32_e32 v10, v10
	v_cvt_i32_f32_e32 v11, v16
	v_cmp_neq_f32_e64 s[4:5], |v0|, s44
	v_cndmask_b32_e64 v0, 0, v1, s[4:5]
	v_cmp_ngt_f32_e64 s[4:5], s47, v9
	v_ldexp_f32 v1, v10, v11
	v_cndmask_b32_e64 v1, 0, v1, s[4:5]
	v_cmp_nlt_f32_e64 s[4:5], s45, v9
	v_add_f32_e32 v0, v8, v0
	v_cndmask_b32_e64 v1, v31, v1, s[4:5]
	v_fma_f32 v0, v1, v0, v1
	v_cmp_class_f32_e64 s[4:5], v1, s43
	v_trunc_f32_e32 v8, v51
	v_cndmask_b32_e64 v0, v0, v1, s[4:5]
	v_cndmask_b32_e64 v1, v18, 1.0, s[2:3]
	v_cmp_eq_f32_e64 s[2:3], v8, v51
	v_mul_f32_e32 v8, 0.5, v51
	v_trunc_f32_e32 v9, v8
	v_cmp_neq_f32_e64 s[4:5], v9, v8
	s_and_b64 s[4:5], s[2:3], s[4:5]
	v_cndmask_b32_e64 v8, 1.0, v1, s[4:5]
	v_bfi_b32 v0, s48, v0, v8
	v_cndmask_b32_e64 v8, v32, v0, s[2:3]
	v_cmp_gt_f32_e64 s[2:3], 0, v1
	v_cndmask_b32_e64 v0, v0, v8, s[2:3]
	v_cndmask_b32_e64 v8, |v50|, 1.0, vcc
	v_cmp_neq_f32_e32 vcc, v51, v8
	v_cmp_gt_f32_e64 s[2:3], 1.0, v52
	s_xor_b64 s[2:3], vcc, s[2:3]
	v_cndmask_b32_e64 v9, v8, 0, s[2:3]
	v_cmp_eq_f32_e32 vcc, 1.0, v52
	v_cmp_eq_f32_e64 s[2:3], 0, v1
	v_cmp_gt_f32_e64 s[6:7], 0, v51
	v_cndmask_b32_e32 v9, v9, v52, vcc
	v_cmp_eq_f32_e32 vcc, s44, v8
	s_xor_b64 s[6:7], s[6:7], s[2:3]
	v_cndmask_b32_e32 v0, v0, v9, vcc
	v_cmp_eq_f32_e32 vcc, s44, v52
	v_cndmask_b32_e64 v8, v31, 0, s[6:7]
	v_cndmask_b32_e64 v1, 0, v1, s[4:5]
	v_bfi_b32 v1, s48, v8, v1
	s_or_b64 vcc, vcc, s[2:3]
	v_cndmask_b32_e32 v41, v0, v1, vcc
	v_add_f32_e32 v0, 1.0, v17
	v_bfe_u32 v1, v0, 16, 1
	v_add3_u32 v0, v0, v1, s49
	v_pk_mov_b32 v[8:9], v[12:13], v[12:13] op_sel:[0,1]
	v_and_b32_e32 v17, 0xffff0000, v0
	v_pk_mov_b32 v[10:11], v[14:15], v[14:15] op_sel:[0,1]
	v_mov_b32_e32 v40, v19
.LBB149_18:                             ;   in Loop: Header=BB149_4 Depth=1
	s_or_b64 exec, exec, s[28:29]
	s_mov_b32 s4, 0
	s_orn2_b64 s[2:3], s[30:31], exec
.LBB149_19:                             ;   in Loop: Header=BB149_4 Depth=1
	s_or_b64 exec, exec, s[26:27]
	v_mov_b32_e32 v0, s4
	s_and_saveexec_b64 s[4:5], s[2:3]
	s_cbranch_execz .LBB149_3
; %bb.20:                               ;   in Loop: Header=BB149_4 Depth=1
	v_add_f32_e32 v42, 0xbeaaaaab, v17
	v_mul_f32_e32 v0, 0x41100000, v42
	v_mul_f32_e32 v1, 0x4f800000, v0
	v_cmp_gt_f32_e32 vcc, s50, v0
	v_cndmask_b32_e32 v0, v0, v1, vcc
	v_sqrt_f32_e32 v1, v0
	v_add_u32_e32 v44, 0x9e3779b9, v26
	v_add_u32_e32 v45, 0xbb67ae85, v27
	;; [unrolled: 1-line block ×3, first 2 shown]
	v_add_u32_e32 v12, -1, v1
	v_fma_f32 v14, -v12, v1, v0
	v_add_u32_e32 v13, 1, v1
	v_cmp_ge_f32_e64 s[2:3], 0, v14
	v_cndmask_b32_e64 v12, v1, v12, s[2:3]
	v_fma_f32 v1, -v13, v1, v0
	v_cmp_lt_f32_e64 s[2:3], 0, v1
	v_cndmask_b32_e64 v1, v12, v13, s[2:3]
	v_mul_f32_e32 v12, 0x37800000, v1
	v_cndmask_b32_e32 v1, v1, v12, vcc
	v_cmp_class_f32_e32 vcc, v0, v29
	v_cndmask_b32_e32 v0, v1, v0, vcc
	v_div_scale_f32 v1, s[2:3], v0, v0, 1.0
	v_rcp_f32_e32 v12, v1
	v_add_u32_e32 v47, 0x76cf5d0a, v27
	v_add_u32_e32 v48, 0xdaa66d2b, v26
	;; [unrolled: 1-line block ×3, first 2 shown]
	v_fma_f32 v13, -v1, v12, 1.0
	v_fmac_f32_e32 v12, v13, v12
	v_div_scale_f32 v13, vcc, 1.0, v0, 1.0
	v_mul_f32_e32 v14, v13, v12
	v_fma_f32 v15, -v1, v14, v13
	v_fmac_f32_e32 v14, v15, v12
	v_fma_f32 v1, -v1, v14, v13
	v_div_fmas_f32 v1, v1, v12, v14
	v_div_fixup_f32 v43, v1, v0, 1.0
	v_add_u32_e32 v50, 0x78dde6e4, v26
	v_add_u32_e32 v51, 0xed9eba14, v27
	;; [unrolled: 1-line block ×10, first 2 shown]
	s_mov_b64 s[6:7], 0
	v_mov_b32_e32 v60, 0
	s_mov_b64 s[30:31], 0
                                        ; implicit-def: $sgpr26_sgpr27
                                        ; implicit-def: $sgpr28_sgpr29
                                        ; implicit-def: $vgpr0
	s_branch .LBB149_22
.LBB149_21:                             ;   in Loop: Header=BB149_22 Depth=2
	s_or_b64 exec, exec, s[30:31]
	s_and_b64 s[2:3], exec, s[2:3]
	s_or_b64 s[6:7], s[2:3], s[6:7]
	s_andn2_b64 s[2:3], s[26:27], exec
	s_and_b64 s[26:27], s[28:29], exec
	v_pk_mov_b32 v[8:9], v[12:13], v[12:13] op_sel:[0,1]
	s_or_b64 s[26:27], s[2:3], s[26:27]
	s_mov_b64 s[30:31], 0
	v_mov_b32_e32 v40, v16
	v_pk_mov_b32 v[10:11], v[14:15], v[14:15] op_sel:[0,1]
	s_andn2_b64 exec, exec, s[6:7]
	s_cbranch_execz .LBB149_33
.LBB149_22:                             ;   Parent Loop BB149_4 Depth=1
                                        ; =>  This Inner Loop Header: Depth=2
	v_cmp_eq_u32_e32 vcc, 0, v60
	v_mov_b32_e32 v1, v0
	v_mov_b32_e32 v60, 0
	s_and_saveexec_b64 s[34:35], vcc
	s_cbranch_execz .LBB149_28
; %bb.23:                               ;   in Loop: Header=BB149_22 Depth=2
	v_add_u32_e32 v0, 1, v40
	v_pk_mov_b32 v[14:15], v[10:11], v[10:11] op_sel:[0,1]
	v_cmp_eq_u32_e32 vcc, 4, v0
	v_pk_mov_b32 v[12:13], v[8:9], v[8:9] op_sel:[0,1]
	s_and_saveexec_b64 s[2:3], vcc
	s_cbranch_execz .LBB149_25
; %bb.24:                               ;   in Loop: Header=BB149_22 Depth=2
	v_add_co_u32_e32 v4, vcc, 1, v4
	v_cndmask_b32_e64 v1, 0, 1, vcc
	v_addc_co_u32_e32 v5, vcc, 0, v5, vcc
	v_cmp_eq_u32_e32 vcc, 0, v5
	v_cndmask_b32_e32 v1, 0, v1, vcc
	v_add_u32_e32 v6, v1, v6
	v_cmp_eq_u32_e32 vcc, 0, v6
	v_cndmask_b32_e32 v1, 0, v1, vcc
	v_mad_u64_u32 v[12:13], s[68:69], v4, s15, 0
	v_mad_u64_u32 v[14:15], s[68:69], v6, s38, 0
	v_add_u32_e32 v7, v1, v7
	v_xor_b32_e32 v1, v15, v26
	v_xor_b32_e32 v13, v13, v27
	v_xor_b32_e32 v1, v5, v1
	v_xor_b32_e32 v13, v7, v13
	v_mad_u64_u32 v[16:17], s[68:69], v1, s15, 0
	v_mad_u64_u32 v[18:19], s[68:69], v13, s38, 0
	v_xor_b32_e32 v1, v19, v14
	v_xor_b32_e32 v12, v17, v12
	v_xor_b32_e32 v1, v44, v1
	v_xor_b32_e32 v14, v45, v12
	v_mad_u64_u32 v[12:13], s[68:69], v1, s15, 0
	v_mad_u64_u32 v[14:15], s[68:69], v14, s38, 0
	;; [unrolled: 6-line block ×9, first 2 shown]
	v_xor_b32_e32 v1, v19, v12
	v_xor_b32_e32 v12, v38, v1
	;; [unrolled: 1-line block ×3, first 2 shown]
	v_mov_b32_e32 v0, 0
	v_xor_b32_e32 v14, v39, v1
	v_mov_b32_e32 v13, v18
	v_mov_b32_e32 v15, v16
.LBB149_25:                             ;   in Loop: Header=BB149_22 Depth=2
	s_or_b64 exec, exec, s[2:3]
	v_add_u32_e32 v61, 1, v0
	v_pk_mov_b32 v[18:19], v[14:15], v[14:15] op_sel:[0,1]
	v_cmp_eq_u32_e32 vcc, 4, v61
	v_pk_mov_b32 v[16:17], v[12:13], v[12:13] op_sel:[0,1]
	s_and_saveexec_b64 s[2:3], vcc
	s_cbranch_execz .LBB149_27
; %bb.26:                               ;   in Loop: Header=BB149_22 Depth=2
	v_add_co_u32_e32 v4, vcc, 1, v4
	v_cndmask_b32_e64 v1, 0, 1, vcc
	v_addc_co_u32_e32 v5, vcc, 0, v5, vcc
	v_cmp_eq_u32_e32 vcc, 0, v5
	v_cndmask_b32_e32 v1, 0, v1, vcc
	v_add_u32_e32 v6, v1, v6
	v_cmp_eq_u32_e32 vcc, 0, v6
	v_cndmask_b32_e32 v1, 0, v1, vcc
	v_mad_u64_u32 v[16:17], s[68:69], v4, s15, 0
	v_mad_u64_u32 v[18:19], s[68:69], v6, s38, 0
	v_add_u32_e32 v7, v1, v7
	v_xor_b32_e32 v1, v19, v26
	v_xor_b32_e32 v17, v17, v27
	v_xor_b32_e32 v1, v5, v1
	v_xor_b32_e32 v17, v7, v17
	v_mad_u64_u32 v[62:63], s[68:69], v1, s15, 0
	v_mad_u64_u32 v[64:65], s[68:69], v17, s38, 0
	v_xor_b32_e32 v1, v65, v18
	v_xor_b32_e32 v16, v63, v16
	v_xor_b32_e32 v1, v44, v1
	v_xor_b32_e32 v18, v45, v16
	v_mad_u64_u32 v[16:17], s[68:69], v1, s15, 0
	v_mad_u64_u32 v[18:19], s[68:69], v18, s38, 0
	;; [unrolled: 6-line block ×9, first 2 shown]
	v_xor_b32_e32 v1, v65, v16
	v_xor_b32_e32 v16, v38, v1
	;; [unrolled: 1-line block ×3, first 2 shown]
	v_mov_b32_e32 v61, 0
	v_xor_b32_e32 v18, v39, v1
	v_mov_b32_e32 v17, v64
	v_mov_b32_e32 v19, v62
.LBB149_27:                             ;   in Loop: Header=BB149_22 Depth=2
	s_or_b64 exec, exec, s[2:3]
	v_cmp_eq_u32_e32 vcc, 1, v40
	v_cndmask_b32_e32 v1, v8, v9, vcc
	v_cmp_eq_u32_e32 vcc, 2, v40
	v_cndmask_b32_e32 v1, v1, v10, vcc
	;; [unrolled: 2-line block ×3, first 2 shown]
	v_cvt_f32_u32_e32 v1, v1
	v_cmp_eq_u32_e32 vcc, 1, v0
	v_mov_b32_e32 v9, 0x2f800000
	v_cndmask_b32_e32 v8, v12, v13, vcc
	v_cmp_eq_u32_e32 vcc, 2, v0
	v_fmac_f32_e32 v9, 0x2f800000, v1
	v_cndmask_b32_e32 v8, v8, v14, vcc
	v_cmp_gt_f32_e32 vcc, s59, v9
	v_cndmask_b32_e32 v1, 1.0, v33, vcc
	v_mul_f32_e32 v1, v9, v1
	v_log_f32_e32 v1, v1
	v_cmp_eq_u32_e64 s[2:3], 3, v0
	v_cndmask_b32_e64 v0, v8, v15, s[2:3]
	v_cvt_f32_u32_e32 v0, v0
	v_mul_f32_e32 v8, 0x3f317217, v1
	v_fma_f32 v9, v1, s60, -v8
	v_fmac_f32_e32 v9, 0x3377d1cf, v1
	v_add_f32_e32 v8, v8, v9
	v_cmp_lt_f32_e64 s[2:3], |v1|, s44
	v_cndmask_b32_e64 v1, v1, v8, s[2:3]
	v_cndmask_b32_e32 v8, 0, v34, vcc
	v_sub_f32_e32 v1, v1, v8
	v_mul_f32_e32 v1, -2.0, v1
	v_mul_f32_e32 v8, 0x4f800000, v1
	v_cmp_gt_f32_e32 vcc, s50, v1
	v_cndmask_b32_e32 v8, v1, v8, vcc
	v_sqrt_f32_e32 v1, v8
	v_mov_b32_e32 v9, 0x30c90fdb
	v_fmac_f32_e32 v9, 0x30c90fdb, v0
	v_mov_b32_e32 v60, 1
	v_add_u32_e32 v0, -1, v1
	v_fma_f32 v10, -v0, v1, v8
	v_cmp_ge_f32_e64 s[2:3], 0, v10
	v_add_u32_e32 v10, 1, v1
	v_cndmask_b32_e64 v0, v1, v0, s[2:3]
	v_fma_f32 v1, -v10, v1, v8
	v_cmp_lt_f32_e64 s[2:3], 0, v1
	v_cndmask_b32_e64 v10, v0, v10, s[2:3]
	v_mul_f32_e32 v0, 0.15915494, v9
	v_sin_f32_e32 v1, v0
	v_cos_f32_e32 v0, v0
	v_mul_f32_e32 v11, 0x37800000, v10
	v_cndmask_b32_e32 v9, v10, v11, vcc
	v_cmp_class_f32_e32 vcc, v8, v29
	v_cndmask_b32_e32 v8, v9, v8, vcc
	v_pk_mul_f32 v[0:1], v[8:9], v[0:1] op_sel_hi:[0,1]
	v_pk_mov_b32 v[8:9], v[16:17], v[16:17] op_sel:[0,1]
	v_pk_mov_b32 v[10:11], v[18:19], v[18:19] op_sel:[0,1]
	v_mov_b32_e32 v40, v61
.LBB149_28:                             ;   in Loop: Header=BB149_22 Depth=2
	s_or_b64 exec, exec, s[34:35]
	v_fma_f32 v17, v43, v1, 1.0
	v_cmp_nge_f32_e32 vcc, 0, v17
	s_or_b64 s[30:31], vcc, s[30:31]
	s_andn2_b64 exec, exec, s[30:31]
	s_cbranch_execnz .LBB149_22
; %bb.29:                               ;   in Loop: Header=BB149_22 Depth=2
	s_or_b64 exec, exec, s[30:31]
	v_add_u32_e32 v16, 1, v40
	v_pk_mov_b32 v[14:15], v[10:11], v[10:11] op_sel:[0,1]
	v_cmp_eq_u32_e32 vcc, 4, v16
	v_pk_mov_b32 v[12:13], v[8:9], v[8:9] op_sel:[0,1]
	s_and_saveexec_b64 s[2:3], vcc
	s_cbranch_execz .LBB149_31
; %bb.30:                               ;   in Loop: Header=BB149_22 Depth=2
	v_add_co_u32_e32 v4, vcc, 1, v4
	v_cndmask_b32_e64 v12, 0, 1, vcc
	v_addc_co_u32_e32 v5, vcc, 0, v5, vcc
	v_cmp_eq_u32_e32 vcc, 0, v5
	v_cndmask_b32_e32 v12, 0, v12, vcc
	v_add_u32_e32 v6, v12, v6
	v_cmp_eq_u32_e32 vcc, 0, v6
	v_cndmask_b32_e32 v12, 0, v12, vcc
	v_add_u32_e32 v7, v12, v7
	v_mad_u64_u32 v[12:13], s[30:31], v4, s15, 0
	v_mad_u64_u32 v[14:15], s[30:31], v6, s38, 0
	v_xor_b32_e32 v15, v15, v26
	v_xor_b32_e32 v13, v13, v27
	v_xor_b32_e32 v15, v5, v15
	v_xor_b32_e32 v13, v7, v13
	v_mad_u64_u32 v[18:19], s[30:31], v15, s15, 0
	v_mad_u64_u32 v[62:63], s[30:31], v13, s38, 0
	v_xor_b32_e32 v13, v63, v14
	v_xor_b32_e32 v12, v19, v12
	v_xor_b32_e32 v13, v44, v13
	v_xor_b32_e32 v14, v45, v12
	;; [unrolled: 6-line block ×9, first 2 shown]
	v_mad_u64_u32 v[18:19], s[30:31], v13, s15, 0
	v_mad_u64_u32 v[62:63], s[30:31], v15, s38, 0
	v_xor_b32_e32 v12, v63, v12
	v_xor_b32_e32 v13, v19, v14
	v_mov_b32_e32 v16, 0
	v_xor_b32_e32 v12, v38, v12
	v_xor_b32_e32 v14, v39, v13
	v_mov_b32_e32 v13, v62
	v_mov_b32_e32 v15, v18
.LBB149_31:                             ;   in Loop: Header=BB149_22 Depth=2
	s_or_b64 exec, exec, s[2:3]
	v_cmp_eq_u32_e32 vcc, 1, v40
	v_cndmask_b32_e32 v8, v8, v9, vcc
	v_cmp_eq_u32_e32 vcc, 2, v40
	v_cndmask_b32_e32 v8, v8, v10, vcc
	;; [unrolled: 2-line block ×3, first 2 shown]
	v_cvt_f32_u32_e32 v8, v8
	v_mul_f32_e32 v9, v17, v17
	v_mul_f32_e32 v17, v17, v9
	v_mov_b32_e32 v9, 0x2f800000
	v_fmac_f32_e32 v9, 0x2f800000, v8
	v_mul_f32_e32 v1, v1, v1
	v_sub_f32_e32 v8, 1.0, v9
	v_mul_f32_e32 v9, 0xbd0793de, v1
	v_fma_f32 v9, v1, v9, 1.0
	v_cmp_nlt_f32_e32 vcc, v8, v9
	s_mov_b64 s[2:3], -1
	s_or_b64 s[28:29], s[28:29], exec
	s_and_saveexec_b64 s[30:31], vcc
	s_cbranch_execz .LBB149_21
; %bb.32:                               ;   in Loop: Header=BB149_22 Depth=2
	v_cmp_gt_f32_e32 vcc, s59, v8
	v_cndmask_b32_e32 v9, 1.0, v33, vcc
	v_mul_f32_e32 v8, v8, v9
	v_log_f32_e32 v8, v8
	s_andn2_b64 s[28:29], s[28:29], exec
	v_mul_f32_e32 v9, 0x3f317217, v8
	v_fma_f32 v10, v8, s60, -v9
	v_fmac_f32_e32 v10, 0x3377d1cf, v8
	v_add_f32_e32 v9, v9, v10
	v_cmp_lt_f32_e64 s[2:3], |v8|, s44
	v_cndmask_b32_e64 v8, v8, v9, s[2:3]
	v_cmp_gt_f32_e64 s[2:3], s59, v17
	v_cndmask_b32_e64 v9, 1.0, v33, s[2:3]
	v_mul_f32_e32 v9, v17, v9
	v_log_f32_e32 v9, v9
	v_cndmask_b32_e32 v10, 0, v34, vcc
	v_sub_f32_e32 v8, v8, v10
	v_sub_f32_e32 v10, 1.0, v17
	v_mul_f32_e32 v11, 0x3f317217, v9
	v_fma_f32 v18, v9, s60, -v11
	v_fmac_f32_e32 v18, 0x3377d1cf, v9
	v_add_f32_e32 v11, v11, v18
	v_cmp_lt_f32_e64 vcc, |v9|, s44
	v_cndmask_b32_e32 v9, v9, v11, vcc
	v_cndmask_b32_e64 v11, 0, v34, s[2:3]
	v_sub_f32_e32 v9, v9, v11
	v_add_f32_e32 v9, v10, v9
	v_mul_f32_e32 v9, v42, v9
	v_fmac_f32_e32 v9, 0.5, v1
	v_cmp_lt_f32_e32 vcc, v8, v9
	s_orn2_b64 s[2:3], vcc, exec
	s_branch .LBB149_21
.LBB149_33:                             ;   in Loop: Header=BB149_4 Depth=1
	s_or_b64 exec, exec, s[6:7]
	v_mul_f32_e32 v0, v41, v42
	s_xor_b64 s[2:3], s[26:27], -1
	v_mul_f32_e32 v1, v0, v17
                                        ; implicit-def: $vgpr0
	s_and_saveexec_b64 s[6:7], s[2:3]
	s_xor_b64 s[2:3], exec, s[6:7]
; %bb.34:                               ;   in Loop: Header=BB149_4 Depth=1
	v_bfe_u32 v0, v1, 16, 1
	v_add3_u32 v0, v1, v0, s49
	v_lshrrev_b32_e32 v0, 16, v0
	v_cmp_o_f32_e32 vcc, v1, v1
	v_cndmask_b32_e32 v0, v35, v0, vcc
                                        ; implicit-def: $vgpr1
; %bb.35:                               ;   in Loop: Header=BB149_4 Depth=1
	s_andn2_saveexec_b64 s[2:3], s[2:3]
	s_cbranch_execz .LBB149_2
; %bb.36:                               ;   in Loop: Header=BB149_4 Depth=1
	v_bfe_u32 v0, v1, 16, 1
	v_add3_u32 v0, v1, v0, s49
	v_lshrrev_b32_e32 v0, 16, v0
	v_cmp_o_f32_e32 vcc, v1, v1
	v_cndmask_b32_e32 v0, v35, v0, vcc
	s_branch .LBB149_2
.LBB149_37:
	s_endpgm
	.section	.rodata,"a",@progbits
	.p2align	6, 0x0
	.amdhsa_kernel _ZN2at4cuda12_GLOBAL__N_121kernelPointwiseApply2IZN12_GLOBAL__N_117gamma_cuda_kernelIN3c108BFloat16EEEvRKNS_10TensorBaseES9_NS_15PhiloxCudaStateEEUlRS6_RKS6_E_S6_S6_jLin1ELi2ELi1ELi256ELi2EEEvNS0_6detail10TensorInfoIT0_T2_EENSG_IT1_SI_EESI_T_
		.amdhsa_group_segment_fixed_size 0
		.amdhsa_private_segment_fixed_size 0
		.amdhsa_kernarg_size 728
		.amdhsa_user_sgpr_count 6
		.amdhsa_user_sgpr_private_segment_buffer 1
		.amdhsa_user_sgpr_dispatch_ptr 0
		.amdhsa_user_sgpr_queue_ptr 0
		.amdhsa_user_sgpr_kernarg_segment_ptr 1
		.amdhsa_user_sgpr_dispatch_id 0
		.amdhsa_user_sgpr_flat_scratch_init 0
		.amdhsa_user_sgpr_kernarg_preload_length 0
		.amdhsa_user_sgpr_kernarg_preload_offset 0
		.amdhsa_user_sgpr_private_segment_size 0
		.amdhsa_uses_dynamic_stack 0
		.amdhsa_system_sgpr_private_segment_wavefront_offset 0
		.amdhsa_system_sgpr_workgroup_id_x 1
		.amdhsa_system_sgpr_workgroup_id_y 0
		.amdhsa_system_sgpr_workgroup_id_z 0
		.amdhsa_system_sgpr_workgroup_info 0
		.amdhsa_system_vgpr_workitem_id 0
		.amdhsa_next_free_vgpr 66
		.amdhsa_next_free_sgpr 70
		.amdhsa_accum_offset 68
		.amdhsa_reserve_vcc 1
		.amdhsa_reserve_flat_scratch 0
		.amdhsa_float_round_mode_32 0
		.amdhsa_float_round_mode_16_64 0
		.amdhsa_float_denorm_mode_32 3
		.amdhsa_float_denorm_mode_16_64 3
		.amdhsa_dx10_clamp 1
		.amdhsa_ieee_mode 1
		.amdhsa_fp16_overflow 0
		.amdhsa_tg_split 0
		.amdhsa_exception_fp_ieee_invalid_op 0
		.amdhsa_exception_fp_denorm_src 0
		.amdhsa_exception_fp_ieee_div_zero 0
		.amdhsa_exception_fp_ieee_overflow 0
		.amdhsa_exception_fp_ieee_underflow 0
		.amdhsa_exception_fp_ieee_inexact 0
		.amdhsa_exception_int_div_zero 0
	.end_amdhsa_kernel
	.section	.text._ZN2at4cuda12_GLOBAL__N_121kernelPointwiseApply2IZN12_GLOBAL__N_117gamma_cuda_kernelIN3c108BFloat16EEEvRKNS_10TensorBaseES9_NS_15PhiloxCudaStateEEUlRS6_RKS6_E_S6_S6_jLin1ELi2ELi1ELi256ELi2EEEvNS0_6detail10TensorInfoIT0_T2_EENSG_IT1_SI_EESI_T_,"axG",@progbits,_ZN2at4cuda12_GLOBAL__N_121kernelPointwiseApply2IZN12_GLOBAL__N_117gamma_cuda_kernelIN3c108BFloat16EEEvRKNS_10TensorBaseES9_NS_15PhiloxCudaStateEEUlRS6_RKS6_E_S6_S6_jLin1ELi2ELi1ELi256ELi2EEEvNS0_6detail10TensorInfoIT0_T2_EENSG_IT1_SI_EESI_T_,comdat
.Lfunc_end149:
	.size	_ZN2at4cuda12_GLOBAL__N_121kernelPointwiseApply2IZN12_GLOBAL__N_117gamma_cuda_kernelIN3c108BFloat16EEEvRKNS_10TensorBaseES9_NS_15PhiloxCudaStateEEUlRS6_RKS6_E_S6_S6_jLin1ELi2ELi1ELi256ELi2EEEvNS0_6detail10TensorInfoIT0_T2_EENSG_IT1_SI_EESI_T_, .Lfunc_end149-_ZN2at4cuda12_GLOBAL__N_121kernelPointwiseApply2IZN12_GLOBAL__N_117gamma_cuda_kernelIN3c108BFloat16EEEvRKNS_10TensorBaseES9_NS_15PhiloxCudaStateEEUlRS6_RKS6_E_S6_S6_jLin1ELi2ELi1ELi256ELi2EEEvNS0_6detail10TensorInfoIT0_T2_EENSG_IT1_SI_EESI_T_
                                        ; -- End function
	.section	.AMDGPU.csdata,"",@progbits
; Kernel info:
; codeLenInByte = 5548
; NumSgprs: 74
; NumVgprs: 66
; NumAgprs: 0
; TotalNumVgprs: 66
; ScratchSize: 0
; MemoryBound: 0
; FloatMode: 240
; IeeeMode: 1
; LDSByteSize: 0 bytes/workgroup (compile time only)
; SGPRBlocks: 9
; VGPRBlocks: 8
; NumSGPRsForWavesPerEU: 74
; NumVGPRsForWavesPerEU: 66
; AccumOffset: 68
; Occupancy: 7
; WaveLimiterHint : 1
; COMPUTE_PGM_RSRC2:SCRATCH_EN: 0
; COMPUTE_PGM_RSRC2:USER_SGPR: 6
; COMPUTE_PGM_RSRC2:TRAP_HANDLER: 0
; COMPUTE_PGM_RSRC2:TGID_X_EN: 1
; COMPUTE_PGM_RSRC2:TGID_Y_EN: 0
; COMPUTE_PGM_RSRC2:TGID_Z_EN: 0
; COMPUTE_PGM_RSRC2:TIDIG_COMP_CNT: 0
; COMPUTE_PGM_RSRC3_GFX90A:ACCUM_OFFSET: 16
; COMPUTE_PGM_RSRC3_GFX90A:TG_SPLIT: 0
	.section	.text._ZN2at4cuda12_GLOBAL__N_121kernelPointwiseApply2IZN12_GLOBAL__N_117gamma_cuda_kernelIN3c108BFloat16EEEvRKNS_10TensorBaseES9_NS_15PhiloxCudaStateEEUlRS6_RKS6_E_S6_S6_jLin1ELin1ELi1ELi256ELi2EEEvNS0_6detail10TensorInfoIT0_T2_EENSG_IT1_SI_EESI_T_,"axG",@progbits,_ZN2at4cuda12_GLOBAL__N_121kernelPointwiseApply2IZN12_GLOBAL__N_117gamma_cuda_kernelIN3c108BFloat16EEEvRKNS_10TensorBaseES9_NS_15PhiloxCudaStateEEUlRS6_RKS6_E_S6_S6_jLin1ELin1ELi1ELi256ELi2EEEvNS0_6detail10TensorInfoIT0_T2_EENSG_IT1_SI_EESI_T_,comdat
	.globl	_ZN2at4cuda12_GLOBAL__N_121kernelPointwiseApply2IZN12_GLOBAL__N_117gamma_cuda_kernelIN3c108BFloat16EEEvRKNS_10TensorBaseES9_NS_15PhiloxCudaStateEEUlRS6_RKS6_E_S6_S6_jLin1ELin1ELi1ELi256ELi2EEEvNS0_6detail10TensorInfoIT0_T2_EENSG_IT1_SI_EESI_T_ ; -- Begin function _ZN2at4cuda12_GLOBAL__N_121kernelPointwiseApply2IZN12_GLOBAL__N_117gamma_cuda_kernelIN3c108BFloat16EEEvRKNS_10TensorBaseES9_NS_15PhiloxCudaStateEEUlRS6_RKS6_E_S6_S6_jLin1ELin1ELi1ELi256ELi2EEEvNS0_6detail10TensorInfoIT0_T2_EENSG_IT1_SI_EESI_T_
	.p2align	8
	.type	_ZN2at4cuda12_GLOBAL__N_121kernelPointwiseApply2IZN12_GLOBAL__N_117gamma_cuda_kernelIN3c108BFloat16EEEvRKNS_10TensorBaseES9_NS_15PhiloxCudaStateEEUlRS6_RKS6_E_S6_S6_jLin1ELin1ELi1ELi256ELi2EEEvNS0_6detail10TensorInfoIT0_T2_EENSG_IT1_SI_EESI_T_,@function
_ZN2at4cuda12_GLOBAL__N_121kernelPointwiseApply2IZN12_GLOBAL__N_117gamma_cuda_kernelIN3c108BFloat16EEEvRKNS_10TensorBaseES9_NS_15PhiloxCudaStateEEUlRS6_RKS6_E_S6_S6_jLin1ELin1ELi1ELi256ELi2EEEvNS0_6detail10TensorInfoIT0_T2_EENSG_IT1_SI_EESI_T_: ; @_ZN2at4cuda12_GLOBAL__N_121kernelPointwiseApply2IZN12_GLOBAL__N_117gamma_cuda_kernelIN3c108BFloat16EEEvRKNS_10TensorBaseES9_NS_15PhiloxCudaStateEEUlRS6_RKS6_E_S6_S6_jLin1ELin1ELi1ELi256ELi2EEEvNS0_6detail10TensorInfoIT0_T2_EENSG_IT1_SI_EESI_T_
; %bb.0:
	s_load_dword s2, s[4:5], 0x1e4
	s_load_dword s33, s[4:5], 0x1b0
	s_add_u32 s0, s4, 0x1d8
	s_addc_u32 s1, s5, 0
	s_waitcnt lgkmcnt(0)
	s_and_b32 s2, s2, 0xffff
	s_mul_i32 s6, s6, s2
	v_add_u32_e32 v2, s6, v0
	v_cmp_gt_u32_e32 vcc, s33, v2
	s_and_saveexec_b64 s[6:7], vcc
	s_cbranch_execz .LBB150_40
; %bb.1:
	s_add_u32 s24, s4, 0xd8
	s_load_dword s41, s[0:1], 0x0
	s_load_dword s3, s[4:5], 0x1d0
	;; [unrolled: 1-line block ×3, first 2 shown]
	s_load_dwordx2 s[6:7], s[4:5], 0x1c8
	s_load_dwordx4 s[8:11], s[4:5], 0x1b8
	s_load_dword s26, s[4:5], 0x1a8
	s_load_dwordx2 s[12:13], s[4:5], 0xd8
	s_load_dword s38, s[4:5], 0x6c
	s_addc_u32 s25, s5, 0
	s_waitcnt lgkmcnt(0)
	s_cmp_gt_i32 s22, 1
	s_cselect_b64 s[14:15], -1, 0
	s_cmp_gt_i32 s26, 1
	s_mov_b32 s40, 0xcd9e8d57
	s_cselect_b64 s[16:17], -1, 0
	s_bitcmp1_b32 s3, 0
	v_mad_u64_u32 v[20:21], s[0:1], v2, s40, 0
	s_cselect_b64 s[20:21], -1, 0
	s_add_i32 s0, s22, -1
	s_mov_b32 s1, 0
	s_mul_i32 s41, s41, s2
	s_add_i32 s42, s22, 1
	s_lshl_b64 s[2:3], s[0:1], 2
	s_add_u32 s0, s2, s4
	s_addc_u32 s2, s3, s5
	s_add_u32 s22, s0, 8
	s_addc_u32 s23, s2, 0
	s_add_i32 s0, s26, -1
	s_load_dword s39, s[4:5], 0x144
	s_load_dwordx2 s[18:19], s[4:5], 0x0
	s_add_i32 s43, s26, 1
	s_lshl_b64 s[0:1], s[0:1], 2
	s_add_u32 s0, s0, s24
	s_addc_u32 s1, s1, s25
	s_add_u32 s24, s0, 8
	v_mov_b32_e32 v3, 0
	v_mov_b32_e32 v22, v21
	s_addc_u32 s25, s1, 0
	s_mov_b64 s[26:27], 0
	v_mov_b32_e32 v21, s13
	s_mov_b32 s13, 0xd2511f53
	s_mov_b32 s44, 0x3f2aaaab
	s_mov_b32 s45, 0x3f317218
	s_movk_i32 s46, 0x204
	s_mov_b32 s47, 0x7f800000
	s_mov_b32 s48, 0x42b17218
	s_mov_b32 s49, 0x3fb8aa3b
	s_mov_b32 s50, 0xc2ce8ed0
	s_brev_b32 s51, -2
	s_movk_i32 s52, 0x7fff
	s_mov_b32 s53, 0xf800000
	v_mov_b32_e32 v23, 0x260
	s_mov_b32 s54, 0x3c6ef372
	s_mov_b32 s55, 0x76cf5d0a
	;; [unrolled: 1-line block ×17, first 2 shown]
	v_mov_b32_e32 v28, 0x37000000
	v_mov_b32_e32 v29, 0x7f800000
	;; [unrolled: 1-line block ×8, first 2 shown]
	s_branch .LBB150_4
.LBB150_2:                              ;   in Loop: Header=BB150_4 Depth=1
	s_or_b64 exec, exec, s[0:1]
.LBB150_3:                              ;   in Loop: Header=BB150_4 Depth=1
	s_or_b64 exec, exec, s[2:3]
	v_lshlrev_b64 v[4:5], 1, v[24:25]
	s_waitcnt lgkmcnt(0)
	v_mov_b32_e32 v1, s19
	v_add_co_u32_e32 v4, vcc, s18, v4
	v_addc_co_u32_e32 v5, vcc, v1, v5, vcc
	v_lshlrev_b32_e32 v1, 16, v0
	v_cmp_ngt_f32_e32 vcc, s62, v1
	v_add_u32_e32 v35, s41, v35
	v_cndmask_b32_e32 v0, v34, v0, vcc
	v_cmp_le_u32_e32 vcc, s33, v35
	s_or_b64 s[26:27], vcc, s[26:27]
	global_store_short v[4:5], v0, off
	s_andn2_b64 exec, exec, s[26:27]
	s_cbranch_execz .LBB150_40
.LBB150_4:                              ; =>This Loop Header: Depth=1
                                        ;     Child Loop BB150_7 Depth 2
                                        ;     Child Loop BB150_12 Depth 2
	;; [unrolled: 1-line block ×3, first 2 shown]
	v_sub_u32_e32 v0, s33, v35
	v_cmp_lt_i32_e64 s[0:1], 0, v0
	v_pk_mov_b32 v[24:25], 0, 0
	s_and_saveexec_b64 s[2:3], s[0:1]
	s_cbranch_execz .LBB150_9
; %bb.5:                                ;   in Loop: Header=BB150_4 Depth=1
	s_andn2_b64 vcc, exec, s[14:15]
	v_mov_b32_e32 v0, 0
	v_mov_b32_e32 v4, v35
	s_cbranch_vccnz .LBB150_8
; %bb.6:                                ;   in Loop: Header=BB150_4 Depth=1
	v_mov_b32_e32 v0, 0
	s_mov_b64 s[4:5], s[22:23]
	s_mov_b32 s28, s42
	v_mov_b32_e32 v4, v35
.LBB150_7:                              ;   Parent Loop BB150_4 Depth=1
                                        ; =>  This Inner Loop Header: Depth=2
	s_load_dword s29, s[4:5], 0x0
	s_load_dword s30, s[4:5], 0x64
	v_mov_b32_e32 v1, v4
	s_add_i32 s28, s28, -1
	s_waitcnt lgkmcnt(0)
	v_cvt_f32_u32_e32 v4, s29
	s_sub_i32 s31, 0, s29
	s_add_u32 s4, s4, -4
	s_addc_u32 s5, s5, -1
	v_rcp_iflag_f32_e32 v4, v4
	s_cmp_gt_u32 s28, 2
	v_mul_f32_e32 v4, 0x4f7ffffe, v4
	v_cvt_u32_f32_e32 v4, v4
	v_mul_lo_u32 v5, s31, v4
	v_mul_hi_u32 v5, v4, v5
	v_add_u32_e32 v4, v4, v5
	v_mul_hi_u32 v4, v1, v4
	v_mul_lo_u32 v5, v4, s29
	v_sub_u32_e32 v5, v1, v5
	v_add_u32_e32 v6, 1, v4
	v_cmp_le_u32_e32 vcc, s29, v5
	v_cndmask_b32_e32 v4, v4, v6, vcc
	v_subrev_u32_e32 v6, s29, v5
	v_cndmask_b32_e32 v5, v5, v6, vcc
	v_add_u32_e32 v6, 1, v4
	v_cmp_le_u32_e32 vcc, s29, v5
	v_cndmask_b32_e32 v4, v4, v6, vcc
	v_mul_lo_u32 v5, v4, s29
	v_sub_u32_e32 v1, v1, v5
	v_mad_u64_u32 v[0:1], s[30:31], s30, v1, v[0:1]
	s_cbranch_scc1 .LBB150_7
.LBB150_8:                              ;   in Loop: Header=BB150_4 Depth=1
	v_mad_u64_u32 v[24:25], s[4:5], s38, v4, v[0:1]
	v_mov_b32_e32 v25, v3
.LBB150_9:                              ;   in Loop: Header=BB150_4 Depth=1
	s_or_b64 exec, exec, s[2:3]
	v_pk_mov_b32 v[0:1], 0, 0
	s_and_saveexec_b64 s[2:3], s[0:1]
	s_cbranch_execz .LBB150_14
; %bb.10:                               ;   in Loop: Header=BB150_4 Depth=1
	s_andn2_b64 vcc, exec, s[16:17]
	v_mov_b32_e32 v0, 0
	v_mov_b32_e32 v4, v35
	s_cbranch_vccnz .LBB150_13
; %bb.11:                               ;   in Loop: Header=BB150_4 Depth=1
	v_mov_b32_e32 v0, 0
	s_mov_b64 s[0:1], s[24:25]
	s_mov_b32 s4, s43
	v_mov_b32_e32 v4, v35
.LBB150_12:                             ;   Parent Loop BB150_4 Depth=1
                                        ; =>  This Inner Loop Header: Depth=2
	s_load_dword s5, s[0:1], 0x0
	s_load_dword s28, s[0:1], 0x64
	v_mov_b32_e32 v1, v4
	s_add_i32 s4, s4, -1
	s_waitcnt lgkmcnt(0)
	v_cvt_f32_u32_e32 v4, s5
	s_sub_i32 s29, 0, s5
	s_add_u32 s0, s0, -4
	s_addc_u32 s1, s1, -1
	v_rcp_iflag_f32_e32 v4, v4
	s_cmp_gt_u32 s4, 2
	v_mul_f32_e32 v4, 0x4f7ffffe, v4
	v_cvt_u32_f32_e32 v4, v4
	v_mul_lo_u32 v5, s29, v4
	v_mul_hi_u32 v5, v4, v5
	v_add_u32_e32 v4, v4, v5
	v_mul_hi_u32 v4, v1, v4
	v_mul_lo_u32 v5, v4, s5
	v_sub_u32_e32 v5, v1, v5
	v_add_u32_e32 v6, 1, v4
	v_cmp_le_u32_e32 vcc, s5, v5
	v_cndmask_b32_e32 v4, v4, v6, vcc
	v_subrev_u32_e32 v6, s5, v5
	v_cndmask_b32_e32 v5, v5, v6, vcc
	v_add_u32_e32 v6, 1, v4
	v_cmp_le_u32_e32 vcc, s5, v5
	v_cndmask_b32_e32 v4, v4, v6, vcc
	v_mul_lo_u32 v5, v4, s5
	v_sub_u32_e32 v1, v1, v5
	v_mad_u64_u32 v[0:1], s[28:29], s28, v1, v[0:1]
	s_cbranch_scc1 .LBB150_12
.LBB150_13:                             ;   in Loop: Header=BB150_4 Depth=1
	s_waitcnt lgkmcnt(0)
	v_mad_u64_u32 v[0:1], s[0:1], s39, v4, v[0:1]
	v_mov_b32_e32 v1, v3
.LBB150_14:                             ;   in Loop: Header=BB150_4 Depth=1
	s_or_b64 exec, exec, s[2:3]
	v_lshlrev_b64 v[0:1], 1, v[0:1]
	v_add_co_u32_e32 v0, vcc, s12, v0
	v_addc_co_u32_e32 v1, vcc, v21, v1, vcc
	global_load_ushort v4, v[0:1], off
	s_andn2_b64 vcc, exec, s[20:21]
	v_pk_mov_b32 v[0:1], s[10:11], s[10:11] op_sel:[0,1]
	v_pk_mov_b32 v[26:27], s[8:9], s[8:9] op_sel:[0,1]
	s_cbranch_vccnz .LBB150_16
; %bb.15:                               ;   in Loop: Header=BB150_4 Depth=1
	v_pk_mov_b32 v[0:1], s[10:11], s[10:11] op_sel:[0,1]
	flat_load_dwordx2 v[0:1], v[0:1]
	v_pk_mov_b32 v[6:7], s[8:9], s[8:9] op_sel:[0,1]
	flat_load_dwordx2 v[26:27], v[6:7]
	v_mov_b32_e32 v5, s7
	s_waitcnt vmcnt(0) lgkmcnt(0)
	v_add_co_u32_e32 v0, vcc, s6, v0
	v_addc_co_u32_e32 v1, vcc, v1, v5, vcc
.LBB150_16:                             ;   in Loop: Header=BB150_4 Depth=1
	v_and_b32_e32 v38, 3, v0
	v_alignbit_b32 v0, v1, v0, 2
	v_mad_u64_u32 v[8:9], s[0:1], v0, s13, 0
	v_lshrrev_b32_e32 v1, 2, v1
	v_xor_b32_e32 v5, v9, v27
	v_xor_b32_e32 v7, v22, v26
	v_mov_b32_e32 v6, v27
	v_xor_b32_e32 v7, v7, v1
	v_mad_u64_u32 v[12:13], s[0:1], v5, s40, 0
	v_add_co_u32_e32 v41, vcc, 0x9e3779b9, v26
	v_add_co_u32_e32 v40, vcc, s64, v6
	v_mad_u64_u32 v[10:11], s[0:1], v7, s13, 0
	v_xor_b32_e32 v5, v20, v13
	v_xor_b32_e32 v5, v5, v41
	v_xor_b32_e32 v7, v40, v11
	v_xor_b32_e32 v7, v7, v8
	v_add_co_u32_e32 v42, vcc, s55, v6
	v_mad_u64_u32 v[8:9], s[0:1], v5, s13, 0
	v_add_co_u32_e32 v43, vcc, s54, v26
	v_mad_u64_u32 v[14:15], s[0:1], v7, s40, 0
	v_xor_b32_e32 v7, v42, v9
	v_xor_b32_e32 v5, v43, v15
	v_xor_b32_e32 v7, v7, v10
	v_xor_b32_e32 v5, v5, v12
	v_add_co_u32_e32 v45, vcc, s65, v26
	v_mad_u64_u32 v[12:13], s[0:1], v7, s40, 0
	;; [unrolled: 8-line block ×7, first 2 shown]
	v_add_co_u32_e32 v55, vcc, s69, v26
	v_mad_u64_u32 v[8:9], s[0:1], v8, s40, 0
	v_xor_b32_e32 v7, v54, v7
	v_xor_b32_e32 v5, v55, v9
	;; [unrolled: 1-line block ×4, first 2 shown]
	v_mad_u64_u32 v[18:19], s[0:1], v7, s40, 0
	v_add_u32_e32 v36, 0x8ff34781, v26
	v_mad_u64_u32 v[16:17], s[0:1], v5, s13, 0
	v_xor_b32_e32 v5, v19, v8
	v_add_u32_e32 v37, 0x96a522ad, v27
	v_xor_b32_e32 v8, v36, v5
	v_xor_b32_e32 v5, v17, v6
	;; [unrolled: 1-line block ×3, first 2 shown]
	s_waitcnt vmcnt(0)
	v_lshlrev_b32_e32 v17, 16, v4
	v_pk_mov_b32 v[6:7], v[2:3], v[2:3] op_sel:[0,1]
	v_mov_b32_e32 v9, v18
	v_mov_b32_e32 v11, v16
	v_cmp_gt_f32_e32 vcc, 1.0, v17
	s_mov_b64 s[0:1], -1
	v_mov_b32_e32 v39, 1.0
	v_pk_mov_b32 v[4:5], v[0:1], v[0:1] op_sel:[0,1]
                                        ; implicit-def: $sgpr2
	s_and_saveexec_b64 s[28:29], vcc
	s_cbranch_execz .LBB150_22
; %bb.17:                               ;   in Loop: Header=BB150_4 Depth=1
	v_cmp_neq_f32_e32 vcc, 0, v17
	s_mov_b64 s[34:35], 0
	v_mov_b32_e32 v39, 1.0
                                        ; implicit-def: $vgpr4_vgpr5_vgpr6_vgpr7
	s_and_saveexec_b64 s[30:31], vcc
	s_cbranch_execz .LBB150_21
; %bb.18:                               ;   in Loop: Header=BB150_4 Depth=1
	v_add_u32_e32 v19, 1, v38
	v_pk_mov_b32 v[14:15], v[10:11], v[10:11] op_sel:[0,1]
	v_pk_mov_b32 v[6:7], v[2:3], v[2:3] op_sel:[0,1]
	v_cmp_eq_u32_e32 vcc, 4, v19
	v_pk_mov_b32 v[12:13], v[8:9], v[8:9] op_sel:[0,1]
	v_pk_mov_b32 v[4:5], v[0:1], v[0:1] op_sel:[0,1]
	s_and_saveexec_b64 s[0:1], vcc
	s_cbranch_execz .LBB150_20
; %bb.19:                               ;   in Loop: Header=BB150_4 Depth=1
	v_add_co_u32_e32 v4, vcc, 1, v0
	v_cndmask_b32_e64 v0, 0, 1, vcc
	v_addc_co_u32_e32 v5, vcc, 0, v1, vcc
	v_cmp_eq_u32_e32 vcc, 0, v5
	v_cndmask_b32_e32 v0, 0, v0, vcc
	v_add_u32_e32 v6, v0, v2
	v_cmp_eq_u32_e32 vcc, 0, v6
	v_cndmask_b32_e32 v7, 0, v0, vcc
	v_mad_u64_u32 v[0:1], s[2:3], v4, s13, 0
	v_mad_u64_u32 v[12:13], s[2:3], v6, s40, 0
	v_xor_b32_e32 v9, v13, v26
	v_xor_b32_e32 v1, v1, v27
	v_xor_b32_e32 v9, v5, v9
	v_xor_b32_e32 v1, v7, v1
	v_mad_u64_u32 v[14:15], s[2:3], v9, s13, 0
	v_mad_u64_u32 v[56:57], s[2:3], v1, s40, 0
	v_xor_b32_e32 v1, v41, v57
	v_xor_b32_e32 v9, v40, v15
	v_xor_b32_e32 v1, v1, v12
	v_xor_b32_e32 v9, v9, v0
	;; [unrolled: 6-line block ×9, first 2 shown]
	v_mad_u64_u32 v[40:41], s[2:3], v9, s13, 0
	v_mad_u64_u32 v[42:43], s[2:3], v1, s40, 0
	v_xor_b32_e32 v1, v43, v12
	v_xor_b32_e32 v0, v41, v0
	v_mov_b32_e32 v19, 0
	v_xor_b32_e32 v12, v36, v1
	v_xor_b32_e32 v14, v37, v0
	v_mov_b32_e32 v13, v42
	v_mov_b32_e32 v15, v40
.LBB150_20:                             ;   in Loop: Header=BB150_4 Depth=1
	s_or_b64 exec, exec, s[0:1]
	v_cmp_eq_u32_e32 vcc, 1, v38
	v_cndmask_b32_e32 v0, v8, v18, vcc
	v_cmp_eq_u32_e32 vcc, 2, v38
	v_cndmask_b32_e32 v0, v0, v10, vcc
	;; [unrolled: 2-line block ×3, first 2 shown]
	v_div_scale_f32 v1, s[0:1], v17, v17, 1.0
	v_cvt_f32_u32_e32 v0, v0
	v_rcp_f32_e32 v8, v1
	v_mov_b32_e32 v9, 0x2f800000
	s_mov_b64 s[34:35], exec
	v_fmac_f32_e32 v9, 0x2f800000, v0
	v_fma_f32 v0, -v1, v8, 1.0
	v_fmac_f32_e32 v8, v0, v8
	v_div_scale_f32 v0, vcc, 1.0, v17, 1.0
	v_sub_f32_e32 v18, 1.0, v9
	v_mul_f32_e32 v9, v0, v8
	v_fma_f32 v10, -v1, v9, v0
	v_fmac_f32_e32 v9, v10, v8
	v_fma_f32 v0, -v1, v9, v0
	v_div_fmas_f32 v0, v0, v8, v9
	v_div_fixup_f32 v48, v0, v17, 1.0
	v_cmp_eq_f32_e32 vcc, 1.0, v18
	v_cndmask_b32_e64 v49, v48, 1.0, vcc
	v_cmp_eq_f32_e64 s[0:1], 0, v49
	v_cndmask_b32_e64 v50, |v18|, 1.0, s[0:1]
	v_frexp_mant_f32_e32 v0, v50
	v_cmp_gt_f32_e64 s[2:3], s44, v0
	v_cndmask_b32_e64 v1, 1.0, 2.0, s[2:3]
	v_mul_f32_e32 v0, v0, v1
	v_add_f32_e32 v9, 1.0, v0
	v_rcp_f32_e32 v16, v9
	v_add_f32_e32 v1, -1.0, v9
	v_sub_f32_e32 v11, v0, v1
	v_add_f32_e32 v1, -1.0, v0
	v_mul_f32_e32 v40, v1, v16
	v_mul_f32_e32 v8, v9, v40
	v_fma_f32 v10, v40, v9, -v8
	v_fmac_f32_e32 v10, v40, v11
	v_add_f32_e32 v0, v8, v10
	v_sub_f32_e32 v9, v1, v0
	v_pk_add_f32 v[38:39], v[0:1], v[8:9] neg_lo:[0,1] neg_hi:[0,1]
	v_mov_b32_e32 v11, v0
	v_pk_add_f32 v[0:1], v[38:39], v[10:11] neg_lo:[0,1] neg_hi:[0,1]
	v_add_f32_e32 v0, v0, v1
	v_add_f32_e32 v0, v9, v0
	v_mul_f32_e32 v1, v16, v0
	v_add_f32_e32 v0, v40, v1
	v_sub_f32_e32 v8, v0, v40
	v_sub_f32_e32 v16, v1, v8
	v_mul_f32_e32 v1, v0, v0
	v_fma_f32 v9, v0, v0, -v1
	v_add_f32_e32 v8, v16, v16
	v_fmac_f32_e32 v9, v0, v8
	v_add_f32_e32 v8, v1, v9
	v_mov_b32_e32 v10, 0x3e91f4c4
	v_fmac_f32_e32 v10, 0x3e76c4e1, v8
	v_mov_b32_e32 v11, 0x3ecccdef
	v_fma_f32 v10, v8, v10, v11
	v_sub_f32_e32 v1, v8, v1
	v_sub_f32_e32 v42, v9, v1
	v_mul_f32_e32 v1, v8, v10
	v_fma_f32 v9, v8, v10, -v1
	v_fmac_f32_e32 v9, v42, v10
	v_add_f32_e32 v10, v1, v9
	v_add_f32_e32 v11, 0x3f2aaaaa, v10
	v_sub_f32_e32 v1, v10, v1
	v_sub_f32_e32 v1, v9, v1
	v_add_f32_e32 v9, 0xbf2aaaaa, v11
	v_add_f32_e32 v1, 0x31739010, v1
	v_sub_f32_e32 v9, v10, v9
	v_pk_mul_f32 v[38:39], v[0:1], v[8:9]
	v_fma_f32 v10, v8, v0, -v38
	v_pk_add_f32 v[40:41], v[0:1], v[8:9]
	v_fmac_f32_e32 v10, v8, v16
	v_mov_b32_e32 v39, v41
	v_fmac_f32_e32 v10, v42, v0
	v_pk_add_f32 v[8:9], v[38:39], v[10:11]
	v_sub_f32_e32 v1, v8, v38
	v_sub_f32_e32 v1, v10, v1
	;; [unrolled: 1-line block ×3, first 2 shown]
	v_add_f32_e32 v40, v41, v10
	v_mov_b32_e32 v10, v9
	v_pk_mul_f32 v[10:11], v[8:9], v[10:11]
	v_cvt_f64_f32_e32 v[38:39], v50
	v_frexp_exp_i32_f64_e32 v11, v[38:39]
	v_subbrev_co_u32_e64 v11, s[2:3], 0, v11, s[2:3]
	v_cvt_f32_i32_e32 v11, v11
	v_fma_f32 v38, v8, v9, -v10
	v_fmac_f32_e32 v38, v8, v40
	v_fmac_f32_e32 v38, v1, v9
	v_mul_f32_e32 v8, 0x3f317218, v11
	v_fma_f32 v40, v11, s45, -v8
	v_fmac_f32_e32 v40, 0xb102e308, v11
	v_ldexp_f32 v41, v0, 1
	v_add_f32_e32 v9, v10, v38
	v_pk_add_f32 v[0:1], v[8:9], v[40:41]
	v_mov_b32_e32 v42, v9
	v_mov_b32_e32 v43, v1
	;; [unrolled: 1-line block ×3, first 2 shown]
	v_pk_add_f32 v[10:11], v[42:43], v[10:11] neg_lo:[0,1] neg_hi:[0,1]
	v_mov_b32_e32 v39, v9
	v_ldexp_f32 v16, v16, 1
	v_pk_add_f32 v[10:11], v[38:39], v[10:11] neg_lo:[0,1] neg_hi:[0,1]
	v_add_f32_e32 v9, v16, v10
	v_add_f32_e32 v9, v9, v11
	v_pk_add_f32 v[10:11], v[0:1], v[8:9] neg_lo:[0,1] neg_hi:[0,1]
	v_pk_add_f32 v[38:39], v[0:1], v[8:9]
	v_mov_b32_e32 v42, v10
	v_mov_b32_e32 v43, v39
	;; [unrolled: 1-line block ×3, first 2 shown]
	v_pk_add_f32 v[42:43], v[40:41], v[42:43]
	v_mov_b32_e32 v8, v43
	v_pk_add_f32 v[44:45], v[8:9], v[0:1] neg_lo:[0,1] neg_hi:[0,1]
	v_mov_b32_e32 v45, v44
	v_mov_b32_e32 v42, v39
	;; [unrolled: 1-line block ×4, first 2 shown]
	v_pk_add_f32 v[10:11], v[40:41], v[10:11] neg_lo:[0,1] neg_hi:[0,1]
	v_pk_add_f32 v[46:47], v[38:39], v[44:45] neg_lo:[0,1] neg_hi:[0,1]
	;; [unrolled: 1-line block ×3, first 2 shown]
	v_mov_b32_e32 v40, v9
	v_pk_add_f32 v[0:1], v[40:41], v[0:1] neg_lo:[0,1] neg_hi:[0,1]
	v_mov_b32_e32 v46, v10
	v_pk_add_f32 v[38:39], v[46:47], v[0:1]
	v_mov_b32_e32 v16, v39
	v_pk_add_f32 v[40:41], v[38:39], v[16:17]
	v_pk_add_f32 v[8:9], v[8:9], v[40:41]
	v_mov_b32_e32 v11, v43
	v_mov_b32_e32 v39, v8
	v_pk_add_f32 v[42:43], v[38:39], v[10:11] neg_lo:[0,1] neg_hi:[0,1]
	v_mov_b32_e32 v1, v40
	v_sub_f32_e32 v9, v38, v42
	v_pk_add_f32 v[0:1], v[0:1], v[42:43] neg_lo:[0,1] neg_hi:[0,1]
	v_sub_f32_e32 v9, v10, v9
	v_add_f32_e32 v0, v0, v9
	v_add_f32_e32 v0, v0, v1
	;; [unrolled: 1-line block ×3, first 2 shown]
	v_sub_f32_e32 v8, v1, v8
	v_sub_f32_e32 v0, v0, v8
	v_mul_f32_e32 v8, v49, v1
	v_fma_f32 v1, v49, v1, -v8
	v_fmac_f32_e32 v1, v49, v0
	v_add_f32_e32 v0, v8, v1
	v_cmp_class_f32_e64 s[2:3], v8, s46
	v_sub_f32_e32 v9, v0, v8
	v_cndmask_b32_e64 v0, v0, v8, s[2:3]
	v_cmp_eq_f32_e64 s[2:3], s48, v0
	v_cndmask_b32_e64 v8, 0, v28, s[2:3]
	v_sub_f32_e32 v1, v1, v9
	v_sub_f32_e32 v9, v0, v8
	v_mul_f32_e32 v10, 0x3fb8aa3b, v9
	v_fma_f32 v11, v9, s49, -v10
	v_rndne_f32_e32 v16, v10
	v_fmac_f32_e32 v11, 0x32a5705f, v9
	v_sub_f32_e32 v10, v10, v16
	v_add_f32_e32 v10, v10, v11
	v_exp_f32_e32 v10, v10
	v_cvt_i32_f32_e32 v11, v16
	v_cmp_neq_f32_e64 s[2:3], |v0|, s47
	v_cndmask_b32_e64 v0, 0, v1, s[2:3]
	v_cmp_ngt_f32_e64 s[2:3], s50, v9
	v_ldexp_f32 v1, v10, v11
	v_cndmask_b32_e64 v1, 0, v1, s[2:3]
	v_cmp_nlt_f32_e64 s[2:3], s48, v9
	v_add_f32_e32 v0, v8, v0
	v_cndmask_b32_e64 v1, v29, v1, s[2:3]
	v_fma_f32 v0, v1, v0, v1
	v_cmp_class_f32_e64 s[2:3], v1, s46
	v_trunc_f32_e32 v8, v49
	v_cndmask_b32_e64 v0, v0, v1, s[2:3]
	v_cndmask_b32_e64 v1, v18, 1.0, s[0:1]
	v_cmp_eq_f32_e64 s[0:1], v8, v49
	v_mul_f32_e32 v8, 0.5, v49
	v_trunc_f32_e32 v9, v8
	v_cmp_neq_f32_e64 s[2:3], v9, v8
	s_and_b64 s[2:3], s[0:1], s[2:3]
	v_cndmask_b32_e64 v8, 1.0, v1, s[2:3]
	v_bfi_b32 v0, s51, v0, v8
	v_cndmask_b32_e64 v8, v30, v0, s[0:1]
	v_cmp_gt_f32_e64 s[0:1], 0, v1
	v_cndmask_b32_e64 v0, v0, v8, s[0:1]
	v_cndmask_b32_e64 v8, |v48|, 1.0, vcc
	v_cmp_neq_f32_e32 vcc, v49, v8
	v_cmp_gt_f32_e64 s[0:1], 1.0, v50
	s_xor_b64 s[0:1], vcc, s[0:1]
	v_cndmask_b32_e64 v9, v8, 0, s[0:1]
	v_cmp_eq_f32_e32 vcc, 1.0, v50
	v_cmp_eq_f32_e64 s[0:1], 0, v1
	v_cmp_gt_f32_e64 s[4:5], 0, v49
	v_cndmask_b32_e32 v9, v9, v50, vcc
	v_cmp_eq_f32_e32 vcc, s47, v8
	s_xor_b64 s[4:5], s[4:5], s[0:1]
	v_cndmask_b32_e32 v0, v0, v9, vcc
	v_cmp_eq_f32_e32 vcc, s47, v50
	v_cndmask_b32_e64 v8, v29, 0, s[4:5]
	v_cndmask_b32_e64 v1, 0, v1, s[2:3]
	v_bfi_b32 v1, s51, v8, v1
	s_or_b64 vcc, vcc, s[0:1]
	v_cndmask_b32_e32 v39, v0, v1, vcc
	v_add_f32_e32 v0, 1.0, v17
	v_bfe_u32 v1, v0, 16, 1
	v_add3_u32 v0, v0, v1, s52
	v_pk_mov_b32 v[8:9], v[12:13], v[12:13] op_sel:[0,1]
	v_and_b32_e32 v17, 0xffff0000, v0
	v_pk_mov_b32 v[10:11], v[14:15], v[14:15] op_sel:[0,1]
	v_mov_b32_e32 v38, v19
.LBB150_21:                             ;   in Loop: Header=BB150_4 Depth=1
	s_or_b64 exec, exec, s[30:31]
	s_mov_b32 s2, 0
	s_orn2_b64 s[0:1], s[34:35], exec
.LBB150_22:                             ;   in Loop: Header=BB150_4 Depth=1
	s_or_b64 exec, exec, s[28:29]
	v_mov_b32_e32 v0, s2
	s_and_saveexec_b64 s[2:3], s[0:1]
	s_cbranch_execz .LBB150_3
; %bb.23:                               ;   in Loop: Header=BB150_4 Depth=1
	v_add_f32_e32 v40, 0xbeaaaaab, v17
	v_mul_f32_e32 v0, 0x41100000, v40
	v_mul_f32_e32 v1, 0x4f800000, v0
	v_cmp_gt_f32_e32 vcc, s53, v0
	v_cndmask_b32_e32 v0, v0, v1, vcc
	v_sqrt_f32_e32 v1, v0
	v_add_u32_e32 v42, 0x9e3779b9, v26
	v_add_u32_e32 v43, 0xbb67ae85, v27
	v_add_u32_e32 v44, 0x3c6ef372, v26
	v_add_u32_e32 v12, -1, v1
	v_fma_f32 v14, -v12, v1, v0
	v_add_u32_e32 v13, 1, v1
	v_cmp_ge_f32_e64 s[0:1], 0, v14
	v_cndmask_b32_e64 v12, v1, v12, s[0:1]
	v_fma_f32 v1, -v13, v1, v0
	v_cmp_lt_f32_e64 s[0:1], 0, v1
	v_cndmask_b32_e64 v1, v12, v13, s[0:1]
	v_mul_f32_e32 v12, 0x37800000, v1
	v_cndmask_b32_e32 v1, v1, v12, vcc
	v_cmp_class_f32_e32 vcc, v0, v23
	v_cndmask_b32_e32 v0, v1, v0, vcc
	v_div_scale_f32 v1, s[0:1], v0, v0, 1.0
	v_rcp_f32_e32 v12, v1
	v_add_u32_e32 v45, 0x76cf5d0a, v27
	v_add_u32_e32 v46, 0xdaa66d2b, v26
	v_add_u32_e32 v47, 0x32370b8f, v27
	v_fma_f32 v13, -v1, v12, 1.0
	v_fmac_f32_e32 v12, v13, v12
	v_div_scale_f32 v13, vcc, 1.0, v0, 1.0
	v_mul_f32_e32 v14, v13, v12
	v_fma_f32 v15, -v1, v14, v13
	v_fmac_f32_e32 v14, v15, v12
	v_fma_f32 v1, -v1, v14, v13
	v_div_fmas_f32 v1, v1, v12, v14
	v_div_fixup_f32 v41, v1, v0, 1.0
	v_add_u32_e32 v48, 0x78dde6e4, v26
	v_add_u32_e32 v49, 0xed9eba14, v27
	;; [unrolled: 1-line block ×10, first 2 shown]
	s_mov_b64 s[4:5], 0
	v_mov_b32_e32 v58, 0
	s_mov_b64 s[34:35], 0
                                        ; implicit-def: $sgpr28_sgpr29
                                        ; implicit-def: $sgpr30_sgpr31
                                        ; implicit-def: $vgpr0
	s_branch .LBB150_25
.LBB150_24:                             ;   in Loop: Header=BB150_25 Depth=2
	s_or_b64 exec, exec, s[34:35]
	s_and_b64 s[0:1], exec, s[0:1]
	s_or_b64 s[4:5], s[0:1], s[4:5]
	s_andn2_b64 s[0:1], s[28:29], exec
	s_and_b64 s[28:29], s[30:31], exec
	v_pk_mov_b32 v[8:9], v[12:13], v[12:13] op_sel:[0,1]
	s_or_b64 s[28:29], s[0:1], s[28:29]
	s_mov_b64 s[34:35], 0
	v_mov_b32_e32 v38, v16
	v_pk_mov_b32 v[10:11], v[14:15], v[14:15] op_sel:[0,1]
	s_andn2_b64 exec, exec, s[4:5]
	s_cbranch_execz .LBB150_36
.LBB150_25:                             ;   Parent Loop BB150_4 Depth=1
                                        ; =>  This Inner Loop Header: Depth=2
	v_cmp_eq_u32_e32 vcc, 0, v58
	v_mov_b32_e32 v1, v0
	v_mov_b32_e32 v58, 0
	s_and_saveexec_b64 s[36:37], vcc
	s_cbranch_execz .LBB150_31
; %bb.26:                               ;   in Loop: Header=BB150_25 Depth=2
	v_add_u32_e32 v0, 1, v38
	v_pk_mov_b32 v[14:15], v[10:11], v[10:11] op_sel:[0,1]
	v_cmp_eq_u32_e32 vcc, 4, v0
	v_pk_mov_b32 v[12:13], v[8:9], v[8:9] op_sel:[0,1]
	s_and_saveexec_b64 s[0:1], vcc
	s_cbranch_execz .LBB150_28
; %bb.27:                               ;   in Loop: Header=BB150_25 Depth=2
	v_add_co_u32_e32 v4, vcc, 1, v4
	v_cndmask_b32_e64 v1, 0, 1, vcc
	v_addc_co_u32_e32 v5, vcc, 0, v5, vcc
	v_cmp_eq_u32_e32 vcc, 0, v5
	v_cndmask_b32_e32 v1, 0, v1, vcc
	v_add_u32_e32 v6, v1, v6
	v_cmp_eq_u32_e32 vcc, 0, v6
	v_cndmask_b32_e32 v1, 0, v1, vcc
	v_mad_u64_u32 v[12:13], s[72:73], v4, s13, 0
	v_mad_u64_u32 v[14:15], s[72:73], v6, s40, 0
	v_add_u32_e32 v7, v1, v7
	v_xor_b32_e32 v1, v15, v26
	v_xor_b32_e32 v13, v13, v27
	v_xor_b32_e32 v1, v5, v1
	v_xor_b32_e32 v13, v7, v13
	v_mad_u64_u32 v[16:17], s[72:73], v1, s13, 0
	v_mad_u64_u32 v[18:19], s[72:73], v13, s40, 0
	v_xor_b32_e32 v1, v19, v14
	v_xor_b32_e32 v12, v17, v12
	v_xor_b32_e32 v1, v42, v1
	v_xor_b32_e32 v14, v43, v12
	v_mad_u64_u32 v[12:13], s[72:73], v1, s13, 0
	v_mad_u64_u32 v[14:15], s[72:73], v14, s40, 0
	;; [unrolled: 6-line block ×9, first 2 shown]
	v_xor_b32_e32 v1, v19, v12
	v_xor_b32_e32 v12, v36, v1
	;; [unrolled: 1-line block ×3, first 2 shown]
	v_mov_b32_e32 v0, 0
	v_xor_b32_e32 v14, v37, v1
	v_mov_b32_e32 v13, v18
	v_mov_b32_e32 v15, v16
.LBB150_28:                             ;   in Loop: Header=BB150_25 Depth=2
	s_or_b64 exec, exec, s[0:1]
	v_add_u32_e32 v59, 1, v0
	v_pk_mov_b32 v[18:19], v[14:15], v[14:15] op_sel:[0,1]
	v_cmp_eq_u32_e32 vcc, 4, v59
	v_pk_mov_b32 v[16:17], v[12:13], v[12:13] op_sel:[0,1]
	s_and_saveexec_b64 s[0:1], vcc
	s_cbranch_execz .LBB150_30
; %bb.29:                               ;   in Loop: Header=BB150_25 Depth=2
	v_add_co_u32_e32 v4, vcc, 1, v4
	v_cndmask_b32_e64 v1, 0, 1, vcc
	v_addc_co_u32_e32 v5, vcc, 0, v5, vcc
	v_cmp_eq_u32_e32 vcc, 0, v5
	v_cndmask_b32_e32 v1, 0, v1, vcc
	v_add_u32_e32 v6, v1, v6
	v_cmp_eq_u32_e32 vcc, 0, v6
	v_cndmask_b32_e32 v1, 0, v1, vcc
	v_mad_u64_u32 v[16:17], s[72:73], v4, s13, 0
	v_mad_u64_u32 v[18:19], s[72:73], v6, s40, 0
	v_add_u32_e32 v7, v1, v7
	v_xor_b32_e32 v1, v19, v26
	v_xor_b32_e32 v17, v17, v27
	v_xor_b32_e32 v1, v5, v1
	v_xor_b32_e32 v17, v7, v17
	v_mad_u64_u32 v[60:61], s[72:73], v1, s13, 0
	v_mad_u64_u32 v[62:63], s[72:73], v17, s40, 0
	v_xor_b32_e32 v1, v63, v18
	v_xor_b32_e32 v16, v61, v16
	v_xor_b32_e32 v1, v42, v1
	v_xor_b32_e32 v18, v43, v16
	v_mad_u64_u32 v[16:17], s[72:73], v1, s13, 0
	v_mad_u64_u32 v[18:19], s[72:73], v18, s40, 0
	;; [unrolled: 6-line block ×9, first 2 shown]
	v_xor_b32_e32 v1, v63, v16
	v_xor_b32_e32 v16, v36, v1
	;; [unrolled: 1-line block ×3, first 2 shown]
	v_mov_b32_e32 v59, 0
	v_xor_b32_e32 v18, v37, v1
	v_mov_b32_e32 v17, v62
	v_mov_b32_e32 v19, v60
.LBB150_30:                             ;   in Loop: Header=BB150_25 Depth=2
	s_or_b64 exec, exec, s[0:1]
	v_cmp_eq_u32_e32 vcc, 1, v38
	v_cndmask_b32_e32 v1, v8, v9, vcc
	v_cmp_eq_u32_e32 vcc, 2, v38
	v_cndmask_b32_e32 v1, v1, v10, vcc
	;; [unrolled: 2-line block ×3, first 2 shown]
	v_cvt_f32_u32_e32 v1, v1
	v_cmp_eq_u32_e32 vcc, 1, v0
	v_mov_b32_e32 v9, 0x2f800000
	v_cndmask_b32_e32 v8, v12, v13, vcc
	v_cmp_eq_u32_e32 vcc, 2, v0
	v_fmac_f32_e32 v9, 0x2f800000, v1
	v_cndmask_b32_e32 v8, v8, v14, vcc
	v_cmp_gt_f32_e32 vcc, s62, v9
	v_cndmask_b32_e32 v1, 1.0, v31, vcc
	v_mul_f32_e32 v1, v9, v1
	v_log_f32_e32 v1, v1
	v_cmp_eq_u32_e64 s[0:1], 3, v0
	v_cndmask_b32_e64 v0, v8, v15, s[0:1]
	v_cvt_f32_u32_e32 v0, v0
	v_mul_f32_e32 v8, 0x3f317217, v1
	v_fma_f32 v9, v1, s63, -v8
	v_fmac_f32_e32 v9, 0x3377d1cf, v1
	v_add_f32_e32 v8, v8, v9
	v_cmp_lt_f32_e64 s[0:1], |v1|, s47
	v_cndmask_b32_e64 v1, v1, v8, s[0:1]
	v_cndmask_b32_e32 v8, 0, v32, vcc
	v_sub_f32_e32 v1, v1, v8
	v_mul_f32_e32 v1, -2.0, v1
	v_mul_f32_e32 v8, 0x4f800000, v1
	v_cmp_gt_f32_e32 vcc, s53, v1
	v_cndmask_b32_e32 v8, v1, v8, vcc
	v_sqrt_f32_e32 v1, v8
	v_mov_b32_e32 v9, 0x30c90fdb
	v_fmac_f32_e32 v9, 0x30c90fdb, v0
	v_mov_b32_e32 v58, 1
	v_add_u32_e32 v0, -1, v1
	v_fma_f32 v10, -v0, v1, v8
	v_cmp_ge_f32_e64 s[0:1], 0, v10
	v_add_u32_e32 v10, 1, v1
	v_cndmask_b32_e64 v0, v1, v0, s[0:1]
	v_fma_f32 v1, -v10, v1, v8
	v_cmp_lt_f32_e64 s[0:1], 0, v1
	v_cndmask_b32_e64 v10, v0, v10, s[0:1]
	v_mul_f32_e32 v0, 0.15915494, v9
	v_sin_f32_e32 v1, v0
	v_cos_f32_e32 v0, v0
	v_mul_f32_e32 v11, 0x37800000, v10
	v_cndmask_b32_e32 v9, v10, v11, vcc
	v_cmp_class_f32_e32 vcc, v8, v23
	v_cndmask_b32_e32 v8, v9, v8, vcc
	v_pk_mul_f32 v[0:1], v[8:9], v[0:1] op_sel_hi:[0,1]
	v_pk_mov_b32 v[8:9], v[16:17], v[16:17] op_sel:[0,1]
	v_pk_mov_b32 v[10:11], v[18:19], v[18:19] op_sel:[0,1]
	v_mov_b32_e32 v38, v59
.LBB150_31:                             ;   in Loop: Header=BB150_25 Depth=2
	s_or_b64 exec, exec, s[36:37]
	v_fma_f32 v17, v41, v1, 1.0
	v_cmp_nge_f32_e32 vcc, 0, v17
	s_or_b64 s[34:35], vcc, s[34:35]
	s_andn2_b64 exec, exec, s[34:35]
	s_cbranch_execnz .LBB150_25
; %bb.32:                               ;   in Loop: Header=BB150_25 Depth=2
	s_or_b64 exec, exec, s[34:35]
	v_add_u32_e32 v16, 1, v38
	v_pk_mov_b32 v[14:15], v[10:11], v[10:11] op_sel:[0,1]
	v_cmp_eq_u32_e32 vcc, 4, v16
	v_pk_mov_b32 v[12:13], v[8:9], v[8:9] op_sel:[0,1]
	s_and_saveexec_b64 s[0:1], vcc
	s_cbranch_execz .LBB150_34
; %bb.33:                               ;   in Loop: Header=BB150_25 Depth=2
	v_add_co_u32_e32 v4, vcc, 1, v4
	v_cndmask_b32_e64 v12, 0, 1, vcc
	v_addc_co_u32_e32 v5, vcc, 0, v5, vcc
	v_cmp_eq_u32_e32 vcc, 0, v5
	v_cndmask_b32_e32 v12, 0, v12, vcc
	v_add_u32_e32 v6, v12, v6
	v_cmp_eq_u32_e32 vcc, 0, v6
	v_cndmask_b32_e32 v12, 0, v12, vcc
	v_add_u32_e32 v7, v12, v7
	v_mad_u64_u32 v[12:13], s[34:35], v4, s13, 0
	v_mad_u64_u32 v[14:15], s[34:35], v6, s40, 0
	v_xor_b32_e32 v15, v15, v26
	v_xor_b32_e32 v13, v13, v27
	v_xor_b32_e32 v15, v5, v15
	v_xor_b32_e32 v13, v7, v13
	v_mad_u64_u32 v[18:19], s[34:35], v15, s13, 0
	v_mad_u64_u32 v[60:61], s[34:35], v13, s40, 0
	v_xor_b32_e32 v13, v61, v14
	v_xor_b32_e32 v12, v19, v12
	v_xor_b32_e32 v13, v42, v13
	v_xor_b32_e32 v14, v43, v12
	;; [unrolled: 6-line block ×9, first 2 shown]
	v_mad_u64_u32 v[18:19], s[34:35], v13, s13, 0
	v_mad_u64_u32 v[60:61], s[34:35], v15, s40, 0
	v_xor_b32_e32 v12, v61, v12
	v_xor_b32_e32 v13, v19, v14
	v_mov_b32_e32 v16, 0
	v_xor_b32_e32 v12, v36, v12
	v_xor_b32_e32 v14, v37, v13
	v_mov_b32_e32 v13, v60
	v_mov_b32_e32 v15, v18
.LBB150_34:                             ;   in Loop: Header=BB150_25 Depth=2
	s_or_b64 exec, exec, s[0:1]
	v_cmp_eq_u32_e32 vcc, 1, v38
	v_cndmask_b32_e32 v8, v8, v9, vcc
	v_cmp_eq_u32_e32 vcc, 2, v38
	v_cndmask_b32_e32 v8, v8, v10, vcc
	;; [unrolled: 2-line block ×3, first 2 shown]
	v_cvt_f32_u32_e32 v8, v8
	v_mul_f32_e32 v9, v17, v17
	v_mul_f32_e32 v17, v17, v9
	v_mov_b32_e32 v9, 0x2f800000
	v_fmac_f32_e32 v9, 0x2f800000, v8
	v_mul_f32_e32 v1, v1, v1
	v_sub_f32_e32 v8, 1.0, v9
	v_mul_f32_e32 v9, 0xbd0793de, v1
	v_fma_f32 v9, v1, v9, 1.0
	v_cmp_nlt_f32_e32 vcc, v8, v9
	s_mov_b64 s[0:1], -1
	s_or_b64 s[30:31], s[30:31], exec
	s_and_saveexec_b64 s[34:35], vcc
	s_cbranch_execz .LBB150_24
; %bb.35:                               ;   in Loop: Header=BB150_25 Depth=2
	v_cmp_gt_f32_e32 vcc, s62, v8
	v_cndmask_b32_e32 v9, 1.0, v31, vcc
	v_mul_f32_e32 v8, v8, v9
	v_log_f32_e32 v8, v8
	s_andn2_b64 s[30:31], s[30:31], exec
	v_mul_f32_e32 v9, 0x3f317217, v8
	v_fma_f32 v10, v8, s63, -v9
	v_fmac_f32_e32 v10, 0x3377d1cf, v8
	v_add_f32_e32 v9, v9, v10
	v_cmp_lt_f32_e64 s[0:1], |v8|, s47
	v_cndmask_b32_e64 v8, v8, v9, s[0:1]
	v_cmp_gt_f32_e64 s[0:1], s62, v17
	v_cndmask_b32_e64 v9, 1.0, v31, s[0:1]
	v_mul_f32_e32 v9, v17, v9
	v_log_f32_e32 v9, v9
	v_cndmask_b32_e32 v10, 0, v32, vcc
	v_sub_f32_e32 v8, v8, v10
	v_sub_f32_e32 v10, 1.0, v17
	v_mul_f32_e32 v11, 0x3f317217, v9
	v_fma_f32 v18, v9, s63, -v11
	v_fmac_f32_e32 v18, 0x3377d1cf, v9
	v_add_f32_e32 v11, v11, v18
	v_cmp_lt_f32_e64 vcc, |v9|, s47
	v_cndmask_b32_e32 v9, v9, v11, vcc
	v_cndmask_b32_e64 v11, 0, v32, s[0:1]
	v_sub_f32_e32 v9, v9, v11
	v_add_f32_e32 v9, v10, v9
	v_mul_f32_e32 v9, v40, v9
	v_fmac_f32_e32 v9, 0.5, v1
	v_cmp_lt_f32_e32 vcc, v8, v9
	s_orn2_b64 s[0:1], vcc, exec
	s_branch .LBB150_24
.LBB150_36:                             ;   in Loop: Header=BB150_4 Depth=1
	s_or_b64 exec, exec, s[4:5]
	v_mul_f32_e32 v0, v39, v40
	s_xor_b64 s[0:1], s[28:29], -1
	v_mul_f32_e32 v1, v0, v17
                                        ; implicit-def: $vgpr0
	s_and_saveexec_b64 s[4:5], s[0:1]
	s_xor_b64 s[0:1], exec, s[4:5]
; %bb.37:                               ;   in Loop: Header=BB150_4 Depth=1
	v_bfe_u32 v0, v1, 16, 1
	v_add3_u32 v0, v1, v0, s52
	v_lshrrev_b32_e32 v0, 16, v0
	v_cmp_o_f32_e32 vcc, v1, v1
	v_cndmask_b32_e32 v0, v33, v0, vcc
                                        ; implicit-def: $vgpr1
; %bb.38:                               ;   in Loop: Header=BB150_4 Depth=1
	s_andn2_saveexec_b64 s[0:1], s[0:1]
	s_cbranch_execz .LBB150_2
; %bb.39:                               ;   in Loop: Header=BB150_4 Depth=1
	v_bfe_u32 v0, v1, 16, 1
	v_add3_u32 v0, v1, v0, s52
	v_lshrrev_b32_e32 v0, 16, v0
	v_cmp_o_f32_e32 vcc, v1, v1
	v_cndmask_b32_e32 v0, v33, v0, vcc
	s_branch .LBB150_2
.LBB150_40:
	s_endpgm
	.section	.rodata,"a",@progbits
	.p2align	6, 0x0
	.amdhsa_kernel _ZN2at4cuda12_GLOBAL__N_121kernelPointwiseApply2IZN12_GLOBAL__N_117gamma_cuda_kernelIN3c108BFloat16EEEvRKNS_10TensorBaseES9_NS_15PhiloxCudaStateEEUlRS6_RKS6_E_S6_S6_jLin1ELin1ELi1ELi256ELi2EEEvNS0_6detail10TensorInfoIT0_T2_EENSG_IT1_SI_EESI_T_
		.amdhsa_group_segment_fixed_size 0
		.amdhsa_private_segment_fixed_size 0
		.amdhsa_kernarg_size 728
		.amdhsa_user_sgpr_count 6
		.amdhsa_user_sgpr_private_segment_buffer 1
		.amdhsa_user_sgpr_dispatch_ptr 0
		.amdhsa_user_sgpr_queue_ptr 0
		.amdhsa_user_sgpr_kernarg_segment_ptr 1
		.amdhsa_user_sgpr_dispatch_id 0
		.amdhsa_user_sgpr_flat_scratch_init 0
		.amdhsa_user_sgpr_kernarg_preload_length 0
		.amdhsa_user_sgpr_kernarg_preload_offset 0
		.amdhsa_user_sgpr_private_segment_size 0
		.amdhsa_uses_dynamic_stack 0
		.amdhsa_system_sgpr_private_segment_wavefront_offset 0
		.amdhsa_system_sgpr_workgroup_id_x 1
		.amdhsa_system_sgpr_workgroup_id_y 0
		.amdhsa_system_sgpr_workgroup_id_z 0
		.amdhsa_system_sgpr_workgroup_info 0
		.amdhsa_system_vgpr_workitem_id 0
		.amdhsa_next_free_vgpr 64
		.amdhsa_next_free_sgpr 74
		.amdhsa_accum_offset 64
		.amdhsa_reserve_vcc 1
		.amdhsa_reserve_flat_scratch 0
		.amdhsa_float_round_mode_32 0
		.amdhsa_float_round_mode_16_64 0
		.amdhsa_float_denorm_mode_32 3
		.amdhsa_float_denorm_mode_16_64 3
		.amdhsa_dx10_clamp 1
		.amdhsa_ieee_mode 1
		.amdhsa_fp16_overflow 0
		.amdhsa_tg_split 0
		.amdhsa_exception_fp_ieee_invalid_op 0
		.amdhsa_exception_fp_denorm_src 0
		.amdhsa_exception_fp_ieee_div_zero 0
		.amdhsa_exception_fp_ieee_overflow 0
		.amdhsa_exception_fp_ieee_underflow 0
		.amdhsa_exception_fp_ieee_inexact 0
		.amdhsa_exception_int_div_zero 0
	.end_amdhsa_kernel
	.section	.text._ZN2at4cuda12_GLOBAL__N_121kernelPointwiseApply2IZN12_GLOBAL__N_117gamma_cuda_kernelIN3c108BFloat16EEEvRKNS_10TensorBaseES9_NS_15PhiloxCudaStateEEUlRS6_RKS6_E_S6_S6_jLin1ELin1ELi1ELi256ELi2EEEvNS0_6detail10TensorInfoIT0_T2_EENSG_IT1_SI_EESI_T_,"axG",@progbits,_ZN2at4cuda12_GLOBAL__N_121kernelPointwiseApply2IZN12_GLOBAL__N_117gamma_cuda_kernelIN3c108BFloat16EEEvRKNS_10TensorBaseES9_NS_15PhiloxCudaStateEEUlRS6_RKS6_E_S6_S6_jLin1ELin1ELi1ELi256ELi2EEEvNS0_6detail10TensorInfoIT0_T2_EENSG_IT1_SI_EESI_T_,comdat
.Lfunc_end150:
	.size	_ZN2at4cuda12_GLOBAL__N_121kernelPointwiseApply2IZN12_GLOBAL__N_117gamma_cuda_kernelIN3c108BFloat16EEEvRKNS_10TensorBaseES9_NS_15PhiloxCudaStateEEUlRS6_RKS6_E_S6_S6_jLin1ELin1ELi1ELi256ELi2EEEvNS0_6detail10TensorInfoIT0_T2_EENSG_IT1_SI_EESI_T_, .Lfunc_end150-_ZN2at4cuda12_GLOBAL__N_121kernelPointwiseApply2IZN12_GLOBAL__N_117gamma_cuda_kernelIN3c108BFloat16EEEvRKNS_10TensorBaseES9_NS_15PhiloxCudaStateEEUlRS6_RKS6_E_S6_S6_jLin1ELin1ELi1ELi256ELi2EEEvNS0_6detail10TensorInfoIT0_T2_EENSG_IT1_SI_EESI_T_
                                        ; -- End function
	.section	.AMDGPU.csdata,"",@progbits
; Kernel info:
; codeLenInByte = 5660
; NumSgprs: 78
; NumVgprs: 64
; NumAgprs: 0
; TotalNumVgprs: 64
; ScratchSize: 0
; MemoryBound: 0
; FloatMode: 240
; IeeeMode: 1
; LDSByteSize: 0 bytes/workgroup (compile time only)
; SGPRBlocks: 9
; VGPRBlocks: 7
; NumSGPRsForWavesPerEU: 78
; NumVGPRsForWavesPerEU: 64
; AccumOffset: 64
; Occupancy: 8
; WaveLimiterHint : 1
; COMPUTE_PGM_RSRC2:SCRATCH_EN: 0
; COMPUTE_PGM_RSRC2:USER_SGPR: 6
; COMPUTE_PGM_RSRC2:TRAP_HANDLER: 0
; COMPUTE_PGM_RSRC2:TGID_X_EN: 1
; COMPUTE_PGM_RSRC2:TGID_Y_EN: 0
; COMPUTE_PGM_RSRC2:TGID_Z_EN: 0
; COMPUTE_PGM_RSRC2:TIDIG_COMP_CNT: 0
; COMPUTE_PGM_RSRC3_GFX90A:ACCUM_OFFSET: 15
; COMPUTE_PGM_RSRC3_GFX90A:TG_SPLIT: 0
	.section	.text._ZN2at4cuda12_GLOBAL__N_121kernelPointwiseApply2IZN12_GLOBAL__N_117gamma_cuda_kernelIN3c108BFloat16EEEvRKNS_10TensorBaseES9_NS_15PhiloxCudaStateEEUlRS6_RKS6_E_S6_S6_mLi1ELi1ELi1ELi256ELi2EEEvNS0_6detail10TensorInfoIT0_T2_EENSG_IT1_SI_EESI_T_,"axG",@progbits,_ZN2at4cuda12_GLOBAL__N_121kernelPointwiseApply2IZN12_GLOBAL__N_117gamma_cuda_kernelIN3c108BFloat16EEEvRKNS_10TensorBaseES9_NS_15PhiloxCudaStateEEUlRS6_RKS6_E_S6_S6_mLi1ELi1ELi1ELi256ELi2EEEvNS0_6detail10TensorInfoIT0_T2_EENSG_IT1_SI_EESI_T_,comdat
	.globl	_ZN2at4cuda12_GLOBAL__N_121kernelPointwiseApply2IZN12_GLOBAL__N_117gamma_cuda_kernelIN3c108BFloat16EEEvRKNS_10TensorBaseES9_NS_15PhiloxCudaStateEEUlRS6_RKS6_E_S6_S6_mLi1ELi1ELi1ELi256ELi2EEEvNS0_6detail10TensorInfoIT0_T2_EENSG_IT1_SI_EESI_T_ ; -- Begin function _ZN2at4cuda12_GLOBAL__N_121kernelPointwiseApply2IZN12_GLOBAL__N_117gamma_cuda_kernelIN3c108BFloat16EEEvRKNS_10TensorBaseES9_NS_15PhiloxCudaStateEEUlRS6_RKS6_E_S6_S6_mLi1ELi1ELi1ELi256ELi2EEEvNS0_6detail10TensorInfoIT0_T2_EENSG_IT1_SI_EESI_T_
	.p2align	8
	.type	_ZN2at4cuda12_GLOBAL__N_121kernelPointwiseApply2IZN12_GLOBAL__N_117gamma_cuda_kernelIN3c108BFloat16EEEvRKNS_10TensorBaseES9_NS_15PhiloxCudaStateEEUlRS6_RKS6_E_S6_S6_mLi1ELi1ELi1ELi256ELi2EEEvNS0_6detail10TensorInfoIT0_T2_EENSG_IT1_SI_EESI_T_,@function
_ZN2at4cuda12_GLOBAL__N_121kernelPointwiseApply2IZN12_GLOBAL__N_117gamma_cuda_kernelIN3c108BFloat16EEEvRKNS_10TensorBaseES9_NS_15PhiloxCudaStateEEUlRS6_RKS6_E_S6_S6_mLi1ELi1ELi1ELi256ELi2EEEvNS0_6detail10TensorInfoIT0_T2_EENSG_IT1_SI_EESI_T_: ; @_ZN2at4cuda12_GLOBAL__N_121kernelPointwiseApply2IZN12_GLOBAL__N_117gamma_cuda_kernelIN3c108BFloat16EEEvRKNS_10TensorBaseES9_NS_15PhiloxCudaStateEEUlRS6_RKS6_E_S6_S6_mLi1ELi1ELi1ELi256ELi2EEEvNS0_6detail10TensorInfoIT0_T2_EENSG_IT1_SI_EESI_T_
; %bb.0:
	s_load_dword s2, s[4:5], 0x374
	s_load_dwordx8 s[12:19], s[4:5], 0x340
	s_add_u32 s0, s4, 0x368
	s_addc_u32 s1, s5, 0
	v_mov_b32_e32 v3, 0
	s_waitcnt lgkmcnt(0)
	s_and_b32 s2, s2, 0xffff
	s_mul_i32 s6, s6, s2
	v_add_u32_e32 v2, s6, v0
	v_cmp_gt_u64_e32 vcc, s[12:13], v[2:3]
	s_and_saveexec_b64 s[6:7], vcc
	s_cbranch_execz .LBB151_30
; %bb.1:
	s_load_dword s3, s[4:5], 0x360
	s_load_dwordx2 s[10:11], s[4:5], 0x0
	s_load_dwordx2 s[20:21], s[4:5], 0xd0
	s_load_dwordx2 s[22:23], s[4:5], 0x1a0
	s_load_dwordx2 s[24:25], s[4:5], 0x270
	s_load_dword s6, s[0:1], 0x0
	s_mov_b32 s33, 0xcd9e8d57
	s_waitcnt lgkmcnt(0)
	s_bitcmp1_b32 s3, 0
	v_mad_u64_u32 v[20:21], s[0:1], v2, s33, 0
	s_cselect_b64 s[0:1], -1, 0
	v_cndmask_b32_e64 v0, 0, 1, s[0:1]
	v_mov_b32_e32 v22, v21
	s_mul_i32 s38, s6, s2
	s_mov_b32 s39, 0
	s_mov_b64 s[26:27], 0
	v_mov_b32_e32 v21, s23
	v_cmp_ne_u32_e64 s[0:1], 1, v0
	s_mov_b32 s23, 0xd2511f53
	s_mov_b32 s40, 0x9e3779b9
	;; [unrolled: 1-line block ×7, first 2 shown]
	v_mov_b32_e32 v23, 0x3ecccdef
	s_mov_b32 s46, 0x3f317218
	s_movk_i32 s47, 0x204
	s_mov_b32 s48, 0x7f800000
	s_mov_b32 s49, 0x42b17218
	;; [unrolled: 1-line block ×4, first 2 shown]
	s_brev_b32 s52, -2
	s_movk_i32 s53, 0x7fff
	s_mov_b32 s54, 0xf800000
	v_mov_b32_e32 v28, 0x260
	s_mov_b32 s55, 0x32370b8f
	s_mov_b32 s56, 0x78dde6e4
	;; [unrolled: 1-line block ×13, first 2 shown]
	v_mov_b32_e32 v29, 0x37000000
	v_mov_b32_e32 v30, 0x7f800000
	;; [unrolled: 1-line block ×7, first 2 shown]
	v_pk_mov_b32 v[24:25], v[2:3], v[2:3] op_sel:[0,1]
	s_branch .LBB151_4
.LBB151_2:                              ;   in Loop: Header=BB151_4 Depth=1
	s_or_b64 exec, exec, s[4:5]
.LBB151_3:                              ;   in Loop: Header=BB151_4 Depth=1
	s_or_b64 exec, exec, s[6:7]
	v_mul_lo_u32 v1, v25, s20
	v_mul_lo_u32 v6, v24, s21
	v_mad_u64_u32 v[4:5], s[4:5], v24, s20, 0
	v_add3_u32 v1, v5, v6, v1
	v_cndmask_b32_e64 v5, 0, v1, s[2:3]
	v_cndmask_b32_e64 v4, 0, v4, s[2:3]
	v_lshlrev_b64 v[4:5], 1, v[4:5]
	v_mov_b32_e32 v1, s11
	v_add_co_u32_e32 v4, vcc, s10, v4
	v_addc_co_u32_e32 v5, vcc, v1, v5, vcc
	v_lshlrev_b32_e32 v1, 16, v0
	v_cmp_ngt_f32_e32 vcc, s61, v1
	v_cndmask_b32_e32 v0, v35, v0, vcc
	v_mov_b32_e32 v1, s39
	v_add_co_u32_e32 v24, vcc, s38, v24
	v_addc_co_u32_e32 v25, vcc, v25, v1, vcc
	v_cmp_le_u64_e32 vcc, s[12:13], v[24:25]
	s_or_b64 s[26:27], vcc, s[26:27]
	global_store_short v[4:5], v0, off
	s_andn2_b64 exec, exec, s[26:27]
	s_cbranch_execz .LBB151_30
.LBB151_4:                              ; =>This Loop Header: Depth=1
                                        ;     Child Loop BB151_15 Depth 2
	v_sub_u32_e32 v4, s12, v24
	v_mul_lo_u32 v5, v25, s24
	v_mul_lo_u32 v6, v24, s25
	v_mad_u64_u32 v[0:1], s[2:3], v24, s24, 0
	v_add3_u32 v1, v1, v6, v5
	v_cmp_lt_i32_e64 s[2:3], 0, v4
	v_cndmask_b32_e64 v1, 0, v1, s[2:3]
	v_cndmask_b32_e64 v0, 0, v0, s[2:3]
	v_lshlrev_b64 v[0:1], 1, v[0:1]
	v_add_co_u32_e32 v0, vcc, s22, v0
	v_addc_co_u32_e32 v1, vcc, v21, v1, vcc
	global_load_ushort v4, v[0:1], off
	s_and_b64 vcc, exec, s[0:1]
	v_pk_mov_b32 v[0:1], s[16:17], s[16:17] op_sel:[0,1]
	v_pk_mov_b32 v[26:27], s[14:15], s[14:15] op_sel:[0,1]
	s_cbranch_vccnz .LBB151_6
; %bb.5:                                ;   in Loop: Header=BB151_4 Depth=1
	v_pk_mov_b32 v[0:1], s[16:17], s[16:17] op_sel:[0,1]
	flat_load_dwordx2 v[0:1], v[0:1]
	v_pk_mov_b32 v[6:7], s[14:15], s[14:15] op_sel:[0,1]
	flat_load_dwordx2 v[26:27], v[6:7]
	v_mov_b32_e32 v5, s19
	s_waitcnt vmcnt(0) lgkmcnt(0)
	v_add_co_u32_e32 v0, vcc, s18, v0
	v_addc_co_u32_e32 v1, vcc, v1, v5, vcc
.LBB151_6:                              ;   in Loop: Header=BB151_4 Depth=1
	v_and_b32_e32 v38, 3, v0
	v_alignbit_b32 v0, v1, v0, 2
	v_mad_u64_u32 v[8:9], s[4:5], v0, s23, 0
	v_lshrrev_b32_e32 v1, 2, v1
	v_xor_b32_e32 v5, v9, v27
	v_xor_b32_e32 v7, v22, v26
	v_mov_b32_e32 v6, v27
	v_xor_b32_e32 v7, v7, v1
	v_mad_u64_u32 v[12:13], s[4:5], v5, s33, 0
	v_add_co_u32_e32 v41, vcc, s40, v26
	v_add_co_u32_e32 v40, vcc, s41, v6
	v_mad_u64_u32 v[10:11], s[4:5], v7, s23, 0
	v_xor_b32_e32 v5, v20, v13
	v_xor_b32_e32 v5, v5, v41
	v_xor_b32_e32 v7, v40, v11
	v_xor_b32_e32 v7, v7, v8
	v_add_co_u32_e32 v42, vcc, s43, v6
	v_mad_u64_u32 v[8:9], s[4:5], v5, s23, 0
	v_add_co_u32_e32 v43, vcc, s42, v26
	v_mad_u64_u32 v[14:15], s[4:5], v7, s33, 0
	v_xor_b32_e32 v7, v42, v9
	v_xor_b32_e32 v5, v43, v15
	v_xor_b32_e32 v7, v7, v10
	v_xor_b32_e32 v5, v5, v12
	v_add_co_u32_e32 v45, vcc, s44, v26
	v_mad_u64_u32 v[12:13], s[4:5], v7, s33, 0
	;; [unrolled: 8-line block ×7, first 2 shown]
	v_add_co_u32_e32 v55, vcc, s66, v26
	v_mad_u64_u32 v[8:9], s[4:5], v8, s33, 0
	v_xor_b32_e32 v7, v54, v7
	v_xor_b32_e32 v5, v55, v9
	;; [unrolled: 1-line block ×4, first 2 shown]
	v_mad_u64_u32 v[18:19], s[4:5], v7, s33, 0
	v_add_u32_e32 v36, 0x8ff34781, v26
	v_mad_u64_u32 v[16:17], s[4:5], v5, s23, 0
	v_xor_b32_e32 v5, v19, v8
	v_add_u32_e32 v37, 0x96a522ad, v27
	v_xor_b32_e32 v8, v36, v5
	v_xor_b32_e32 v5, v17, v6
	;; [unrolled: 1-line block ×3, first 2 shown]
	s_waitcnt vmcnt(0)
	v_lshlrev_b32_e32 v17, 16, v4
	v_pk_mov_b32 v[6:7], v[2:3], v[2:3] op_sel:[0,1]
	v_mov_b32_e32 v9, v18
	v_mov_b32_e32 v11, v16
	v_cmp_gt_f32_e32 vcc, 1.0, v17
	s_mov_b64 s[4:5], -1
	v_mov_b32_e32 v39, 1.0
	v_pk_mov_b32 v[4:5], v[0:1], v[0:1] op_sel:[0,1]
                                        ; implicit-def: $sgpr6
	s_and_saveexec_b64 s[28:29], vcc
	s_cbranch_execz .LBB151_12
; %bb.7:                                ;   in Loop: Header=BB151_4 Depth=1
	v_cmp_neq_f32_e32 vcc, 0, v17
	s_mov_b64 s[34:35], 0
	v_mov_b32_e32 v39, 1.0
                                        ; implicit-def: $vgpr4_vgpr5_vgpr6_vgpr7
	s_and_saveexec_b64 s[30:31], vcc
	s_cbranch_execz .LBB151_11
; %bb.8:                                ;   in Loop: Header=BB151_4 Depth=1
	v_add_u32_e32 v19, 1, v38
	v_pk_mov_b32 v[14:15], v[10:11], v[10:11] op_sel:[0,1]
	v_pk_mov_b32 v[6:7], v[2:3], v[2:3] op_sel:[0,1]
	v_cmp_eq_u32_e32 vcc, 4, v19
	v_pk_mov_b32 v[12:13], v[8:9], v[8:9] op_sel:[0,1]
	v_pk_mov_b32 v[4:5], v[0:1], v[0:1] op_sel:[0,1]
	s_and_saveexec_b64 s[4:5], vcc
	s_cbranch_execz .LBB151_10
; %bb.9:                                ;   in Loop: Header=BB151_4 Depth=1
	v_add_co_u32_e32 v4, vcc, 1, v0
	v_cndmask_b32_e64 v0, 0, 1, vcc
	v_addc_co_u32_e32 v5, vcc, 0, v1, vcc
	v_cmp_eq_u32_e32 vcc, 0, v5
	v_cndmask_b32_e32 v0, 0, v0, vcc
	v_add_u32_e32 v6, v0, v2
	v_cmp_eq_u32_e32 vcc, 0, v6
	v_cndmask_b32_e32 v7, 0, v0, vcc
	v_mad_u64_u32 v[0:1], s[6:7], v4, s23, 0
	v_mad_u64_u32 v[12:13], s[6:7], v6, s33, 0
	v_xor_b32_e32 v9, v13, v26
	v_xor_b32_e32 v1, v1, v27
	v_xor_b32_e32 v9, v5, v9
	v_xor_b32_e32 v1, v7, v1
	v_mad_u64_u32 v[14:15], s[6:7], v9, s23, 0
	v_mad_u64_u32 v[56:57], s[6:7], v1, s33, 0
	v_xor_b32_e32 v1, v41, v57
	v_xor_b32_e32 v9, v40, v15
	v_xor_b32_e32 v1, v1, v12
	v_xor_b32_e32 v9, v9, v0
	;; [unrolled: 6-line block ×9, first 2 shown]
	v_mad_u64_u32 v[40:41], s[6:7], v9, s23, 0
	v_mad_u64_u32 v[42:43], s[6:7], v1, s33, 0
	v_xor_b32_e32 v1, v43, v12
	v_xor_b32_e32 v0, v41, v0
	v_mov_b32_e32 v19, 0
	v_xor_b32_e32 v12, v36, v1
	v_xor_b32_e32 v14, v37, v0
	v_mov_b32_e32 v13, v42
	v_mov_b32_e32 v15, v40
.LBB151_10:                             ;   in Loop: Header=BB151_4 Depth=1
	s_or_b64 exec, exec, s[4:5]
	v_cmp_eq_u32_e32 vcc, 1, v38
	v_cndmask_b32_e32 v0, v8, v18, vcc
	v_cmp_eq_u32_e32 vcc, 2, v38
	v_cndmask_b32_e32 v0, v0, v10, vcc
	;; [unrolled: 2-line block ×3, first 2 shown]
	v_div_scale_f32 v1, s[4:5], v17, v17, 1.0
	v_cvt_f32_u32_e32 v0, v0
	v_rcp_f32_e32 v8, v1
	v_mov_b32_e32 v9, 0x2f800000
	s_mov_b64 s[34:35], exec
	v_fmac_f32_e32 v9, 0x2f800000, v0
	v_fma_f32 v0, -v1, v8, 1.0
	v_fmac_f32_e32 v8, v0, v8
	v_div_scale_f32 v0, vcc, 1.0, v17, 1.0
	v_sub_f32_e32 v18, 1.0, v9
	v_mul_f32_e32 v9, v0, v8
	v_fma_f32 v10, -v1, v9, v0
	v_fmac_f32_e32 v9, v10, v8
	v_fma_f32 v0, -v1, v9, v0
	v_div_fmas_f32 v0, v0, v8, v9
	v_div_fixup_f32 v48, v0, v17, 1.0
	v_cmp_eq_f32_e32 vcc, 1.0, v18
	v_cndmask_b32_e64 v49, v48, 1.0, vcc
	v_cmp_eq_f32_e64 s[4:5], 0, v49
	v_cndmask_b32_e64 v50, |v18|, 1.0, s[4:5]
	v_frexp_mant_f32_e32 v0, v50
	v_cmp_gt_f32_e64 s[6:7], s45, v0
	v_cndmask_b32_e64 v1, 1.0, 2.0, s[6:7]
	v_mul_f32_e32 v0, v0, v1
	v_add_f32_e32 v9, 1.0, v0
	v_rcp_f32_e32 v16, v9
	v_add_f32_e32 v1, -1.0, v9
	v_sub_f32_e32 v11, v0, v1
	v_add_f32_e32 v1, -1.0, v0
	v_mul_f32_e32 v40, v1, v16
	v_mul_f32_e32 v8, v9, v40
	v_fma_f32 v10, v40, v9, -v8
	v_fmac_f32_e32 v10, v40, v11
	v_add_f32_e32 v0, v8, v10
	v_sub_f32_e32 v9, v1, v0
	v_pk_add_f32 v[38:39], v[0:1], v[8:9] neg_lo:[0,1] neg_hi:[0,1]
	v_mov_b32_e32 v11, v0
	v_pk_add_f32 v[0:1], v[38:39], v[10:11] neg_lo:[0,1] neg_hi:[0,1]
	v_add_f32_e32 v0, v0, v1
	v_add_f32_e32 v0, v9, v0
	v_mul_f32_e32 v1, v16, v0
	v_add_f32_e32 v0, v40, v1
	v_sub_f32_e32 v8, v0, v40
	v_sub_f32_e32 v16, v1, v8
	v_mul_f32_e32 v1, v0, v0
	v_fma_f32 v9, v0, v0, -v1
	v_add_f32_e32 v8, v16, v16
	v_fmac_f32_e32 v9, v0, v8
	v_add_f32_e32 v8, v1, v9
	v_mov_b32_e32 v10, 0x3e91f4c4
	v_fmac_f32_e32 v10, 0x3e76c4e1, v8
	v_fma_f32 v10, v8, v10, v23
	v_sub_f32_e32 v1, v8, v1
	v_sub_f32_e32 v42, v9, v1
	v_mul_f32_e32 v1, v8, v10
	v_fma_f32 v9, v8, v10, -v1
	v_fmac_f32_e32 v9, v42, v10
	v_add_f32_e32 v10, v1, v9
	v_add_f32_e32 v11, 0x3f2aaaaa, v10
	v_sub_f32_e32 v1, v10, v1
	v_sub_f32_e32 v1, v9, v1
	v_add_f32_e32 v9, 0xbf2aaaaa, v11
	v_add_f32_e32 v1, 0x31739010, v1
	v_sub_f32_e32 v9, v10, v9
	v_pk_mul_f32 v[38:39], v[0:1], v[8:9]
	v_fma_f32 v10, v8, v0, -v38
	v_pk_add_f32 v[40:41], v[0:1], v[8:9]
	v_fmac_f32_e32 v10, v8, v16
	v_mov_b32_e32 v39, v41
	v_fmac_f32_e32 v10, v42, v0
	v_pk_add_f32 v[8:9], v[38:39], v[10:11]
	v_sub_f32_e32 v1, v8, v38
	v_sub_f32_e32 v1, v10, v1
	;; [unrolled: 1-line block ×3, first 2 shown]
	v_add_f32_e32 v40, v41, v10
	v_mov_b32_e32 v10, v9
	v_pk_mul_f32 v[10:11], v[8:9], v[10:11]
	v_cvt_f64_f32_e32 v[38:39], v50
	v_frexp_exp_i32_f64_e32 v11, v[38:39]
	v_subbrev_co_u32_e64 v11, s[6:7], 0, v11, s[6:7]
	v_cvt_f32_i32_e32 v11, v11
	v_fma_f32 v38, v8, v9, -v10
	v_fmac_f32_e32 v38, v8, v40
	v_fmac_f32_e32 v38, v1, v9
	v_mul_f32_e32 v8, 0x3f317218, v11
	v_fma_f32 v40, v11, s46, -v8
	v_fmac_f32_e32 v40, 0xb102e308, v11
	v_ldexp_f32 v41, v0, 1
	v_add_f32_e32 v9, v10, v38
	v_pk_add_f32 v[0:1], v[8:9], v[40:41]
	v_mov_b32_e32 v42, v9
	v_mov_b32_e32 v43, v1
	;; [unrolled: 1-line block ×3, first 2 shown]
	v_pk_add_f32 v[10:11], v[42:43], v[10:11] neg_lo:[0,1] neg_hi:[0,1]
	v_mov_b32_e32 v39, v9
	v_ldexp_f32 v16, v16, 1
	v_pk_add_f32 v[10:11], v[38:39], v[10:11] neg_lo:[0,1] neg_hi:[0,1]
	v_add_f32_e32 v9, v16, v10
	v_add_f32_e32 v9, v9, v11
	v_pk_add_f32 v[10:11], v[0:1], v[8:9] neg_lo:[0,1] neg_hi:[0,1]
	v_pk_add_f32 v[38:39], v[0:1], v[8:9]
	v_mov_b32_e32 v42, v10
	v_mov_b32_e32 v43, v39
	;; [unrolled: 1-line block ×3, first 2 shown]
	v_pk_add_f32 v[42:43], v[40:41], v[42:43]
	v_mov_b32_e32 v8, v43
	v_pk_add_f32 v[44:45], v[8:9], v[0:1] neg_lo:[0,1] neg_hi:[0,1]
	v_mov_b32_e32 v45, v44
	v_mov_b32_e32 v42, v39
	;; [unrolled: 1-line block ×4, first 2 shown]
	v_pk_add_f32 v[10:11], v[40:41], v[10:11] neg_lo:[0,1] neg_hi:[0,1]
	v_pk_add_f32 v[46:47], v[38:39], v[44:45] neg_lo:[0,1] neg_hi:[0,1]
	v_pk_add_f32 v[0:1], v[42:43], v[0:1] neg_lo:[0,1] neg_hi:[0,1]
	v_mov_b32_e32 v40, v9
	v_pk_add_f32 v[0:1], v[40:41], v[0:1] neg_lo:[0,1] neg_hi:[0,1]
	v_mov_b32_e32 v46, v10
	v_pk_add_f32 v[38:39], v[46:47], v[0:1]
	v_mov_b32_e32 v16, v39
	v_pk_add_f32 v[40:41], v[38:39], v[16:17]
	v_pk_add_f32 v[8:9], v[8:9], v[40:41]
	v_mov_b32_e32 v11, v43
	v_mov_b32_e32 v39, v8
	v_pk_add_f32 v[42:43], v[38:39], v[10:11] neg_lo:[0,1] neg_hi:[0,1]
	v_mov_b32_e32 v1, v40
	v_sub_f32_e32 v9, v38, v42
	v_pk_add_f32 v[0:1], v[0:1], v[42:43] neg_lo:[0,1] neg_hi:[0,1]
	v_sub_f32_e32 v9, v10, v9
	v_add_f32_e32 v0, v0, v9
	v_add_f32_e32 v0, v0, v1
	;; [unrolled: 1-line block ×3, first 2 shown]
	v_sub_f32_e32 v8, v1, v8
	v_sub_f32_e32 v0, v0, v8
	v_mul_f32_e32 v8, v49, v1
	v_fma_f32 v1, v49, v1, -v8
	v_fmac_f32_e32 v1, v49, v0
	v_add_f32_e32 v0, v8, v1
	v_cmp_class_f32_e64 s[6:7], v8, s47
	v_sub_f32_e32 v9, v0, v8
	v_cndmask_b32_e64 v0, v0, v8, s[6:7]
	v_cmp_eq_f32_e64 s[6:7], s49, v0
	v_cndmask_b32_e64 v8, 0, v29, s[6:7]
	v_sub_f32_e32 v1, v1, v9
	v_sub_f32_e32 v9, v0, v8
	v_mul_f32_e32 v10, 0x3fb8aa3b, v9
	v_fma_f32 v11, v9, s50, -v10
	v_rndne_f32_e32 v16, v10
	v_fmac_f32_e32 v11, 0x32a5705f, v9
	v_sub_f32_e32 v10, v10, v16
	v_add_f32_e32 v10, v10, v11
	v_exp_f32_e32 v10, v10
	v_cvt_i32_f32_e32 v11, v16
	v_cmp_neq_f32_e64 s[6:7], |v0|, s48
	v_cndmask_b32_e64 v0, 0, v1, s[6:7]
	v_cmp_ngt_f32_e64 s[6:7], s51, v9
	v_ldexp_f32 v1, v10, v11
	v_cndmask_b32_e64 v1, 0, v1, s[6:7]
	v_cmp_nlt_f32_e64 s[6:7], s49, v9
	v_add_f32_e32 v0, v8, v0
	v_cndmask_b32_e64 v1, v30, v1, s[6:7]
	v_fma_f32 v0, v1, v0, v1
	v_cmp_class_f32_e64 s[6:7], v1, s47
	v_trunc_f32_e32 v8, v49
	v_cndmask_b32_e64 v0, v0, v1, s[6:7]
	v_cndmask_b32_e64 v1, v18, 1.0, s[4:5]
	v_cmp_eq_f32_e64 s[4:5], v8, v49
	v_mul_f32_e32 v8, 0.5, v49
	v_trunc_f32_e32 v9, v8
	v_cmp_neq_f32_e64 s[6:7], v9, v8
	s_and_b64 s[6:7], s[4:5], s[6:7]
	v_cndmask_b32_e64 v8, 1.0, v1, s[6:7]
	v_bfi_b32 v0, s52, v0, v8
	v_cndmask_b32_e64 v8, v31, v0, s[4:5]
	v_cmp_gt_f32_e64 s[4:5], 0, v1
	v_cndmask_b32_e64 v0, v0, v8, s[4:5]
	v_cndmask_b32_e64 v8, |v48|, 1.0, vcc
	v_cmp_neq_f32_e32 vcc, v49, v8
	v_cmp_gt_f32_e64 s[4:5], 1.0, v50
	s_xor_b64 s[4:5], vcc, s[4:5]
	v_cndmask_b32_e64 v9, v8, 0, s[4:5]
	v_cmp_eq_f32_e32 vcc, 1.0, v50
	v_cmp_eq_f32_e64 s[4:5], 0, v1
	v_cmp_gt_f32_e64 s[8:9], 0, v49
	v_cndmask_b32_e32 v9, v9, v50, vcc
	v_cmp_eq_f32_e32 vcc, s48, v8
	s_xor_b64 s[8:9], s[8:9], s[4:5]
	v_cndmask_b32_e32 v0, v0, v9, vcc
	v_cmp_eq_f32_e32 vcc, s48, v50
	v_cndmask_b32_e64 v8, v30, 0, s[8:9]
	v_cndmask_b32_e64 v1, 0, v1, s[6:7]
	v_bfi_b32 v1, s52, v8, v1
	s_or_b64 vcc, vcc, s[4:5]
	v_cndmask_b32_e32 v39, v0, v1, vcc
	v_add_f32_e32 v0, 1.0, v17
	v_bfe_u32 v1, v0, 16, 1
	v_add3_u32 v0, v0, v1, s53
	v_pk_mov_b32 v[8:9], v[12:13], v[12:13] op_sel:[0,1]
	v_and_b32_e32 v17, 0xffff0000, v0
	v_pk_mov_b32 v[10:11], v[14:15], v[14:15] op_sel:[0,1]
	v_mov_b32_e32 v38, v19
.LBB151_11:                             ;   in Loop: Header=BB151_4 Depth=1
	s_or_b64 exec, exec, s[30:31]
	s_mov_b32 s6, 0
	s_orn2_b64 s[4:5], s[34:35], exec
.LBB151_12:                             ;   in Loop: Header=BB151_4 Depth=1
	s_or_b64 exec, exec, s[28:29]
	v_mov_b32_e32 v0, s6
	s_and_saveexec_b64 s[6:7], s[4:5]
	s_cbranch_execz .LBB151_3
; %bb.13:                               ;   in Loop: Header=BB151_4 Depth=1
	v_add_f32_e32 v40, 0xbeaaaaab, v17
	v_mul_f32_e32 v0, 0x41100000, v40
	v_mul_f32_e32 v1, 0x4f800000, v0
	v_cmp_gt_f32_e32 vcc, s54, v0
	v_cndmask_b32_e32 v0, v0, v1, vcc
	v_sqrt_f32_e32 v1, v0
	v_add_u32_e32 v42, 0x9e3779b9, v26
	v_add_u32_e32 v43, 0xbb67ae85, v27
	;; [unrolled: 1-line block ×3, first 2 shown]
	v_add_u32_e32 v12, -1, v1
	v_fma_f32 v14, -v12, v1, v0
	v_add_u32_e32 v13, 1, v1
	v_cmp_ge_f32_e64 s[4:5], 0, v14
	v_cndmask_b32_e64 v12, v1, v12, s[4:5]
	v_fma_f32 v1, -v13, v1, v0
	v_cmp_lt_f32_e64 s[4:5], 0, v1
	v_cndmask_b32_e64 v1, v12, v13, s[4:5]
	v_mul_f32_e32 v12, 0x37800000, v1
	v_cndmask_b32_e32 v1, v1, v12, vcc
	v_cmp_class_f32_e32 vcc, v0, v28
	v_cndmask_b32_e32 v0, v1, v0, vcc
	v_div_scale_f32 v1, s[4:5], v0, v0, 1.0
	v_rcp_f32_e32 v12, v1
	v_add_u32_e32 v45, 0x76cf5d0a, v27
	v_add_u32_e32 v46, 0xdaa66d2b, v26
	v_add_u32_e32 v47, 0x32370b8f, v27
	v_fma_f32 v13, -v1, v12, 1.0
	v_fmac_f32_e32 v12, v13, v12
	v_div_scale_f32 v13, vcc, 1.0, v0, 1.0
	v_mul_f32_e32 v14, v13, v12
	v_fma_f32 v15, -v1, v14, v13
	v_fmac_f32_e32 v14, v15, v12
	v_fma_f32 v1, -v1, v14, v13
	v_div_fmas_f32 v1, v1, v12, v14
	v_div_fixup_f32 v41, v1, v0, 1.0
	v_add_u32_e32 v48, 0x78dde6e4, v26
	v_add_u32_e32 v49, 0xed9eba14, v27
	;; [unrolled: 1-line block ×10, first 2 shown]
	s_mov_b64 s[8:9], 0
	v_mov_b32_e32 v58, 0
	s_mov_b64 s[34:35], 0
                                        ; implicit-def: $sgpr28_sgpr29
                                        ; implicit-def: $sgpr30_sgpr31
                                        ; implicit-def: $vgpr0
	s_branch .LBB151_15
.LBB151_14:                             ;   in Loop: Header=BB151_15 Depth=2
	s_or_b64 exec, exec, s[34:35]
	s_and_b64 s[4:5], exec, s[4:5]
	s_or_b64 s[8:9], s[4:5], s[8:9]
	s_andn2_b64 s[4:5], s[28:29], exec
	s_and_b64 s[28:29], s[30:31], exec
	v_pk_mov_b32 v[8:9], v[12:13], v[12:13] op_sel:[0,1]
	s_or_b64 s[28:29], s[4:5], s[28:29]
	s_mov_b64 s[34:35], 0
	v_mov_b32_e32 v38, v16
	v_pk_mov_b32 v[10:11], v[14:15], v[14:15] op_sel:[0,1]
	s_andn2_b64 exec, exec, s[8:9]
	s_cbranch_execz .LBB151_26
.LBB151_15:                             ;   Parent Loop BB151_4 Depth=1
                                        ; =>  This Inner Loop Header: Depth=2
	v_cmp_eq_u32_e32 vcc, 0, v58
	v_mov_b32_e32 v1, v0
	v_mov_b32_e32 v58, 0
	s_and_saveexec_b64 s[36:37], vcc
	s_cbranch_execz .LBB151_21
; %bb.16:                               ;   in Loop: Header=BB151_15 Depth=2
	v_add_u32_e32 v0, 1, v38
	v_pk_mov_b32 v[14:15], v[10:11], v[10:11] op_sel:[0,1]
	v_cmp_eq_u32_e32 vcc, 4, v0
	v_pk_mov_b32 v[12:13], v[8:9], v[8:9] op_sel:[0,1]
	s_and_saveexec_b64 s[4:5], vcc
	s_cbranch_execz .LBB151_18
; %bb.17:                               ;   in Loop: Header=BB151_15 Depth=2
	v_add_co_u32_e32 v4, vcc, 1, v4
	v_cndmask_b32_e64 v1, 0, 1, vcc
	v_addc_co_u32_e32 v5, vcc, 0, v5, vcc
	v_cmp_eq_u32_e32 vcc, 0, v5
	v_cndmask_b32_e32 v1, 0, v1, vcc
	v_add_u32_e32 v6, v1, v6
	v_cmp_eq_u32_e32 vcc, 0, v6
	v_cndmask_b32_e32 v1, 0, v1, vcc
	v_mad_u64_u32 v[12:13], s[68:69], v4, s23, 0
	v_mad_u64_u32 v[14:15], s[68:69], v6, s33, 0
	v_add_u32_e32 v7, v1, v7
	v_xor_b32_e32 v1, v15, v26
	v_xor_b32_e32 v13, v13, v27
	v_xor_b32_e32 v1, v5, v1
	v_xor_b32_e32 v13, v7, v13
	v_mad_u64_u32 v[16:17], s[68:69], v1, s23, 0
	v_mad_u64_u32 v[18:19], s[68:69], v13, s33, 0
	v_xor_b32_e32 v1, v19, v14
	v_xor_b32_e32 v12, v17, v12
	v_xor_b32_e32 v1, v42, v1
	v_xor_b32_e32 v14, v43, v12
	v_mad_u64_u32 v[12:13], s[68:69], v1, s23, 0
	v_mad_u64_u32 v[14:15], s[68:69], v14, s33, 0
	v_xor_b32_e32 v1, v15, v18
	v_xor_b32_e32 v13, v13, v16
	v_xor_b32_e32 v1, v44, v1
	v_xor_b32_e32 v13, v45, v13
	v_mad_u64_u32 v[16:17], s[68:69], v1, s23, 0
	v_mad_u64_u32 v[18:19], s[68:69], v13, s33, 0
	v_xor_b32_e32 v1, v19, v14
	v_xor_b32_e32 v12, v17, v12
	v_xor_b32_e32 v1, v46, v1
	v_xor_b32_e32 v14, v47, v12
	v_mad_u64_u32 v[12:13], s[68:69], v1, s23, 0
	v_mad_u64_u32 v[14:15], s[68:69], v14, s33, 0
	v_xor_b32_e32 v1, v15, v18
	v_xor_b32_e32 v13, v13, v16
	v_xor_b32_e32 v1, v48, v1
	v_xor_b32_e32 v13, v49, v13
	v_mad_u64_u32 v[16:17], s[68:69], v1, s23, 0
	v_mad_u64_u32 v[18:19], s[68:69], v13, s33, 0
	v_xor_b32_e32 v1, v19, v14
	v_xor_b32_e32 v12, v17, v12
	v_xor_b32_e32 v1, v50, v1
	v_xor_b32_e32 v14, v51, v12
	v_mad_u64_u32 v[12:13], s[68:69], v1, s23, 0
	v_mad_u64_u32 v[14:15], s[68:69], v14, s33, 0
	v_xor_b32_e32 v1, v15, v18
	v_xor_b32_e32 v13, v13, v16
	v_xor_b32_e32 v1, v52, v1
	v_xor_b32_e32 v13, v53, v13
	v_mad_u64_u32 v[16:17], s[68:69], v1, s23, 0
	v_mad_u64_u32 v[18:19], s[68:69], v13, s33, 0
	v_xor_b32_e32 v1, v19, v14
	v_xor_b32_e32 v12, v17, v12
	v_xor_b32_e32 v1, v54, v1
	v_xor_b32_e32 v12, v55, v12
	v_mad_u64_u32 v[14:15], s[68:69], v1, s23, 0
	v_mad_u64_u32 v[12:13], s[68:69], v12, s33, 0
	v_xor_b32_e32 v1, v13, v18
	v_xor_b32_e32 v13, v15, v16
	v_xor_b32_e32 v13, v57, v13
	v_xor_b32_e32 v1, v56, v1
	v_mad_u64_u32 v[18:19], s[68:69], v13, s33, 0
	v_mad_u64_u32 v[16:17], s[68:69], v1, s23, 0
	v_xor_b32_e32 v1, v19, v12
	v_xor_b32_e32 v12, v36, v1
	;; [unrolled: 1-line block ×3, first 2 shown]
	v_mov_b32_e32 v0, 0
	v_xor_b32_e32 v14, v37, v1
	v_mov_b32_e32 v13, v18
	v_mov_b32_e32 v15, v16
.LBB151_18:                             ;   in Loop: Header=BB151_15 Depth=2
	s_or_b64 exec, exec, s[4:5]
	v_add_u32_e32 v59, 1, v0
	v_pk_mov_b32 v[18:19], v[14:15], v[14:15] op_sel:[0,1]
	v_cmp_eq_u32_e32 vcc, 4, v59
	v_pk_mov_b32 v[16:17], v[12:13], v[12:13] op_sel:[0,1]
	s_and_saveexec_b64 s[4:5], vcc
	s_cbranch_execz .LBB151_20
; %bb.19:                               ;   in Loop: Header=BB151_15 Depth=2
	v_add_co_u32_e32 v4, vcc, 1, v4
	v_cndmask_b32_e64 v1, 0, 1, vcc
	v_addc_co_u32_e32 v5, vcc, 0, v5, vcc
	v_cmp_eq_u32_e32 vcc, 0, v5
	v_cndmask_b32_e32 v1, 0, v1, vcc
	v_add_u32_e32 v6, v1, v6
	v_cmp_eq_u32_e32 vcc, 0, v6
	v_cndmask_b32_e32 v1, 0, v1, vcc
	v_mad_u64_u32 v[16:17], s[68:69], v4, s23, 0
	v_mad_u64_u32 v[18:19], s[68:69], v6, s33, 0
	v_add_u32_e32 v7, v1, v7
	v_xor_b32_e32 v1, v19, v26
	v_xor_b32_e32 v17, v17, v27
	v_xor_b32_e32 v1, v5, v1
	v_xor_b32_e32 v17, v7, v17
	v_mad_u64_u32 v[60:61], s[68:69], v1, s23, 0
	v_mad_u64_u32 v[62:63], s[68:69], v17, s33, 0
	v_xor_b32_e32 v1, v63, v18
	v_xor_b32_e32 v16, v61, v16
	v_xor_b32_e32 v1, v42, v1
	v_xor_b32_e32 v18, v43, v16
	v_mad_u64_u32 v[16:17], s[68:69], v1, s23, 0
	v_mad_u64_u32 v[18:19], s[68:69], v18, s33, 0
	;; [unrolled: 6-line block ×9, first 2 shown]
	v_xor_b32_e32 v1, v63, v16
	v_xor_b32_e32 v16, v36, v1
	;; [unrolled: 1-line block ×3, first 2 shown]
	v_mov_b32_e32 v59, 0
	v_xor_b32_e32 v18, v37, v1
	v_mov_b32_e32 v17, v62
	v_mov_b32_e32 v19, v60
.LBB151_20:                             ;   in Loop: Header=BB151_15 Depth=2
	s_or_b64 exec, exec, s[4:5]
	v_cmp_eq_u32_e32 vcc, 1, v38
	v_cndmask_b32_e32 v1, v8, v9, vcc
	v_cmp_eq_u32_e32 vcc, 2, v38
	v_cndmask_b32_e32 v1, v1, v10, vcc
	;; [unrolled: 2-line block ×3, first 2 shown]
	v_cvt_f32_u32_e32 v1, v1
	v_cmp_eq_u32_e32 vcc, 1, v0
	v_mov_b32_e32 v9, 0x2f800000
	v_cndmask_b32_e32 v8, v12, v13, vcc
	v_cmp_eq_u32_e32 vcc, 2, v0
	v_fmac_f32_e32 v9, 0x2f800000, v1
	v_cndmask_b32_e32 v8, v8, v14, vcc
	v_cmp_gt_f32_e32 vcc, s61, v9
	v_cndmask_b32_e32 v1, 1.0, v32, vcc
	v_mul_f32_e32 v1, v9, v1
	v_log_f32_e32 v1, v1
	v_cmp_eq_u32_e64 s[4:5], 3, v0
	v_cndmask_b32_e64 v0, v8, v15, s[4:5]
	v_cvt_f32_u32_e32 v0, v0
	v_mul_f32_e32 v8, 0x3f317217, v1
	v_fma_f32 v9, v1, s62, -v8
	v_fmac_f32_e32 v9, 0x3377d1cf, v1
	v_add_f32_e32 v8, v8, v9
	v_cmp_lt_f32_e64 s[4:5], |v1|, s48
	v_cndmask_b32_e64 v1, v1, v8, s[4:5]
	v_cndmask_b32_e32 v8, 0, v33, vcc
	v_sub_f32_e32 v1, v1, v8
	v_mul_f32_e32 v1, -2.0, v1
	v_mul_f32_e32 v8, 0x4f800000, v1
	v_cmp_gt_f32_e32 vcc, s54, v1
	v_cndmask_b32_e32 v8, v1, v8, vcc
	v_sqrt_f32_e32 v1, v8
	v_mov_b32_e32 v9, 0x30c90fdb
	v_fmac_f32_e32 v9, 0x30c90fdb, v0
	v_mov_b32_e32 v58, 1
	v_add_u32_e32 v0, -1, v1
	v_fma_f32 v10, -v0, v1, v8
	v_cmp_ge_f32_e64 s[4:5], 0, v10
	v_add_u32_e32 v10, 1, v1
	v_cndmask_b32_e64 v0, v1, v0, s[4:5]
	v_fma_f32 v1, -v10, v1, v8
	v_cmp_lt_f32_e64 s[4:5], 0, v1
	v_cndmask_b32_e64 v10, v0, v10, s[4:5]
	v_mul_f32_e32 v0, 0.15915494, v9
	v_sin_f32_e32 v1, v0
	v_cos_f32_e32 v0, v0
	v_mul_f32_e32 v11, 0x37800000, v10
	v_cndmask_b32_e32 v9, v10, v11, vcc
	v_cmp_class_f32_e32 vcc, v8, v28
	v_cndmask_b32_e32 v8, v9, v8, vcc
	v_pk_mul_f32 v[0:1], v[8:9], v[0:1] op_sel_hi:[0,1]
	v_pk_mov_b32 v[8:9], v[16:17], v[16:17] op_sel:[0,1]
	v_pk_mov_b32 v[10:11], v[18:19], v[18:19] op_sel:[0,1]
	v_mov_b32_e32 v38, v59
.LBB151_21:                             ;   in Loop: Header=BB151_15 Depth=2
	s_or_b64 exec, exec, s[36:37]
	v_fma_f32 v17, v41, v1, 1.0
	v_cmp_nge_f32_e32 vcc, 0, v17
	s_or_b64 s[34:35], vcc, s[34:35]
	s_andn2_b64 exec, exec, s[34:35]
	s_cbranch_execnz .LBB151_15
; %bb.22:                               ;   in Loop: Header=BB151_15 Depth=2
	s_or_b64 exec, exec, s[34:35]
	v_add_u32_e32 v16, 1, v38
	v_pk_mov_b32 v[14:15], v[10:11], v[10:11] op_sel:[0,1]
	v_cmp_eq_u32_e32 vcc, 4, v16
	v_pk_mov_b32 v[12:13], v[8:9], v[8:9] op_sel:[0,1]
	s_and_saveexec_b64 s[4:5], vcc
	s_cbranch_execz .LBB151_24
; %bb.23:                               ;   in Loop: Header=BB151_15 Depth=2
	v_add_co_u32_e32 v4, vcc, 1, v4
	v_cndmask_b32_e64 v12, 0, 1, vcc
	v_addc_co_u32_e32 v5, vcc, 0, v5, vcc
	v_cmp_eq_u32_e32 vcc, 0, v5
	v_cndmask_b32_e32 v12, 0, v12, vcc
	v_add_u32_e32 v6, v12, v6
	v_cmp_eq_u32_e32 vcc, 0, v6
	v_cndmask_b32_e32 v12, 0, v12, vcc
	v_add_u32_e32 v7, v12, v7
	v_mad_u64_u32 v[12:13], s[34:35], v4, s23, 0
	v_mad_u64_u32 v[14:15], s[34:35], v6, s33, 0
	v_xor_b32_e32 v15, v15, v26
	v_xor_b32_e32 v13, v13, v27
	v_xor_b32_e32 v15, v5, v15
	v_xor_b32_e32 v13, v7, v13
	v_mad_u64_u32 v[18:19], s[34:35], v15, s23, 0
	v_mad_u64_u32 v[60:61], s[34:35], v13, s33, 0
	v_xor_b32_e32 v13, v61, v14
	v_xor_b32_e32 v12, v19, v12
	v_xor_b32_e32 v13, v42, v13
	v_xor_b32_e32 v14, v43, v12
	;; [unrolled: 6-line block ×9, first 2 shown]
	v_mad_u64_u32 v[18:19], s[34:35], v13, s23, 0
	v_mad_u64_u32 v[60:61], s[34:35], v15, s33, 0
	v_xor_b32_e32 v12, v61, v12
	v_xor_b32_e32 v13, v19, v14
	v_mov_b32_e32 v16, 0
	v_xor_b32_e32 v12, v36, v12
	v_xor_b32_e32 v14, v37, v13
	v_mov_b32_e32 v13, v60
	v_mov_b32_e32 v15, v18
.LBB151_24:                             ;   in Loop: Header=BB151_15 Depth=2
	s_or_b64 exec, exec, s[4:5]
	v_cmp_eq_u32_e32 vcc, 1, v38
	v_cndmask_b32_e32 v8, v8, v9, vcc
	v_cmp_eq_u32_e32 vcc, 2, v38
	v_cndmask_b32_e32 v8, v8, v10, vcc
	;; [unrolled: 2-line block ×3, first 2 shown]
	v_cvt_f32_u32_e32 v8, v8
	v_mul_f32_e32 v9, v17, v17
	v_mul_f32_e32 v17, v17, v9
	v_mov_b32_e32 v9, 0x2f800000
	v_fmac_f32_e32 v9, 0x2f800000, v8
	v_mul_f32_e32 v1, v1, v1
	v_sub_f32_e32 v8, 1.0, v9
	v_mul_f32_e32 v9, 0xbd0793de, v1
	v_fma_f32 v9, v1, v9, 1.0
	v_cmp_nlt_f32_e32 vcc, v8, v9
	s_mov_b64 s[4:5], -1
	s_or_b64 s[30:31], s[30:31], exec
	s_and_saveexec_b64 s[34:35], vcc
	s_cbranch_execz .LBB151_14
; %bb.25:                               ;   in Loop: Header=BB151_15 Depth=2
	v_cmp_gt_f32_e32 vcc, s61, v8
	v_cndmask_b32_e32 v9, 1.0, v32, vcc
	v_mul_f32_e32 v8, v8, v9
	v_log_f32_e32 v8, v8
	s_andn2_b64 s[30:31], s[30:31], exec
	v_mul_f32_e32 v9, 0x3f317217, v8
	v_fma_f32 v10, v8, s62, -v9
	v_fmac_f32_e32 v10, 0x3377d1cf, v8
	v_add_f32_e32 v9, v9, v10
	v_cmp_lt_f32_e64 s[4:5], |v8|, s48
	v_cndmask_b32_e64 v8, v8, v9, s[4:5]
	v_cmp_gt_f32_e64 s[4:5], s61, v17
	v_cndmask_b32_e64 v9, 1.0, v32, s[4:5]
	v_mul_f32_e32 v9, v17, v9
	v_log_f32_e32 v9, v9
	v_cndmask_b32_e32 v10, 0, v33, vcc
	v_sub_f32_e32 v8, v8, v10
	v_sub_f32_e32 v10, 1.0, v17
	v_mul_f32_e32 v11, 0x3f317217, v9
	v_fma_f32 v18, v9, s62, -v11
	v_fmac_f32_e32 v18, 0x3377d1cf, v9
	v_add_f32_e32 v11, v11, v18
	v_cmp_lt_f32_e64 vcc, |v9|, s48
	v_cndmask_b32_e32 v9, v9, v11, vcc
	v_cndmask_b32_e64 v11, 0, v33, s[4:5]
	v_sub_f32_e32 v9, v9, v11
	v_add_f32_e32 v9, v10, v9
	v_mul_f32_e32 v9, v40, v9
	v_fmac_f32_e32 v9, 0.5, v1
	v_cmp_lt_f32_e32 vcc, v8, v9
	s_orn2_b64 s[4:5], vcc, exec
	s_branch .LBB151_14
.LBB151_26:                             ;   in Loop: Header=BB151_4 Depth=1
	s_or_b64 exec, exec, s[8:9]
	v_mul_f32_e32 v0, v39, v40
	s_xor_b64 s[4:5], s[28:29], -1
	v_mul_f32_e32 v1, v0, v17
                                        ; implicit-def: $vgpr0
	s_and_saveexec_b64 s[8:9], s[4:5]
	s_xor_b64 s[4:5], exec, s[8:9]
; %bb.27:                               ;   in Loop: Header=BB151_4 Depth=1
	v_bfe_u32 v0, v1, 16, 1
	v_add3_u32 v0, v1, v0, s53
	v_lshrrev_b32_e32 v0, 16, v0
	v_cmp_o_f32_e32 vcc, v1, v1
	v_cndmask_b32_e32 v0, v34, v0, vcc
                                        ; implicit-def: $vgpr1
; %bb.28:                               ;   in Loop: Header=BB151_4 Depth=1
	s_andn2_saveexec_b64 s[4:5], s[4:5]
	s_cbranch_execz .LBB151_2
; %bb.29:                               ;   in Loop: Header=BB151_4 Depth=1
	v_bfe_u32 v0, v1, 16, 1
	v_add3_u32 v0, v1, v0, s53
	v_lshrrev_b32_e32 v0, 16, v0
	v_cmp_o_f32_e32 vcc, v1, v1
	v_cndmask_b32_e32 v0, v34, v0, vcc
	s_branch .LBB151_2
.LBB151_30:
	s_endpgm
	.section	.rodata,"a",@progbits
	.p2align	6, 0x0
	.amdhsa_kernel _ZN2at4cuda12_GLOBAL__N_121kernelPointwiseApply2IZN12_GLOBAL__N_117gamma_cuda_kernelIN3c108BFloat16EEEvRKNS_10TensorBaseES9_NS_15PhiloxCudaStateEEUlRS6_RKS6_E_S6_S6_mLi1ELi1ELi1ELi256ELi2EEEvNS0_6detail10TensorInfoIT0_T2_EENSG_IT1_SI_EESI_T_
		.amdhsa_group_segment_fixed_size 0
		.amdhsa_private_segment_fixed_size 0
		.amdhsa_kernarg_size 1128
		.amdhsa_user_sgpr_count 6
		.amdhsa_user_sgpr_private_segment_buffer 1
		.amdhsa_user_sgpr_dispatch_ptr 0
		.amdhsa_user_sgpr_queue_ptr 0
		.amdhsa_user_sgpr_kernarg_segment_ptr 1
		.amdhsa_user_sgpr_dispatch_id 0
		.amdhsa_user_sgpr_flat_scratch_init 0
		.amdhsa_user_sgpr_kernarg_preload_length 0
		.amdhsa_user_sgpr_kernarg_preload_offset 0
		.amdhsa_user_sgpr_private_segment_size 0
		.amdhsa_uses_dynamic_stack 0
		.amdhsa_system_sgpr_private_segment_wavefront_offset 0
		.amdhsa_system_sgpr_workgroup_id_x 1
		.amdhsa_system_sgpr_workgroup_id_y 0
		.amdhsa_system_sgpr_workgroup_id_z 0
		.amdhsa_system_sgpr_workgroup_info 0
		.amdhsa_system_vgpr_workitem_id 0
		.amdhsa_next_free_vgpr 64
		.amdhsa_next_free_sgpr 70
		.amdhsa_accum_offset 64
		.amdhsa_reserve_vcc 1
		.amdhsa_reserve_flat_scratch 0
		.amdhsa_float_round_mode_32 0
		.amdhsa_float_round_mode_16_64 0
		.amdhsa_float_denorm_mode_32 3
		.amdhsa_float_denorm_mode_16_64 3
		.amdhsa_dx10_clamp 1
		.amdhsa_ieee_mode 1
		.amdhsa_fp16_overflow 0
		.amdhsa_tg_split 0
		.amdhsa_exception_fp_ieee_invalid_op 0
		.amdhsa_exception_fp_denorm_src 0
		.amdhsa_exception_fp_ieee_div_zero 0
		.amdhsa_exception_fp_ieee_overflow 0
		.amdhsa_exception_fp_ieee_underflow 0
		.amdhsa_exception_fp_ieee_inexact 0
		.amdhsa_exception_int_div_zero 0
	.end_amdhsa_kernel
	.section	.text._ZN2at4cuda12_GLOBAL__N_121kernelPointwiseApply2IZN12_GLOBAL__N_117gamma_cuda_kernelIN3c108BFloat16EEEvRKNS_10TensorBaseES9_NS_15PhiloxCudaStateEEUlRS6_RKS6_E_S6_S6_mLi1ELi1ELi1ELi256ELi2EEEvNS0_6detail10TensorInfoIT0_T2_EENSG_IT1_SI_EESI_T_,"axG",@progbits,_ZN2at4cuda12_GLOBAL__N_121kernelPointwiseApply2IZN12_GLOBAL__N_117gamma_cuda_kernelIN3c108BFloat16EEEvRKNS_10TensorBaseES9_NS_15PhiloxCudaStateEEUlRS6_RKS6_E_S6_S6_mLi1ELi1ELi1ELi256ELi2EEEvNS0_6detail10TensorInfoIT0_T2_EENSG_IT1_SI_EESI_T_,comdat
.Lfunc_end151:
	.size	_ZN2at4cuda12_GLOBAL__N_121kernelPointwiseApply2IZN12_GLOBAL__N_117gamma_cuda_kernelIN3c108BFloat16EEEvRKNS_10TensorBaseES9_NS_15PhiloxCudaStateEEUlRS6_RKS6_E_S6_S6_mLi1ELi1ELi1ELi256ELi2EEEvNS0_6detail10TensorInfoIT0_T2_EENSG_IT1_SI_EESI_T_, .Lfunc_end151-_ZN2at4cuda12_GLOBAL__N_121kernelPointwiseApply2IZN12_GLOBAL__N_117gamma_cuda_kernelIN3c108BFloat16EEEvRKNS_10TensorBaseES9_NS_15PhiloxCudaStateEEUlRS6_RKS6_E_S6_S6_mLi1ELi1ELi1ELi256ELi2EEEvNS0_6detail10TensorInfoIT0_T2_EENSG_IT1_SI_EESI_T_
                                        ; -- End function
	.section	.AMDGPU.csdata,"",@progbits
; Kernel info:
; codeLenInByte = 5216
; NumSgprs: 74
; NumVgprs: 64
; NumAgprs: 0
; TotalNumVgprs: 64
; ScratchSize: 0
; MemoryBound: 0
; FloatMode: 240
; IeeeMode: 1
; LDSByteSize: 0 bytes/workgroup (compile time only)
; SGPRBlocks: 9
; VGPRBlocks: 7
; NumSGPRsForWavesPerEU: 74
; NumVGPRsForWavesPerEU: 64
; AccumOffset: 64
; Occupancy: 8
; WaveLimiterHint : 1
; COMPUTE_PGM_RSRC2:SCRATCH_EN: 0
; COMPUTE_PGM_RSRC2:USER_SGPR: 6
; COMPUTE_PGM_RSRC2:TRAP_HANDLER: 0
; COMPUTE_PGM_RSRC2:TGID_X_EN: 1
; COMPUTE_PGM_RSRC2:TGID_Y_EN: 0
; COMPUTE_PGM_RSRC2:TGID_Z_EN: 0
; COMPUTE_PGM_RSRC2:TIDIG_COMP_CNT: 0
; COMPUTE_PGM_RSRC3_GFX90A:ACCUM_OFFSET: 15
; COMPUTE_PGM_RSRC3_GFX90A:TG_SPLIT: 0
	.section	.text._ZN2at4cuda12_GLOBAL__N_121kernelPointwiseApply2IZN12_GLOBAL__N_117gamma_cuda_kernelIN3c108BFloat16EEEvRKNS_10TensorBaseES9_NS_15PhiloxCudaStateEEUlRS6_RKS6_E_S6_S6_mLin1ELin1ELi1ELi256ELi2EEEvNS0_6detail10TensorInfoIT0_T2_EENSG_IT1_SI_EESI_T_,"axG",@progbits,_ZN2at4cuda12_GLOBAL__N_121kernelPointwiseApply2IZN12_GLOBAL__N_117gamma_cuda_kernelIN3c108BFloat16EEEvRKNS_10TensorBaseES9_NS_15PhiloxCudaStateEEUlRS6_RKS6_E_S6_S6_mLin1ELin1ELi1ELi256ELi2EEEvNS0_6detail10TensorInfoIT0_T2_EENSG_IT1_SI_EESI_T_,comdat
	.globl	_ZN2at4cuda12_GLOBAL__N_121kernelPointwiseApply2IZN12_GLOBAL__N_117gamma_cuda_kernelIN3c108BFloat16EEEvRKNS_10TensorBaseES9_NS_15PhiloxCudaStateEEUlRS6_RKS6_E_S6_S6_mLin1ELin1ELi1ELi256ELi2EEEvNS0_6detail10TensorInfoIT0_T2_EENSG_IT1_SI_EESI_T_ ; -- Begin function _ZN2at4cuda12_GLOBAL__N_121kernelPointwiseApply2IZN12_GLOBAL__N_117gamma_cuda_kernelIN3c108BFloat16EEEvRKNS_10TensorBaseES9_NS_15PhiloxCudaStateEEUlRS6_RKS6_E_S6_S6_mLin1ELin1ELi1ELi256ELi2EEEvNS0_6detail10TensorInfoIT0_T2_EENSG_IT1_SI_EESI_T_
	.p2align	8
	.type	_ZN2at4cuda12_GLOBAL__N_121kernelPointwiseApply2IZN12_GLOBAL__N_117gamma_cuda_kernelIN3c108BFloat16EEEvRKNS_10TensorBaseES9_NS_15PhiloxCudaStateEEUlRS6_RKS6_E_S6_S6_mLin1ELin1ELi1ELi256ELi2EEEvNS0_6detail10TensorInfoIT0_T2_EENSG_IT1_SI_EESI_T_,@function
_ZN2at4cuda12_GLOBAL__N_121kernelPointwiseApply2IZN12_GLOBAL__N_117gamma_cuda_kernelIN3c108BFloat16EEEvRKNS_10TensorBaseES9_NS_15PhiloxCudaStateEEUlRS6_RKS6_E_S6_S6_mLin1ELin1ELi1ELi256ELi2EEEvNS0_6detail10TensorInfoIT0_T2_EENSG_IT1_SI_EESI_T_: ; @_ZN2at4cuda12_GLOBAL__N_121kernelPointwiseApply2IZN12_GLOBAL__N_117gamma_cuda_kernelIN3c108BFloat16EEEvRKNS_10TensorBaseES9_NS_15PhiloxCudaStateEEUlRS6_RKS6_E_S6_S6_mLin1ELin1ELi1ELi256ELi2EEEvNS0_6detail10TensorInfoIT0_T2_EENSG_IT1_SI_EESI_T_
; %bb.0:
	s_load_dword s2, s[4:5], 0x374
	s_load_dwordx8 s[8:15], s[4:5], 0x340
	s_add_u32 s0, s4, 0x368
	s_addc_u32 s1, s5, 0
	v_mov_b32_e32 v18, 0
	s_waitcnt lgkmcnt(0)
	s_and_b32 s2, s2, 0xffff
	s_mul_i32 s6, s6, s2
	v_add_u32_e32 v16, s6, v0
	v_mov_b32_e32 v17, v18
	v_cmp_gt_u64_e32 vcc, s[8:9], v[16:17]
	s_and_saveexec_b64 s[6:7], vcc
	s_cbranch_execz .LBB152_48
; %bb.1:
	s_add_u32 s3, s4, 0x1a0
	s_load_dword s28, s[0:1], 0x0
	s_load_dword s29, s[4:5], 0x198
	;; [unrolled: 1-line block ×4, first 2 shown]
	s_load_dwordx2 s[6:7], s[4:5], 0x1a0
	s_load_dwordx2 s[16:17], s[4:5], 0xd0
	s_addc_u32 s30, s5, 0
	s_waitcnt lgkmcnt(0)
	s_cmp_gt_i32 s29, 1
	s_cselect_b64 s[18:19], -1, 0
	s_cmp_gt_i32 s31, 1
	s_mov_b32 s33, 0xcd9e8d57
	s_cselect_b64 s[22:23], -1, 0
	s_bitcmp1_b32 s26, 0
	v_mad_u64_u32 v[20:21], s[0:1], v16, s33, 0
	s_mov_b32 s45, 0
	s_cselect_b64 s[26:27], -1, 0
	s_add_i32 s0, s29, -1
	s_mov_b32 s1, s45
	s_add_i32 s46, s29, 1
	s_lshl_b64 s[0:1], s[0:1], 3
	s_add_u32 s0, s0, s4
	s_addc_u32 s1, s1, s5
	s_mul_i32 s44, s28, s2
	s_add_u32 s28, s0, 8
	s_addc_u32 s29, s1, 0
	s_add_i32 s0, s31, -1
	s_mov_b32 s1, s45
	s_load_dwordx2 s[20:21], s[4:5], 0x270
	s_load_dwordx2 s[24:25], s[4:5], 0x0
	s_add_i32 s47, s31, 1
	s_lshl_b64 s[0:1], s[0:1], 3
	s_add_u32 s0, s0, s3
	s_addc_u32 s1, s1, s30
	s_add_u32 s30, s0, 8
	v_mov_b32_e32 v22, v21
	s_addc_u32 s31, s1, 0
	s_mov_b64 s[34:35], 0
	s_mov_b32 s48, 0xd2511f53
	s_mov_b32 s49, 0x3f2aaaab
	v_mov_b32_e32 v21, 0x3ecccdef
	s_mov_b32 s50, 0x3f317218
	s_movk_i32 s51, 0x204
	s_mov_b32 s52, 0x7f800000
	s_mov_b32 s53, 0x42b17218
	;; [unrolled: 1-line block ×4, first 2 shown]
	s_brev_b32 s56, -2
	s_movk_i32 s57, 0x7fff
	s_mov_b32 s58, 0xf800000
	v_mov_b32_e32 v23, 0x260
	s_mov_b32 s59, 0x3c6ef372
	s_mov_b32 s60, 0x76cf5d0a
	;; [unrolled: 1-line block ×17, first 2 shown]
	v_mov_b32_e32 v32, 0x37000000
	v_mov_b32_e32 v33, 0x7f800000
	;; [unrolled: 1-line block ×7, first 2 shown]
	v_pk_mov_b32 v[24:25], v[16:17], v[16:17] op_sel:[0,1]
	s_branch .LBB152_4
.LBB152_2:                              ;   in Loop: Header=BB152_4 Depth=1
	s_or_b64 exec, exec, s[0:1]
.LBB152_3:                              ;   in Loop: Header=BB152_4 Depth=1
	s_or_b64 exec, exec, s[2:3]
	v_lshlrev_b64 v[0:1], 1, v[26:27]
	s_waitcnt lgkmcnt(0)
	v_mov_b32_e32 v2, s25
	v_add_co_u32_e32 v0, vcc, s24, v0
	v_addc_co_u32_e32 v1, vcc, v2, v1, vcc
	v_lshlrev_b32_e32 v2, 16, v8
	v_cmp_ngt_f32_e32 vcc, s67, v2
	v_cndmask_b32_e32 v2, v38, v8, vcc
	v_mov_b32_e32 v3, s45
	v_add_co_u32_e32 v24, vcc, s44, v24
	v_addc_co_u32_e32 v25, vcc, v25, v3, vcc
	v_cmp_le_u64_e32 vcc, s[8:9], v[24:25]
	s_or_b64 s[34:35], vcc, s[34:35]
	global_store_short v[0:1], v2, off
	s_andn2_b64 exec, exec, s[34:35]
	s_cbranch_execz .LBB152_48
.LBB152_4:                              ; =>This Loop Header: Depth=1
                                        ;     Child Loop BB152_6 Depth 2
                                        ;     Child Loop BB152_15 Depth 2
	;; [unrolled: 1-line block ×3, first 2 shown]
	v_sub_u32_e32 v0, s8, v24
	v_cmp_lt_i32_e64 s[0:1], 0, v0
	v_pk_mov_b32 v[26:27], 0, 0
	s_and_saveexec_b64 s[4:5], s[0:1]
	s_cbranch_execz .LBB152_13
; %bb.5:                                ;   in Loop: Header=BB152_4 Depth=1
	s_andn2_b64 vcc, exec, s[18:19]
	v_pk_mov_b32 v[0:1], 0, 0
	s_mov_b64 s[36:37], s[28:29]
	s_mov_b32 s42, s46
	v_pk_mov_b32 v[2:3], v[24:25], v[24:25] op_sel:[0,1]
	v_pk_mov_b32 v[4:5], v[24:25], v[24:25] op_sel:[0,1]
	s_cbranch_vccnz .LBB152_12
.LBB152_6:                              ;   Parent Loop BB152_4 Depth=1
                                        ; =>  This Inner Loop Header: Depth=2
	s_load_dwordx2 s[38:39], s[36:37], 0x0
                                        ; implicit-def: $vgpr4_vgpr5
	s_waitcnt lgkmcnt(0)
	v_or_b32_e32 v19, s39, v3
	v_cmp_ne_u64_e32 vcc, 0, v[18:19]
	s_and_saveexec_b64 s[2:3], vcc
	s_xor_b64 s[40:41], exec, s[2:3]
	s_cbranch_execz .LBB152_8
; %bb.7:                                ;   in Loop: Header=BB152_6 Depth=2
	v_cvt_f32_u32_e32 v4, s38
	v_cvt_f32_u32_e32 v5, s39
	s_sub_u32 s2, 0, s38
	s_subb_u32 s3, 0, s39
	v_mac_f32_e32 v4, 0x4f800000, v5
	v_rcp_f32_e32 v4, v4
	v_mul_f32_e32 v4, 0x5f7ffffc, v4
	v_mul_f32_e32 v5, 0x2f800000, v4
	v_trunc_f32_e32 v5, v5
	v_mac_f32_e32 v4, 0xcf800000, v5
	v_cvt_u32_f32_e32 v5, v5
	v_cvt_u32_f32_e32 v4, v4
	v_mul_lo_u32 v6, s2, v5
	v_mul_hi_u32 v8, s2, v4
	v_mul_lo_u32 v7, s3, v4
	v_add_u32_e32 v6, v8, v6
	v_mul_lo_u32 v9, s2, v4
	v_add_u32_e32 v6, v6, v7
	v_mul_hi_u32 v8, v4, v9
	v_mul_lo_u32 v10, v4, v6
	v_mul_hi_u32 v7, v4, v6
	v_add_co_u32_e32 v8, vcc, v8, v10
	v_addc_co_u32_e32 v7, vcc, 0, v7, vcc
	v_mul_hi_u32 v11, v5, v9
	v_mul_lo_u32 v9, v5, v9
	v_add_co_u32_e32 v8, vcc, v8, v9
	v_mul_hi_u32 v10, v5, v6
	v_addc_co_u32_e32 v7, vcc, v7, v11, vcc
	v_addc_co_u32_e32 v8, vcc, 0, v10, vcc
	v_mul_lo_u32 v6, v5, v6
	v_add_co_u32_e32 v6, vcc, v7, v6
	v_addc_co_u32_e32 v7, vcc, 0, v8, vcc
	v_add_co_u32_e32 v4, vcc, v4, v6
	v_addc_co_u32_e32 v5, vcc, v5, v7, vcc
	v_mul_lo_u32 v6, s2, v5
	v_mul_hi_u32 v7, s2, v4
	v_add_u32_e32 v6, v7, v6
	v_mul_lo_u32 v7, s3, v4
	v_add_u32_e32 v6, v6, v7
	v_mul_lo_u32 v8, s2, v4
	v_mul_hi_u32 v9, v5, v8
	v_mul_lo_u32 v10, v5, v8
	v_mul_lo_u32 v12, v4, v6
	v_mul_hi_u32 v8, v4, v8
	v_mul_hi_u32 v11, v4, v6
	v_add_co_u32_e32 v8, vcc, v8, v12
	v_addc_co_u32_e32 v11, vcc, 0, v11, vcc
	v_add_co_u32_e32 v8, vcc, v8, v10
	v_mul_hi_u32 v7, v5, v6
	v_addc_co_u32_e32 v8, vcc, v11, v9, vcc
	v_addc_co_u32_e32 v7, vcc, 0, v7, vcc
	v_mul_lo_u32 v6, v5, v6
	v_add_co_u32_e32 v6, vcc, v8, v6
	v_addc_co_u32_e32 v7, vcc, 0, v7, vcc
	v_add_co_u32_e32 v6, vcc, v4, v6
	v_addc_co_u32_e32 v7, vcc, v5, v7, vcc
	v_mad_u64_u32 v[4:5], s[2:3], v2, v7, 0
	v_mul_hi_u32 v8, v2, v6
	v_add_co_u32_e32 v8, vcc, v8, v4
	v_addc_co_u32_e32 v9, vcc, 0, v5, vcc
	v_mad_u64_u32 v[4:5], s[2:3], v3, v7, 0
	v_mad_u64_u32 v[6:7], s[2:3], v3, v6, 0
	v_add_co_u32_e32 v6, vcc, v8, v6
	v_addc_co_u32_e32 v6, vcc, v9, v7, vcc
	v_addc_co_u32_e32 v5, vcc, 0, v5, vcc
	v_add_co_u32_e32 v6, vcc, v6, v4
	v_addc_co_u32_e32 v7, vcc, 0, v5, vcc
	v_mul_lo_u32 v8, s39, v6
	v_mul_lo_u32 v9, s38, v7
	v_mad_u64_u32 v[4:5], s[2:3], s38, v6, 0
	v_add3_u32 v5, v5, v9, v8
	v_sub_u32_e32 v8, v3, v5
	v_mov_b32_e32 v9, s39
	v_sub_co_u32_e32 v4, vcc, v2, v4
	v_subb_co_u32_e64 v8, s[2:3], v8, v9, vcc
	v_subrev_co_u32_e64 v9, s[2:3], s38, v4
	v_subbrev_co_u32_e64 v8, s[2:3], 0, v8, s[2:3]
	v_cmp_le_u32_e64 s[2:3], s39, v8
	v_cndmask_b32_e64 v10, 0, -1, s[2:3]
	v_cmp_le_u32_e64 s[2:3], s38, v9
	v_cndmask_b32_e64 v9, 0, -1, s[2:3]
	v_cmp_eq_u32_e64 s[2:3], s39, v8
	v_cndmask_b32_e64 v8, v10, v9, s[2:3]
	v_add_co_u32_e64 v9, s[2:3], 2, v6
	v_addc_co_u32_e64 v10, s[2:3], 0, v7, s[2:3]
	v_add_co_u32_e64 v11, s[2:3], 1, v6
	v_addc_co_u32_e64 v12, s[2:3], 0, v7, s[2:3]
	v_subb_co_u32_e32 v5, vcc, v3, v5, vcc
	v_cmp_ne_u32_e64 s[2:3], 0, v8
	v_cmp_le_u32_e32 vcc, s39, v5
	v_cndmask_b32_e64 v8, v12, v10, s[2:3]
	v_cndmask_b32_e64 v10, 0, -1, vcc
	v_cmp_le_u32_e32 vcc, s38, v4
	v_cndmask_b32_e64 v4, 0, -1, vcc
	v_cmp_eq_u32_e32 vcc, s39, v5
	v_cndmask_b32_e32 v4, v10, v4, vcc
	v_cmp_ne_u32_e32 vcc, 0, v4
	v_cndmask_b32_e64 v4, v11, v9, s[2:3]
	v_cndmask_b32_e32 v5, v7, v8, vcc
	v_cndmask_b32_e32 v4, v6, v4, vcc
.LBB152_8:                              ;   in Loop: Header=BB152_6 Depth=2
	s_andn2_saveexec_b64 s[2:3], s[40:41]
	s_cbranch_execz .LBB152_10
; %bb.9:                                ;   in Loop: Header=BB152_6 Depth=2
	v_cvt_f32_u32_e32 v4, s38
	s_sub_i32 s40, 0, s38
	v_rcp_iflag_f32_e32 v4, v4
	v_mul_f32_e32 v4, 0x4f7ffffe, v4
	v_cvt_u32_f32_e32 v4, v4
	v_mul_lo_u32 v5, s40, v4
	v_mul_hi_u32 v5, v4, v5
	v_add_u32_e32 v4, v4, v5
	v_mul_hi_u32 v4, v2, v4
	v_mul_lo_u32 v5, v4, s38
	v_sub_u32_e32 v5, v2, v5
	v_add_u32_e32 v6, 1, v4
	v_subrev_u32_e32 v7, s38, v5
	v_cmp_le_u32_e32 vcc, s38, v5
	v_cndmask_b32_e32 v5, v5, v7, vcc
	v_cndmask_b32_e32 v4, v4, v6, vcc
	v_add_u32_e32 v6, 1, v4
	v_cmp_le_u32_e32 vcc, s38, v5
	v_cndmask_b32_e32 v4, v4, v6, vcc
	v_mov_b32_e32 v5, v18
.LBB152_10:                             ;   in Loop: Header=BB152_6 Depth=2
	s_or_b64 exec, exec, s[2:3]
	v_mad_u64_u32 v[6:7], s[2:3], v4, s38, 0
	s_load_dwordx2 s[2:3], s[36:37], 0xc8
	v_mul_lo_u32 v8, v5, s38
	v_mul_lo_u32 v9, v4, s39
	v_add3_u32 v7, v7, v9, v8
	v_sub_co_u32_e32 v2, vcc, v2, v6
	s_add_i32 s42, s42, -1
	v_subb_co_u32_e32 v3, vcc, v3, v7, vcc
	s_add_u32 s36, s36, -8
	s_waitcnt lgkmcnt(0)
	v_mul_lo_u32 v3, s2, v3
	v_mul_lo_u32 v6, s3, v2
	v_mad_u64_u32 v[0:1], s[2:3], s2, v2, v[0:1]
	s_addc_u32 s37, s37, -1
	s_cmp_gt_u32 s42, 2
	v_add3_u32 v1, v6, v1, v3
	s_cbranch_scc0 .LBB152_12
; %bb.11:                               ;   in Loop: Header=BB152_6 Depth=2
	v_pk_mov_b32 v[2:3], v[4:5], v[4:5] op_sel:[0,1]
	s_branch .LBB152_6
.LBB152_12:                             ;   in Loop: Header=BB152_4 Depth=1
	v_mad_u64_u32 v[26:27], s[2:3], s16, v4, v[0:1]
	v_mul_lo_u32 v0, s16, v5
	v_mul_lo_u32 v1, s17, v4
	v_add3_u32 v27, v1, v27, v0
.LBB152_13:                             ;   in Loop: Header=BB152_4 Depth=1
	s_or_b64 exec, exec, s[4:5]
	v_pk_mov_b32 v[0:1], 0, 0
	s_and_saveexec_b64 s[2:3], s[0:1]
	s_cbranch_execz .LBB152_22
; %bb.14:                               ;   in Loop: Header=BB152_4 Depth=1
	s_andn2_b64 vcc, exec, s[22:23]
	v_pk_mov_b32 v[0:1], 0, 0
	s_mov_b64 s[4:5], s[30:31]
	s_mov_b32 s40, s47
	v_pk_mov_b32 v[2:3], v[24:25], v[24:25] op_sel:[0,1]
	v_pk_mov_b32 v[4:5], v[24:25], v[24:25] op_sel:[0,1]
	s_cbranch_vccnz .LBB152_21
.LBB152_15:                             ;   Parent Loop BB152_4 Depth=1
                                        ; =>  This Inner Loop Header: Depth=2
	s_load_dwordx2 s[36:37], s[4:5], 0x0
                                        ; implicit-def: $vgpr4_vgpr5
	s_waitcnt lgkmcnt(0)
	v_or_b32_e32 v19, s37, v3
	v_cmp_ne_u64_e32 vcc, 0, v[18:19]
	s_and_saveexec_b64 s[0:1], vcc
	s_xor_b64 s[38:39], exec, s[0:1]
	s_cbranch_execz .LBB152_17
; %bb.16:                               ;   in Loop: Header=BB152_15 Depth=2
	v_cvt_f32_u32_e32 v4, s36
	v_cvt_f32_u32_e32 v5, s37
	s_sub_u32 s0, 0, s36
	s_subb_u32 s1, 0, s37
	v_mac_f32_e32 v4, 0x4f800000, v5
	v_rcp_f32_e32 v4, v4
	v_mul_f32_e32 v4, 0x5f7ffffc, v4
	v_mul_f32_e32 v5, 0x2f800000, v4
	v_trunc_f32_e32 v5, v5
	v_mac_f32_e32 v4, 0xcf800000, v5
	v_cvt_u32_f32_e32 v5, v5
	v_cvt_u32_f32_e32 v4, v4
	v_mul_lo_u32 v6, s0, v5
	v_mul_hi_u32 v8, s0, v4
	v_mul_lo_u32 v7, s1, v4
	v_add_u32_e32 v6, v8, v6
	v_mul_lo_u32 v9, s0, v4
	v_add_u32_e32 v6, v6, v7
	v_mul_hi_u32 v8, v4, v9
	v_mul_lo_u32 v10, v4, v6
	v_mul_hi_u32 v7, v4, v6
	v_add_co_u32_e32 v8, vcc, v8, v10
	v_addc_co_u32_e32 v7, vcc, 0, v7, vcc
	v_mul_hi_u32 v11, v5, v9
	v_mul_lo_u32 v9, v5, v9
	v_add_co_u32_e32 v8, vcc, v8, v9
	v_mul_hi_u32 v10, v5, v6
	v_addc_co_u32_e32 v7, vcc, v7, v11, vcc
	v_addc_co_u32_e32 v8, vcc, 0, v10, vcc
	v_mul_lo_u32 v6, v5, v6
	v_add_co_u32_e32 v6, vcc, v7, v6
	v_addc_co_u32_e32 v7, vcc, 0, v8, vcc
	v_add_co_u32_e32 v4, vcc, v4, v6
	v_addc_co_u32_e32 v5, vcc, v5, v7, vcc
	v_mul_lo_u32 v6, s0, v5
	v_mul_hi_u32 v7, s0, v4
	v_add_u32_e32 v6, v7, v6
	v_mul_lo_u32 v7, s1, v4
	v_add_u32_e32 v6, v6, v7
	v_mul_lo_u32 v8, s0, v4
	v_mul_hi_u32 v9, v5, v8
	v_mul_lo_u32 v10, v5, v8
	v_mul_lo_u32 v12, v4, v6
	v_mul_hi_u32 v8, v4, v8
	v_mul_hi_u32 v11, v4, v6
	v_add_co_u32_e32 v8, vcc, v8, v12
	v_addc_co_u32_e32 v11, vcc, 0, v11, vcc
	v_add_co_u32_e32 v8, vcc, v8, v10
	v_mul_hi_u32 v7, v5, v6
	v_addc_co_u32_e32 v8, vcc, v11, v9, vcc
	v_addc_co_u32_e32 v7, vcc, 0, v7, vcc
	v_mul_lo_u32 v6, v5, v6
	v_add_co_u32_e32 v6, vcc, v8, v6
	v_addc_co_u32_e32 v7, vcc, 0, v7, vcc
	v_add_co_u32_e32 v6, vcc, v4, v6
	v_addc_co_u32_e32 v7, vcc, v5, v7, vcc
	v_mad_u64_u32 v[4:5], s[0:1], v2, v7, 0
	v_mul_hi_u32 v8, v2, v6
	v_add_co_u32_e32 v8, vcc, v8, v4
	v_addc_co_u32_e32 v9, vcc, 0, v5, vcc
	v_mad_u64_u32 v[4:5], s[0:1], v3, v7, 0
	v_mad_u64_u32 v[6:7], s[0:1], v3, v6, 0
	v_add_co_u32_e32 v6, vcc, v8, v6
	v_addc_co_u32_e32 v6, vcc, v9, v7, vcc
	v_addc_co_u32_e32 v5, vcc, 0, v5, vcc
	v_add_co_u32_e32 v6, vcc, v6, v4
	v_addc_co_u32_e32 v7, vcc, 0, v5, vcc
	v_mul_lo_u32 v8, s37, v6
	v_mul_lo_u32 v9, s36, v7
	v_mad_u64_u32 v[4:5], s[0:1], s36, v6, 0
	v_add3_u32 v5, v5, v9, v8
	v_sub_u32_e32 v8, v3, v5
	v_mov_b32_e32 v9, s37
	v_sub_co_u32_e32 v4, vcc, v2, v4
	v_subb_co_u32_e64 v8, s[0:1], v8, v9, vcc
	v_subrev_co_u32_e64 v9, s[0:1], s36, v4
	v_subbrev_co_u32_e64 v8, s[0:1], 0, v8, s[0:1]
	v_cmp_le_u32_e64 s[0:1], s37, v8
	v_cndmask_b32_e64 v10, 0, -1, s[0:1]
	v_cmp_le_u32_e64 s[0:1], s36, v9
	v_cndmask_b32_e64 v9, 0, -1, s[0:1]
	v_cmp_eq_u32_e64 s[0:1], s37, v8
	v_cndmask_b32_e64 v8, v10, v9, s[0:1]
	v_add_co_u32_e64 v9, s[0:1], 2, v6
	v_addc_co_u32_e64 v10, s[0:1], 0, v7, s[0:1]
	v_add_co_u32_e64 v11, s[0:1], 1, v6
	v_addc_co_u32_e64 v12, s[0:1], 0, v7, s[0:1]
	v_subb_co_u32_e32 v5, vcc, v3, v5, vcc
	v_cmp_ne_u32_e64 s[0:1], 0, v8
	v_cmp_le_u32_e32 vcc, s37, v5
	v_cndmask_b32_e64 v8, v12, v10, s[0:1]
	v_cndmask_b32_e64 v10, 0, -1, vcc
	v_cmp_le_u32_e32 vcc, s36, v4
	v_cndmask_b32_e64 v4, 0, -1, vcc
	v_cmp_eq_u32_e32 vcc, s37, v5
	v_cndmask_b32_e32 v4, v10, v4, vcc
	v_cmp_ne_u32_e32 vcc, 0, v4
	v_cndmask_b32_e64 v4, v11, v9, s[0:1]
	v_cndmask_b32_e32 v5, v7, v8, vcc
	v_cndmask_b32_e32 v4, v6, v4, vcc
.LBB152_17:                             ;   in Loop: Header=BB152_15 Depth=2
	s_andn2_saveexec_b64 s[0:1], s[38:39]
	s_cbranch_execz .LBB152_19
; %bb.18:                               ;   in Loop: Header=BB152_15 Depth=2
	v_cvt_f32_u32_e32 v4, s36
	s_sub_i32 s38, 0, s36
	v_rcp_iflag_f32_e32 v4, v4
	v_mul_f32_e32 v4, 0x4f7ffffe, v4
	v_cvt_u32_f32_e32 v4, v4
	v_mul_lo_u32 v5, s38, v4
	v_mul_hi_u32 v5, v4, v5
	v_add_u32_e32 v4, v4, v5
	v_mul_hi_u32 v4, v2, v4
	v_mul_lo_u32 v5, v4, s36
	v_sub_u32_e32 v5, v2, v5
	v_add_u32_e32 v6, 1, v4
	v_subrev_u32_e32 v7, s36, v5
	v_cmp_le_u32_e32 vcc, s36, v5
	v_cndmask_b32_e32 v5, v5, v7, vcc
	v_cndmask_b32_e32 v4, v4, v6, vcc
	v_add_u32_e32 v6, 1, v4
	v_cmp_le_u32_e32 vcc, s36, v5
	v_cndmask_b32_e32 v4, v4, v6, vcc
	v_mov_b32_e32 v5, v18
.LBB152_19:                             ;   in Loop: Header=BB152_15 Depth=2
	s_or_b64 exec, exec, s[0:1]
	v_mad_u64_u32 v[6:7], s[0:1], v4, s36, 0
	s_load_dwordx2 s[0:1], s[4:5], 0xc8
	v_mul_lo_u32 v8, v5, s36
	v_mul_lo_u32 v9, v4, s37
	v_add3_u32 v7, v7, v9, v8
	v_sub_co_u32_e32 v2, vcc, v2, v6
	s_add_i32 s40, s40, -1
	v_subb_co_u32_e32 v3, vcc, v3, v7, vcc
	s_add_u32 s4, s4, -8
	s_waitcnt lgkmcnt(0)
	v_mul_lo_u32 v3, s0, v3
	v_mul_lo_u32 v6, s1, v2
	v_mad_u64_u32 v[0:1], s[0:1], s0, v2, v[0:1]
	s_addc_u32 s5, s5, -1
	s_cmp_gt_u32 s40, 2
	v_add3_u32 v1, v6, v1, v3
	s_cbranch_scc0 .LBB152_21
; %bb.20:                               ;   in Loop: Header=BB152_15 Depth=2
	v_pk_mov_b32 v[2:3], v[4:5], v[4:5] op_sel:[0,1]
	s_branch .LBB152_15
.LBB152_21:                             ;   in Loop: Header=BB152_4 Depth=1
	s_waitcnt lgkmcnt(0)
	v_mad_u64_u32 v[0:1], s[0:1], s20, v4, v[0:1]
	v_mul_lo_u32 v2, s20, v5
	v_mul_lo_u32 v3, s21, v4
	v_add3_u32 v1, v3, v1, v2
.LBB152_22:                             ;   in Loop: Header=BB152_4 Depth=1
	s_or_b64 exec, exec, s[2:3]
	v_lshlrev_b64 v[0:1], 1, v[0:1]
	v_mov_b32_e32 v2, s7
	v_add_co_u32_e32 v0, vcc, s6, v0
	v_addc_co_u32_e32 v1, vcc, v2, v1, vcc
	global_load_ushort v8, v[0:1], off
	s_andn2_b64 vcc, exec, s[26:27]
	v_pk_mov_b32 v[0:1], s[12:13], s[12:13] op_sel:[0,1]
	v_pk_mov_b32 v[28:29], s[10:11], s[10:11] op_sel:[0,1]
	s_cbranch_vccnz .LBB152_24
; %bb.23:                               ;   in Loop: Header=BB152_4 Depth=1
	v_pk_mov_b32 v[0:1], s[12:13], s[12:13] op_sel:[0,1]
	flat_load_dwordx2 v[0:1], v[0:1]
	v_pk_mov_b32 v[2:3], s[10:11], s[10:11] op_sel:[0,1]
	flat_load_dwordx2 v[28:29], v[2:3]
	v_mov_b32_e32 v2, s15
	s_waitcnt vmcnt(0) lgkmcnt(0)
	v_add_co_u32_e32 v0, vcc, s14, v0
	v_addc_co_u32_e32 v1, vcc, v1, v2, vcc
.LBB152_24:                             ;   in Loop: Header=BB152_4 Depth=1
	v_and_b32_e32 v39, 3, v0
	v_alignbit_b32 v0, v1, v0, 2
	v_mad_u64_u32 v[6:7], s[0:1], v0, s48, 0
	v_lshrrev_b32_e32 v1, 2, v1
	v_xor_b32_e32 v5, v7, v29
	v_xor_b32_e32 v7, v22, v28
	v_mov_b32_e32 v4, v29
	v_xor_b32_e32 v7, v7, v1
	v_add_co_u32_e32 v30, vcc, s69, v4
	v_mad_u64_u32 v[10:11], s[0:1], v7, s48, 0
	v_mad_u64_u32 v[12:13], s[0:1], v5, s33, 0
	v_add_co_u32_e32 v31, vcc, 0x9e3779b9, v28
	v_xor_b32_e32 v5, v20, v13
	v_xor_b32_e32 v7, v30, v11
	v_xor_b32_e32 v5, v5, v31
	v_xor_b32_e32 v9, v7, v6
	v_add_co_u32_e32 v42, vcc, s59, v28
	v_add_co_u32_e32 v41, vcc, s60, v4
	v_mad_u64_u32 v[6:7], s[0:1], v5, s48, 0
	v_mad_u64_u32 v[14:15], s[0:1], v9, s33, 0
	v_xor_b32_e32 v5, v42, v15
	v_xor_b32_e32 v7, v41, v7
	v_xor_b32_e32 v5, v5, v12
	v_xor_b32_e32 v7, v7, v10
	v_add_co_u32_e32 v44, vcc, s70, v28
	v_add_co_u32_e32 v43, vcc, s61, v4
	v_mad_u64_u32 v[10:11], s[0:1], v5, s48, 0
	v_mad_u64_u32 v[12:13], s[0:1], v7, s33, 0
	;; [unrolled: 8-line block ×7, first 2 shown]
	v_xor_b32_e32 v5, v54, v5
	v_xor_b32_e32 v7, v53, v7
	;; [unrolled: 1-line block ×4, first 2 shown]
	v_mad_u64_u32 v[12:13], s[0:1], v5, s48, 0
	v_mad_u64_u32 v[14:15], s[0:1], v7, s33, 0
	v_add_u32_e32 v17, 0x8ff34781, v28
	v_add_u32_e32 v19, 0x96a522ad, v29
	v_xor_b32_e32 v4, v15, v4
	v_xor_b32_e32 v5, v13, v6
	s_waitcnt vmcnt(0)
	v_lshlrev_b32_e32 v13, 16, v8
	v_mov_b32_e32 v2, v16
	v_mov_b32_e32 v3, v18
	v_xor_b32_e32 v4, v17, v4
	v_xor_b32_e32 v6, v19, v5
	v_mov_b32_e32 v5, v14
	v_mov_b32_e32 v7, v12
	v_cmp_gt_f32_e32 vcc, 1.0, v13
	s_mov_b64 s[0:1], -1
	v_mov_b32_e32 v40, 1.0
                                        ; implicit-def: $sgpr2
	s_and_saveexec_b64 s[36:37], vcc
	s_cbranch_execz .LBB152_30
; %bb.25:                               ;   in Loop: Header=BB152_4 Depth=1
	v_cmp_neq_f32_e32 vcc, 0, v13
	s_mov_b64 s[40:41], 0
	v_mov_b32_e32 v40, 1.0
	s_and_saveexec_b64 s[38:39], vcc
	s_cbranch_execz .LBB152_29
; %bb.26:                               ;   in Loop: Header=BB152_4 Depth=1
	v_add_u32_e32 v15, 1, v39
	v_pk_mov_b32 v[10:11], v[6:7], v[6:7] op_sel:[0,1]
	v_cmp_eq_u32_e32 vcc, 4, v15
	v_pk_mov_b32 v[8:9], v[4:5], v[4:5] op_sel:[0,1]
	s_and_saveexec_b64 s[0:1], vcc
	s_cbranch_execz .LBB152_28
; %bb.27:                               ;   in Loop: Header=BB152_4 Depth=1
	v_add_co_u32_e32 v0, vcc, 1, v0
	v_cndmask_b32_e64 v2, 0, 1, vcc
	v_addc_co_u32_e32 v1, vcc, 0, v1, vcc
	v_cmp_eq_u32_e32 vcc, 0, v1
	v_cndmask_b32_e32 v3, 0, v2, vcc
	v_add_u32_e32 v2, v3, v16
	v_cmp_eq_u32_e32 vcc, 0, v2
	v_mad_u64_u32 v[8:9], s[2:3], v0, s48, 0
	v_cndmask_b32_e32 v3, 0, v3, vcc
	v_mad_u64_u32 v[10:11], s[2:3], v2, s33, 0
	v_xor_b32_e32 v7, v9, v29
	v_xor_b32_e32 v5, v11, v28
	v_xor_b32_e32 v7, v3, v7
	v_xor_b32_e32 v5, v1, v5
	v_mad_u64_u32 v[58:59], s[2:3], v7, s33, 0
	v_mad_u64_u32 v[56:57], s[2:3], v5, s48, 0
	v_xor_b32_e32 v5, v31, v59
	v_xor_b32_e32 v5, v5, v10
	v_xor_b32_e32 v7, v30, v57
	v_xor_b32_e32 v7, v7, v8
	v_mad_u64_u32 v[8:9], s[2:3], v5, s48, 0
	;; [unrolled: 6-line block ×9, first 2 shown]
	v_mad_u64_u32 v[30:31], s[2:3], v5, s48, 0
	v_xor_b32_e32 v5, v41, v8
	v_xor_b32_e32 v8, v17, v5
	v_xor_b32_e32 v5, v31, v10
	v_mov_b32_e32 v15, 0
	v_xor_b32_e32 v10, v19, v5
	v_mov_b32_e32 v9, v40
	v_mov_b32_e32 v11, v30
.LBB152_28:                             ;   in Loop: Header=BB152_4 Depth=1
	s_or_b64 exec, exec, s[0:1]
	v_cmp_eq_u32_e32 vcc, 1, v39
	v_cndmask_b32_e32 v4, v4, v14, vcc
	v_cmp_eq_u32_e32 vcc, 2, v39
	v_cndmask_b32_e32 v4, v4, v6, vcc
	;; [unrolled: 2-line block ×3, first 2 shown]
	v_div_scale_f32 v5, s[0:1], v13, v13, 1.0
	v_cvt_f32_u32_e32 v4, v4
	v_rcp_f32_e32 v6, v5
	v_mov_b32_e32 v7, 0x2f800000
	s_mov_b64 s[40:41], exec
	v_fmac_f32_e32 v7, 0x2f800000, v4
	v_fma_f32 v4, -v5, v6, 1.0
	v_fmac_f32_e32 v6, v4, v6
	v_div_scale_f32 v4, vcc, 1.0, v13, 1.0
	v_sub_f32_e32 v14, 1.0, v7
	v_mul_f32_e32 v7, v4, v6
	v_fma_f32 v12, -v5, v7, v4
	v_fmac_f32_e32 v7, v12, v6
	v_fma_f32 v4, -v5, v7, v4
	v_div_fmas_f32 v4, v4, v6, v7
	v_div_fixup_f32 v50, v4, v13, 1.0
	v_cmp_eq_f32_e32 vcc, 1.0, v14
	v_cndmask_b32_e64 v51, v50, 1.0, vcc
	v_cmp_eq_f32_e64 s[0:1], 0, v51
	v_cndmask_b32_e64 v52, |v14|, 1.0, s[0:1]
	v_frexp_mant_f32_e32 v4, v52
	v_cmp_gt_f32_e64 s[2:3], s49, v4
	v_cndmask_b32_e64 v5, 1.0, 2.0, s[2:3]
	v_mul_f32_e32 v4, v4, v5
	v_add_f32_e32 v7, 1.0, v4
	v_rcp_f32_e32 v12, v7
	v_add_f32_e32 v5, -1.0, v7
	v_sub_f32_e32 v31, v4, v5
	v_add_f32_e32 v5, -1.0, v4
	v_mul_f32_e32 v39, v5, v12
	v_mul_f32_e32 v6, v7, v39
	v_fma_f32 v30, v39, v7, -v6
	v_fmac_f32_e32 v30, v39, v31
	v_add_f32_e32 v4, v6, v30
	v_sub_f32_e32 v7, v5, v4
	v_pk_add_f32 v[40:41], v[4:5], v[6:7] neg_lo:[0,1] neg_hi:[0,1]
	v_mov_b32_e32 v31, v4
	v_pk_add_f32 v[4:5], v[40:41], v[30:31] neg_lo:[0,1] neg_hi:[0,1]
	v_add_f32_e32 v4, v4, v5
	v_add_f32_e32 v4, v7, v4
	v_mul_f32_e32 v5, v12, v4
	v_add_f32_e32 v4, v39, v5
	v_sub_f32_e32 v6, v4, v39
	v_sub_f32_e32 v39, v5, v6
	v_mul_f32_e32 v5, v4, v4
	v_fma_f32 v7, v4, v4, -v5
	v_add_f32_e32 v6, v39, v39
	v_fmac_f32_e32 v7, v4, v6
	v_add_f32_e32 v6, v5, v7
	v_mov_b32_e32 v12, 0x3e91f4c4
	v_fmac_f32_e32 v12, 0x3e76c4e1, v6
	v_fma_f32 v12, v6, v12, v21
	v_sub_f32_e32 v5, v6, v5
	v_sub_f32_e32 v44, v7, v5
	v_mul_f32_e32 v5, v6, v12
	v_fma_f32 v7, v6, v12, -v5
	v_fmac_f32_e32 v7, v44, v12
	v_add_f32_e32 v12, v5, v7
	v_add_f32_e32 v31, 0x3f2aaaaa, v12
	v_sub_f32_e32 v5, v12, v5
	v_sub_f32_e32 v5, v7, v5
	v_add_f32_e32 v7, 0xbf2aaaaa, v31
	v_add_f32_e32 v5, 0x31739010, v5
	v_sub_f32_e32 v7, v12, v7
	v_pk_mul_f32 v[40:41], v[4:5], v[6:7]
	v_fma_f32 v30, v6, v4, -v40
	v_pk_add_f32 v[42:43], v[4:5], v[6:7]
	v_fmac_f32_e32 v30, v6, v39
	v_mov_b32_e32 v41, v43
	v_fmac_f32_e32 v30, v44, v4
	v_pk_add_f32 v[6:7], v[40:41], v[30:31]
	v_sub_f32_e32 v12, v31, v7
	v_sub_f32_e32 v5, v6, v40
	v_add_f32_e32 v42, v43, v12
	v_mov_b32_e32 v12, v7
	v_cvt_f64_f32_e32 v[40:41], v52
	v_sub_f32_e32 v5, v30, v5
	v_pk_mul_f32 v[30:31], v[6:7], v[12:13]
	v_frexp_exp_i32_f64_e32 v12, v[40:41]
	v_subbrev_co_u32_e64 v12, s[2:3], 0, v12, s[2:3]
	v_cvt_f32_i32_e32 v12, v12
	v_fma_f32 v40, v6, v7, -v30
	v_fmac_f32_e32 v40, v6, v42
	v_fmac_f32_e32 v40, v5, v7
	v_mul_f32_e32 v6, 0x3f317218, v12
	v_fma_f32 v42, v12, s50, -v6
	v_fmac_f32_e32 v42, 0xb102e308, v12
	v_ldexp_f32 v43, v4, 1
	v_add_f32_e32 v7, v30, v40
	v_pk_add_f32 v[4:5], v[6:7], v[42:43]
	v_mov_b32_e32 v44, v7
	v_mov_b32_e32 v45, v5
	;; [unrolled: 1-line block ×3, first 2 shown]
	v_pk_add_f32 v[30:31], v[44:45], v[30:31] neg_lo:[0,1] neg_hi:[0,1]
	v_mov_b32_e32 v41, v7
	v_ldexp_f32 v12, v39, 1
	v_pk_add_f32 v[30:31], v[40:41], v[30:31] neg_lo:[0,1] neg_hi:[0,1]
	v_add_f32_e32 v7, v12, v30
	v_add_f32_e32 v7, v7, v31
	v_pk_add_f32 v[30:31], v[4:5], v[6:7] neg_lo:[0,1] neg_hi:[0,1]
	v_pk_add_f32 v[40:41], v[4:5], v[6:7]
	v_mov_b32_e32 v44, v30
	v_mov_b32_e32 v45, v41
	;; [unrolled: 1-line block ×3, first 2 shown]
	v_pk_add_f32 v[44:45], v[42:43], v[44:45]
	v_mov_b32_e32 v6, v45
	v_pk_add_f32 v[46:47], v[6:7], v[4:5] neg_lo:[0,1] neg_hi:[0,1]
	v_mov_b32_e32 v39, v46
	v_mov_b32_e32 v44, v41
	v_mov_b32_e32 v4, v5
	v_mov_b32_e32 v5, v46
	v_pk_add_f32 v[30:31], v[42:43], v[30:31] neg_lo:[0,1] neg_hi:[0,1]
	v_pk_add_f32 v[48:49], v[40:41], v[38:39] neg_lo:[0,1] neg_hi:[0,1]
	;; [unrolled: 1-line block ×3, first 2 shown]
	v_mov_b32_e32 v42, v7
	v_pk_add_f32 v[4:5], v[42:43], v[4:5] neg_lo:[0,1] neg_hi:[0,1]
	v_mov_b32_e32 v48, v30
	v_pk_add_f32 v[40:41], v[48:49], v[4:5]
	v_mov_b32_e32 v12, v41
	v_pk_add_f32 v[42:43], v[40:41], v[12:13]
	v_pk_add_f32 v[6:7], v[6:7], v[42:43]
	v_mov_b32_e32 v31, v45
	v_mov_b32_e32 v41, v6
	v_pk_add_f32 v[44:45], v[40:41], v[30:31] neg_lo:[0,1] neg_hi:[0,1]
	v_mov_b32_e32 v5, v42
	v_sub_f32_e32 v7, v40, v44
	v_pk_add_f32 v[4:5], v[4:5], v[44:45] neg_lo:[0,1] neg_hi:[0,1]
	v_sub_f32_e32 v7, v30, v7
	v_add_f32_e32 v4, v4, v7
	v_add_f32_e32 v4, v4, v5
	;; [unrolled: 1-line block ×3, first 2 shown]
	v_sub_f32_e32 v6, v5, v6
	v_sub_f32_e32 v4, v4, v6
	v_mul_f32_e32 v6, v51, v5
	v_fma_f32 v5, v51, v5, -v6
	v_fmac_f32_e32 v5, v51, v4
	v_add_f32_e32 v4, v6, v5
	v_cmp_class_f32_e64 s[2:3], v6, s51
	v_sub_f32_e32 v7, v4, v6
	v_cndmask_b32_e64 v4, v4, v6, s[2:3]
	v_cmp_eq_f32_e64 s[2:3], s53, v4
	v_cndmask_b32_e64 v6, 0, v32, s[2:3]
	v_sub_f32_e32 v5, v5, v7
	v_sub_f32_e32 v7, v4, v6
	v_mul_f32_e32 v12, 0x3fb8aa3b, v7
	v_fma_f32 v30, v7, s54, -v12
	v_rndne_f32_e32 v31, v12
	v_fmac_f32_e32 v30, 0x32a5705f, v7
	v_sub_f32_e32 v12, v12, v31
	v_add_f32_e32 v12, v12, v30
	v_exp_f32_e32 v12, v12
	v_cvt_i32_f32_e32 v30, v31
	v_cmp_neq_f32_e64 s[2:3], |v4|, s52
	v_cndmask_b32_e64 v4, 0, v5, s[2:3]
	v_cmp_ngt_f32_e64 s[2:3], s55, v7
	v_ldexp_f32 v5, v12, v30
	v_cndmask_b32_e64 v5, 0, v5, s[2:3]
	v_cmp_nlt_f32_e64 s[2:3], s53, v7
	v_add_f32_e32 v4, v6, v4
	v_cndmask_b32_e64 v5, v33, v5, s[2:3]
	v_fma_f32 v4, v5, v4, v5
	v_cmp_class_f32_e64 s[2:3], v5, s51
	v_trunc_f32_e32 v6, v51
	v_cndmask_b32_e64 v4, v4, v5, s[2:3]
	v_cndmask_b32_e64 v5, v14, 1.0, s[0:1]
	v_cmp_eq_f32_e64 s[0:1], v6, v51
	v_mul_f32_e32 v6, 0.5, v51
	v_trunc_f32_e32 v7, v6
	v_cmp_neq_f32_e64 s[2:3], v7, v6
	s_and_b64 s[2:3], s[0:1], s[2:3]
	v_cndmask_b32_e64 v6, 1.0, v5, s[2:3]
	v_bfi_b32 v4, s56, v4, v6
	v_cndmask_b32_e64 v6, v34, v4, s[0:1]
	v_cmp_gt_f32_e64 s[0:1], 0, v5
	v_cndmask_b32_e64 v4, v4, v6, s[0:1]
	v_cndmask_b32_e64 v6, |v50|, 1.0, vcc
	v_cmp_neq_f32_e32 vcc, v51, v6
	v_cmp_gt_f32_e64 s[0:1], 1.0, v52
	s_xor_b64 s[0:1], vcc, s[0:1]
	v_cndmask_b32_e64 v7, v6, 0, s[0:1]
	v_cmp_eq_f32_e32 vcc, 1.0, v52
	v_cmp_eq_f32_e64 s[0:1], 0, v5
	v_cmp_gt_f32_e64 s[4:5], 0, v51
	v_cndmask_b32_e32 v7, v7, v52, vcc
	v_cmp_eq_f32_e32 vcc, s52, v6
	s_xor_b64 s[4:5], s[4:5], s[0:1]
	v_cndmask_b32_e32 v4, v4, v7, vcc
	v_cmp_eq_f32_e32 vcc, s52, v52
	v_cndmask_b32_e64 v6, v33, 0, s[4:5]
	v_cndmask_b32_e64 v5, 0, v5, s[2:3]
	v_bfi_b32 v5, s56, v6, v5
	s_or_b64 vcc, vcc, s[0:1]
	v_cndmask_b32_e32 v40, v4, v5, vcc
	v_add_f32_e32 v4, 1.0, v13
	v_bfe_u32 v5, v4, 16, 1
	v_add3_u32 v4, v4, v5, s57
	v_and_b32_e32 v13, 0xffff0000, v4
	v_pk_mov_b32 v[4:5], v[8:9], v[8:9] op_sel:[0,1]
	v_pk_mov_b32 v[6:7], v[10:11], v[10:11] op_sel:[0,1]
	v_mov_b32_e32 v39, v15
.LBB152_29:                             ;   in Loop: Header=BB152_4 Depth=1
	s_or_b64 exec, exec, s[38:39]
	s_mov_b32 s2, 0
	s_orn2_b64 s[0:1], s[40:41], exec
.LBB152_30:                             ;   in Loop: Header=BB152_4 Depth=1
	s_or_b64 exec, exec, s[36:37]
	v_mov_b32_e32 v8, s2
	s_and_saveexec_b64 s[2:3], s[0:1]
	s_cbranch_execz .LBB152_3
; %bb.31:                               ;   in Loop: Header=BB152_4 Depth=1
	v_add_f32_e32 v41, 0xbeaaaaab, v13
	v_mul_f32_e32 v8, 0x41100000, v41
	v_mul_f32_e32 v9, 0x4f800000, v8
	v_cmp_gt_f32_e32 vcc, s58, v8
	v_cndmask_b32_e32 v8, v8, v9, vcc
	v_sqrt_f32_e32 v9, v8
	v_add_u32_e32 v43, 0x9e3779b9, v28
	v_add_u32_e32 v44, 0xbb67ae85, v29
	;; [unrolled: 1-line block ×3, first 2 shown]
	v_add_u32_e32 v10, -1, v9
	v_fma_f32 v12, -v10, v9, v8
	v_add_u32_e32 v11, 1, v9
	v_cmp_ge_f32_e64 s[0:1], 0, v12
	v_cndmask_b32_e64 v10, v9, v10, s[0:1]
	v_fma_f32 v9, -v11, v9, v8
	v_cmp_lt_f32_e64 s[0:1], 0, v9
	v_cndmask_b32_e64 v9, v10, v11, s[0:1]
	v_mul_f32_e32 v10, 0x37800000, v9
	v_cndmask_b32_e32 v9, v9, v10, vcc
	v_cmp_class_f32_e32 vcc, v8, v23
	v_cndmask_b32_e32 v8, v9, v8, vcc
	v_div_scale_f32 v9, s[0:1], v8, v8, 1.0
	v_rcp_f32_e32 v10, v9
	v_add_u32_e32 v46, 0x76cf5d0a, v29
	v_add_u32_e32 v47, 0xdaa66d2b, v28
	;; [unrolled: 1-line block ×3, first 2 shown]
	v_fma_f32 v11, -v9, v10, 1.0
	v_fmac_f32_e32 v10, v11, v10
	v_div_scale_f32 v11, vcc, 1.0, v8, 1.0
	v_mul_f32_e32 v12, v11, v10
	v_fma_f32 v13, -v9, v12, v11
	v_fmac_f32_e32 v12, v13, v10
	v_fma_f32 v9, -v9, v12, v11
	v_div_fmas_f32 v9, v9, v10, v12
	v_div_fixup_f32 v42, v9, v8, 1.0
	v_add_u32_e32 v49, 0x78dde6e4, v28
	v_add_u32_e32 v50, 0xed9eba14, v29
	;; [unrolled: 1-line block ×10, first 2 shown]
	s_mov_b64 s[4:5], 0
	v_mov_b32_e32 v59, 0
	s_mov_b64 s[40:41], 0
                                        ; implicit-def: $sgpr36_sgpr37
                                        ; implicit-def: $sgpr38_sgpr39
                                        ; implicit-def: $vgpr30
	s_branch .LBB152_33
.LBB152_32:                             ;   in Loop: Header=BB152_33 Depth=2
	s_or_b64 exec, exec, s[40:41]
	s_and_b64 s[0:1], exec, s[0:1]
	s_or_b64 s[4:5], s[0:1], s[4:5]
	s_andn2_b64 s[0:1], s[36:37], exec
	s_and_b64 s[36:37], s[38:39], exec
	v_pk_mov_b32 v[4:5], v[8:9], v[8:9] op_sel:[0,1]
	s_or_b64 s[36:37], s[0:1], s[36:37]
	s_mov_b64 s[40:41], 0
	v_mov_b32_e32 v39, v12
	v_pk_mov_b32 v[6:7], v[10:11], v[10:11] op_sel:[0,1]
	s_andn2_b64 exec, exec, s[4:5]
	s_cbranch_execz .LBB152_44
.LBB152_33:                             ;   Parent Loop BB152_4 Depth=1
                                        ; =>  This Inner Loop Header: Depth=2
	v_cmp_eq_u32_e32 vcc, 0, v59
	v_mov_b32_e32 v31, v30
	v_mov_b32_e32 v59, 0
	s_and_saveexec_b64 s[42:43], vcc
	s_cbranch_execz .LBB152_39
; %bb.34:                               ;   in Loop: Header=BB152_33 Depth=2
	v_add_u32_e32 v30, 1, v39
	v_pk_mov_b32 v[10:11], v[6:7], v[6:7] op_sel:[0,1]
	v_cmp_eq_u32_e32 vcc, 4, v30
	v_pk_mov_b32 v[8:9], v[4:5], v[4:5] op_sel:[0,1]
	s_and_saveexec_b64 s[0:1], vcc
	s_cbranch_execz .LBB152_36
; %bb.35:                               ;   in Loop: Header=BB152_33 Depth=2
	v_add_co_u32_e32 v0, vcc, 1, v0
	v_cndmask_b32_e64 v8, 0, 1, vcc
	v_addc_co_u32_e32 v1, vcc, 0, v1, vcc
	v_cmp_eq_u32_e32 vcc, 0, v1
	v_cndmask_b32_e32 v8, 0, v8, vcc
	v_add_u32_e32 v2, v8, v2
	v_cmp_eq_u32_e32 vcc, 0, v2
	v_cndmask_b32_e32 v8, 0, v8, vcc
	v_add_u32_e32 v3, v8, v3
	v_mad_u64_u32 v[8:9], s[76:77], v0, s48, 0
	v_mad_u64_u32 v[10:11], s[76:77], v2, s33, 0
	v_xor_b32_e32 v11, v11, v28
	v_xor_b32_e32 v9, v9, v29
	v_xor_b32_e32 v11, v1, v11
	v_xor_b32_e32 v9, v3, v9
	v_mad_u64_u32 v[12:13], s[76:77], v11, s48, 0
	v_mad_u64_u32 v[14:15], s[76:77], v9, s33, 0
	v_xor_b32_e32 v9, v15, v10
	v_xor_b32_e32 v8, v13, v8
	v_xor_b32_e32 v9, v43, v9
	v_xor_b32_e32 v10, v44, v8
	;; [unrolled: 6-line block ×9, first 2 shown]
	v_mad_u64_u32 v[12:13], s[76:77], v9, s48, 0
	v_mad_u64_u32 v[14:15], s[76:77], v11, s33, 0
	v_xor_b32_e32 v8, v15, v8
	v_xor_b32_e32 v9, v13, v10
	v_mov_b32_e32 v30, 0
	v_xor_b32_e32 v8, v17, v8
	v_xor_b32_e32 v10, v19, v9
	v_mov_b32_e32 v9, v14
	v_mov_b32_e32 v11, v12
.LBB152_36:                             ;   in Loop: Header=BB152_33 Depth=2
	s_or_b64 exec, exec, s[0:1]
	v_add_u32_e32 v60, 1, v30
	v_pk_mov_b32 v[14:15], v[10:11], v[10:11] op_sel:[0,1]
	v_cmp_eq_u32_e32 vcc, 4, v60
	v_pk_mov_b32 v[12:13], v[8:9], v[8:9] op_sel:[0,1]
	s_and_saveexec_b64 s[0:1], vcc
	s_cbranch_execz .LBB152_38
; %bb.37:                               ;   in Loop: Header=BB152_33 Depth=2
	v_add_co_u32_e32 v0, vcc, 1, v0
	v_cndmask_b32_e64 v12, 0, 1, vcc
	v_addc_co_u32_e32 v1, vcc, 0, v1, vcc
	v_cmp_eq_u32_e32 vcc, 0, v1
	v_cndmask_b32_e32 v12, 0, v12, vcc
	v_add_u32_e32 v2, v12, v2
	v_cmp_eq_u32_e32 vcc, 0, v2
	v_cndmask_b32_e32 v12, 0, v12, vcc
	v_add_u32_e32 v3, v12, v3
	v_mad_u64_u32 v[12:13], s[76:77], v0, s48, 0
	v_mad_u64_u32 v[14:15], s[76:77], v2, s33, 0
	v_xor_b32_e32 v15, v15, v28
	v_xor_b32_e32 v13, v13, v29
	v_xor_b32_e32 v15, v1, v15
	v_xor_b32_e32 v13, v3, v13
	v_mad_u64_u32 v[62:63], s[76:77], v15, s48, 0
	v_mad_u64_u32 v[64:65], s[76:77], v13, s33, 0
	v_xor_b32_e32 v13, v65, v14
	v_xor_b32_e32 v12, v63, v12
	v_xor_b32_e32 v13, v43, v13
	v_xor_b32_e32 v14, v44, v12
	;; [unrolled: 6-line block ×9, first 2 shown]
	v_mad_u64_u32 v[62:63], s[76:77], v13, s48, 0
	v_mad_u64_u32 v[64:65], s[76:77], v15, s33, 0
	v_xor_b32_e32 v12, v65, v12
	v_xor_b32_e32 v13, v63, v14
	v_mov_b32_e32 v60, 0
	v_xor_b32_e32 v12, v17, v12
	v_xor_b32_e32 v14, v19, v13
	v_mov_b32_e32 v13, v64
	v_mov_b32_e32 v15, v62
.LBB152_38:                             ;   in Loop: Header=BB152_33 Depth=2
	s_or_b64 exec, exec, s[0:1]
	v_cmp_eq_u32_e32 vcc, 1, v39
	v_cndmask_b32_e32 v4, v4, v5, vcc
	v_cmp_eq_u32_e32 vcc, 2, v39
	v_cndmask_b32_e32 v4, v4, v6, vcc
	;; [unrolled: 2-line block ×3, first 2 shown]
	v_cvt_f32_u32_e32 v4, v4
	v_cmp_eq_u32_e32 vcc, 1, v30
	v_mov_b32_e32 v6, 0x2f800000
	v_cndmask_b32_e32 v5, v8, v9, vcc
	v_cmp_eq_u32_e32 vcc, 2, v30
	v_fmac_f32_e32 v6, 0x2f800000, v4
	v_cndmask_b32_e32 v5, v5, v10, vcc
	v_cmp_gt_f32_e32 vcc, s67, v6
	v_cndmask_b32_e32 v4, 1.0, v35, vcc
	v_mul_f32_e32 v4, v6, v4
	v_log_f32_e32 v4, v4
	v_cmp_eq_u32_e64 s[0:1], 3, v30
	v_cndmask_b32_e64 v5, v5, v11, s[0:1]
	v_cvt_f32_u32_e32 v5, v5
	v_mul_f32_e32 v6, 0x3f317217, v4
	v_fma_f32 v7, v4, s68, -v6
	v_fmac_f32_e32 v7, 0x3377d1cf, v4
	v_add_f32_e32 v6, v6, v7
	v_cmp_lt_f32_e64 s[0:1], |v4|, s52
	v_cndmask_b32_e64 v4, v4, v6, s[0:1]
	v_cndmask_b32_e32 v6, 0, v36, vcc
	v_sub_f32_e32 v4, v4, v6
	v_mul_f32_e32 v4, -2.0, v4
	v_mul_f32_e32 v6, 0x4f800000, v4
	v_cmp_gt_f32_e32 vcc, s58, v4
	v_cndmask_b32_e32 v6, v4, v6, vcc
	v_sqrt_f32_e32 v4, v6
	v_mov_b32_e32 v7, 0x30c90fdb
	v_fmac_f32_e32 v7, 0x30c90fdb, v5
	v_mov_b32_e32 v59, 1
	v_add_u32_e32 v5, -1, v4
	v_fma_f32 v8, -v5, v4, v6
	v_cmp_ge_f32_e64 s[0:1], 0, v8
	v_add_u32_e32 v8, 1, v4
	v_cndmask_b32_e64 v5, v4, v5, s[0:1]
	v_fma_f32 v4, -v8, v4, v6
	v_cmp_lt_f32_e64 s[0:1], 0, v4
	v_mul_f32_e32 v4, 0.15915494, v7
	v_cndmask_b32_e64 v8, v5, v8, s[0:1]
	v_sin_f32_e32 v5, v4
	v_cos_f32_e32 v4, v4
	v_mul_f32_e32 v9, 0x37800000, v8
	v_cndmask_b32_e32 v7, v8, v9, vcc
	v_cmp_class_f32_e32 vcc, v6, v23
	v_cndmask_b32_e32 v6, v7, v6, vcc
	v_pk_mul_f32 v[30:31], v[6:7], v[4:5] op_sel_hi:[0,1]
	v_pk_mov_b32 v[4:5], v[12:13], v[12:13] op_sel:[0,1]
	v_pk_mov_b32 v[6:7], v[14:15], v[14:15] op_sel:[0,1]
	v_mov_b32_e32 v39, v60
.LBB152_39:                             ;   in Loop: Header=BB152_33 Depth=2
	s_or_b64 exec, exec, s[42:43]
	v_fma_f32 v13, v42, v31, 1.0
	v_cmp_nge_f32_e32 vcc, 0, v13
	s_or_b64 s[40:41], vcc, s[40:41]
	s_andn2_b64 exec, exec, s[40:41]
	s_cbranch_execnz .LBB152_33
; %bb.40:                               ;   in Loop: Header=BB152_33 Depth=2
	s_or_b64 exec, exec, s[40:41]
	v_add_u32_e32 v12, 1, v39
	v_pk_mov_b32 v[10:11], v[6:7], v[6:7] op_sel:[0,1]
	v_cmp_eq_u32_e32 vcc, 4, v12
	v_pk_mov_b32 v[8:9], v[4:5], v[4:5] op_sel:[0,1]
	s_and_saveexec_b64 s[0:1], vcc
	s_cbranch_execz .LBB152_42
; %bb.41:                               ;   in Loop: Header=BB152_33 Depth=2
	v_add_co_u32_e32 v0, vcc, 1, v0
	v_cndmask_b32_e64 v8, 0, 1, vcc
	v_addc_co_u32_e32 v1, vcc, 0, v1, vcc
	v_cmp_eq_u32_e32 vcc, 0, v1
	v_cndmask_b32_e32 v8, 0, v8, vcc
	v_add_u32_e32 v2, v8, v2
	v_cmp_eq_u32_e32 vcc, 0, v2
	v_cndmask_b32_e32 v8, 0, v8, vcc
	v_add_u32_e32 v3, v8, v3
	v_mad_u64_u32 v[8:9], s[40:41], v0, s48, 0
	v_mad_u64_u32 v[10:11], s[40:41], v2, s33, 0
	v_xor_b32_e32 v11, v11, v28
	v_xor_b32_e32 v9, v9, v29
	v_xor_b32_e32 v11, v1, v11
	v_xor_b32_e32 v9, v3, v9
	v_mad_u64_u32 v[14:15], s[40:41], v11, s48, 0
	v_mad_u64_u32 v[60:61], s[40:41], v9, s33, 0
	v_xor_b32_e32 v9, v61, v10
	v_xor_b32_e32 v8, v15, v8
	v_xor_b32_e32 v9, v43, v9
	v_xor_b32_e32 v10, v44, v8
	v_mad_u64_u32 v[8:9], s[40:41], v9, s48, 0
	v_mad_u64_u32 v[10:11], s[40:41], v10, s33, 0
	v_xor_b32_e32 v11, v11, v60
	v_xor_b32_e32 v9, v9, v14
	v_xor_b32_e32 v11, v45, v11
	v_xor_b32_e32 v9, v46, v9
	v_mad_u64_u32 v[14:15], s[40:41], v11, s48, 0
	v_mad_u64_u32 v[60:61], s[40:41], v9, s33, 0
	v_xor_b32_e32 v9, v61, v10
	v_xor_b32_e32 v8, v15, v8
	v_xor_b32_e32 v9, v47, v9
	v_xor_b32_e32 v10, v48, v8
	v_mad_u64_u32 v[8:9], s[40:41], v9, s48, 0
	v_mad_u64_u32 v[10:11], s[40:41], v10, s33, 0
	v_xor_b32_e32 v11, v11, v60
	v_xor_b32_e32 v9, v9, v14
	v_xor_b32_e32 v11, v49, v11
	v_xor_b32_e32 v9, v50, v9
	v_mad_u64_u32 v[14:15], s[40:41], v11, s48, 0
	v_mad_u64_u32 v[60:61], s[40:41], v9, s33, 0
	v_xor_b32_e32 v9, v61, v10
	v_xor_b32_e32 v8, v15, v8
	v_xor_b32_e32 v9, v51, v9
	v_xor_b32_e32 v10, v52, v8
	v_mad_u64_u32 v[8:9], s[40:41], v9, s48, 0
	v_mad_u64_u32 v[10:11], s[40:41], v10, s33, 0
	v_xor_b32_e32 v11, v11, v60
	v_xor_b32_e32 v9, v9, v14
	v_xor_b32_e32 v11, v53, v11
	v_xor_b32_e32 v9, v54, v9
	v_mad_u64_u32 v[14:15], s[40:41], v11, s48, 0
	v_mad_u64_u32 v[60:61], s[40:41], v9, s33, 0
	v_xor_b32_e32 v9, v61, v10
	v_xor_b32_e32 v8, v15, v8
	v_xor_b32_e32 v9, v55, v9
	v_xor_b32_e32 v8, v56, v8
	v_mad_u64_u32 v[10:11], s[40:41], v9, s48, 0
	v_mad_u64_u32 v[8:9], s[40:41], v8, s33, 0
	v_xor_b32_e32 v9, v9, v60
	v_xor_b32_e32 v11, v11, v14
	v_xor_b32_e32 v9, v57, v9
	v_xor_b32_e32 v11, v58, v11
	v_mad_u64_u32 v[14:15], s[40:41], v9, s48, 0
	v_mad_u64_u32 v[60:61], s[40:41], v11, s33, 0
	v_xor_b32_e32 v8, v61, v8
	v_xor_b32_e32 v9, v15, v10
	v_mov_b32_e32 v12, 0
	v_xor_b32_e32 v8, v17, v8
	v_xor_b32_e32 v10, v19, v9
	v_mov_b32_e32 v9, v60
	v_mov_b32_e32 v11, v14
.LBB152_42:                             ;   in Loop: Header=BB152_33 Depth=2
	s_or_b64 exec, exec, s[0:1]
	v_cmp_eq_u32_e32 vcc, 1, v39
	v_cndmask_b32_e32 v4, v4, v5, vcc
	v_cmp_eq_u32_e32 vcc, 2, v39
	v_cndmask_b32_e32 v4, v4, v6, vcc
	;; [unrolled: 2-line block ×3, first 2 shown]
	v_cvt_f32_u32_e32 v4, v4
	v_mul_f32_e32 v5, v13, v13
	v_mul_f32_e32 v13, v13, v5
	v_mov_b32_e32 v5, 0x2f800000
	v_fmac_f32_e32 v5, 0x2f800000, v4
	v_mul_f32_e32 v4, v31, v31
	v_mul_f32_e32 v6, 0xbd0793de, v4
	v_sub_f32_e32 v5, 1.0, v5
	v_fma_f32 v6, v4, v6, 1.0
	v_cmp_nlt_f32_e32 vcc, v5, v6
	s_mov_b64 s[0:1], -1
	s_or_b64 s[38:39], s[38:39], exec
	s_and_saveexec_b64 s[40:41], vcc
	s_cbranch_execz .LBB152_32
; %bb.43:                               ;   in Loop: Header=BB152_33 Depth=2
	v_cmp_gt_f32_e32 vcc, s67, v5
	v_cndmask_b32_e32 v6, 1.0, v35, vcc
	v_mul_f32_e32 v5, v5, v6
	v_log_f32_e32 v5, v5
	s_andn2_b64 s[38:39], s[38:39], exec
	v_mul_f32_e32 v6, 0x3f317217, v5
	v_fma_f32 v7, v5, s68, -v6
	v_fmac_f32_e32 v7, 0x3377d1cf, v5
	v_add_f32_e32 v6, v6, v7
	v_cmp_lt_f32_e64 s[0:1], |v5|, s52
	v_cndmask_b32_e64 v5, v5, v6, s[0:1]
	v_cmp_gt_f32_e64 s[0:1], s67, v13
	v_cndmask_b32_e64 v6, 1.0, v35, s[0:1]
	v_mul_f32_e32 v6, v13, v6
	v_log_f32_e32 v6, v6
	v_cndmask_b32_e32 v7, 0, v36, vcc
	v_sub_f32_e32 v5, v5, v7
	v_sub_f32_e32 v7, 1.0, v13
	v_mul_f32_e32 v14, 0x3f317217, v6
	v_fma_f32 v15, v6, s68, -v14
	v_fmac_f32_e32 v15, 0x3377d1cf, v6
	v_add_f32_e32 v14, v14, v15
	v_cmp_lt_f32_e64 vcc, |v6|, s52
	v_cndmask_b32_e32 v6, v6, v14, vcc
	v_cndmask_b32_e64 v14, 0, v36, s[0:1]
	v_sub_f32_e32 v6, v6, v14
	v_add_f32_e32 v6, v7, v6
	v_mul_f32_e32 v6, v41, v6
	v_fmac_f32_e32 v6, 0.5, v4
	v_cmp_lt_f32_e32 vcc, v5, v6
	s_orn2_b64 s[0:1], vcc, exec
	s_branch .LBB152_32
.LBB152_44:                             ;   in Loop: Header=BB152_4 Depth=1
	s_or_b64 exec, exec, s[4:5]
	v_mul_f32_e32 v0, v40, v41
	s_xor_b64 s[0:1], s[36:37], -1
	v_mul_f32_e32 v0, v0, v13
                                        ; implicit-def: $vgpr8
	s_and_saveexec_b64 s[4:5], s[0:1]
	s_xor_b64 s[0:1], exec, s[4:5]
; %bb.45:                               ;   in Loop: Header=BB152_4 Depth=1
	v_bfe_u32 v1, v0, 16, 1
	v_add3_u32 v1, v0, v1, s57
	v_lshrrev_b32_e32 v1, 16, v1
	v_cmp_o_f32_e32 vcc, v0, v0
	v_cndmask_b32_e32 v8, v37, v1, vcc
                                        ; implicit-def: $vgpr0
; %bb.46:                               ;   in Loop: Header=BB152_4 Depth=1
	s_andn2_saveexec_b64 s[0:1], s[0:1]
	s_cbranch_execz .LBB152_2
; %bb.47:                               ;   in Loop: Header=BB152_4 Depth=1
	v_bfe_u32 v1, v0, 16, 1
	v_add3_u32 v1, v0, v1, s57
	v_lshrrev_b32_e32 v1, 16, v1
	v_cmp_o_f32_e32 vcc, v0, v0
	v_cndmask_b32_e32 v8, v37, v1, vcc
	s_branch .LBB152_2
.LBB152_48:
	s_endpgm
	.section	.rodata,"a",@progbits
	.p2align	6, 0x0
	.amdhsa_kernel _ZN2at4cuda12_GLOBAL__N_121kernelPointwiseApply2IZN12_GLOBAL__N_117gamma_cuda_kernelIN3c108BFloat16EEEvRKNS_10TensorBaseES9_NS_15PhiloxCudaStateEEUlRS6_RKS6_E_S6_S6_mLin1ELin1ELi1ELi256ELi2EEEvNS0_6detail10TensorInfoIT0_T2_EENSG_IT1_SI_EESI_T_
		.amdhsa_group_segment_fixed_size 0
		.amdhsa_private_segment_fixed_size 0
		.amdhsa_kernarg_size 1128
		.amdhsa_user_sgpr_count 6
		.amdhsa_user_sgpr_private_segment_buffer 1
		.amdhsa_user_sgpr_dispatch_ptr 0
		.amdhsa_user_sgpr_queue_ptr 0
		.amdhsa_user_sgpr_kernarg_segment_ptr 1
		.amdhsa_user_sgpr_dispatch_id 0
		.amdhsa_user_sgpr_flat_scratch_init 0
		.amdhsa_user_sgpr_kernarg_preload_length 0
		.amdhsa_user_sgpr_kernarg_preload_offset 0
		.amdhsa_user_sgpr_private_segment_size 0
		.amdhsa_uses_dynamic_stack 0
		.amdhsa_system_sgpr_private_segment_wavefront_offset 0
		.amdhsa_system_sgpr_workgroup_id_x 1
		.amdhsa_system_sgpr_workgroup_id_y 0
		.amdhsa_system_sgpr_workgroup_id_z 0
		.amdhsa_system_sgpr_workgroup_info 0
		.amdhsa_system_vgpr_workitem_id 0
		.amdhsa_next_free_vgpr 66
		.amdhsa_next_free_sgpr 78
		.amdhsa_accum_offset 68
		.amdhsa_reserve_vcc 1
		.amdhsa_reserve_flat_scratch 0
		.amdhsa_float_round_mode_32 0
		.amdhsa_float_round_mode_16_64 0
		.amdhsa_float_denorm_mode_32 3
		.amdhsa_float_denorm_mode_16_64 3
		.amdhsa_dx10_clamp 1
		.amdhsa_ieee_mode 1
		.amdhsa_fp16_overflow 0
		.amdhsa_tg_split 0
		.amdhsa_exception_fp_ieee_invalid_op 0
		.amdhsa_exception_fp_denorm_src 0
		.amdhsa_exception_fp_ieee_div_zero 0
		.amdhsa_exception_fp_ieee_overflow 0
		.amdhsa_exception_fp_ieee_underflow 0
		.amdhsa_exception_fp_ieee_inexact 0
		.amdhsa_exception_int_div_zero 0
	.end_amdhsa_kernel
	.section	.text._ZN2at4cuda12_GLOBAL__N_121kernelPointwiseApply2IZN12_GLOBAL__N_117gamma_cuda_kernelIN3c108BFloat16EEEvRKNS_10TensorBaseES9_NS_15PhiloxCudaStateEEUlRS6_RKS6_E_S6_S6_mLin1ELin1ELi1ELi256ELi2EEEvNS0_6detail10TensorInfoIT0_T2_EENSG_IT1_SI_EESI_T_,"axG",@progbits,_ZN2at4cuda12_GLOBAL__N_121kernelPointwiseApply2IZN12_GLOBAL__N_117gamma_cuda_kernelIN3c108BFloat16EEEvRKNS_10TensorBaseES9_NS_15PhiloxCudaStateEEUlRS6_RKS6_E_S6_S6_mLin1ELin1ELi1ELi256ELi2EEEvNS0_6detail10TensorInfoIT0_T2_EENSG_IT1_SI_EESI_T_,comdat
.Lfunc_end152:
	.size	_ZN2at4cuda12_GLOBAL__N_121kernelPointwiseApply2IZN12_GLOBAL__N_117gamma_cuda_kernelIN3c108BFloat16EEEvRKNS_10TensorBaseES9_NS_15PhiloxCudaStateEEUlRS6_RKS6_E_S6_S6_mLin1ELin1ELi1ELi256ELi2EEEvNS0_6detail10TensorInfoIT0_T2_EENSG_IT1_SI_EESI_T_, .Lfunc_end152-_ZN2at4cuda12_GLOBAL__N_121kernelPointwiseApply2IZN12_GLOBAL__N_117gamma_cuda_kernelIN3c108BFloat16EEEvRKNS_10TensorBaseES9_NS_15PhiloxCudaStateEEUlRS6_RKS6_E_S6_S6_mLin1ELin1ELi1ELi256ELi2EEEvNS0_6detail10TensorInfoIT0_T2_EENSG_IT1_SI_EESI_T_
                                        ; -- End function
	.section	.AMDGPU.csdata,"",@progbits
; Kernel info:
; codeLenInByte = 7116
; NumSgprs: 82
; NumVgprs: 66
; NumAgprs: 0
; TotalNumVgprs: 66
; ScratchSize: 0
; MemoryBound: 0
; FloatMode: 240
; IeeeMode: 1
; LDSByteSize: 0 bytes/workgroup (compile time only)
; SGPRBlocks: 10
; VGPRBlocks: 8
; NumSGPRsForWavesPerEU: 82
; NumVGPRsForWavesPerEU: 66
; AccumOffset: 68
; Occupancy: 7
; WaveLimiterHint : 1
; COMPUTE_PGM_RSRC2:SCRATCH_EN: 0
; COMPUTE_PGM_RSRC2:USER_SGPR: 6
; COMPUTE_PGM_RSRC2:TRAP_HANDLER: 0
; COMPUTE_PGM_RSRC2:TGID_X_EN: 1
; COMPUTE_PGM_RSRC2:TGID_Y_EN: 0
; COMPUTE_PGM_RSRC2:TGID_Z_EN: 0
; COMPUTE_PGM_RSRC2:TIDIG_COMP_CNT: 0
; COMPUTE_PGM_RSRC3_GFX90A:ACCUM_OFFSET: 16
; COMPUTE_PGM_RSRC3_GFX90A:TG_SPLIT: 0
	.text
	.p2align	2                               ; -- Begin function _ZZZZN2at6native33launch_standard_gamma_grad_kernelERNS_18TensorIteratorBaseEENKUlvE_clEvENKUlvE_clEvENKUlddE_clEdd
	.type	_ZZZZN2at6native33launch_standard_gamma_grad_kernelERNS_18TensorIteratorBaseEENKUlvE_clEvENKUlvE_clEvENKUlddE_clEdd,@function
_ZZZZN2at6native33launch_standard_gamma_grad_kernelERNS_18TensorIteratorBaseEENKUlvE_clEvENKUlvE_clEvENKUlddE_clEdd: ; @_ZZZZN2at6native33launch_standard_gamma_grad_kernelERNS_18TensorIteratorBaseEENKUlvE_clEvENKUlvE_clEvENKUlddE_clEdd
; %bb.0:
	s_waitcnt vmcnt(0) expcnt(0) lgkmcnt(0)
	s_or_saveexec_b64 s[4:5], -1
	buffer_store_dword v40, off, s[0:3], s32 ; 4-byte Folded Spill
	s_mov_b64 exec, s[4:5]
	v_writelane_b32 v40, s34, 0
	v_writelane_b32 v40, s35, 1
	;; [unrolled: 1-line block ×42, first 2 shown]
	s_brev_b32 s4, 5
	s_mov_b32 s5, 0x3fe99999
	v_cmp_ngt_f64_e32 vcc, s[4:5], v[2:3]
	v_pk_mov_b32 v[6:7], v[0:1], v[0:1] op_sel:[0,1]
                                        ; implicit-def: $vgpr4_vgpr5
	s_and_saveexec_b64 s[4:5], vcc
	s_xor_b64 s[8:9], exec, s[4:5]
	s_cbranch_execz .LBB153_10
; %bb.1:
	s_mov_b32 s4, 0
	s_mov_b32 s5, 0x40200000
	v_cmp_nlt_f64_e32 vcc, s[4:5], v[0:1]
                                        ; implicit-def: $vgpr4_vgpr5
	s_and_saveexec_b64 s[4:5], vcc
	s_xor_b64 s[6:7], exec, s[4:5]
	s_cbranch_execz .LBB153_3
; %bb.2:
	v_div_scale_f64 v[4:5], s[4:5], v[0:1], v[0:1], v[2:3]
	v_rcp_f64_e32 v[6:7], v[4:5]
	v_div_scale_f64 v[8:9], vcc, v[2:3], v[0:1], v[2:3]
	s_mov_b32 s12, 0x55555555
	v_fma_f64 v[10:11], -v[4:5], v[6:7], 1.0
	v_fmac_f64_e32 v[6:7], v[6:7], v[10:11]
	v_fma_f64 v[10:11], -v[4:5], v[6:7], 1.0
	v_fmac_f64_e32 v[6:7], v[6:7], v[10:11]
	v_mul_f64 v[10:11], v[8:9], v[6:7]
	v_fma_f64 v[4:5], -v[4:5], v[10:11], v[8:9]
	v_div_fmas_f64 v[4:5], v[4:5], v[6:7], v[10:11]
	v_div_fixup_f64 v[2:3], v[4:5], v[0:1], v[2:3]
	v_frexp_mant_f64_e32 v[4:5], v[2:3]
	s_mov_b32 s13, 0x3fe55555
	v_mov_b32_e32 v22, 0x3ff00000
	v_cmp_gt_f64_e32 vcc, s[12:13], v[4:5]
	v_cndmask_b32_e64 v7, v22, 2.0, vcc
	v_mov_b32_e32 v6, 0
	v_frexp_exp_i32_f64_e32 v8, v[2:3]
	v_mul_f64 v[4:5], v[4:5], v[6:7]
	v_subbrev_co_u32_e32 v7, vcc, 0, v8, vcc
	v_add_f64 v[8:9], v[4:5], 1.0
	v_rcp_f64_e32 v[10:11], v[8:9]
	v_add_f64 v[14:15], v[8:9], -1.0
	v_add_f64 v[12:13], v[4:5], -1.0
	v_add_f64 v[4:5], v[4:5], -v[14:15]
	v_fma_f64 v[14:15], -v[8:9], v[10:11], 1.0
	v_fmac_f64_e32 v[10:11], v[14:15], v[10:11]
	v_fma_f64 v[14:15], -v[8:9], v[10:11], 1.0
	v_fmac_f64_e32 v[10:11], v[14:15], v[10:11]
	v_mul_f64 v[14:15], v[12:13], v[10:11]
	v_mul_f64 v[16:17], v[8:9], v[14:15]
	v_fma_f64 v[8:9], v[14:15], v[8:9], -v[16:17]
	v_fmac_f64_e32 v[8:9], v[14:15], v[4:5]
	v_add_f64 v[4:5], v[16:17], v[8:9]
	v_add_f64 v[18:19], v[12:13], -v[4:5]
	v_add_f64 v[16:17], v[4:5], -v[16:17]
	;; [unrolled: 1-line block ×5, first 2 shown]
	v_add_f64 v[4:5], v[8:9], v[4:5]
	v_add_f64 v[4:5], v[18:19], v[4:5]
	v_mul_f64 v[4:5], v[10:11], v[4:5]
	v_add_f64 v[8:9], v[14:15], v[4:5]
	s_mov_b32 s4, 0x6b47b09a
	v_add_f64 v[10:11], v[8:9], -v[14:15]
	s_mov_b32 s5, 0x3fc38538
	s_mov_b32 s14, 0xbf559e2b
	v_add_f64 v[4:5], v[4:5], -v[10:11]
	v_mul_f64 v[10:11], v[8:9], v[8:9]
	s_mov_b32 s15, 0x3fc3ab76
	v_pk_mov_b32 v[12:13], s[4:5], s[4:5] op_sel:[0,1]
	s_mov_b32 s16, 0xd7f4df2e
	v_fma_f64 v[14:15], s[14:15], v[10:11], v[12:13]
	s_mov_b32 s17, 0x3fc7474d
	s_mov_b32 s18, 0x16291751
	v_fma_f64 v[14:15], v[10:11], v[14:15], s[16:17]
	s_mov_b32 s19, 0x3fcc71c0
	;; [unrolled: 3-line block ×4, first 2 shown]
	v_fma_f64 v[14:15], v[10:11], v[14:15], s[22:23]
	s_mov_b32 s24, 0x55555780
	s_mov_b32 s25, s13
	v_fma_f64 v[14:15], v[10:11], v[14:15], s[24:25]
	v_ldexp_f64 v[16:17], v[8:9], 1
	v_mul_f64 v[8:9], v[8:9], v[10:11]
	v_mul_f64 v[8:9], v[8:9], v[14:15]
	v_add_f64 v[10:11], v[16:17], v[8:9]
	v_add_f64 v[14:15], v[10:11], -v[16:17]
	v_ldexp_f64 v[4:5], v[4:5], 1
	v_add_f64 v[8:9], v[8:9], -v[14:15]
	v_add_f64 v[4:5], v[4:5], v[8:9]
	v_add_f64 v[8:9], v[10:11], v[4:5]
	v_add_f64 v[10:11], v[8:9], -v[10:11]
	v_add_f64 v[4:5], v[4:5], -v[10:11]
	v_cvt_f64_i32_e32 v[10:11], v7
	s_mov_b32 s5, 0x3fe62e42
	s_mov_b32 s4, 0xfefa39ef
	v_mul_f64 v[14:15], v[10:11], s[4:5]
	v_fma_f64 v[16:17], v[10:11], s[4:5], -v[14:15]
	s_mov_b32 s11, 0x3c7abc9e
	s_mov_b32 s10, 0x3b39803f
	v_fmac_f64_e32 v[16:17], s[10:11], v[10:11]
	v_add_f64 v[10:11], v[14:15], v[16:17]
	v_add_f64 v[14:15], v[10:11], -v[14:15]
	v_add_f64 v[14:15], v[16:17], -v[14:15]
	v_add_f64 v[16:17], v[10:11], v[8:9]
	v_add_f64 v[18:19], v[16:17], -v[10:11]
	v_add_f64 v[20:21], v[16:17], -v[18:19]
	;; [unrolled: 1-line block ×4, first 2 shown]
	v_add_f64 v[8:9], v[8:9], v[10:11]
	v_add_f64 v[10:11], v[14:15], v[4:5]
	v_add_f64 v[18:19], v[10:11], -v[14:15]
	v_add_f64 v[20:21], v[10:11], -v[18:19]
	v_add_f64 v[8:9], v[10:11], v[8:9]
	v_add_f64 v[14:15], v[14:15], -v[20:21]
	v_add_f64 v[4:5], v[4:5], -v[18:19]
	v_add_f64 v[10:11], v[16:17], v[8:9]
	v_add_f64 v[4:5], v[4:5], v[14:15]
	v_add_f64 v[14:15], v[10:11], -v[16:17]
	v_add_f64 v[8:9], v[8:9], -v[14:15]
	v_add_f64 v[4:5], v[4:5], v[8:9]
	s_movk_i32 s26, 0x204
	v_add_f64 v[4:5], v[10:11], v[4:5]
	v_cmp_class_f64_e64 vcc, v[2:3], s26
	v_cndmask_b32_e32 v4, v4, v2, vcc
	v_cndmask_b32_e32 v5, v5, v3, vcc
	v_mov_b32_e32 v26, 0x7ff80000
	v_cmp_ngt_f64_e32 vcc, 0, v[2:3]
	v_cndmask_b32_e32 v5, v26, v5, vcc
	v_cmp_nge_f64_e32 vcc, 0, v[2:3]
	v_cndmask_b32_e32 v4, 0, v4, vcc
	v_mov_b32_e32 v27, 0xfff00000
	v_cmp_neq_f64_e32 vcc, 0, v[2:3]
	v_frexp_mant_f64_e32 v[2:3], v[0:1]
	v_cndmask_b32_e32 v5, v27, v5, vcc
	v_cmp_gt_f64_e32 vcc, s[12:13], v[2:3]
	v_cndmask_b32_e64 v7, v22, 2.0, vcc
	v_mul_f64 v[2:3], v[2:3], v[6:7]
	v_frexp_exp_i32_f64_e32 v8, v[0:1]
	v_add_f64 v[6:7], v[2:3], 1.0
	v_subbrev_co_u32_e32 v20, vcc, 0, v8, vcc
	v_rcp_f64_e32 v[8:9], v[6:7]
	v_add_f64 v[14:15], v[6:7], -1.0
	v_add_f64 v[10:11], v[2:3], -1.0
	v_add_f64 v[2:3], v[2:3], -v[14:15]
	v_fma_f64 v[14:15], -v[6:7], v[8:9], 1.0
	v_fmac_f64_e32 v[8:9], v[14:15], v[8:9]
	v_fma_f64 v[14:15], -v[6:7], v[8:9], 1.0
	v_fmac_f64_e32 v[8:9], v[14:15], v[8:9]
	v_mul_f64 v[14:15], v[10:11], v[8:9]
	v_mul_f64 v[16:17], v[6:7], v[14:15]
	v_fma_f64 v[6:7], v[14:15], v[6:7], -v[16:17]
	v_fmac_f64_e32 v[6:7], v[14:15], v[2:3]
	v_add_f64 v[2:3], v[16:17], v[6:7]
	v_add_f64 v[18:19], v[10:11], -v[2:3]
	v_add_f64 v[16:17], v[2:3], -v[16:17]
	;; [unrolled: 1-line block ×5, first 2 shown]
	v_add_f64 v[2:3], v[6:7], v[2:3]
	v_add_f64 v[2:3], v[18:19], v[2:3]
	v_mul_f64 v[2:3], v[8:9], v[2:3]
	v_add_f64 v[6:7], v[14:15], v[2:3]
	v_add_f64 v[8:9], v[6:7], -v[14:15]
	v_add_f64 v[2:3], v[2:3], -v[8:9]
	v_mul_f64 v[8:9], v[6:7], v[6:7]
	v_fmac_f64_e32 v[12:13], s[14:15], v[8:9]
	v_fma_f64 v[10:11], v[8:9], v[12:13], s[16:17]
	v_fma_f64 v[10:11], v[8:9], v[10:11], s[18:19]
	;; [unrolled: 1-line block ×5, first 2 shown]
	v_ldexp_f64 v[12:13], v[6:7], 1
	v_mul_f64 v[6:7], v[6:7], v[8:9]
	v_mul_f64 v[6:7], v[6:7], v[10:11]
	v_add_f64 v[8:9], v[12:13], v[6:7]
	v_add_f64 v[10:11], v[8:9], -v[12:13]
	v_ldexp_f64 v[2:3], v[2:3], 1
	v_add_f64 v[6:7], v[6:7], -v[10:11]
	v_add_f64 v[2:3], v[2:3], v[6:7]
	v_add_f64 v[6:7], v[8:9], v[2:3]
	v_add_f64 v[8:9], v[6:7], -v[8:9]
	v_add_f64 v[2:3], v[2:3], -v[8:9]
	v_cvt_f64_i32_e32 v[8:9], v20
	v_mul_f64 v[10:11], v[8:9], s[4:5]
	v_fma_f64 v[12:13], v[8:9], s[4:5], -v[10:11]
	v_fmac_f64_e32 v[12:13], s[10:11], v[8:9]
	v_add_f64 v[8:9], v[10:11], v[12:13]
	v_add_f64 v[10:11], v[8:9], -v[10:11]
	v_add_f64 v[10:11], v[12:13], -v[10:11]
	v_add_f64 v[12:13], v[8:9], v[6:7]
	v_add_f64 v[14:15], v[12:13], -v[8:9]
	v_add_f64 v[16:17], v[12:13], -v[14:15]
	;; [unrolled: 1-line block ×4, first 2 shown]
	v_add_f64 v[6:7], v[6:7], v[8:9]
	v_add_f64 v[8:9], v[10:11], v[2:3]
	v_add_f64 v[14:15], v[8:9], -v[10:11]
	v_add_f64 v[16:17], v[8:9], -v[14:15]
	v_add_f64 v[6:7], v[8:9], v[6:7]
	v_add_f64 v[10:11], v[10:11], -v[16:17]
	v_add_f64 v[2:3], v[2:3], -v[14:15]
	v_add_f64 v[8:9], v[12:13], v[6:7]
	v_add_f64 v[2:3], v[2:3], v[10:11]
	v_add_f64 v[10:11], v[8:9], -v[12:13]
	v_add_f64 v[6:7], v[6:7], -v[10:11]
	s_mov_b32 s12, 0x80201846
	v_add_f64 v[2:3], v[2:3], v[6:7]
	v_mov_b32_e32 v6, 0x6af56c53
	v_mov_b32_e32 v7, 0x3fe11dba
	s_mov_b32 s13, 0x3fa48abd
	v_fmac_f64_e32 v[6:7], s[12:13], v[4:5]
	v_mov_b32_e32 v10, 0xa431781d
	v_mov_b32_e32 v11, 0x3fc47df5
	s_mov_b32 s12, 0xe23f911
	v_fmac_f64_e32 v[10:11], v[4:5], v[6:7]
	v_mov_b32_e32 v6, 0xe0a4f0e6
	v_mov_b32_e32 v7, 0x3fc09d84
	s_mov_b32 s13, 0xbf7aff96
	v_fmac_f64_e32 v[6:7], s[12:13], v[4:5]
	v_mov_b32_e32 v12, 0xa1b7dc61
	v_mov_b32_e32 v13, 0xbfb839fc
	s_mov_b32 s12, 0x670f40ab
	v_fmac_f64_e32 v[12:13], v[4:5], v[6:7]
	v_mov_b32_e32 v6, 0x372063df
	v_mov_b32_e32 v7, 0x3fb0d412
	s_mov_b32 s13, 0xbf658895
	v_fmac_f64_e32 v[6:7], s[12:13], v[4:5]
	v_mov_b32_e32 v14, 0xba21b599
	v_mov_b32_e32 v15, 0x3f99bff8
	s_mov_b32 s12, 0xd0bc9eec
	v_fmac_f64_e32 v[14:15], v[4:5], v[6:7]
	v_mov_b32_e32 v6, 0xf8526f60
	v_mov_b32_e32 v7, 0xbf59a3fb
	s_mov_b32 s13, 0xbf5605e3
	v_fmac_f64_e32 v[6:7], s[12:13], v[4:5]
	v_mov_b32_e32 v16, 0x62c1d0a1
	v_mov_b32_e32 v17, 0xbf691b6c
	s_mov_b32 s12, 0x37102eef
	v_fmac_f64_e32 v[16:17], v[4:5], v[6:7]
	v_mov_b32_e32 v6, 0x7dfd5be1
	v_mov_b32_e32 v7, 0x3fc54c6b
	s_mov_b32 s13, 0x3f9175b9
	v_fmac_f64_e32 v[6:7], s[12:13], v[4:5]
	s_mov_b32 s12, 0xba769f49
	v_mov_b32_e32 v18, 0x7bd91cf0
	v_mov_b32_e32 v19, 0x3f948d42
	s_mov_b32 s13, 0xbf6174e3
	v_fmac_f64_e32 v[18:19], s[12:13], v[4:5]
	v_mov_b32_e32 v20, 0xdde0f14
	v_mov_b32_e32 v21, 0x3fd4e858
	s_mov_b32 s12, 0xaac1e5e1
	v_fmac_f64_e32 v[20:21], v[4:5], v[18:19]
	v_mov_b32_e32 v18, 0xcea6e3fc
	v_mov_b32_e32 v19, 0xbf6d70ef
	s_mov_b32 s13, 0x3f4be210
	v_add_f64 v[2:3], v[8:9], v[2:3]
	v_cmp_class_f64_e64 vcc, v[0:1], s26
	v_fmac_f64_e32 v[18:19], s[12:13], v[4:5]
	v_mov_b32_e32 v22, 0x757b823
	v_mov_b32_e32 v23, 0x3fbaa3bc
	s_mov_b32 s12, 0x71e0802d
	v_cndmask_b32_e32 v2, v2, v0, vcc
	v_cndmask_b32_e32 v3, v3, v1, vcc
	v_cmp_ngt_f64_e32 vcc, 0, v[0:1]
	v_fmac_f64_e32 v[22:23], v[4:5], v[18:19]
	v_mov_b32_e32 v18, 0x7d2fede
	v_mov_b32_e32 v19, 0xbf432254
	s_mov_b32 s13, 0xbe847721
	v_cndmask_b32_e32 v3, v26, v3, vcc
	v_cmp_nge_f64_e32 vcc, 0, v[0:1]
	v_fmac_f64_e32 v[18:19], s[12:13], v[4:5]
	v_mov_b32_e32 v24, 0x8d3af5fc
	v_mov_b32_e32 v25, 0x3f573b23
	v_cndmask_b32_e32 v2, 0, v2, vcc
	v_cmp_neq_f64_e32 vcc, 0, v[0:1]
	v_fmac_f64_e32 v[24:25], v[4:5], v[18:19]
	v_cndmask_b32_e32 v3, v27, v3, vcc
	v_fmac_f64_e32 v[14:15], v[2:3], v[16:17]
	v_fmac_f64_e32 v[22:23], v[2:3], v[24:25]
	v_fma_f64 v[6:7], v[4:5], v[6:7], 1.0
	v_fmac_f64_e32 v[12:13], v[2:3], v[14:15]
	v_fmac_f64_e32 v[20:21], v[2:3], v[22:23]
	;; [unrolled: 1-line block ×4, first 2 shown]
	v_div_scale_f64 v[0:1], s[12:13], v[6:7], v[6:7], v[10:11]
	v_rcp_f64_e32 v[2:3], v[0:1]
	s_mov_b32 s12, 0x652b82fe
	s_mov_b32 s13, 0x3ff71547
	;; [unrolled: 1-line block ×3, first 2 shown]
	v_fma_f64 v[4:5], -v[0:1], v[2:3], 1.0
	v_fmac_f64_e32 v[2:3], v[2:3], v[4:5]
	v_fma_f64 v[4:5], -v[0:1], v[2:3], 1.0
	v_fmac_f64_e32 v[2:3], v[2:3], v[4:5]
	v_div_scale_f64 v[4:5], vcc, v[10:11], v[6:7], v[10:11]
	v_mul_f64 v[8:9], v[4:5], v[2:3]
	v_fma_f64 v[0:1], -v[0:1], v[8:9], v[4:5]
	s_mov_b32 s11, 0xbc7abc9e
	s_nop 0
	v_div_fmas_f64 v[0:1], v[0:1], v[2:3], v[8:9]
	v_div_fixup_f64 v[0:1], v[0:1], v[6:7], v[10:11]
	v_mul_f64 v[2:3], v[0:1], s[12:13]
	v_rndne_f64_e32 v[2:3], v[2:3]
	v_fma_f64 v[4:5], s[4:5], v[2:3], v[0:1]
	s_mov_b32 s4, 0x6a5dcb37
	v_fmac_f64_e32 v[4:5], s[10:11], v[2:3]
	v_mov_b32_e32 v6, 0xfca7ab0c
	v_mov_b32_e32 v7, 0x3e928af3
	s_mov_b32 s5, 0x3e5ade15
	v_fmac_f64_e32 v[6:7], s[4:5], v[4:5]
	v_mov_b32_e32 v8, 0x623fde64
	v_mov_b32_e32 v9, 0x3ec71dee
	v_fmac_f64_e32 v[8:9], v[4:5], v[6:7]
	v_mov_b32_e32 v6, 0x7c89e6b0
	v_mov_b32_e32 v7, 0x3efa0199
	;; [unrolled: 3-line block ×8, first 2 shown]
	s_mov_b32 s4, 0
	v_fmac_f64_e32 v[6:7], v[4:5], v[8:9]
	s_mov_b32 s5, 0x40900000
	v_fma_f64 v[6:7], v[4:5], v[6:7], 1.0
	v_cmp_nlt_f64_e32 vcc, s[4:5], v[0:1]
	s_mov_b32 s4, 0
	v_fma_f64 v[4:5], v[4:5], v[6:7], 1.0
	v_cvt_i32_f64_e32 v2, v[2:3]
	s_mov_b32 s5, 0xc090cc00
	v_ldexp_f64 v[2:3], v[4:5], v2
	v_mov_b32_e32 v4, 0x7ff00000
	v_cmp_ngt_f64_e64 s[4:5], s[4:5], v[0:1]
	v_cndmask_b32_e32 v3, v4, v3, vcc
	s_and_b64 vcc, s[4:5], vcc
	v_cndmask_b32_e64 v5, 0, v3, s[4:5]
	v_cndmask_b32_e32 v4, 0, v2, vcc
                                        ; implicit-def: $vgpr0_vgpr1
                                        ; implicit-def: $vgpr2_vgpr3
.LBB153_3:
	s_andn2_saveexec_b64 s[10:11], s[6:7]
	s_cbranch_execz .LBB153_9
; %bb.4:
	s_mov_b32 s4, -2.0
	s_mov_b32 s5, 0x3feccccc
	v_mul_f64 v[4:5], v[0:1], s[4:5]
	s_brev_b32 s4, 5
	s_mov_b32 s5, 0x3ff19999
	v_cmp_le_f64_e32 vcc, v[4:5], v[2:3]
	v_mul_f64 v[4:5], v[0:1], s[4:5]
	v_cmp_ge_f64_e64 s[4:5], v[4:5], v[2:3]
	s_and_b64 s[4:5], vcc, s[4:5]
                                        ; implicit-def: $vgpr4_vgpr5
	s_and_saveexec_b64 s[6:7], s[4:5]
	s_xor_b64 s[4:5], exec, s[6:7]
	s_cbranch_execz .LBB153_6
; %bb.5:
	s_mov_b32 s6, 0
	s_mov_b32 s7, 0x40380000
	v_mul_f64 v[4:5], v[0:1], s[6:7]
	s_mov_b32 s6, 0
	s_mov_b32 s7, 0x40280000
	v_fma_f64 v[6:7], v[0:1], s[6:7], 1.0
	s_mov_b32 s6, 0
	s_mov_b32 s7, 0x40180000
	v_mul_f64 v[8:9], v[2:3], s[6:7]
	s_mov_b32 s6, 0
	s_mov_b32 s7, 0xc0504000
	v_mul_f64 v[12:13], v[2:3], s[6:7]
	v_mul_f64 v[12:13], v[12:13], v[2:3]
	v_div_scale_f64 v[14:15], s[6:7], v[0:1], v[0:1], v[12:13]
	v_rcp_f64_e32 v[16:17], v[14:15]
	v_mov_b32_e32 v10, 0
	v_mov_b32_e32 v11, 0x404a8000
	v_fmac_f64_e32 v[10:11], 0xc05e0000, v[2:3]
	v_mul_f64 v[8:9], v[8:9], v[10:11]
	v_fma_f64 v[10:11], -v[14:15], v[16:17], 1.0
	v_fmac_f64_e32 v[16:17], v[16:17], v[10:11]
	v_fma_f64 v[10:11], -v[14:15], v[16:17], 1.0
	v_fmac_f64_e32 v[16:17], v[16:17], v[10:11]
	v_div_scale_f64 v[10:11], vcc, v[12:13], v[0:1], v[12:13]
	v_mul_f64 v[18:19], v[10:11], v[16:17]
	v_fma_f64 v[10:11], -v[14:15], v[18:19], v[10:11]
	v_fma_f64 v[4:5], v[4:5], v[6:7], 1.0
	v_mul_f64 v[6:7], v[0:1], v[0:1]
	v_div_fmas_f64 v[10:11], v[10:11], v[16:17], v[18:19]
	v_fmac_f64_e32 v[8:9], 0x40968000, v[6:7]
	v_div_fixup_f64 v[10:11], v[10:11], v[0:1], v[12:13]
	v_add_f64 v[8:9], v[8:9], v[10:11]
	v_mov_b32_e32 v10, 0
	v_mov_b32_e32 v11, 0x405ac000
	s_mov_b32 s6, 0
	v_fmac_f64_e32 v[10:11], 0x40ac2000, v[2:3]
	s_mov_b32 s7, 0x4132fc00
	v_fmac_f64_e32 v[8:9], v[10:11], v[0:1]
	v_mul_f64 v[0:1], v[6:7], s[6:7]
	v_mul_f64 v[0:1], v[6:7], v[0:1]
	;; [unrolled: 1-line block ×3, first 2 shown]
	v_div_scale_f64 v[4:5], s[6:7], v[0:1], v[0:1], v[2:3]
	v_rcp_f64_e32 v[6:7], v[4:5]
	v_fma_f64 v[8:9], -v[4:5], v[6:7], 1.0
	v_fmac_f64_e32 v[6:7], v[6:7], v[8:9]
	v_fma_f64 v[8:9], -v[4:5], v[6:7], 1.0
	v_fmac_f64_e32 v[6:7], v[6:7], v[8:9]
	v_div_scale_f64 v[8:9], vcc, v[2:3], v[0:1], v[2:3]
	v_mul_f64 v[10:11], v[8:9], v[6:7]
	v_fma_f64 v[4:5], -v[4:5], v[10:11], v[8:9]
	s_nop 1
	v_div_fmas_f64 v[4:5], v[4:5], v[6:7], v[10:11]
	v_div_fixup_f64 v[4:5], v[4:5], v[0:1], v[2:3]
                                        ; implicit-def: $vgpr0_vgpr1
                                        ; implicit-def: $vgpr2_vgpr3
.LBB153_6:
	s_andn2_saveexec_b64 s[12:13], s[4:5]
	s_cbranch_execz .LBB153_8
; %bb.7:
	s_mov_b32 s14, 0
	v_ldexp_f64 v[4:5], v[0:1], 3
	s_brev_b32 s15, 8
	v_cmp_gt_f64_e32 vcc, s[14:15], v[4:5]
	v_cndmask_b32_e64 v6, 0, 1, vcc
	v_lshlrev_b32_e32 v6, 8, v6
	v_ldexp_f64 v[4:5], v[4:5], v6
	v_rsq_f64_e32 v[6:7], v[4:5]
	v_mov_b32_e32 v16, 0xffffff80
	v_mov_b32_e32 v17, 0x260
	;; [unrolled: 1-line block ×3, first 2 shown]
	v_mul_f64 v[8:9], v[4:5], v[6:7]
	v_mul_f64 v[6:7], v[6:7], 0.5
	v_fma_f64 v[10:11], -v[6:7], v[8:9], 0.5
	v_fmac_f64_e32 v[8:9], v[8:9], v[10:11]
	v_fma_f64 v[12:13], -v[8:9], v[8:9], v[4:5]
	v_fmac_f64_e32 v[6:7], v[6:7], v[10:11]
	v_fmac_f64_e32 v[8:9], v[12:13], v[6:7]
	v_fma_f64 v[10:11], -v[8:9], v[8:9], v[4:5]
	v_fmac_f64_e32 v[8:9], v[10:11], v[6:7]
	v_cndmask_b32_e32 v6, 0, v16, vcc
	v_ldexp_f64 v[6:7], v[8:9], v6
	v_cmp_class_f64_e32 vcc, v[4:5], v17
	v_cndmask_b32_e32 v5, v7, v5, vcc
	v_cndmask_b32_e32 v4, v6, v4, vcc
	v_add_f64 v[6:7], v[0:1], -v[2:3]
	v_div_scale_f64 v[8:9], s[4:5], v[6:7], v[6:7], v[4:5]
	v_rcp_f64_e32 v[12:13], v[8:9]
	v_mov_b32_e32 v10, 0
	s_mov_b32 s6, 0xbf559e2b
	s_mov_b32 s7, 0x3fc3ab76
	v_fma_f64 v[14:15], -v[8:9], v[12:13], 1.0
	v_fmac_f64_e32 v[12:13], v[12:13], v[14:15]
	v_fma_f64 v[14:15], -v[8:9], v[12:13], 1.0
	v_fmac_f64_e32 v[12:13], v[12:13], v[14:15]
	v_div_scale_f64 v[14:15], vcc, v[4:5], v[6:7], v[4:5]
	v_mul_f64 v[18:19], v[14:15], v[12:13]
	v_fma_f64 v[8:9], -v[8:9], v[18:19], v[14:15]
	v_div_scale_f64 v[14:15], s[4:5], v[0:1], v[0:1], v[2:3]
	v_rcp_f64_e32 v[20:21], v[14:15]
	v_div_fmas_f64 v[8:9], v[8:9], v[12:13], v[18:19]
	s_mov_b32 s5, 0x3fe55555
	s_mov_b32 s4, 0x55555555
	v_fma_f64 v[12:13], -v[14:15], v[20:21], 1.0
	v_fmac_f64_e32 v[20:21], v[20:21], v[12:13]
	v_fma_f64 v[12:13], -v[14:15], v[20:21], 1.0
	v_fmac_f64_e32 v[20:21], v[20:21], v[12:13]
	v_div_scale_f64 v[12:13], vcc, v[2:3], v[0:1], v[2:3]
	v_mul_f64 v[22:23], v[12:13], v[20:21]
	v_fma_f64 v[12:13], -v[14:15], v[22:23], v[12:13]
	s_mov_b32 s17, 0x3c7abc9e
	s_nop 0
	v_div_fmas_f64 v[12:13], v[12:13], v[20:21], v[22:23]
	v_div_fixup_f64 v[12:13], v[12:13], v[0:1], v[2:3]
	v_frexp_mant_f64_e32 v[14:15], v[12:13]
	v_cmp_gt_f64_e32 vcc, s[4:5], v[14:15]
	v_cndmask_b32_e64 v11, v48, 2.0, vcc
	v_frexp_exp_i32_f64_e32 v20, v[12:13]
	v_mul_f64 v[14:15], v[14:15], v[10:11]
	v_subbrev_co_u32_e32 v11, vcc, 0, v20, vcc
	v_add_f64 v[20:21], v[14:15], 1.0
	v_rcp_f64_e32 v[22:23], v[20:21]
	v_add_f64 v[26:27], v[20:21], -1.0
	v_add_f64 v[24:25], v[14:15], -1.0
	v_add_f64 v[14:15], v[14:15], -v[26:27]
	v_fma_f64 v[26:27], -v[20:21], v[22:23], 1.0
	v_fmac_f64_e32 v[22:23], v[26:27], v[22:23]
	v_fma_f64 v[26:27], -v[20:21], v[22:23], 1.0
	v_fmac_f64_e32 v[22:23], v[26:27], v[22:23]
	v_mul_f64 v[26:27], v[24:25], v[22:23]
	v_mul_f64 v[28:29], v[20:21], v[26:27]
	v_fma_f64 v[20:21], v[26:27], v[20:21], -v[28:29]
	v_fmac_f64_e32 v[20:21], v[26:27], v[14:15]
	v_add_f64 v[14:15], v[28:29], v[20:21]
	v_add_f64 v[30:31], v[24:25], -v[14:15]
	v_add_f64 v[28:29], v[14:15], -v[28:29]
	;; [unrolled: 1-line block ×5, first 2 shown]
	v_add_f64 v[14:15], v[20:21], v[14:15]
	v_add_f64 v[14:15], v[30:31], v[14:15]
	v_mul_f64 v[14:15], v[22:23], v[14:15]
	v_add_f64 v[20:21], v[26:27], v[14:15]
	v_add_f64 v[22:23], v[20:21], -v[26:27]
	v_add_f64 v[14:15], v[14:15], -v[22:23]
	v_mul_f64 v[22:23], v[20:21], v[20:21]
	v_mov_b32_e32 v24, 0x6b47b09a
	v_mov_b32_e32 v25, 0x3fc38538
	v_fmac_f64_e32 v[24:25], s[6:7], v[22:23]
	v_mov_b32_e32 v26, 0xd7f4df2e
	v_mov_b32_e32 v27, 0x3fc7474d
	v_fmac_f64_e32 v[26:27], v[22:23], v[24:25]
	;; [unrolled: 3-line block ×3, first 2 shown]
	v_mov_b32_e32 v26, 0x9b27acf1
	v_mov_b32_e32 v27, 0x3fd24924
	v_pk_mov_b32 v[28:29], v[26:27], v[26:27] op_sel:[0,1]
	v_fmac_f64_e32 v[28:29], v[22:23], v[24:25]
	v_mov_b32_e32 v24, 0x998ef7b6
	v_mov_b32_e32 v25, 0x3fd99999
	v_pk_mov_b32 v[30:31], v[24:25], v[24:25] op_sel:[0,1]
	v_fmac_f64_e32 v[30:31], v[22:23], v[28:29]
	v_mov_b32_e32 v28, 0x55555780
	v_mov_b32_e32 v29, 0x3fe55555
	v_fmac_f64_e32 v[28:29], v[22:23], v[30:31]
	v_ldexp_f64 v[30:31], v[20:21], 1
	v_mul_f64 v[20:21], v[20:21], v[22:23]
	v_mul_f64 v[20:21], v[20:21], v[28:29]
	v_add_f64 v[22:23], v[30:31], v[20:21]
	v_add_f64 v[28:29], v[22:23], -v[30:31]
	v_ldexp_f64 v[14:15], v[14:15], 1
	v_add_f64 v[20:21], v[20:21], -v[28:29]
	v_add_f64 v[14:15], v[14:15], v[20:21]
	v_add_f64 v[20:21], v[22:23], v[14:15]
	v_add_f64 v[22:23], v[20:21], -v[22:23]
	v_add_f64 v[14:15], v[14:15], -v[22:23]
	v_cvt_f64_i32_e32 v[22:23], v11
	s_mov_b32 s7, 0x3fe62e42
	s_mov_b32 s6, 0xfefa39ef
	v_mul_f64 v[28:29], v[22:23], s[6:7]
	v_fma_f64 v[30:31], v[22:23], s[6:7], -v[28:29]
	s_mov_b32 s16, 0x3b39803f
	v_fmac_f64_e32 v[30:31], s[16:17], v[22:23]
	v_add_f64 v[22:23], v[28:29], v[30:31]
	v_add_f64 v[28:29], v[22:23], -v[28:29]
	v_add_f64 v[28:29], v[30:31], -v[28:29]
	v_add_f64 v[30:31], v[22:23], v[20:21]
	v_add_f64 v[32:33], v[30:31], -v[22:23]
	v_add_f64 v[34:35], v[30:31], -v[32:33]
	v_add_f64 v[22:23], v[22:23], -v[34:35]
	v_add_f64 v[20:21], v[20:21], -v[32:33]
	v_add_f64 v[20:21], v[20:21], v[22:23]
	v_add_f64 v[22:23], v[28:29], v[14:15]
	v_add_f64 v[32:33], v[22:23], -v[28:29]
	v_add_f64 v[34:35], v[22:23], -v[32:33]
	v_add_f64 v[20:21], v[22:23], v[20:21]
	v_add_f64 v[28:29], v[28:29], -v[34:35]
	v_add_f64 v[14:15], v[14:15], -v[32:33]
	v_add_f64 v[22:23], v[30:31], v[20:21]
	v_add_f64 v[14:15], v[14:15], v[28:29]
	v_add_f64 v[28:29], v[22:23], -v[30:31]
	v_add_f64 v[20:21], v[20:21], -v[28:29]
	v_add_f64 v[14:15], v[14:15], v[20:21]
	s_movk_i32 s20, 0x204
	v_add_f64 v[14:15], v[22:23], v[14:15]
	v_cmp_class_f64_e64 vcc, v[12:13], s20
	v_cndmask_b32_e32 v11, v14, v12, vcc
	v_cndmask_b32_e32 v14, v15, v13, vcc
	v_mov_b32_e32 v15, 0xfff00000
	v_cmp_neq_f64_e32 vcc, 0, v[12:13]
	v_add_f64 v[18:19], v[2:3], -v[0:1]
	v_cndmask_b32_e32 v13, v15, v14, vcc
	v_cndmask_b32_e32 v12, 0, v11, vcc
	v_fma_f64 v[14:15], -v[12:13], v[0:1], v[18:19]
	v_mov_b32_e32 v11, 0xbff80000
	v_cmp_eq_f64_e32 vcc, 1.0, v[14:15]
	v_frexp_mant_f64_e64 v[18:19], |v[14:15]|
	v_cndmask_b32_e32 v11, v11, v48, vcc
	v_cmp_gt_f64_e32 vcc, s[4:5], v[18:19]
	v_cndmask_b32_e64 v21, v48, 2.0, vcc
	v_mov_b32_e32 v20, v10
	v_mul_f64 v[18:19], v[18:19], v[20:21]
	v_frexp_exp_i32_f64_e32 v22, v[14:15]
	v_add_f64 v[20:21], v[18:19], 1.0
	v_subbrev_co_u32_e32 v36, vcc, 0, v22, vcc
	v_rcp_f64_e32 v[22:23], v[20:21]
	v_add_f64 v[30:31], v[20:21], -1.0
	v_add_f64 v[28:29], v[18:19], -1.0
	v_add_f64 v[18:19], v[18:19], -v[30:31]
	v_fma_f64 v[30:31], -v[20:21], v[22:23], 1.0
	v_fmac_f64_e32 v[22:23], v[30:31], v[22:23]
	v_fma_f64 v[30:31], -v[20:21], v[22:23], 1.0
	v_fmac_f64_e32 v[22:23], v[30:31], v[22:23]
	v_mul_f64 v[30:31], v[28:29], v[22:23]
	v_mul_f64 v[32:33], v[20:21], v[30:31]
	v_fma_f64 v[20:21], v[30:31], v[20:21], -v[32:33]
	v_fmac_f64_e32 v[20:21], v[30:31], v[18:19]
	v_add_f64 v[18:19], v[32:33], v[20:21]
	v_add_f64 v[34:35], v[28:29], -v[18:19]
	v_add_f64 v[32:33], v[18:19], -v[32:33]
	;; [unrolled: 1-line block ×5, first 2 shown]
	v_add_f64 v[18:19], v[20:21], v[18:19]
	v_add_f64 v[18:19], v[34:35], v[18:19]
	v_mul_f64 v[18:19], v[22:23], v[18:19]
	v_add_f64 v[20:21], v[30:31], v[18:19]
	v_add_f64 v[22:23], v[20:21], -v[30:31]
	v_add_f64 v[18:19], v[18:19], -v[22:23]
	v_mul_f64 v[22:23], v[20:21], v[20:21]
	v_fma_f64 v[28:29], v[20:21], v[20:21], -v[22:23]
	v_add_f64 v[30:31], v[18:19], v[18:19]
	v_fmac_f64_e32 v[28:29], v[20:21], v[30:31]
	v_add_f64 v[30:31], v[22:23], v[28:29]
	v_add_f64 v[22:23], v[30:31], -v[22:23]
	s_mov_b32 s18, 0x4222de17
	v_add_f64 v[22:23], v[28:29], -v[22:23]
	v_mov_b32_e32 v28, 0x968915a9
	v_mov_b32_e32 v29, 0x3fba6564
	s_mov_b32 s19, 0x3fbdee67
	v_fmac_f64_e32 v[28:29], s[18:19], v[30:31]
	v_mov_b32_e32 v32, 0x3abe935a
	v_mov_b32_e32 v33, 0x3fbe25e4
	v_fmac_f64_e32 v[32:33], v[30:31], v[28:29]
	v_mov_b32_e32 v28, 0x47e6c9c2
	v_mov_b32_e32 v29, 0x3fc110ef
	;; [unrolled: 3-line block ×5, first 2 shown]
	v_fmac_f64_e32 v[32:33], v[30:31], v[28:29]
	v_mov_b32_e32 v26, 0x924920da
	v_fmac_f64_e32 v[26:27], v[30:31], v[32:33]
	v_mov_b32_e32 v24, 0x9999999c
	v_fmac_f64_e32 v[24:25], v[30:31], v[26:27]
	v_cvt_f64_i32_e32 v[26:27], v36
	v_mul_f64 v[28:29], v[26:27], s[6:7]
	v_mul_f64 v[36:37], v[20:21], v[30:31]
	v_fma_f64 v[32:33], v[26:27], s[6:7], -v[28:29]
	v_fma_f64 v[38:39], v[30:31], v[20:21], -v[36:37]
	v_fmac_f64_e32 v[32:33], s[16:17], v[26:27]
	v_fmac_f64_e32 v[38:39], v[30:31], v[18:19]
	v_add_f64 v[26:27], v[28:29], v[32:33]
	v_fmac_f64_e32 v[38:39], v[22:23], v[20:21]
	v_add_f64 v[28:29], v[26:27], -v[28:29]
	v_ldexp_f64 v[34:35], v[18:19], 1
	v_add_f64 v[18:19], v[36:37], v[38:39]
	v_add_f64 v[28:29], v[32:33], -v[28:29]
	v_ldexp_f64 v[32:33], v[20:21], 1
	v_add_f64 v[20:21], v[18:19], -v[36:37]
	v_mul_f64 v[36:37], v[30:31], v[24:25]
	v_fma_f64 v[30:31], v[30:31], v[24:25], -v[36:37]
	v_fmac_f64_e32 v[30:31], v[22:23], v[24:25]
	v_add_f64 v[22:23], v[36:37], v[30:31]
	v_add_f64 v[24:25], v[22:23], -v[36:37]
	v_add_f64 v[24:25], v[30:31], -v[24:25]
	v_add_f64 v[30:31], v[22:23], s[4:5]
	s_mov_b32 s5, 0xbfe55555
	v_add_f64 v[36:37], v[30:31], s[4:5]
	s_mov_b32 s4, 0xd5df274d
	s_mov_b32 s5, 0x3c8543b0
	v_add_f64 v[22:23], v[22:23], -v[36:37]
	v_add_f64 v[24:25], v[24:25], s[4:5]
	v_add_f64 v[22:23], v[24:25], v[22:23]
	;; [unrolled: 1-line block ×3, first 2 shown]
	v_add_f64 v[30:31], v[30:31], -v[24:25]
	v_add_f64 v[22:23], v[22:23], v[30:31]
	v_mul_f64 v[30:31], v[18:19], v[24:25]
	v_fma_f64 v[36:37], v[18:19], v[24:25], -v[30:31]
	v_add_f64 v[20:21], v[38:39], -v[20:21]
	v_fmac_f64_e32 v[36:37], v[18:19], v[22:23]
	v_fmac_f64_e32 v[36:37], v[20:21], v[24:25]
	v_add_f64 v[18:19], v[30:31], v[36:37]
	v_add_f64 v[20:21], v[18:19], -v[30:31]
	v_add_f64 v[22:23], v[32:33], v[18:19]
	v_add_f64 v[20:21], v[36:37], -v[20:21]
	v_add_f64 v[24:25], v[22:23], -v[32:33]
	;; [unrolled: 1-line block ×3, first 2 shown]
	v_add_f64 v[20:21], v[34:35], v[20:21]
	v_add_f64 v[18:19], v[20:21], v[18:19]
	;; [unrolled: 1-line block ×3, first 2 shown]
	v_add_f64 v[22:23], v[20:21], -v[22:23]
	v_add_f64 v[18:19], v[18:19], -v[22:23]
	v_add_f64 v[22:23], v[26:27], v[20:21]
	v_add_f64 v[24:25], v[22:23], -v[26:27]
	v_add_f64 v[30:31], v[22:23], -v[24:25]
	v_add_f64 v[26:27], v[26:27], -v[30:31]
	v_add_f64 v[20:21], v[20:21], -v[24:25]
	v_add_f64 v[20:21], v[20:21], v[26:27]
	v_add_f64 v[24:25], v[28:29], v[18:19]
	v_add_f64 v[26:27], v[24:25], -v[28:29]
	v_add_f64 v[20:21], v[24:25], v[20:21]
	v_add_f64 v[30:31], v[24:25], -v[26:27]
	;; [unrolled: 2-line block ×3, first 2 shown]
	v_add_f64 v[18:19], v[18:19], -v[26:27]
	v_add_f64 v[22:23], v[24:25], -v[22:23]
	v_add_f64 v[18:19], v[18:19], v[28:29]
	v_add_f64 v[20:21], v[20:21], -v[22:23]
	v_add_f64 v[18:19], v[18:19], v[20:21]
	v_add_f64 v[20:21], v[24:25], v[18:19]
	v_add_f64 v[22:23], v[20:21], -v[24:25]
	v_add_f64 v[18:19], v[18:19], -v[22:23]
	v_mul_f64 v[22:23], v[10:11], v[20:21]
	v_fma_f64 v[20:21], v[10:11], v[20:21], -v[22:23]
	v_fmac_f64_e32 v[20:21], v[10:11], v[18:19]
	v_add_f64 v[18:19], v[22:23], v[20:21]
	v_cmp_class_f64_e64 vcc, v[22:23], s20
	s_mov_b32 s4, 0x652b82fe
	v_add_f64 v[24:25], v[18:19], -v[22:23]
	v_cndmask_b32_e32 v19, v19, v23, vcc
	v_cndmask_b32_e32 v18, v18, v22, vcc
	s_mov_b32 s5, 0x3ff71547
	v_mul_f64 v[22:23], v[18:19], s[4:5]
	v_rndne_f64_e32 v[22:23], v[22:23]
	s_mov_b32 s7, 0xbfe62e42
	v_add_f64 v[20:21], v[20:21], -v[24:25]
	v_fma_f64 v[24:25], s[6:7], v[22:23], v[18:19]
	s_mov_b32 s17, 0xbc7abc9e
	s_mov_b32 s4, 0x6a5dcb37
	v_fmac_f64_e32 v[24:25], s[16:17], v[22:23]
	v_mov_b32_e32 v26, 0xfca7ab0c
	v_mov_b32_e32 v27, 0x3e928af3
	s_mov_b32 s5, 0x3e5ade15
	v_fmac_f64_e32 v[26:27], s[4:5], v[24:25]
	v_mov_b32_e32 v28, 0x623fde64
	v_mov_b32_e32 v29, 0x3ec71dee
	v_fmac_f64_e32 v[28:29], v[24:25], v[26:27]
	v_mov_b32_e32 v26, 0x7c89e6b0
	v_mov_b32_e32 v27, 0x3efa0199
	;; [unrolled: 3-line block ×7, first 2 shown]
	s_mov_b32 s18, 0
	v_fmac_f64_e32 v[28:29], v[24:25], v[26:27]
	v_mov_b32_e32 v26, 11
	v_mov_b32_e32 v27, 0x3fe00000
	s_mov_b32 s19, 0x7ff00000
	v_fmac_f64_e32 v[26:27], v[24:25], v[28:29]
	s_mov_b32 s4, 0
	v_cmp_neq_f64_e64 vcc, |v[18:19]|, s[18:19]
	v_fma_f64 v[26:27], v[24:25], v[26:27], 1.0
	s_mov_b32 s5, 0x40900000
	v_cndmask_b32_e32 v21, 0, v21, vcc
	v_cndmask_b32_e32 v20, 0, v20, vcc
	v_fma_f64 v[24:25], v[24:25], v[26:27], 1.0
	v_cvt_i32_f64_e32 v22, v[22:23]
	v_cmp_lt_f64_e32 vcc, s[4:5], v[18:19]
	s_mov_b32 s4, 0
	v_ldexp_f64 v[22:23], v[24:25], v22
	v_mov_b32_e32 v26, 0x7ff00000
	s_mov_b32 s5, 0xc090cc00
	v_cndmask_b32_e64 v24, v22, 0, vcc
	v_cndmask_b32_e32 v25, v23, v26, vcc
	v_cmp_ngt_f64_e64 s[4:5], s[4:5], v[18:19]
	v_and_b32_e32 v23, 0x7fffffff, v23
	v_cndmask_b32_e64 v19, 0, v25, s[4:5]
	v_cndmask_b32_e64 v18, 0, v24, s[4:5]
	v_cmp_eq_f64_e64 s[6:7], s[18:19], v[22:23]
	v_pk_mov_b32 v[24:25], v[18:19], v[18:19] op_sel:[0,1]
	s_or_b64 s[6:7], vcc, s[6:7]
	v_fmac_f64_e32 v[24:25], v[24:25], v[20:21]
	s_and_b64 vcc, s[4:5], s[6:7]
	v_cndmask_b32_e32 v22, v24, v18, vcc
	v_cndmask_b32_e32 v23, v25, v19, vcc
	v_trunc_f64_e32 v[18:19], v[10:11]
	v_cmp_eq_f64_e32 vcc, v[18:19], v[10:11]
	v_mul_f64 v[18:19], v[10:11], 0.5
	v_trunc_f64_e32 v[20:21], v[18:19]
	v_cmp_neq_f64_e64 s[4:5], v[20:21], v[18:19]
	s_and_b64 s[4:5], vcc, s[4:5]
	s_brev_b32 s21, -2
	v_cndmask_b32_e64 v18, v48, v15, s[4:5]
	v_mov_b32_e32 v24, 0x7ff80000
	v_bfi_b32 v18, s21, v23, v18
	v_cndmask_b32_e32 v19, v24, v18, vcc
	v_cndmask_b32_e32 v20, 0, v22, vcc
	v_cmp_gt_f64_e32 vcc, 0, v[14:15]
	v_cndmask_b32_e32 v20, v22, v20, vcc
	v_cndmask_b32_e32 v21, v18, v19, vcc
	v_cmp_eq_f64_e32 vcc, 0, v[14:15]
	v_cmp_gt_f64_e64 s[6:7], 0, v[10:11]
	s_xor_b64 s[6:7], vcc, s[6:7]
	v_cndmask_b32_e64 v10, v26, 0, s[6:7]
	v_cndmask_b32_e64 v11, 0, v15, s[4:5]
	v_bfi_b32 v22, s21, v10, v11
	v_div_scale_f64 v[10:11], s[4:5], v[0:1], v[0:1], 2.0
	v_rcp_f64_e32 v[18:19], v[10:11]
	v_cmp_class_f64_e64 s[16:17], v[14:15], s20
	s_or_b64 vcc, vcc, s[16:17]
	v_cndmask_b32_e32 v25, v21, v22, vcc
	v_cndmask_b32_e64 v26, v20, 0, vcc
	v_fma_f64 v[20:21], -v[10:11], v[18:19], 1.0
	v_fmac_f64_e32 v[18:19], v[18:19], v[20:21]
	v_fma_f64 v[20:21], -v[10:11], v[18:19], 1.0
	v_fmac_f64_e32 v[18:19], v[18:19], v[20:21]
	v_div_scale_f64 v[20:21], vcc, 2.0, v[0:1], 2.0
	v_mul_f64 v[22:23], v[20:21], v[18:19]
	v_fma_f64 v[10:11], -v[10:11], v[22:23], v[20:21]
	v_cmp_o_f64_e64 s[4:5], v[14:15], v[14:15]
	s_nop 0
	v_div_fmas_f64 v[10:11], v[10:11], v[18:19], v[22:23]
	v_div_fixup_f64 v[10:11], v[10:11], v[0:1], 2.0
	v_cmp_gt_f64_e32 vcc, s[14:15], v[10:11]
	v_cndmask_b32_e64 v18, 0, 1, vcc
	v_lshlrev_b32_e32 v18, 8, v18
	v_ldexp_f64 v[10:11], v[10:11], v18
	v_rsq_f64_e32 v[18:19], v[10:11]
	v_cndmask_b32_e64 v15, v24, v25, s[4:5]
	v_cndmask_b32_e32 v16, 0, v16, vcc
	v_cmp_class_f64_e32 vcc, v[10:11], v17
	v_mul_f64 v[20:21], v[10:11], v[18:19]
	v_mul_f64 v[18:19], v[18:19], 0.5
	v_fma_f64 v[22:23], -v[18:19], v[20:21], 0.5
	v_fmac_f64_e32 v[20:21], v[20:21], v[22:23]
	v_fma_f64 v[24:25], -v[20:21], v[20:21], v[10:11]
	v_fmac_f64_e32 v[18:19], v[18:19], v[22:23]
	v_fmac_f64_e32 v[20:21], v[24:25], v[18:19]
	v_fma_f64 v[22:23], -v[20:21], v[20:21], v[10:11]
	v_fmac_f64_e32 v[20:21], v[22:23], v[18:19]
	v_ldexp_f64 v[18:19], v[20:21], v16
	v_cndmask_b32_e32 v11, v19, v11, vcc
	v_cndmask_b32_e32 v10, v18, v10, vcc
	v_add_f64 v[16:17], v[0:1], v[2:3]
	v_div_fixup_f64 v[8:9], v[8:9], v[6:7], v[4:5]
	v_mul_f64 v[10:11], v[10:11], v[16:17]
	v_mul_f64 v[6:7], v[6:7], v[6:7]
	v_cndmask_b32_e64 v14, 0, v26, s[4:5]
	v_div_scale_f64 v[16:17], s[4:5], v[6:7], v[6:7], v[10:11]
	v_rcp_f64_e32 v[18:19], v[16:17]
	v_xor_b32_e32 v26, 0x80000000, v15
	v_cmp_lt_f64_e32 vcc, v[2:3], v[0:1]
	v_cndmask_b32_e32 v15, v15, v26, vcc
	v_add_f64 v[8:9], v[8:9], v[14:15]
	v_fma_f64 v[14:15], -v[16:17], v[18:19], 1.0
	v_fmac_f64_e32 v[18:19], v[18:19], v[14:15]
	v_fma_f64 v[14:15], -v[16:17], v[18:19], 1.0
	v_fmac_f64_e32 v[18:19], v[18:19], v[14:15]
	v_div_scale_f64 v[14:15], vcc, v[10:11], v[6:7], v[10:11]
	s_mov_b32 s4, 0
	v_mul_f64 v[20:21], v[14:15], v[18:19]
	s_mov_b32 s5, 0x40280000
	v_fma_f64 v[14:15], -v[16:17], v[20:21], v[14:15]
	v_mul_f64 v[16:17], v[0:1], s[4:5]
	v_div_scale_f64 v[22:23], s[4:5], v[16:17], v[16:17], 1.0
	v_rcp_f64_e32 v[24:25], v[22:23]
	v_div_fmas_f64 v[14:15], v[14:15], v[18:19], v[20:21]
	s_mov_b32 s4, 0
	v_div_fixup_f64 v[6:7], v[14:15], v[6:7], v[10:11]
	s_mov_b32 s5, 0x40380000
	v_fma_f64 v[6:7], v[12:13], v[8:9], -v[6:7]
	v_fma_f64 v[8:9], -v[22:23], v[24:25], 1.0
	v_mul_f64 v[0:1], v[0:1], s[4:5]
	v_fmac_f64_e32 v[24:25], v[24:25], v[8:9]
	v_div_scale_f64 v[12:13], s[4:5], v[0:1], v[0:1], 1.0
	v_fma_f64 v[8:9], -v[22:23], v[24:25], 1.0
	v_rcp_f64_e32 v[14:15], v[12:13]
	v_fmac_f64_e32 v[24:25], v[24:25], v[8:9]
	v_div_scale_f64 v[8:9], vcc, 1.0, v[16:17], 1.0
	v_mul_f64 v[10:11], v[8:9], v[24:25]
	v_fma_f64 v[8:9], -v[22:23], v[10:11], v[8:9]
	v_mul_f64 v[2:3], v[6:7], v[2:3]
	s_nop 0
	v_div_fmas_f64 v[8:9], v[8:9], v[24:25], v[10:11]
	v_fma_f64 v[10:11], -v[12:13], v[14:15], 1.0
	v_fmac_f64_e32 v[14:15], v[14:15], v[10:11]
	v_fma_f64 v[10:11], -v[12:13], v[14:15], 1.0
	v_fmac_f64_e32 v[14:15], v[14:15], v[10:11]
	v_div_scale_f64 v[10:11], vcc, 1.0, v[0:1], 1.0
	v_div_fixup_f64 v[8:9], v[8:9], v[16:17], 1.0
	v_mul_f64 v[16:17], v[10:11], v[14:15]
	v_fma_f64 v[10:11], -v[12:13], v[16:17], v[10:11]
	s_nop 0
	v_div_fmas_f64 v[10:11], v[10:11], v[14:15], v[16:17]
	v_div_fixup_f64 v[0:1], v[10:11], v[0:1], 1.0
	v_add_f64 v[0:1], v[0:1], 1.0
	v_fma_f64 v[0:1], v[8:9], v[0:1], 1.0
	v_mul_f64 v[0:1], v[2:3], -v[0:1]
	v_div_scale_f64 v[2:3], s[4:5], v[4:5], v[4:5], v[0:1]
	v_rcp_f64_e32 v[6:7], v[2:3]
	v_fma_f64 v[8:9], -v[2:3], v[6:7], 1.0
	v_fmac_f64_e32 v[6:7], v[6:7], v[8:9]
	v_fma_f64 v[8:9], -v[2:3], v[6:7], 1.0
	v_fmac_f64_e32 v[6:7], v[6:7], v[8:9]
	v_div_scale_f64 v[8:9], vcc, v[0:1], v[4:5], v[0:1]
	v_mul_f64 v[10:11], v[8:9], v[6:7]
	v_fma_f64 v[2:3], -v[2:3], v[10:11], v[8:9]
	s_nop 1
	v_div_fmas_f64 v[2:3], v[2:3], v[6:7], v[10:11]
	v_div_fixup_f64 v[4:5], v[2:3], v[4:5], v[0:1]
.LBB153_8:
	s_or_b64 exec, exec, s[12:13]
.LBB153_9:
	s_or_b64 exec, exec, s[10:11]
                                        ; implicit-def: $vgpr0_vgpr1
                                        ; implicit-def: $vgpr2_vgpr3
                                        ; implicit-def: $vgpr6_vgpr7
.LBB153_10:
	s_andn2_saveexec_b64 s[12:13], s[8:9]
	s_cbranch_execz .LBB153_34
; %bb.11:
	v_mov_b32_e32 v4, 0
	v_cmp_neq_f64_e32 vcc, 0, v[0:1]
	v_mov_b32_e32 v5, 0x7ff00000
	s_and_saveexec_b64 s[6:7], vcc
	s_cbranch_execz .LBB153_33
; %bb.12:
	v_cmp_gt_f64_e32 vcc, 0, v[0:1]
	s_mov_b64 s[10:11], -1
	v_pk_mov_b32 v[8:9], 0, 0
                                        ; implicit-def: $sgpr14_sgpr15
	s_and_saveexec_b64 s[8:9], vcc
	s_cbranch_execz .LBB153_20
; %bb.13:
	v_floor_f64_e32 v[4:5], v[0:1]
	v_cmp_neq_f64_e32 vcc, v[4:5], v[0:1]
	s_mov_b64 s[4:5], 0
	v_pk_mov_b32 v[8:9], 0, 0
                                        ; implicit-def: $vgpr6_vgpr7
	s_and_saveexec_b64 s[10:11], vcc
	s_cbranch_execz .LBB153_19
; %bb.14:
	s_mov_b32 s15, 0x400921fb
	s_mov_b32 s14, 0x54442d18
	s_mov_b32 s4, 0
	v_mul_f64 v[4:5], v[0:1], s[14:15]
	s_mov_b32 s5, 0x41d00000
	v_cmp_nlt_f64_e64 s[4:5], |v[4:5]|, s[4:5]
                                        ; implicit-def: $vgpr10
                                        ; implicit-def: $vgpr6_vgpr7
                                        ; implicit-def: $vgpr8_vgpr9
	s_and_saveexec_b64 s[16:17], s[4:5]
	s_xor_b64 s[16:17], exec, s[16:17]
	s_cbranch_execz .LBB153_16
; %bb.15:
	s_mov_b32 s4, 0
	s_mov_b32 s5, 0x7b000000
	s_movk_i32 s15, 0xff80
	v_and_b32_e32 v12, 0x7fffffff, v5
	v_ldexp_f64 v[10:11], |v[4:5]|, s15
	v_cmp_ge_f64_e64 vcc, |v[4:5]|, s[4:5]
	v_trig_preop_f64 v[6:7], |v[4:5]|, 0
	v_cndmask_b32_e32 v11, v12, v11, vcc
	v_cndmask_b32_e32 v10, v4, v10, vcc
	v_trig_preop_f64 v[8:9], |v[4:5]|, 1
	v_mul_f64 v[14:15], v[6:7], v[10:11]
	v_mul_f64 v[12:13], v[8:9], v[10:11]
	v_fma_f64 v[6:7], v[6:7], v[10:11], -v[14:15]
	v_add_f64 v[16:17], v[12:13], v[6:7]
	v_add_f64 v[18:19], v[14:15], v[16:17]
	s_mov_b32 s4, 0
	v_ldexp_f64 v[20:21], v[18:19], -2
	s_mov_b32 s5, 0x7ff00000
	v_fract_f64_e32 v[22:23], v[20:21]
	v_cmp_neq_f64_e64 vcc, |v[20:21]|, s[4:5]
	v_cndmask_b32_e32 v21, 0, v23, vcc
	v_cndmask_b32_e32 v20, 0, v22, vcc
	v_add_f64 v[22:23], v[16:17], -v[12:13]
	v_add_f64 v[6:7], v[6:7], -v[22:23]
	;; [unrolled: 1-line block ×4, first 2 shown]
	v_fma_f64 v[8:9], v[8:9], v[10:11], -v[12:13]
	v_trig_preop_f64 v[12:13], |v[4:5]|, 2
	v_add_f64 v[6:7], v[6:7], v[22:23]
	v_mul_f64 v[22:23], v[12:13], v[10:11]
	v_add_f64 v[26:27], v[22:23], v[8:9]
	v_add_f64 v[28:29], v[26:27], v[6:7]
	v_add_f64 v[14:15], v[18:19], -v[14:15]
	v_add_f64 v[18:19], v[28:29], -v[26:27]
	;; [unrolled: 1-line block ×5, first 2 shown]
	v_add_f64 v[6:7], v[6:7], v[18:19]
	v_add_f64 v[18:19], v[26:27], -v[22:23]
	v_add_f64 v[8:9], v[8:9], -v[18:19]
	;; [unrolled: 1-line block ×4, first 2 shown]
	v_add_f64 v[8:9], v[8:9], v[18:19]
	v_add_f64 v[14:15], v[16:17], -v[14:15]
	v_add_f64 v[6:7], v[8:9], v[6:7]
	v_fma_f64 v[8:9], v[12:13], v[10:11], -v[22:23]
	v_add_f64 v[16:17], v[14:15], v[28:29]
	v_add_f64 v[6:7], v[8:9], v[6:7]
	v_ldexp_f64 v[8:9], v[20:21], 2
	v_add_f64 v[10:11], v[16:17], v[8:9]
	v_mov_b32_e32 v12, 0x40100000
	v_cmp_gt_f64_e32 vcc, 0, v[10:11]
	v_mov_b32_e32 v24, 0
	v_cndmask_b32_e32 v25, 0, v12, vcc
	v_add_f64 v[14:15], v[16:17], -v[14:15]
	v_add_f64 v[8:9], v[8:9], v[24:25]
	v_add_f64 v[14:15], v[28:29], -v[14:15]
	v_add_f64 v[10:11], v[16:17], v[8:9]
	v_add_f64 v[6:7], v[14:15], v[6:7]
	v_cvt_i32_f64_e32 v14, v[10:11]
	v_cvt_f64_i32_e32 v[10:11], v14
	v_add_f64 v[8:9], v[8:9], -v[10:11]
	v_add_f64 v[12:13], v[16:17], v[8:9]
	v_add_f64 v[8:9], v[12:13], -v[8:9]
	v_add_f64 v[8:9], v[16:17], -v[8:9]
	v_add_f64 v[6:7], v[6:7], v[8:9]
	v_cmp_le_f64_e32 vcc, 0.5, v[12:13]
	v_mov_b32_e32 v8, 0x3ff00000
	v_cndmask_b32_e32 v25, 0, v8, vcc
	v_add_f64 v[8:9], v[12:13], -v[24:25]
	v_add_f64 v[12:13], v[8:9], v[6:7]
	v_addc_co_u32_e64 v10, s[4:5], 0, v14, vcc
	v_add_f64 v[8:9], v[12:13], -v[8:9]
	s_mov_b32 s15, 0x3ff921fb
	v_add_f64 v[6:7], v[6:7], -v[8:9]
	v_mul_f64 v[8:9], v[12:13], s[14:15]
	s_mov_b32 s4, 0x33145c07
	v_fma_f64 v[14:15], v[12:13], s[14:15], -v[8:9]
	s_mov_b32 s5, 0x3c91a626
	v_fmac_f64_e32 v[14:15], s[4:5], v[12:13]
	v_fmac_f64_e32 v[14:15], s[14:15], v[6:7]
	v_add_f64 v[6:7], v[8:9], v[14:15]
	v_add_f64 v[8:9], v[6:7], -v[8:9]
	v_add_f64 v[8:9], v[14:15], -v[8:9]
.LBB153_16:
	s_andn2_saveexec_b64 s[4:5], s[16:17]
	s_cbranch_execz .LBB153_18
; %bb.17:
	s_mov_b32 s14, 0x6dc9c883
	s_mov_b32 s15, 0x3fe45f30
	v_mul_f64 v[6:7], |v[4:5]|, s[14:15]
	s_mov_b32 s14, 0x54442d18
	v_rndne_f64_e32 v[10:11], v[6:7]
	s_mov_b32 s15, 0xbff921fb
	v_fma_f64 v[6:7], v[10:11], s[14:15], |v[4:5]|
	s_mov_b32 s15, 0xbc91a626
	s_mov_b32 s14, 0x33145c00
	v_mul_f64 v[12:13], v[10:11], s[14:15]
	v_add_f64 v[16:17], v[6:7], v[12:13]
	v_fma_f64 v[8:9], s[14:15], v[10:11], v[6:7]
	s_mov_b32 s15, 0x3c91a626
	v_add_f64 v[6:7], v[6:7], -v[16:17]
	v_fma_f64 v[14:15], s[14:15], v[10:11], v[12:13]
	v_add_f64 v[6:7], v[6:7], v[12:13]
	v_add_f64 v[12:13], v[16:17], -v[8:9]
	v_add_f64 v[6:7], v[12:13], v[6:7]
	s_mov_b32 s14, 0x252049c0
	v_add_f64 v[12:13], v[6:7], -v[14:15]
	s_mov_b32 s15, 0xb97b839a
	v_fmac_f64_e32 v[12:13], s[14:15], v[10:11]
	v_add_f64 v[6:7], v[8:9], v[12:13]
	v_add_f64 v[8:9], v[6:7], -v[8:9]
	v_add_f64 v[8:9], v[12:13], -v[8:9]
	v_cvt_i32_f64_e32 v10, v[10:11]
.LBB153_18:
	s_or_b64 exec, exec, s[4:5]
	v_mul_f64 v[12:13], v[6:7], v[6:7]
	v_fma_f64 v[14:15], v[6:7], v[6:7], -v[12:13]
	v_add_f64 v[16:17], v[8:9], v[8:9]
	v_fmac_f64_e32 v[14:15], v[6:7], v[16:17]
	s_mov_b32 s14, 0xc751c08c
	v_add_f64 v[12:13], v[12:13], v[14:15]
	v_mov_b32_e32 v14, 0xa9a29f71
	v_mov_b32_e32 v15, 0xbf078809
	s_mov_b32 s15, 0x3ef5e089
	v_fmac_f64_e32 v[14:15], s[14:15], v[12:13]
	v_mov_b32_e32 v16, 0x90a8aae0
	v_mov_b32_e32 v17, 0x3f17746f
	v_fmac_f64_e32 v[16:17], v[12:13], v[14:15]
	v_mov_b32_e32 v14, 0xa6fbf144
	v_mov_b32_e32 v15, 0xbefbb44d
	;; [unrolled: 3-line block ×12, first 2 shown]
	v_fmac_f64_e32 v[14:15], v[12:13], v[16:17]
	v_mul_f64 v[12:13], v[12:13], v[14:15]
	v_mul_f64 v[14:15], v[6:7], v[12:13]
	v_add_f64 v[16:17], v[6:7], v[14:15]
	v_fma_f64 v[12:13], v[6:7], v[12:13], -v[14:15]
	v_add_f64 v[6:7], v[16:17], -v[6:7]
	v_add_f64 v[6:7], v[14:15], -v[6:7]
	v_add_f64 v[8:9], v[8:9], v[12:13]
	v_add_f64 v[6:7], v[8:9], v[6:7]
	;; [unrolled: 1-line block ×3, first 2 shown]
	v_rcp_f64_e32 v[12:13], v[8:9]
	v_and_b32_e32 v20, 1, v10
	v_add_f64 v[10:11], v[8:9], -v[16:17]
	v_add_f64 v[6:7], v[6:7], -v[10:11]
	v_fma_f64 v[10:11], -v[8:9], v[12:13], 1.0
	v_fmac_f64_e32 v[12:13], v[10:11], v[12:13]
	v_fma_f64 v[10:11], -v[8:9], v[12:13], 1.0
	v_fmac_f64_e32 v[12:13], v[10:11], v[12:13]
	v_mul_f64 v[10:11], v[8:9], v[12:13]
	v_fma_f64 v[14:15], v[12:13], v[8:9], -v[10:11]
	v_fmac_f64_e32 v[14:15], v[12:13], v[6:7]
	v_add_f64 v[6:7], v[10:11], v[14:15]
	v_add_f64 v[16:17], -v[6:7], 1.0
	v_add_f64 v[10:11], v[6:7], -v[10:11]
	v_add_f64 v[18:19], -v[16:17], 1.0
	v_add_f64 v[6:7], v[18:19], -v[6:7]
	v_add_f64 v[10:11], v[10:11], -v[14:15]
	v_add_f64 v[6:7], v[10:11], v[6:7]
	v_add_f64 v[6:7], v[16:17], v[6:7]
	v_mul_f64 v[6:7], v[12:13], v[6:7]
	v_add_f64 v[6:7], v[12:13], v[6:7]
	v_xor_b32_e32 v7, 0x80000000, v7
	v_cmp_eq_u32_e32 vcc, 0, v20
	v_cndmask_b32_e32 v6, v6, v8, vcc
	v_cndmask_b32_e32 v7, v7, v9, vcc
	v_and_b32_e32 v8, 0x80000000, v5
	s_movk_i32 s14, 0x1f8
	v_xor_b32_e32 v7, v7, v8
	v_cmp_class_f64_e64 vcc, v[4:5], s14
	v_mov_b32_e32 v5, 0x7ff80000
	s_mov_b32 s14, 0x54442d18
	v_cndmask_b32_e32 v4, 0, v6, vcc
	v_cndmask_b32_e32 v5, v5, v7, vcc
	s_mov_b32 s15, 0xc00921fb
	v_div_scale_f64 v[6:7], s[16:17], v[4:5], v[4:5], s[14:15]
	v_rcp_f64_e32 v[8:9], v[6:7]
	s_mov_b64 s[4:5], exec
	v_fma_f64 v[10:11], -v[6:7], v[8:9], 1.0
	v_fmac_f64_e32 v[8:9], v[8:9], v[10:11]
	v_fma_f64 v[10:11], -v[6:7], v[8:9], 1.0
	v_fmac_f64_e32 v[8:9], v[8:9], v[10:11]
	v_div_scale_f64 v[10:11], vcc, s[14:15], v[4:5], s[14:15]
	v_mul_f64 v[12:13], v[10:11], v[8:9]
	v_fma_f64 v[6:7], -v[6:7], v[12:13], v[10:11]
	s_nop 1
	v_div_fmas_f64 v[6:7], v[6:7], v[8:9], v[12:13]
	v_div_fixup_f64 v[8:9], v[6:7], v[4:5], s[14:15]
	v_add_f64 v[6:7], -v[0:1], 1.0
.LBB153_19:
	s_or_b64 exec, exec, s[10:11]
	s_mov_b32 s14, 0
	s_mov_b32 s15, 0x7ff00000
	s_orn2_b64 s[10:11], s[4:5], exec
.LBB153_20:
	s_or_b64 exec, exec, s[8:9]
	v_pk_mov_b32 v[4:5], s[14:15], s[14:15] op_sel:[0,1]
	s_and_saveexec_b64 s[4:5], s[10:11]
	s_cbranch_execz .LBB153_32
; %bb.21:
	s_mov_b32 s10, 0
	s_mov_b32 s11, 0x40240000
	v_cmp_gt_f64_e32 vcc, s[10:11], v[6:7]
	v_pk_mov_b32 v[4:5], 0, 0
	s_and_saveexec_b64 s[8:9], vcc
	s_cbranch_execz .LBB153_25
; %bb.22:
	s_mov_b64 s[14:15], 0
	v_pk_mov_b32 v[4:5], 0, 0
.LBB153_23:                             ; =>This Inner Loop Header: Depth=1
	v_div_scale_f64 v[10:11], s[16:17], v[6:7], v[6:7], 1.0
	v_rcp_f64_e32 v[12:13], v[10:11]
	v_div_scale_f64 v[14:15], vcc, 1.0, v[6:7], 1.0
	v_fma_f64 v[16:17], -v[10:11], v[12:13], 1.0
	v_fmac_f64_e32 v[12:13], v[12:13], v[16:17]
	v_fma_f64 v[16:17], -v[10:11], v[12:13], 1.0
	v_fmac_f64_e32 v[12:13], v[12:13], v[16:17]
	v_mul_f64 v[16:17], v[14:15], v[12:13]
	v_fma_f64 v[10:11], -v[10:11], v[16:17], v[14:15]
	v_div_fmas_f64 v[10:11], v[10:11], v[12:13], v[16:17]
	v_div_fixup_f64 v[10:11], v[10:11], v[6:7], 1.0
	v_add_f64 v[6:7], v[6:7], 1.0
	v_cmp_ngt_f64_e32 vcc, s[10:11], v[6:7]
	s_or_b64 s[14:15], vcc, s[14:15]
	v_add_f64 v[4:5], v[4:5], -v[10:11]
	s_andn2_b64 exec, exec, s[14:15]
	s_cbranch_execnz .LBB153_23
; %bb.24:
	s_or_b64 exec, exec, s[14:15]
.LBB153_25:
	s_or_b64 exec, exec, s[8:9]
	s_mov_b32 s8, 0
	s_mov_b32 s9, 0x40240000
	v_cmp_neq_f64_e32 vcc, s[8:9], v[6:7]
                                        ; implicit-def: $vgpr10_vgpr11
	s_and_saveexec_b64 s[8:9], vcc
	s_xor_b64 s[8:9], exec, s[8:9]
	s_cbranch_execz .LBB153_29
; %bb.26:
	s_brev_b32 s10, 1
	s_mov_b32 s11, 0x43763457
	v_cmp_gt_f64_e32 vcc, s[10:11], v[6:7]
	v_pk_mov_b32 v[10:11], 0, 0
	s_and_saveexec_b64 s[10:11], vcc
	s_cbranch_execz .LBB153_28
; %bb.27:
	v_mul_f64 v[10:11], v[6:7], v[6:7]
	v_div_scale_f64 v[12:13], s[14:15], v[10:11], v[10:11], 1.0
	v_rcp_f64_e32 v[14:15], v[12:13]
	v_div_scale_f64 v[16:17], vcc, 1.0, v[10:11], 1.0
	s_mov_b32 s14, 0x55555555
	v_fma_f64 v[18:19], -v[12:13], v[14:15], 1.0
	v_fmac_f64_e32 v[14:15], v[14:15], v[18:19]
	v_fma_f64 v[18:19], -v[12:13], v[14:15], 1.0
	v_fmac_f64_e32 v[14:15], v[14:15], v[18:19]
	v_mul_f64 v[18:19], v[16:17], v[14:15]
	v_fma_f64 v[12:13], -v[12:13], v[18:19], v[16:17]
	v_div_fmas_f64 v[12:13], v[12:13], v[14:15], v[18:19]
	v_div_fixup_f64 v[10:11], v[12:13], v[10:11], 1.0
	s_mov_b32 s15, 0x3fb55555
	v_fma_f64 v[12:13], v[10:11], 0, s[14:15]
	v_mov_b32_e32 v14, 0x95995996
	v_mov_b32_e32 v15, 0xbf959959
	v_fmac_f64_e32 v[14:15], v[10:11], v[12:13]
	v_mov_b32_e32 v12, 0xf07c1f08
	v_mov_b32_e32 v13, 0x3f7f07c1
	v_fmac_f64_e32 v[12:13], v[10:11], v[14:15]
	v_mov_b32_e32 v14, 0x11111111
	v_mov_b32_e32 v15, 0xbf711111
	v_pk_mov_b32 v[16:17], v[14:15], v[14:15] op_sel:[0,1]
	v_fmac_f64_e32 v[16:17], v[10:11], v[12:13]
	v_mov_b32_e32 v12, 0x10410410
	v_mov_b32_e32 v13, 0x3f704104
	v_fmac_f64_e32 v[12:13], v[10:11], v[16:17]
	v_mov_b32_e32 v15, 0xbf811111
	v_fmac_f64_e32 v[14:15], v[10:11], v[12:13]
	v_fma_f64 v[12:13], v[10:11], v[14:15], s[14:15]
	v_mul_f64 v[10:11], v[10:11], v[12:13]
.LBB153_28:
	s_or_b64 exec, exec, s[10:11]
	s_mov_b32 s10, 0x55555555
	v_frexp_mant_f64_e32 v[12:13], v[6:7]
	s_mov_b32 s11, 0x3fe55555
	v_mov_b32_e32 v14, 0x3ff00000
	v_cmp_gt_f64_e32 vcc, s[10:11], v[12:13]
	v_cndmask_b32_e64 v15, v14, 2.0, vcc
	v_mov_b32_e32 v14, 0
	v_mul_f64 v[12:13], v[12:13], v[14:15]
	v_frexp_exp_i32_f64_e32 v16, v[6:7]
	v_add_f64 v[14:15], v[12:13], 1.0
	v_subbrev_co_u32_e32 v26, vcc, 0, v16, vcc
	v_rcp_f64_e32 v[16:17], v[14:15]
	v_add_f64 v[20:21], v[14:15], -1.0
	v_add_f64 v[18:19], v[12:13], -1.0
	v_add_f64 v[12:13], v[12:13], -v[20:21]
	v_fma_f64 v[20:21], -v[14:15], v[16:17], 1.0
	v_fmac_f64_e32 v[16:17], v[20:21], v[16:17]
	v_fma_f64 v[20:21], -v[14:15], v[16:17], 1.0
	v_fmac_f64_e32 v[16:17], v[20:21], v[16:17]
	v_mul_f64 v[20:21], v[18:19], v[16:17]
	v_mul_f64 v[22:23], v[14:15], v[20:21]
	v_fma_f64 v[14:15], v[20:21], v[14:15], -v[22:23]
	v_fmac_f64_e32 v[14:15], v[20:21], v[12:13]
	v_add_f64 v[12:13], v[22:23], v[14:15]
	v_add_f64 v[24:25], v[18:19], -v[12:13]
	v_add_f64 v[22:23], v[12:13], -v[22:23]
	;; [unrolled: 1-line block ×5, first 2 shown]
	v_add_f64 v[12:13], v[14:15], v[12:13]
	v_add_f64 v[12:13], v[24:25], v[12:13]
	v_mul_f64 v[12:13], v[16:17], v[12:13]
	v_add_f64 v[14:15], v[20:21], v[12:13]
	v_add_f64 v[16:17], v[14:15], -v[20:21]
	s_mov_b32 s10, 0xbf559e2b
	v_add_f64 v[12:13], v[12:13], -v[16:17]
	v_mul_f64 v[16:17], v[14:15], v[14:15]
	v_mov_b32_e32 v18, 0x6b47b09a
	v_mov_b32_e32 v19, 0x3fc38538
	s_mov_b32 s11, 0x3fc3ab76
	v_fmac_f64_e32 v[18:19], s[10:11], v[16:17]
	v_mov_b32_e32 v20, 0xd7f4df2e
	v_mov_b32_e32 v21, 0x3fc7474d
	v_fmac_f64_e32 v[20:21], v[16:17], v[18:19]
	v_mov_b32_e32 v18, 0x16291751
	v_mov_b32_e32 v19, 0x3fcc71c0
	;; [unrolled: 3-line block ×5, first 2 shown]
	v_fmac_f64_e32 v[20:21], v[16:17], v[18:19]
	v_ldexp_f64 v[18:19], v[14:15], 1
	v_mul_f64 v[14:15], v[14:15], v[16:17]
	v_mul_f64 v[14:15], v[14:15], v[20:21]
	v_add_f64 v[16:17], v[18:19], v[14:15]
	v_add_f64 v[18:19], v[16:17], -v[18:19]
	v_ldexp_f64 v[12:13], v[12:13], 1
	v_add_f64 v[14:15], v[14:15], -v[18:19]
	v_add_f64 v[12:13], v[12:13], v[14:15]
	v_add_f64 v[14:15], v[16:17], v[12:13]
	v_add_f64 v[16:17], v[14:15], -v[16:17]
	s_mov_b32 s10, 0xfefa39ef
	v_add_f64 v[12:13], v[12:13], -v[16:17]
	v_cvt_f64_i32_e32 v[16:17], v26
	s_mov_b32 s11, 0x3fe62e42
	v_mul_f64 v[18:19], v[16:17], s[10:11]
	v_fma_f64 v[20:21], v[16:17], s[10:11], -v[18:19]
	s_mov_b32 s10, 0x3b39803f
	s_mov_b32 s11, 0x3c7abc9e
	v_fmac_f64_e32 v[20:21], s[10:11], v[16:17]
	v_add_f64 v[16:17], v[18:19], v[20:21]
	v_add_f64 v[18:19], v[16:17], -v[18:19]
	v_add_f64 v[18:19], v[20:21], -v[18:19]
	v_add_f64 v[20:21], v[16:17], v[14:15]
	v_add_f64 v[22:23], v[20:21], -v[16:17]
	v_add_f64 v[24:25], v[20:21], -v[22:23]
	v_add_f64 v[16:17], v[16:17], -v[24:25]
	v_add_f64 v[14:15], v[14:15], -v[22:23]
	v_add_f64 v[14:15], v[14:15], v[16:17]
	v_add_f64 v[16:17], v[18:19], v[12:13]
	v_add_f64 v[22:23], v[16:17], -v[18:19]
	v_add_f64 v[24:25], v[16:17], -v[22:23]
	v_add_f64 v[14:15], v[16:17], v[14:15]
	v_add_f64 v[18:19], v[18:19], -v[24:25]
	v_add_f64 v[12:13], v[12:13], -v[22:23]
	v_add_f64 v[16:17], v[20:21], v[14:15]
	v_add_f64 v[12:13], v[12:13], v[18:19]
	v_add_f64 v[18:19], v[16:17], -v[20:21]
	v_add_f64 v[14:15], v[14:15], -v[18:19]
	v_add_f64 v[12:13], v[12:13], v[14:15]
	v_div_scale_f64 v[14:15], s[10:11], v[6:7], v[6:7], -0.5
	v_add_f64 v[12:13], v[16:17], v[12:13]
	v_rcp_f64_e32 v[16:17], v[14:15]
	s_movk_i32 s14, 0x204
	v_cmp_class_f64_e64 vcc, v[6:7], s14
	v_cndmask_b32_e32 v13, v13, v7, vcc
	v_cndmask_b32_e32 v12, v12, v6, vcc
	v_add_f64 v[4:5], v[4:5], v[12:13]
	v_fma_f64 v[12:13], -v[14:15], v[16:17], 1.0
	v_fmac_f64_e32 v[16:17], v[16:17], v[12:13]
	v_fma_f64 v[12:13], -v[14:15], v[16:17], 1.0
	v_fmac_f64_e32 v[16:17], v[16:17], v[12:13]
	v_div_scale_f64 v[12:13], vcc, -0.5, v[6:7], -0.5
	v_mul_f64 v[18:19], v[12:13], v[16:17]
	v_fma_f64 v[12:13], -v[14:15], v[18:19], v[12:13]
	s_nop 1
	v_div_fmas_f64 v[12:13], v[12:13], v[16:17], v[18:19]
	v_div_fixup_f64 v[6:7], v[12:13], v[6:7], -0.5
	v_add_f64 v[4:5], v[4:5], v[6:7]
	v_add_f64 v[10:11], v[4:5], -v[10:11]
                                        ; implicit-def: $vgpr4_vgpr5
.LBB153_29:
	s_andn2_saveexec_b64 s[8:9], s[8:9]
; %bb.30:
	s_mov_b32 s10, 0xdc85cc95
	s_mov_b32 s11, 0x40020396
	v_add_f64 v[10:11], v[4:5], s[10:11]
; %bb.31:
	s_or_b64 exec, exec, s[8:9]
	v_add_f64 v[4:5], v[8:9], v[10:11]
.LBB153_32:
	s_or_b64 exec, exec, s[4:5]
.LBB153_33:
	s_or_b64 exec, exec, s[6:7]
	v_div_scale_f64 v[6:7], s[4:5], v[0:1], v[0:1], 1.0
	v_rcp_f64_e32 v[8:9], v[6:7]
	v_div_scale_f64 v[10:11], vcc, 1.0, v[0:1], 1.0
	s_mov_b32 s14, 0x55555555
	v_fma_f64 v[12:13], -v[6:7], v[8:9], 1.0
	v_fmac_f64_e32 v[8:9], v[8:9], v[12:13]
	v_fma_f64 v[12:13], -v[6:7], v[8:9], 1.0
	v_fmac_f64_e32 v[8:9], v[8:9], v[12:13]
	v_mul_f64 v[12:13], v[10:11], v[8:9]
	v_fma_f64 v[6:7], -v[6:7], v[12:13], v[10:11]
	v_mul_f64 v[10:11], v[0:1], v[0:1]
	v_div_scale_f64 v[14:15], s[4:5], v[10:11], v[10:11], 1.0
	v_rcp_f64_e32 v[16:17], v[14:15]
	v_div_fmas_f64 v[6:7], v[6:7], v[8:9], v[12:13]
	v_div_fixup_f64 v[6:7], v[6:7], v[0:1], 1.0
	s_mov_b32 s15, 0x3fe55555
	v_fma_f64 v[8:9], -v[14:15], v[16:17], 1.0
	v_fmac_f64_e32 v[16:17], v[16:17], v[8:9]
	v_fma_f64 v[8:9], -v[14:15], v[16:17], 1.0
	v_fmac_f64_e32 v[16:17], v[16:17], v[8:9]
	v_div_scale_f64 v[8:9], vcc, 1.0, v[10:11], 1.0
	v_mul_f64 v[12:13], v[8:9], v[16:17]
	v_fma_f64 v[8:9], -v[14:15], v[12:13], v[8:9]
	v_add_f64 v[14:15], v[0:1], 1.0
	v_div_scale_f64 v[18:19], s[4:5], v[14:15], v[14:15], v[2:3]
	v_rcp_f64_e32 v[20:21], v[18:19]
	v_div_fmas_f64 v[8:9], v[8:9], v[16:17], v[12:13]
	v_div_fixup_f64 v[8:9], v[8:9], v[10:11], 1.0
	v_mul_f64 v[16:17], v[14:15], v[14:15]
	v_fma_f64 v[10:11], -v[18:19], v[20:21], 1.0
	v_fmac_f64_e32 v[20:21], v[20:21], v[10:11]
	v_fma_f64 v[10:11], -v[18:19], v[20:21], 1.0
	v_fmac_f64_e32 v[20:21], v[20:21], v[10:11]
	v_div_scale_f64 v[10:11], vcc, v[2:3], v[14:15], v[2:3]
	v_mul_f64 v[12:13], v[10:11], v[20:21]
	v_fma_f64 v[10:11], -v[18:19], v[12:13], v[10:11]
	v_div_scale_f64 v[18:19], s[4:5], v[16:17], v[16:17], v[2:3]
	v_rcp_f64_e32 v[22:23], v[18:19]
	v_div_fmas_f64 v[10:11], v[10:11], v[20:21], v[12:13]
	v_div_fixup_f64 v[10:11], v[10:11], v[14:15], v[2:3]
	v_add_f64 v[6:7], v[6:7], -v[10:11]
	v_fma_f64 v[10:11], -v[18:19], v[22:23], 1.0
	v_fmac_f64_e32 v[22:23], v[22:23], v[10:11]
	v_fma_f64 v[10:11], -v[18:19], v[22:23], 1.0
	v_fmac_f64_e32 v[22:23], v[22:23], v[10:11]
	v_div_scale_f64 v[10:11], vcc, v[2:3], v[16:17], v[2:3]
	v_mul_f64 v[12:13], v[10:11], v[22:23]
	v_fma_f64 v[10:11], -v[18:19], v[12:13], v[10:11]
	v_mul_f64 v[18:19], v[2:3], 0.5
	v_mul_f64 v[18:19], v[18:19], v[2:3]
	v_add_f64 v[14:15], v[14:15], 1.0
	v_div_scale_f64 v[20:21], s[4:5], v[14:15], v[14:15], v[18:19]
	v_rcp_f64_e32 v[24:25], v[20:21]
	v_div_fmas_f64 v[10:11], v[10:11], v[22:23], v[12:13]
	v_div_fixup_f64 v[10:11], v[10:11], v[16:17], v[2:3]
	v_add_f64 v[8:9], v[8:9], -v[10:11]
	v_fma_f64 v[10:11], -v[20:21], v[24:25], 1.0
	v_fmac_f64_e32 v[24:25], v[24:25], v[10:11]
	v_fma_f64 v[10:11], -v[20:21], v[24:25], 1.0
	v_fmac_f64_e32 v[24:25], v[24:25], v[10:11]
	v_div_scale_f64 v[10:11], vcc, v[18:19], v[14:15], v[18:19]
	v_mul_f64 v[12:13], v[10:11], v[24:25]
	v_mul_f64 v[16:17], v[14:15], v[14:15]
	v_fma_f64 v[10:11], -v[20:21], v[12:13], v[10:11]
	v_div_scale_f64 v[20:21], s[4:5], v[16:17], v[16:17], v[18:19]
	v_rcp_f64_e32 v[22:23], v[20:21]
	s_mov_b32 s4, 0
	s_mov_b32 s5, 0xc0080000
	v_div_fmas_f64 v[10:11], v[10:11], v[24:25], v[12:13]
	v_fma_f64 v[12:13], -v[20:21], v[22:23], 1.0
	v_div_scale_f64 v[26:27], s[6:7], s[4:5], s[4:5], v[2:3]
	v_fmac_f64_e32 v[22:23], v[22:23], v[12:13]
	v_rcp_f64_e32 v[28:29], v[26:27]
	v_fma_f64 v[12:13], -v[20:21], v[22:23], 1.0
	v_fmac_f64_e32 v[22:23], v[22:23], v[12:13]
	v_div_scale_f64 v[12:13], vcc, v[18:19], v[16:17], v[18:19]
	v_mul_f64 v[24:25], v[12:13], v[22:23]
	v_fma_f64 v[12:13], -v[20:21], v[24:25], v[12:13]
	v_fma_f64 v[20:21], -v[26:27], v[28:29], 1.0
	v_fmac_f64_e32 v[28:29], v[28:29], v[20:21]
	v_fma_f64 v[20:21], -v[26:27], v[28:29], 1.0
	v_div_fmas_f64 v[12:13], v[12:13], v[22:23], v[24:25]
	v_fmac_f64_e32 v[28:29], v[28:29], v[20:21]
	v_div_scale_f64 v[20:21], vcc, v[2:3], s[4:5], v[2:3]
	v_mul_f64 v[22:23], v[20:21], v[28:29]
	v_fma_f64 v[20:21], -v[26:27], v[22:23], v[20:21]
	v_div_fixup_f64 v[10:11], v[10:11], v[14:15], v[18:19]
	s_nop 0
	v_div_fmas_f64 v[20:21], v[20:21], v[28:29], v[22:23]
	v_div_fixup_f64 v[20:21], v[20:21], s[4:5], v[2:3]
	v_mul_f64 v[20:21], v[20:21], v[18:19]
	v_add_f64 v[14:15], v[14:15], 1.0
	v_div_scale_f64 v[22:23], s[4:5], v[14:15], v[14:15], v[20:21]
	v_rcp_f64_e32 v[24:25], v[22:23]
	v_add_f64 v[6:7], v[6:7], v[10:11]
	v_div_fixup_f64 v[10:11], v[12:13], v[16:17], v[18:19]
	v_add_f64 v[8:9], v[8:9], v[10:11]
	v_fma_f64 v[10:11], -v[22:23], v[24:25], 1.0
	v_fmac_f64_e32 v[24:25], v[24:25], v[10:11]
	v_fma_f64 v[10:11], -v[22:23], v[24:25], 1.0
	v_fmac_f64_e32 v[24:25], v[24:25], v[10:11]
	v_div_scale_f64 v[10:11], vcc, v[20:21], v[14:15], v[20:21]
	v_mul_f64 v[16:17], v[14:15], v[14:15]
	v_mul_f64 v[12:13], v[10:11], v[24:25]
	v_div_scale_f64 v[18:19], s[4:5], v[16:17], v[16:17], v[20:21]
	v_fma_f64 v[10:11], -v[22:23], v[12:13], v[10:11]
	v_rcp_f64_e32 v[22:23], v[18:19]
	v_div_fmas_f64 v[10:11], v[10:11], v[24:25], v[12:13]
	v_div_fixup_f64 v[10:11], v[10:11], v[14:15], v[20:21]
	v_add_f64 v[6:7], v[6:7], v[10:11]
	v_fma_f64 v[10:11], -v[18:19], v[22:23], 1.0
	v_fmac_f64_e32 v[22:23], v[22:23], v[10:11]
	v_fma_f64 v[10:11], -v[18:19], v[22:23], 1.0
	v_fmac_f64_e32 v[22:23], v[22:23], v[10:11]
	v_div_scale_f64 v[10:11], vcc, v[20:21], v[16:17], v[20:21]
	v_mul_f64 v[12:13], v[10:11], v[22:23]
	v_fma_f64 v[10:11], -v[18:19], v[12:13], v[10:11]
	v_ldexp_f64 v[18:19], -v[2:3], -2
	v_mul_f64 v[18:19], v[18:19], v[20:21]
	v_add_f64 v[14:15], v[14:15], 1.0
	v_div_scale_f64 v[24:25], s[4:5], v[14:15], v[14:15], v[18:19]
	v_rcp_f64_e32 v[26:27], v[24:25]
	v_div_fmas_f64 v[10:11], v[10:11], v[22:23], v[12:13]
	v_div_fixup_f64 v[10:11], v[10:11], v[16:17], v[20:21]
	v_add_f64 v[8:9], v[8:9], v[10:11]
	v_fma_f64 v[10:11], -v[24:25], v[26:27], 1.0
	v_mul_f64 v[16:17], v[14:15], v[14:15]
	v_fmac_f64_e32 v[26:27], v[26:27], v[10:11]
	v_div_scale_f64 v[20:21], s[4:5], v[16:17], v[16:17], v[18:19]
	v_fma_f64 v[10:11], -v[24:25], v[26:27], 1.0
	v_rcp_f64_e32 v[22:23], v[20:21]
	v_fmac_f64_e32 v[26:27], v[26:27], v[10:11]
	v_div_scale_f64 v[10:11], vcc, v[18:19], v[14:15], v[18:19]
	v_mul_f64 v[12:13], v[10:11], v[26:27]
	s_mov_b32 s4, 0
	v_fma_f64 v[10:11], -v[24:25], v[12:13], v[10:11]
	s_mov_b32 s5, 0xc0140000
	v_div_fmas_f64 v[10:11], v[10:11], v[26:27], v[12:13]
	v_fma_f64 v[12:13], -v[20:21], v[22:23], 1.0
	v_div_scale_f64 v[26:27], s[6:7], s[4:5], s[4:5], v[2:3]
	v_fmac_f64_e32 v[22:23], v[22:23], v[12:13]
	v_rcp_f64_e32 v[28:29], v[26:27]
	v_fma_f64 v[12:13], -v[20:21], v[22:23], 1.0
	v_fmac_f64_e32 v[22:23], v[22:23], v[12:13]
	v_div_scale_f64 v[12:13], vcc, v[18:19], v[16:17], v[18:19]
	v_mul_f64 v[24:25], v[12:13], v[22:23]
	v_fma_f64 v[12:13], -v[20:21], v[24:25], v[12:13]
	v_fma_f64 v[20:21], -v[26:27], v[28:29], 1.0
	v_fmac_f64_e32 v[28:29], v[28:29], v[20:21]
	v_fma_f64 v[20:21], -v[26:27], v[28:29], 1.0
	v_div_fmas_f64 v[12:13], v[12:13], v[22:23], v[24:25]
	v_fmac_f64_e32 v[28:29], v[28:29], v[20:21]
	v_div_scale_f64 v[20:21], vcc, v[2:3], s[4:5], v[2:3]
	v_mul_f64 v[22:23], v[20:21], v[28:29]
	v_fma_f64 v[20:21], -v[26:27], v[22:23], v[20:21]
	v_div_fixup_f64 v[10:11], v[10:11], v[14:15], v[18:19]
	s_nop 0
	v_div_fmas_f64 v[20:21], v[20:21], v[28:29], v[22:23]
	v_div_fixup_f64 v[20:21], v[20:21], s[4:5], v[2:3]
	v_mul_f64 v[20:21], v[20:21], v[18:19]
	v_add_f64 v[14:15], v[14:15], 1.0
	v_div_scale_f64 v[22:23], s[4:5], v[14:15], v[14:15], v[20:21]
	v_rcp_f64_e32 v[24:25], v[22:23]
	v_add_f64 v[6:7], v[6:7], v[10:11]
	v_div_fixup_f64 v[10:11], v[12:13], v[16:17], v[18:19]
	v_add_f64 v[10:11], v[8:9], v[10:11]
	v_fma_f64 v[8:9], -v[22:23], v[24:25], 1.0
	v_fmac_f64_e32 v[24:25], v[24:25], v[8:9]
	v_fma_f64 v[8:9], -v[22:23], v[24:25], 1.0
	v_fmac_f64_e32 v[24:25], v[24:25], v[8:9]
	v_div_scale_f64 v[8:9], vcc, v[20:21], v[14:15], v[20:21]
	v_mul_f64 v[16:17], v[14:15], v[14:15]
	v_mul_f64 v[12:13], v[8:9], v[24:25]
	v_div_scale_f64 v[18:19], s[4:5], v[16:17], v[16:17], v[20:21]
	v_fma_f64 v[8:9], -v[22:23], v[12:13], v[8:9]
	v_rcp_f64_e32 v[22:23], v[18:19]
	v_div_fmas_f64 v[8:9], v[8:9], v[24:25], v[12:13]
	v_div_fixup_f64 v[8:9], v[8:9], v[14:15], v[20:21]
	v_add_f64 v[8:9], v[6:7], v[8:9]
	v_fma_f64 v[6:7], -v[18:19], v[22:23], 1.0
	v_fmac_f64_e32 v[22:23], v[22:23], v[6:7]
	v_fma_f64 v[6:7], -v[18:19], v[22:23], 1.0
	v_fmac_f64_e32 v[22:23], v[22:23], v[6:7]
	v_div_scale_f64 v[6:7], vcc, v[20:21], v[16:17], v[20:21]
	v_mul_f64 v[12:13], v[6:7], v[22:23]
	v_fma_f64 v[6:7], -v[18:19], v[12:13], v[6:7]
	s_mov_b32 s36, 0x4222de17
	s_nop 0
	v_div_fmas_f64 v[6:7], v[6:7], v[22:23], v[12:13]
	v_mov_b32_e32 v22, 0x3ff00000
	v_cmp_eq_f64_e32 vcc, 1.0, v[2:3]
	v_cndmask_b32_e32 v13, v1, v22, vcc
	v_cndmask_b32_e64 v12, v0, 0, vcc
	v_cmp_eq_f64_e64 s[4:5], 0, v[12:13]
	v_and_b32_e32 v23, 0x7fffffff, v3
	v_div_fixup_f64 v[6:7], v[6:7], v[16:17], v[20:21]
	v_cndmask_b32_e64 v21, v23, v22, s[4:5]
	v_cndmask_b32_e64 v20, v2, 0, s[4:5]
	v_frexp_mant_f64_e32 v[14:15], v[20:21]
	v_cndmask_b32_e64 v19, v3, v22, s[4:5]
	v_cndmask_b32_e64 v18, v2, 0, s[4:5]
	v_cmp_gt_f64_e64 s[4:5], s[14:15], v[14:15]
	v_add_f64 v[6:7], v[10:11], v[6:7]
	v_mov_b32_e32 v10, 0
	v_cndmask_b32_e64 v11, v22, 2.0, s[4:5]
	v_frexp_exp_i32_f64_e32 v16, v[20:21]
	v_mul_f64 v[14:15], v[14:15], v[10:11]
	v_subbrev_co_u32_e64 v11, s[4:5], 0, v16, s[4:5]
	v_add_f64 v[16:17], v[14:15], 1.0
	v_rcp_f64_e32 v[24:25], v[16:17]
	v_add_f64 v[28:29], v[16:17], -1.0
	v_add_f64 v[26:27], v[14:15], -1.0
	v_add_f64 v[14:15], v[14:15], -v[28:29]
	v_fma_f64 v[28:29], -v[16:17], v[24:25], 1.0
	v_fmac_f64_e32 v[24:25], v[28:29], v[24:25]
	v_fma_f64 v[28:29], -v[16:17], v[24:25], 1.0
	v_fmac_f64_e32 v[24:25], v[28:29], v[24:25]
	v_mul_f64 v[28:29], v[26:27], v[24:25]
	v_mul_f64 v[30:31], v[16:17], v[28:29]
	v_fma_f64 v[16:17], v[28:29], v[16:17], -v[30:31]
	v_fmac_f64_e32 v[16:17], v[28:29], v[14:15]
	v_add_f64 v[14:15], v[30:31], v[16:17]
	v_add_f64 v[32:33], v[26:27], -v[14:15]
	v_add_f64 v[30:31], v[14:15], -v[30:31]
	;; [unrolled: 1-line block ×5, first 2 shown]
	v_add_f64 v[14:15], v[16:17], v[14:15]
	v_add_f64 v[14:15], v[32:33], v[14:15]
	v_mul_f64 v[14:15], v[24:25], v[14:15]
	v_add_f64 v[24:25], v[28:29], v[14:15]
	v_add_f64 v[16:17], v[24:25], -v[28:29]
	v_add_f64 v[14:15], v[14:15], -v[16:17]
	v_mul_f64 v[16:17], v[24:25], v[24:25]
	v_fma_f64 v[26:27], v[24:25], v[24:25], -v[16:17]
	v_add_f64 v[28:29], v[14:15], v[14:15]
	v_fmac_f64_e32 v[26:27], v[24:25], v[28:29]
	v_add_f64 v[28:29], v[16:17], v[26:27]
	s_mov_b32 s4, 0x968915a9
	v_add_f64 v[16:17], v[28:29], -v[16:17]
	s_mov_b32 s5, 0x3fba6564
	v_add_f64 v[26:27], v[26:27], -v[16:17]
	s_mov_b32 s37, 0x3fbdee67
	v_pk_mov_b32 v[16:17], s[4:5], s[4:5] op_sel:[0,1]
	s_mov_b32 s42, 0x3abe935a
	v_fma_f64 v[30:31], s[36:37], v[28:29], v[16:17]
	s_mov_b32 s43, 0x3fbe25e4
	s_mov_b32 s46, 0x47e6c9c2
	v_fma_f64 v[30:31], v[28:29], v[30:31], s[42:43]
	s_mov_b32 s47, 0x3fc110ef
	s_mov_b32 s50, 0xcfa74449
	;; [unrolled: 1-line block ×3, first 2 shown]
	v_fma_f64 v[30:31], v[28:29], v[30:31], s[46:47]
	s_mov_b32 s51, 0x3fc3b13b
	s_mov_b32 s54, 0x71bf3c30
	v_cvt_f64_i32_e32 v[32:33], v11
	s_mov_b32 s17, 0x3fe62e42
	v_fma_f64 v[30:31], v[28:29], v[30:31], s[50:51]
	s_mov_b32 s55, 0x3fc745d1
	s_mov_b32 s58, 0x1c7792ce
	v_mul_f64 v[34:35], v[32:33], s[16:17]
	s_mov_b32 s18, 0x3b39803f
	v_mul_f64 v[48:49], v[24:25], v[28:29]
	v_fma_f64 v[30:31], v[28:29], v[30:31], s[54:55]
	s_mov_b32 s59, 0x3fcc71c7
	s_mov_b32 s60, 0x924920da
	v_fma_f64 v[36:37], v[32:33], s[16:17], -v[34:35]
	s_mov_b32 s19, 0x3c7abc9e
	v_fma_f64 v[50:51], v[28:29], v[24:25], -v[48:49]
	v_fma_f64 v[30:31], v[28:29], v[30:31], s[58:59]
	s_mov_b32 s61, 0x3fd24924
	s_mov_b32 s62, 0x9999999c
	v_fmac_f64_e32 v[36:37], s[18:19], v[32:33]
	v_fmac_f64_e32 v[50:51], v[28:29], v[14:15]
	v_fma_f64 v[30:31], v[28:29], v[30:31], s[60:61]
	s_mov_b32 s63, 0x3fd99999
	v_add_f64 v[32:33], v[34:35], v[36:37]
	v_fmac_f64_e32 v[50:51], v[26:27], v[24:25]
	v_fma_f64 v[30:31], v[28:29], v[30:31], s[62:63]
	v_add_f64 v[34:35], v[32:33], -v[34:35]
	v_ldexp_f64 v[38:39], v[14:15], 1
	v_add_f64 v[14:15], v[48:49], v[50:51]
	v_add_f64 v[34:35], v[36:37], -v[34:35]
	v_ldexp_f64 v[36:37], v[24:25], 1
	v_add_f64 v[24:25], v[14:15], -v[48:49]
	v_mul_f64 v[48:49], v[28:29], v[30:31]
	v_fma_f64 v[28:29], v[28:29], v[30:31], -v[48:49]
	v_fmac_f64_e32 v[28:29], v[26:27], v[30:31]
	v_add_f64 v[26:27], v[48:49], v[28:29]
	v_add_f64 v[30:31], v[26:27], -v[48:49]
	v_add_f64 v[28:29], v[28:29], -v[30:31]
	v_add_f64 v[30:31], v[26:27], s[14:15]
	s_mov_b32 s65, 0xbfe55555
	s_mov_b32 s64, s14
	;; [unrolled: 1-line block ×3, first 2 shown]
	v_add_f64 v[48:49], v[30:31], s[64:65]
	s_mov_b32 s67, 0x3c8543b0
	v_add_f64 v[26:27], v[26:27], -v[48:49]
	v_add_f64 v[28:29], v[28:29], s[66:67]
	v_add_f64 v[26:27], v[28:29], v[26:27]
	;; [unrolled: 1-line block ×3, first 2 shown]
	v_add_f64 v[30:31], v[30:31], -v[28:29]
	v_add_f64 v[26:27], v[26:27], v[30:31]
	v_mul_f64 v[30:31], v[14:15], v[28:29]
	v_fma_f64 v[48:49], v[14:15], v[28:29], -v[30:31]
	v_add_f64 v[24:25], v[50:51], -v[24:25]
	v_fmac_f64_e32 v[48:49], v[14:15], v[26:27]
	v_fmac_f64_e32 v[48:49], v[24:25], v[28:29]
	v_add_f64 v[14:15], v[30:31], v[48:49]
	v_add_f64 v[24:25], v[14:15], -v[30:31]
	v_add_f64 v[26:27], v[36:37], v[14:15]
	v_add_f64 v[24:25], v[48:49], -v[24:25]
	v_add_f64 v[28:29], v[26:27], -v[36:37]
	;; [unrolled: 1-line block ×3, first 2 shown]
	v_add_f64 v[24:25], v[38:39], v[24:25]
	v_add_f64 v[14:15], v[24:25], v[14:15]
	;; [unrolled: 1-line block ×3, first 2 shown]
	v_add_f64 v[26:27], v[24:25], -v[26:27]
	v_add_f64 v[14:15], v[14:15], -v[26:27]
	v_add_f64 v[26:27], v[32:33], v[24:25]
	v_add_f64 v[28:29], v[26:27], -v[32:33]
	v_add_f64 v[30:31], v[26:27], -v[28:29]
	;; [unrolled: 1-line block ×4, first 2 shown]
	v_add_f64 v[24:25], v[24:25], v[30:31]
	v_add_f64 v[28:29], v[34:35], v[14:15]
	v_add_f64 v[30:31], v[28:29], -v[34:35]
	v_add_f64 v[24:25], v[28:29], v[24:25]
	v_add_f64 v[32:33], v[28:29], -v[30:31]
	;; [unrolled: 2-line block ×3, first 2 shown]
	v_add_f64 v[14:15], v[14:15], -v[30:31]
	v_add_f64 v[26:27], v[28:29], -v[26:27]
	v_add_f64 v[14:15], v[14:15], v[32:33]
	v_add_f64 v[24:25], v[24:25], -v[26:27]
	v_add_f64 v[14:15], v[14:15], v[24:25]
	v_add_f64 v[24:25], v[28:29], v[14:15]
	v_add_f64 v[26:27], v[24:25], -v[28:29]
	v_add_f64 v[14:15], v[14:15], -v[26:27]
	v_mul_f64 v[26:27], v[12:13], v[24:25]
	v_fma_f64 v[24:25], v[12:13], v[24:25], -v[26:27]
	v_fmac_f64_e32 v[24:25], v[12:13], v[14:15]
	s_movk_i32 s73, 0x204
	v_add_f64 v[14:15], v[26:27], v[24:25]
	v_cmp_class_f64_e64 s[4:5], v[26:27], s73
	s_mov_b32 s28, 0
	v_add_f64 v[28:29], v[14:15], -v[26:27]
	v_cndmask_b32_e64 v27, v15, v27, s[4:5]
	v_cndmask_b32_e64 v26, v14, v26, s[4:5]
	s_mov_b32 s29, 0x7ff00000
	s_mov_b32 s21, 0x3ff71547
	s_mov_b32 s20, 0x652b82fe
	v_add_f64 v[24:25], v[24:25], -v[28:29]
	v_cmp_neq_f64_e64 s[4:5], |v[26:27]|, s[28:29]
	v_mul_f64 v[14:15], v[26:27], s[20:21]
	v_cndmask_b32_e64 v25, 0, v25, s[4:5]
	v_cndmask_b32_e64 v24, 0, v24, s[4:5]
	v_rndne_f64_e32 v[28:29], v[14:15]
	s_mov_b32 s23, 0xbfe62e42
	s_mov_b32 s22, s16
	;; [unrolled: 1-line block ×3, first 2 shown]
	v_fma_f64 v[30:31], s[22:23], v[28:29], v[26:27]
	s_mov_b32 s25, 0xbc7abc9e
	s_mov_b32 s24, s18
	;; [unrolled: 1-line block ×4, first 2 shown]
	v_fmac_f64_e32 v[30:31], s[24:25], v[28:29]
	s_mov_b32 s27, 0x3e5ade15
	v_pk_mov_b32 v[14:15], s[4:5], s[4:5] op_sel:[0,1]
	s_mov_b32 s30, 0x623fde64
	v_fma_f64 v[32:33], s[26:27], v[30:31], v[14:15]
	s_mov_b32 s31, 0x3ec71dee
	s_mov_b32 s34, 0x7c89e6b0
	v_fma_f64 v[32:33], v[30:31], v[32:33], s[30:31]
	s_mov_b32 s35, 0x3efa0199
	;; [unrolled: 3-line block ×8, first 2 shown]
	v_fma_f64 v[32:33], v[30:31], v[32:33], s[56:57]
	v_fma_f64 v[32:33], v[30:31], v[32:33], 1.0
	s_mov_b32 s68, 0
	v_fma_f64 v[30:31], v[30:31], v[32:33], 1.0
	v_cvt_i32_f64_e32 v11, v[28:29]
	s_mov_b32 s69, 0x40900000
	s_mov_b32 s70, 0
	v_ldexp_f64 v[28:29], v[30:31], v11
	v_cmp_lt_f64_e64 s[4:5], s[68:69], v[26:27]
	v_mov_b32_e32 v54, 0x7ff00000
	s_mov_b32 s71, 0xc090cc00
	v_cndmask_b32_e64 v11, v28, 0, s[4:5]
	v_cndmask_b32_e64 v30, v29, v54, s[4:5]
	v_cmp_ngt_f64_e64 s[6:7], s[70:71], v[26:27]
	v_and_b32_e32 v29, 0x7fffffff, v29
	v_cndmask_b32_e64 v27, 0, v30, s[6:7]
	v_cndmask_b32_e64 v26, 0, v11, s[6:7]
	v_cmp_eq_f64_e64 s[8:9], s[28:29], v[28:29]
	v_pk_mov_b32 v[30:31], v[26:27], v[26:27] op_sel:[0,1]
	s_or_b64 s[4:5], s[4:5], s[8:9]
	v_fmac_f64_e32 v[30:31], v[30:31], v[24:25]
	s_and_b64 s[4:5], s[6:7], s[4:5]
	v_cndmask_b32_e64 v11, v30, v26, s[4:5]
	v_cndmask_b32_e64 v30, v31, v27, s[4:5]
	v_mul_f64 v[26:27], v[12:13], 0.5
	v_trunc_f64_e32 v[24:25], v[12:13]
	v_trunc_f64_e32 v[28:29], v[26:27]
	v_cmp_neq_f64_e64 s[4:5], v[28:29], v[26:27]
	v_cmp_eq_f64_e64 s[6:7], v[24:25], v[12:13]
	s_and_b64 s[4:5], s[6:7], s[4:5]
	s_brev_b32 s72, -2
	v_cndmask_b32_e64 v25, v22, v19, s[4:5]
	v_bfi_b32 v25, s72, v30, v25
	v_mov_b32_e32 v55, 0x7ff80000
	v_cndmask_b32_e64 v24, 0, v11, s[6:7]
	v_cndmask_b32_e64 v26, v55, v25, s[6:7]
	v_cmp_gt_f64_e64 s[6:7], 0, v[18:19]
	v_cndmask_b32_e64 v11, v11, v24, s[6:7]
	v_and_b32_e32 v24, 0x7fffffff, v1
	v_cndmask_b32_e64 v26, v25, v26, s[6:7]
	v_cndmask_b32_e32 v25, v24, v22, vcc
	v_cndmask_b32_e64 v24, v0, 0, vcc
	v_cmp_neq_f64_e64 s[6:7], v[12:13], v[24:25]
	v_cmp_gt_f64_e64 s[8:9], 1.0, v[20:21]
	s_xor_b64 s[6:7], s[6:7], s[8:9]
	v_cndmask_b32_e64 v27, v24, 0, s[6:7]
	v_cndmask_b32_e64 v28, v25, 0, s[6:7]
	v_cmp_eq_f64_e64 s[6:7], 1.0, v[20:21]
	v_cmp_eq_f64_e64 s[8:9], 0, v[18:19]
	v_cmp_gt_f64_e64 s[10:11], 0, v[12:13]
	v_cndmask_b32_e64 v28, v28, v21, s[6:7]
	v_cndmask_b32_e64 v27, v27, v20, s[6:7]
	v_cmp_eq_f64_e64 s[6:7], s[28:29], v[24:25]
	s_xor_b64 s[10:11], s[10:11], s[8:9]
	v_cndmask_b32_e64 v11, v11, v27, s[6:7]
	v_cndmask_b32_e64 v24, v26, v28, s[6:7]
	v_cmp_eq_f64_e64 s[6:7], s[28:29], v[20:21]
	v_cndmask_b32_e64 v18, v54, 0, s[10:11]
	v_cndmask_b32_e64 v19, 0, v19, s[4:5]
	v_bfi_b32 v18, s72, v18, v19
	s_or_b64 s[4:5], s[6:7], s[8:9]
	v_cndmask_b32_e64 v18, v24, v18, s[4:5]
	v_cndmask_b32_e64 v11, v11, 0, s[4:5]
	v_cmp_o_f64_e64 s[4:5], v[12:13], v[12:13]
	v_add_f64 v[0:1], v[0:1], -1.0
	v_cndmask_b32_e64 v13, v55, v18, s[4:5]
	v_cndmask_b32_e32 v19, v1, v22, vcc
	v_cndmask_b32_e64 v18, v0, 0, vcc
	v_cndmask_b32_e64 v12, 0, v11, s[4:5]
	v_cmp_eq_f64_e64 s[4:5], 0, v[18:19]
	v_cndmask_b32_e64 v25, v23, v22, s[4:5]
	v_cndmask_b32_e64 v24, v2, 0, s[4:5]
	v_frexp_mant_f64_e32 v[26:27], v[24:25]
	v_cndmask_b32_e64 v21, v3, v22, s[4:5]
	v_cndmask_b32_e64 v20, v2, 0, s[4:5]
	v_cmp_gt_f64_e64 s[4:5], s[14:15], v[26:27]
	v_cndmask_b32_e64 v11, v22, 2.0, s[4:5]
	v_mul_f64 v[26:27], v[26:27], v[10:11]
	v_add_f64 v[28:29], v[26:27], 1.0
	v_rcp_f64_e32 v[30:31], v[28:29]
	v_add_f64 v[34:35], v[28:29], -1.0
	v_add_f64 v[32:33], v[26:27], -1.0
	v_add_f64 v[26:27], v[26:27], -v[34:35]
	v_fma_f64 v[34:35], -v[28:29], v[30:31], 1.0
	v_fmac_f64_e32 v[30:31], v[34:35], v[30:31]
	v_fma_f64 v[34:35], -v[28:29], v[30:31], 1.0
	v_fmac_f64_e32 v[30:31], v[34:35], v[30:31]
	v_mul_f64 v[34:35], v[32:33], v[30:31]
	v_mul_f64 v[36:37], v[28:29], v[34:35]
	v_fma_f64 v[28:29], v[34:35], v[28:29], -v[36:37]
	v_fmac_f64_e32 v[28:29], v[34:35], v[26:27]
	v_add_f64 v[26:27], v[36:37], v[28:29]
	v_add_f64 v[38:39], v[32:33], -v[26:27]
	v_add_f64 v[36:37], v[26:27], -v[36:37]
	;; [unrolled: 1-line block ×5, first 2 shown]
	v_add_f64 v[26:27], v[28:29], v[26:27]
	v_add_f64 v[26:27], v[38:39], v[26:27]
	v_mul_f64 v[26:27], v[30:31], v[26:27]
	v_add_f64 v[28:29], v[34:35], v[26:27]
	v_add_f64 v[30:31], v[28:29], -v[34:35]
	v_add_f64 v[26:27], v[26:27], -v[30:31]
	v_mul_f64 v[30:31], v[28:29], v[28:29]
	v_fma_f64 v[32:33], v[28:29], v[28:29], -v[30:31]
	v_add_f64 v[34:35], v[26:27], v[26:27]
	v_fmac_f64_e32 v[32:33], v[28:29], v[34:35]
	v_add_f64 v[34:35], v[30:31], v[32:33]
	v_frexp_exp_i32_f64_e32 v23, v[24:25]
	v_fmac_f64_e32 v[16:17], s[36:37], v[34:35]
	v_subbrev_co_u32_e64 v11, s[4:5], 0, v23, s[4:5]
	v_add_f64 v[30:31], v[34:35], -v[30:31]
	v_fma_f64 v[16:17], v[34:35], v[16:17], s[42:43]
	v_add_f64 v[30:31], v[32:33], -v[30:31]
	v_fma_f64 v[16:17], v[34:35], v[16:17], s[46:47]
	v_cvt_f64_i32_e32 v[32:33], v11
	v_fma_f64 v[16:17], v[34:35], v[16:17], s[50:51]
	v_mul_f64 v[36:37], v[32:33], s[16:17]
	v_mul_f64 v[50:51], v[28:29], v[34:35]
	v_fma_f64 v[16:17], v[34:35], v[16:17], s[54:55]
	v_fma_f64 v[38:39], v[32:33], s[16:17], -v[36:37]
	v_fma_f64 v[52:53], v[34:35], v[28:29], -v[50:51]
	v_fma_f64 v[16:17], v[34:35], v[16:17], s[58:59]
	v_fmac_f64_e32 v[38:39], s[18:19], v[32:33]
	v_fmac_f64_e32 v[52:53], v[34:35], v[26:27]
	v_fma_f64 v[16:17], v[34:35], v[16:17], s[60:61]
	v_add_f64 v[32:33], v[36:37], v[38:39]
	v_fmac_f64_e32 v[52:53], v[30:31], v[28:29]
	v_fma_f64 v[16:17], v[34:35], v[16:17], s[62:63]
	v_add_f64 v[36:37], v[32:33], -v[36:37]
	v_ldexp_f64 v[48:49], v[26:27], 1
	v_add_f64 v[26:27], v[50:51], v[52:53]
	v_add_f64 v[36:37], v[38:39], -v[36:37]
	v_ldexp_f64 v[38:39], v[28:29], 1
	v_add_f64 v[28:29], v[26:27], -v[50:51]
	v_mul_f64 v[50:51], v[34:35], v[16:17]
	v_fma_f64 v[34:35], v[34:35], v[16:17], -v[50:51]
	v_fmac_f64_e32 v[34:35], v[30:31], v[16:17]
	v_add_f64 v[16:17], v[50:51], v[34:35]
	v_add_f64 v[30:31], v[16:17], -v[50:51]
	v_add_f64 v[30:31], v[34:35], -v[30:31]
	v_add_f64 v[34:35], v[16:17], s[14:15]
	v_add_f64 v[50:51], v[34:35], s[64:65]
	v_add_f64 v[16:17], v[16:17], -v[50:51]
	v_add_f64 v[30:31], v[30:31], s[66:67]
	v_add_f64 v[16:17], v[30:31], v[16:17]
	;; [unrolled: 1-line block ×3, first 2 shown]
	v_add_f64 v[34:35], v[34:35], -v[30:31]
	v_add_f64 v[16:17], v[16:17], v[34:35]
	v_mul_f64 v[34:35], v[26:27], v[30:31]
	v_fma_f64 v[50:51], v[26:27], v[30:31], -v[34:35]
	v_add_f64 v[28:29], v[52:53], -v[28:29]
	v_fmac_f64_e32 v[50:51], v[26:27], v[16:17]
	v_fmac_f64_e32 v[50:51], v[28:29], v[30:31]
	v_add_f64 v[16:17], v[34:35], v[50:51]
	v_add_f64 v[26:27], v[16:17], -v[34:35]
	v_add_f64 v[28:29], v[38:39], v[16:17]
	v_add_f64 v[26:27], v[50:51], -v[26:27]
	v_add_f64 v[30:31], v[28:29], -v[38:39]
	;; [unrolled: 1-line block ×3, first 2 shown]
	v_add_f64 v[26:27], v[48:49], v[26:27]
	v_add_f64 v[16:17], v[26:27], v[16:17]
	;; [unrolled: 1-line block ×3, first 2 shown]
	v_add_f64 v[28:29], v[26:27], -v[28:29]
	v_add_f64 v[16:17], v[16:17], -v[28:29]
	v_add_f64 v[28:29], v[32:33], v[26:27]
	v_add_f64 v[30:31], v[28:29], -v[32:33]
	v_add_f64 v[34:35], v[28:29], -v[30:31]
	;; [unrolled: 1-line block ×4, first 2 shown]
	v_add_f64 v[26:27], v[26:27], v[32:33]
	v_add_f64 v[30:31], v[36:37], v[16:17]
	v_add_f64 v[32:33], v[30:31], -v[36:37]
	v_add_f64 v[26:27], v[30:31], v[26:27]
	v_add_f64 v[34:35], v[30:31], -v[32:33]
	v_add_f64 v[30:31], v[28:29], v[26:27]
	v_add_f64 v[34:35], v[36:37], -v[34:35]
	v_add_f64 v[16:17], v[16:17], -v[32:33]
	v_add_f64 v[28:29], v[30:31], -v[28:29]
	v_add_f64 v[16:17], v[16:17], v[34:35]
	v_add_f64 v[26:27], v[26:27], -v[28:29]
	v_add_f64 v[16:17], v[16:17], v[26:27]
	v_add_f64 v[26:27], v[30:31], v[16:17]
	v_add_f64 v[28:29], v[26:27], -v[30:31]
	v_add_f64 v[16:17], v[16:17], -v[28:29]
	v_mul_f64 v[28:29], v[18:19], v[26:27]
	v_fma_f64 v[26:27], v[18:19], v[26:27], -v[28:29]
	v_fmac_f64_e32 v[26:27], v[18:19], v[16:17]
	v_add_f64 v[16:17], v[28:29], v[26:27]
	v_cmp_class_f64_e64 s[4:5], v[28:29], s73
	v_add_f64 v[30:31], v[16:17], -v[28:29]
	v_cndmask_b32_e64 v17, v17, v29, s[4:5]
	v_cndmask_b32_e64 v16, v16, v28, s[4:5]
	v_mul_f64 v[28:29], v[16:17], s[20:21]
	v_rndne_f64_e32 v[28:29], v[28:29]
	v_add_f64 v[26:27], v[26:27], -v[30:31]
	v_fma_f64 v[30:31], s[22:23], v[28:29], v[16:17]
	v_fmac_f64_e32 v[30:31], s[24:25], v[28:29]
	v_fma_f64 v[32:33], s[26:27], v[30:31], v[14:15]
	v_fma_f64 v[32:33], v[30:31], v[32:33], s[30:31]
	;; [unrolled: 1-line block ×9, first 2 shown]
	v_fma_f64 v[32:33], v[30:31], v[32:33], 1.0
	v_cmp_neq_f64_e64 s[4:5], |v[16:17]|, s[28:29]
	v_fma_f64 v[30:31], v[30:31], v[32:33], 1.0
	v_cvt_i32_f64_e32 v11, v[28:29]
	v_cndmask_b32_e64 v27, 0, v27, s[4:5]
	v_cndmask_b32_e64 v26, 0, v26, s[4:5]
	v_ldexp_f64 v[28:29], v[30:31], v11
	v_cmp_lt_f64_e64 s[4:5], s[68:69], v[16:17]
	v_cndmask_b32_e64 v11, v28, 0, s[4:5]
	v_cndmask_b32_e64 v23, v29, v54, s[4:5]
	v_cmp_ngt_f64_e64 s[6:7], s[70:71], v[16:17]
	v_and_b32_e32 v29, 0x7fffffff, v29
	v_cndmask_b32_e64 v17, 0, v23, s[6:7]
	v_cndmask_b32_e64 v16, 0, v11, s[6:7]
	v_cmp_eq_f64_e64 s[8:9], s[28:29], v[28:29]
	v_pk_mov_b32 v[30:31], v[16:17], v[16:17] op_sel:[0,1]
	s_or_b64 s[4:5], s[4:5], s[8:9]
	v_fmac_f64_e32 v[30:31], v[30:31], v[26:27]
	s_and_b64 s[4:5], s[6:7], s[4:5]
	v_mul_f64 v[26:27], v[18:19], 0.5
	v_cndmask_b32_e64 v11, v30, v16, s[4:5]
	v_cndmask_b32_e64 v23, v31, v17, s[4:5]
	v_trunc_f64_e32 v[16:17], v[18:19]
	v_trunc_f64_e32 v[28:29], v[26:27]
	v_cmp_neq_f64_e64 s[4:5], v[28:29], v[26:27]
	v_cmp_eq_f64_e64 s[6:7], v[16:17], v[18:19]
	s_and_b64 s[4:5], s[6:7], s[4:5]
	v_cndmask_b32_e64 v17, v22, v21, s[4:5]
	v_bfi_b32 v17, s72, v23, v17
	v_and_b32_e32 v1, 0x7fffffff, v1
	v_cndmask_b32_e64 v16, 0, v11, s[6:7]
	v_cndmask_b32_e64 v23, v55, v17, s[6:7]
	v_cmp_gt_f64_e64 s[6:7], 0, v[20:21]
	v_cndmask_b32_e32 v1, v1, v22, vcc
	v_cndmask_b32_e64 v0, v0, 0, vcc
	v_cndmask_b32_e64 v17, v17, v23, s[6:7]
	v_cndmask_b32_e64 v11, v11, v16, s[6:7]
	v_cmp_neq_f64_e32 vcc, v[18:19], v[0:1]
	v_cmp_gt_f64_e64 s[6:7], 1.0, v[24:25]
	s_xor_b64 s[6:7], vcc, s[6:7]
	v_cndmask_b32_e64 v16, v0, 0, s[6:7]
	v_cndmask_b32_e64 v23, v1, 0, s[6:7]
	v_cmp_eq_f64_e32 vcc, 1.0, v[24:25]
	v_cmp_eq_f64_e64 s[6:7], 0, v[20:21]
	v_cmp_gt_f64_e64 s[8:9], 0, v[18:19]
	v_cndmask_b32_e32 v23, v23, v25, vcc
	v_cndmask_b32_e32 v16, v16, v24, vcc
	v_cmp_eq_f64_e32 vcc, s[28:29], v[0:1]
	s_xor_b64 s[8:9], s[8:9], s[6:7]
	v_cndmask_b32_e32 v0, v11, v16, vcc
	v_cndmask_b32_e64 v11, v54, 0, s[8:9]
	v_cndmask_b32_e64 v16, 0, v21, s[4:5]
	s_mov_b32 s21, 0xbff71547
	v_cndmask_b32_e32 v1, v17, v23, vcc
	v_cmp_eq_f64_e32 vcc, s[28:29], v[24:25]
	v_bfi_b32 v11, s72, v11, v16
	v_mul_f64 v[16:17], v[2:3], s[20:21]
	s_or_b64 vcc, vcc, s[6:7]
	v_rndne_f64_e32 v[16:17], v[16:17]
	v_cndmask_b32_e32 v1, v1, v11, vcc
	v_cndmask_b32_e64 v0, v0, 0, vcc
	v_cmp_o_f64_e32 vcc, v[18:19], v[18:19]
	v_fma_f64 v[18:19], v[16:17], s[22:23], -v[2:3]
	v_fmac_f64_e32 v[18:19], s[24:25], v[16:17]
	v_fmac_f64_e32 v[14:15], s[26:27], v[18:19]
	v_fma_f64 v[14:15], v[18:19], v[14:15], s[30:31]
	v_fma_f64 v[14:15], v[18:19], v[14:15], s[34:35]
	;; [unrolled: 1-line block ×7, first 2 shown]
	s_mov_b32 s4, 0
	v_fma_f64 v[14:15], v[18:19], v[14:15], s[56:57]
	s_mov_b32 s5, 0xc0900000
	v_cndmask_b32_e32 v0, 0, v0, vcc
	v_cndmask_b32_e32 v1, v55, v1, vcc
	v_fma_f64 v[14:15], v[18:19], v[14:15], 1.0
	v_cmp_ngt_f64_e32 vcc, s[4:5], v[2:3]
	s_mov_b32 s4, 0
	v_fma_f64 v[14:15], v[18:19], v[14:15], 1.0
	v_cvt_i32_f64_e32 v11, v[16:17]
	s_mov_b32 s5, 0x4090cc00
	v_ldexp_f64 v[14:15], v[14:15], v11
	v_cmp_nlt_f64_e64 s[4:5], s[4:5], v[2:3]
	v_cndmask_b32_e32 v11, v54, v15, vcc
	s_and_b64 vcc, s[4:5], vcc
	v_cndmask_b32_e64 v15, 0, v11, s[4:5]
	v_cndmask_b32_e32 v14, 0, v14, vcc
	v_mul_f64 v[0:1], v[14:15], v[0:1]
	v_frexp_mant_f64_e32 v[14:15], v[2:3]
	v_cmp_gt_f64_e32 vcc, s[14:15], v[14:15]
	v_cndmask_b32_e64 v11, v22, 2.0, vcc
	v_mul_f64 v[10:11], v[14:15], v[10:11]
	v_frexp_exp_i32_f64_e32 v16, v[2:3]
	v_add_f64 v[14:15], v[10:11], 1.0
	v_subbrev_co_u32_e32 v26, vcc, 0, v16, vcc
	v_rcp_f64_e32 v[16:17], v[14:15]
	v_add_f64 v[20:21], v[14:15], -1.0
	v_add_f64 v[18:19], v[10:11], -1.0
	v_add_f64 v[10:11], v[10:11], -v[20:21]
	v_fma_f64 v[20:21], -v[14:15], v[16:17], 1.0
	v_fmac_f64_e32 v[16:17], v[20:21], v[16:17]
	v_fma_f64 v[20:21], -v[14:15], v[16:17], 1.0
	v_fmac_f64_e32 v[16:17], v[20:21], v[16:17]
	v_mul_f64 v[20:21], v[18:19], v[16:17]
	v_mul_f64 v[22:23], v[14:15], v[20:21]
	v_fma_f64 v[14:15], v[20:21], v[14:15], -v[22:23]
	v_fmac_f64_e32 v[14:15], v[20:21], v[10:11]
	v_add_f64 v[10:11], v[22:23], v[14:15]
	v_add_f64 v[24:25], v[18:19], -v[10:11]
	v_add_f64 v[22:23], v[10:11], -v[22:23]
	;; [unrolled: 1-line block ×5, first 2 shown]
	v_add_f64 v[10:11], v[14:15], v[10:11]
	v_add_f64 v[10:11], v[24:25], v[10:11]
	v_mul_f64 v[10:11], v[16:17], v[10:11]
	v_add_f64 v[14:15], v[20:21], v[10:11]
	v_add_f64 v[16:17], v[14:15], -v[20:21]
	s_mov_b32 s4, 0xbf559e2b
	v_add_f64 v[10:11], v[10:11], -v[16:17]
	v_mul_f64 v[16:17], v[14:15], v[14:15]
	v_mov_b32_e32 v18, 0x6b47b09a
	v_mov_b32_e32 v19, 0x3fc38538
	s_mov_b32 s5, 0x3fc3ab76
	v_fmac_f64_e32 v[18:19], s[4:5], v[16:17]
	v_mov_b32_e32 v20, 0xd7f4df2e
	v_mov_b32_e32 v21, 0x3fc7474d
	v_fmac_f64_e32 v[20:21], v[16:17], v[18:19]
	v_mov_b32_e32 v18, 0x16291751
	v_mov_b32_e32 v19, 0x3fcc71c0
	;; [unrolled: 3-line block ×5, first 2 shown]
	v_fmac_f64_e32 v[20:21], v[16:17], v[18:19]
	v_ldexp_f64 v[18:19], v[14:15], 1
	v_mul_f64 v[14:15], v[14:15], v[16:17]
	v_mul_f64 v[14:15], v[14:15], v[20:21]
	v_add_f64 v[16:17], v[18:19], v[14:15]
	v_add_f64 v[18:19], v[16:17], -v[18:19]
	v_ldexp_f64 v[10:11], v[10:11], 1
	v_add_f64 v[14:15], v[14:15], -v[18:19]
	v_add_f64 v[10:11], v[10:11], v[14:15]
	v_add_f64 v[14:15], v[16:17], v[10:11]
	v_add_f64 v[16:17], v[14:15], -v[16:17]
	v_add_f64 v[10:11], v[10:11], -v[16:17]
	v_cvt_f64_i32_e32 v[16:17], v26
	v_mul_f64 v[18:19], v[16:17], s[16:17]
	v_fma_f64 v[20:21], v[16:17], s[16:17], -v[18:19]
	v_fmac_f64_e32 v[20:21], s[18:19], v[16:17]
	v_add_f64 v[16:17], v[18:19], v[20:21]
	v_add_f64 v[18:19], v[16:17], -v[18:19]
	v_add_f64 v[18:19], v[20:21], -v[18:19]
	v_add_f64 v[20:21], v[16:17], v[14:15]
	v_add_f64 v[22:23], v[20:21], -v[16:17]
	v_add_f64 v[24:25], v[20:21], -v[22:23]
	;; [unrolled: 1-line block ×4, first 2 shown]
	v_add_f64 v[14:15], v[14:15], v[16:17]
	v_add_f64 v[16:17], v[18:19], v[10:11]
	v_add_f64 v[22:23], v[16:17], -v[18:19]
	v_add_f64 v[24:25], v[16:17], -v[22:23]
	v_add_f64 v[14:15], v[16:17], v[14:15]
	v_add_f64 v[18:19], v[18:19], -v[24:25]
	v_add_f64 v[10:11], v[10:11], -v[22:23]
	v_add_f64 v[16:17], v[20:21], v[14:15]
	v_add_f64 v[10:11], v[10:11], v[18:19]
	v_add_f64 v[18:19], v[16:17], -v[20:21]
	v_add_f64 v[14:15], v[14:15], -v[18:19]
	v_add_f64 v[10:11], v[10:11], v[14:15]
	v_add_f64 v[10:11], v[16:17], v[10:11]
	v_cmp_class_f64_e64 vcc, v[2:3], s73
	v_cndmask_b32_e32 v10, v10, v2, vcc
	v_cndmask_b32_e32 v11, v11, v3, vcc
	v_cmp_ngt_f64_e32 vcc, 0, v[2:3]
	v_cndmask_b32_e32 v11, v55, v11, vcc
	v_cmp_nge_f64_e32 vcc, 0, v[2:3]
	v_cndmask_b32_e32 v10, 0, v10, vcc
	v_mov_b32_e32 v14, 0xfff00000
	v_cmp_neq_f64_e32 vcc, 0, v[2:3]
	v_cndmask_b32_e32 v11, v14, v11, vcc
	v_mul_f64 v[8:9], v[8:9], v[12:13]
	v_add_f64 v[2:3], v[10:11], -v[4:5]
	v_mul_f64 v[4:5], v[6:7], v[12:13]
	v_fma_f64 v[2:3], v[8:9], v[2:3], -v[4:5]
	v_div_scale_f64 v[4:5], s[4:5], v[0:1], v[0:1], -v[2:3]
	v_rcp_f64_e32 v[6:7], v[4:5]
	v_fma_f64 v[8:9], -v[4:5], v[6:7], 1.0
	v_fmac_f64_e32 v[6:7], v[6:7], v[8:9]
	v_fma_f64 v[8:9], -v[4:5], v[6:7], 1.0
	v_fmac_f64_e32 v[6:7], v[6:7], v[8:9]
	v_div_scale_f64 v[8:9], vcc, -v[2:3], v[0:1], -v[2:3]
	v_mul_f64 v[10:11], v[8:9], v[6:7]
	v_fma_f64 v[4:5], -v[4:5], v[10:11], v[8:9]
	s_nop 1
	v_div_fmas_f64 v[4:5], v[4:5], v[6:7], v[10:11]
	v_div_fixup_f64 v[0:1], v[4:5], v[0:1], -v[2:3]
	v_cmp_o_f64_e32 vcc, v[0:1], v[0:1]
	v_cndmask_b32_e32 v5, 0, v1, vcc
	v_cndmask_b32_e32 v4, 0, v0, vcc
.LBB153_34:
	s_or_b64 exec, exec, s[12:13]
	v_readlane_b32 s30, v40, 40
	v_mov_b32_e32 v0, v4
	v_mov_b32_e32 v1, v5
	v_readlane_b32 s31, v40, 41
	v_readlane_b32 s73, v40, 39
	;; [unrolled: 1-line block ×41, first 2 shown]
	s_or_saveexec_b64 s[4:5], -1
	buffer_load_dword v40, off, s[0:3], s32 ; 4-byte Folded Reload
	s_mov_b64 exec, s[4:5]
	s_waitcnt vmcnt(0)
	s_setpc_b64 s[30:31]
.Lfunc_end153:
	.size	_ZZZZN2at6native33launch_standard_gamma_grad_kernelERNS_18TensorIteratorBaseEENKUlvE_clEvENKUlvE_clEvENKUlddE_clEdd, .Lfunc_end153-_ZZZZN2at6native33launch_standard_gamma_grad_kernelERNS_18TensorIteratorBaseEENKUlvE_clEvENKUlvE_clEvENKUlddE_clEdd
                                        ; -- End function
	.section	.AMDGPU.csdata,"",@progbits
; Function info:
; codeLenInByte = 15692
; NumSgprs: 78
; NumVgprs: 56
; NumAgprs: 0
; TotalNumVgprs: 56
; ScratchSize: 8
; MemoryBound: 0
	.section	.text._ZN2at6native29vectorized_elementwise_kernelILi16EZZZNS0_33launch_standard_gamma_grad_kernelERNS_18TensorIteratorBaseEENKUlvE_clEvENKUlvE_clEvEUlddE_St5arrayIPcLm3EEEEviT0_T1_,"axG",@progbits,_ZN2at6native29vectorized_elementwise_kernelILi16EZZZNS0_33launch_standard_gamma_grad_kernelERNS_18TensorIteratorBaseEENKUlvE_clEvENKUlvE_clEvEUlddE_St5arrayIPcLm3EEEEviT0_T1_,comdat
	.globl	_ZN2at6native29vectorized_elementwise_kernelILi16EZZZNS0_33launch_standard_gamma_grad_kernelERNS_18TensorIteratorBaseEENKUlvE_clEvENKUlvE_clEvEUlddE_St5arrayIPcLm3EEEEviT0_T1_ ; -- Begin function _ZN2at6native29vectorized_elementwise_kernelILi16EZZZNS0_33launch_standard_gamma_grad_kernelERNS_18TensorIteratorBaseEENKUlvE_clEvENKUlvE_clEvEUlddE_St5arrayIPcLm3EEEEviT0_T1_
	.p2align	8
	.type	_ZN2at6native29vectorized_elementwise_kernelILi16EZZZNS0_33launch_standard_gamma_grad_kernelERNS_18TensorIteratorBaseEENKUlvE_clEvENKUlvE_clEvEUlddE_St5arrayIPcLm3EEEEviT0_T1_,@function
_ZN2at6native29vectorized_elementwise_kernelILi16EZZZNS0_33launch_standard_gamma_grad_kernelERNS_18TensorIteratorBaseEENKUlvE_clEvENKUlvE_clEvEUlddE_St5arrayIPcLm3EEEEviT0_T1_: ; @_ZN2at6native29vectorized_elementwise_kernelILi16EZZZNS0_33launch_standard_gamma_grad_kernelERNS_18TensorIteratorBaseEENKUlvE_clEvENKUlvE_clEvEUlddE_St5arrayIPcLm3EEEEviT0_T1_
; %bb.0:
	s_add_u32 flat_scratch_lo, s6, s9
	s_addc_u32 flat_scratch_hi, s7, 0
	s_load_dword s6, s[4:5], 0x0
	s_load_dwordx4 s[76:79], s[4:5], 0x8
	s_load_dwordx2 s[82:83], s[4:5], 0x18
	s_add_u32 s0, s0, s9
	s_addc_u32 s1, s1, 0
	s_lshl_b32 s80, s8, 10
	s_waitcnt lgkmcnt(0)
	s_sub_i32 s33, s6, s80
	v_mov_b32_e32 v41, v0
	s_cmpk_gt_i32 s33, 0x3ff
	s_mov_b64 s[4:5], -1
	s_mov_b32 s32, 0
	s_cbranch_scc0 .LBB154_2
; %bb.1:
	s_ashr_i32 s81, s80, 31
	s_lshl_b64 s[74:75], s[80:81], 3
	s_add_u32 s4, s78, s74
	s_addc_u32 s5, s79, s75
	v_lshlrev_b32_e32 v46, 5, v41
	global_load_dwordx4 v[42:45], v46, s[4:5]
	s_add_u32 s6, s82, s74
	s_addc_u32 s7, s83, s75
	global_load_dwordx4 v[56:59], v46, s[6:7]
	global_load_dwordx4 v[60:63], v46, s[4:5] offset:16
	global_load_dwordx4 v[64:67], v46, s[6:7] offset:16
	s_getpc_b64 s[84:85]
	s_add_u32 s84, s84, _ZZZZN2at6native33launch_standard_gamma_grad_kernelERNS_18TensorIteratorBaseEENKUlvE_clEvENKUlvE_clEvENKUlddE_clEdd@rel32@lo+4
	s_addc_u32 s85, s85, _ZZZZN2at6native33launch_standard_gamma_grad_kernelERNS_18TensorIteratorBaseEENKUlvE_clEvENKUlvE_clEvENKUlddE_clEdd@rel32@hi+12
	s_waitcnt vmcnt(3)
	v_mov_b32_e32 v0, v42
	v_mov_b32_e32 v1, v43
	s_waitcnt vmcnt(2)
	v_mov_b32_e32 v2, v56
	v_mov_b32_e32 v3, v57
	s_swappc_b64 s[30:31], s[84:85]
	v_mov_b32_e32 v42, v0
	v_mov_b32_e32 v43, v1
	v_mov_b32_e32 v0, v44
	v_mov_b32_e32 v1, v45
	v_mov_b32_e32 v2, v58
	v_mov_b32_e32 v3, v59
	s_swappc_b64 s[30:31], s[84:85]
	v_mov_b32_e32 v44, v0
	v_mov_b32_e32 v45, v1
	v_mov_b32_e32 v0, v60
	v_mov_b32_e32 v1, v61
	;; [unrolled: 7-line block ×3, first 2 shown]
	v_mov_b32_e32 v2, v66
	v_mov_b32_e32 v3, v67
	s_swappc_b64 s[30:31], s[84:85]
	s_add_u32 s4, s76, s74
	s_addc_u32 s5, s77, s75
	v_mov_b32_e32 v58, v0
	v_mov_b32_e32 v59, v1
	global_store_dwordx4 v46, v[42:45], s[4:5]
	global_store_dwordx4 v46, v[56:59], s[4:5] offset:16
	s_mov_b64 s[4:5], 0
.LBB154_2:
	s_andn2_b64 vcc, exec, s[4:5]
	s_cbranch_vccnz .LBB154_23
; %bb.3:
	v_pk_mov_b32 v[42:43], 0, 0
	v_cmp_gt_i32_e64 s[74:75], s33, v41
	v_or_b32_e32 v70, s80, v41
	v_pk_mov_b32 v[0:1], v[42:43], v[42:43] op_sel:[0,1]
	v_pk_mov_b32 v[2:3], v[42:43], v[42:43] op_sel:[0,1]
	v_mov_b32_e32 v4, v41
	s_and_saveexec_b64 s[4:5], s[74:75]
	s_cbranch_execz .LBB154_5
; %bb.4:
	v_mov_b32_e32 v71, 0
	v_lshlrev_b64 v[0:1], 3, v[70:71]
	v_mov_b32_e32 v2, s83
	v_add_co_u32_e32 v4, vcc, s82, v0
	v_addc_co_u32_e32 v5, vcc, v2, v1, vcc
	v_mov_b32_e32 v2, s79
	v_add_co_u32_e32 v6, vcc, s78, v0
	v_addc_co_u32_e32 v7, vcc, v2, v1, vcc
	global_load_dwordx2 v[0:1], v[6:7], off
	global_load_dwordx2 v[2:3], v[4:5], off
	v_or_b32_e32 v4, 0x100, v41
.LBB154_5:
	s_or_b64 exec, exec, s[4:5]
	v_cmp_gt_i32_e32 vcc, s33, v4
	v_pk_mov_b32 v[46:47], v[42:43], v[42:43] op_sel:[0,1]
	s_and_saveexec_b64 s[4:5], vcc
	s_cbranch_execz .LBB154_7
; %bb.6:
	v_add_u32_e32 v6, s80, v4
	v_mov_b32_e32 v7, 0
	v_lshlrev_b64 v[6:7], 3, v[6:7]
	v_mov_b32_e32 v5, s83
	v_add_co_u32_e32 v8, vcc, s82, v6
	v_addc_co_u32_e32 v9, vcc, v5, v7, vcc
	v_mov_b32_e32 v5, s79
	v_add_co_u32_e32 v6, vcc, s78, v6
	v_addc_co_u32_e32 v7, vcc, v5, v7, vcc
	global_load_dwordx2 v[42:43], v[6:7], off
	global_load_dwordx2 v[46:47], v[8:9], off
	v_add_u32_e32 v4, 0x100, v4
.LBB154_7:
	s_or_b64 exec, exec, s[4:5]
	v_pk_mov_b32 v[44:45], 0, 0
	v_cmp_gt_i32_e32 vcc, s33, v4
	v_pk_mov_b32 v[64:65], v[44:45], v[44:45] op_sel:[0,1]
	v_pk_mov_b32 v[66:67], v[44:45], v[44:45] op_sel:[0,1]
	s_and_saveexec_b64 s[4:5], vcc
	s_cbranch_execz .LBB154_9
; %bb.8:
	v_add_u32_e32 v6, s80, v4
	v_mov_b32_e32 v7, 0
	v_lshlrev_b64 v[6:7], 3, v[6:7]
	v_mov_b32_e32 v5, s83
	v_add_co_u32_e32 v8, vcc, s82, v6
	v_addc_co_u32_e32 v9, vcc, v5, v7, vcc
	v_mov_b32_e32 v5, s79
	v_add_co_u32_e32 v6, vcc, s78, v6
	v_addc_co_u32_e32 v7, vcc, v5, v7, vcc
	global_load_dwordx2 v[64:65], v[6:7], off
	global_load_dwordx2 v[66:67], v[8:9], off
	v_add_u32_e32 v4, 0x100, v4
.LBB154_9:
	s_or_b64 exec, exec, s[4:5]
	v_cmp_gt_i32_e32 vcc, s33, v4
	v_pk_mov_b32 v[68:69], v[44:45], v[44:45] op_sel:[0,1]
	s_and_saveexec_b64 s[4:5], vcc
	s_cbranch_execz .LBB154_11
; %bb.10:
	v_add_u32_e32 v4, s80, v4
	v_mov_b32_e32 v5, 0
	v_lshlrev_b64 v[4:5], 3, v[4:5]
	v_mov_b32_e32 v7, s83
	v_add_co_u32_e32 v6, vcc, s82, v4
	v_addc_co_u32_e32 v7, vcc, v7, v5, vcc
	v_mov_b32_e32 v8, s79
	v_add_co_u32_e32 v4, vcc, s78, v4
	v_addc_co_u32_e32 v5, vcc, v8, v5, vcc
	global_load_dwordx2 v[44:45], v[4:5], off
	global_load_dwordx2 v[68:69], v[6:7], off
.LBB154_11:
	s_or_b64 exec, exec, s[4:5]
                                        ; implicit-def: $vgpr56_vgpr57_vgpr58_vgpr59_vgpr60_vgpr61_vgpr62_vgpr63
	s_and_saveexec_b64 s[78:79], s[74:75]
	s_cbranch_execz .LBB154_13
; %bb.12:
	s_getpc_b64 s[4:5]
	s_add_u32 s4, s4, _ZZZZN2at6native33launch_standard_gamma_grad_kernelERNS_18TensorIteratorBaseEENKUlvE_clEvENKUlvE_clEvENKUlddE_clEdd@rel32@lo+4
	s_addc_u32 s5, s5, _ZZZZN2at6native33launch_standard_gamma_grad_kernelERNS_18TensorIteratorBaseEENKUlvE_clEvENKUlvE_clEvENKUlddE_clEdd@rel32@hi+12
	s_swappc_b64 s[30:31], s[4:5]
	v_mov_b32_e32 v56, v0
	v_mov_b32_e32 v57, v1
.LBB154_13:
	s_or_b64 exec, exec, s[78:79]
	v_or_b32_e32 v72, 0x100, v41
	v_cmp_gt_i32_e32 vcc, s33, v72
	s_and_saveexec_b64 s[78:79], vcc
	s_cbranch_execz .LBB154_15
; %bb.14:
	s_waitcnt vmcnt(1)
	v_mov_b32_e32 v0, v42
	v_mov_b32_e32 v1, v43
	s_waitcnt vmcnt(0)
	v_mov_b32_e32 v2, v46
	v_mov_b32_e32 v3, v47
	s_getpc_b64 s[4:5]
	s_add_u32 s4, s4, _ZZZZN2at6native33launch_standard_gamma_grad_kernelERNS_18TensorIteratorBaseEENKUlvE_clEvENKUlvE_clEvENKUlddE_clEdd@rel32@lo+4
	s_addc_u32 s5, s5, _ZZZZN2at6native33launch_standard_gamma_grad_kernelERNS_18TensorIteratorBaseEENKUlvE_clEvENKUlvE_clEvENKUlddE_clEdd@rel32@hi+12
	s_swappc_b64 s[30:31], s[4:5]
	v_mov_b32_e32 v58, v0
	v_mov_b32_e32 v59, v1
.LBB154_15:
	s_or_b64 exec, exec, s[78:79]
	s_waitcnt vmcnt(1)
	v_or_b32_e32 v0, 0x200, v41
	v_cmp_gt_i32_e32 vcc, s33, v0
	s_and_saveexec_b64 s[78:79], vcc
	s_cbranch_execz .LBB154_17
; %bb.16:
	v_mov_b32_e32 v0, v64
	v_mov_b32_e32 v1, v65
	s_waitcnt vmcnt(0)
	v_mov_b32_e32 v2, v66
	v_mov_b32_e32 v3, v67
	s_getpc_b64 s[4:5]
	s_add_u32 s4, s4, _ZZZZN2at6native33launch_standard_gamma_grad_kernelERNS_18TensorIteratorBaseEENKUlvE_clEvENKUlvE_clEvENKUlddE_clEdd@rel32@lo+4
	s_addc_u32 s5, s5, _ZZZZN2at6native33launch_standard_gamma_grad_kernelERNS_18TensorIteratorBaseEENKUlvE_clEvENKUlvE_clEvENKUlddE_clEdd@rel32@hi+12
	s_swappc_b64 s[30:31], s[4:5]
	v_mov_b32_e32 v60, v0
	v_mov_b32_e32 v61, v1
.LBB154_17:
	s_or_b64 exec, exec, s[78:79]
	v_or_b32_e32 v0, 0x300, v41
	v_cmp_gt_i32_e32 vcc, s33, v0
	s_and_saveexec_b64 s[78:79], vcc
	s_cbranch_execnz .LBB154_24
; %bb.18:
	s_or_b64 exec, exec, s[78:79]
	s_and_saveexec_b64 s[4:5], s[74:75]
	s_xor_b64 s[4:5], exec, s[4:5]
	s_cbranch_execnz .LBB154_25
.LBB154_19:
	s_or_b64 exec, exec, s[4:5]
	v_cmp_gt_i32_e32 vcc, s33, v41
	s_and_saveexec_b64 s[4:5], vcc
	s_cbranch_execnz .LBB154_26
.LBB154_20:
	s_or_b64 exec, exec, s[4:5]
	v_cmp_gt_i32_e32 vcc, s33, v41
	s_and_saveexec_b64 s[4:5], vcc
	s_cbranch_execnz .LBB154_27
.LBB154_21:
	s_or_b64 exec, exec, s[4:5]
	v_cmp_gt_i32_e32 vcc, s33, v41
	s_and_saveexec_b64 s[4:5], vcc
	s_cbranch_execz .LBB154_23
.LBB154_22:
	v_add_u32_e32 v0, s80, v41
	v_mov_b32_e32 v1, 0
	v_lshlrev_b64 v[0:1], 3, v[0:1]
	s_waitcnt vmcnt(0)
	v_mov_b32_e32 v2, s77
	v_add_co_u32_e32 v0, vcc, s76, v0
	v_addc_co_u32_e32 v1, vcc, v2, v1, vcc
	global_store_dwordx2 v[0:1], v[62:63], off
.LBB154_23:
	s_endpgm
.LBB154_24:
	v_mov_b32_e32 v0, v44
	v_mov_b32_e32 v1, v45
	s_waitcnt vmcnt(0)
	v_mov_b32_e32 v2, v68
	v_mov_b32_e32 v3, v69
	s_getpc_b64 s[4:5]
	s_add_u32 s4, s4, _ZZZZN2at6native33launch_standard_gamma_grad_kernelERNS_18TensorIteratorBaseEENKUlvE_clEvENKUlvE_clEvENKUlddE_clEdd@rel32@lo+4
	s_addc_u32 s5, s5, _ZZZZN2at6native33launch_standard_gamma_grad_kernelERNS_18TensorIteratorBaseEENKUlvE_clEvENKUlvE_clEvENKUlddE_clEdd@rel32@hi+12
	s_swappc_b64 s[30:31], s[4:5]
	v_mov_b32_e32 v62, v0
	v_mov_b32_e32 v63, v1
	s_or_b64 exec, exec, s[78:79]
	s_and_saveexec_b64 s[4:5], s[74:75]
	s_xor_b64 s[4:5], exec, s[4:5]
	s_cbranch_execz .LBB154_19
.LBB154_25:
	v_mov_b32_e32 v71, 0
	v_lshlrev_b64 v[0:1], 3, v[70:71]
	s_waitcnt vmcnt(0)
	v_mov_b32_e32 v2, s77
	v_add_co_u32_e32 v0, vcc, s76, v0
	v_addc_co_u32_e32 v1, vcc, v2, v1, vcc
	v_mov_b32_e32 v41, v72
	global_store_dwordx2 v[0:1], v[56:57], off
	s_or_b64 exec, exec, s[4:5]
	v_cmp_gt_i32_e32 vcc, s33, v41
	s_and_saveexec_b64 s[4:5], vcc
	s_cbranch_execz .LBB154_20
.LBB154_26:
	v_add_u32_e32 v0, s80, v41
	v_mov_b32_e32 v1, 0
	v_lshlrev_b64 v[0:1], 3, v[0:1]
	s_waitcnt vmcnt(0)
	v_mov_b32_e32 v2, s77
	v_add_co_u32_e32 v0, vcc, s76, v0
	v_addc_co_u32_e32 v1, vcc, v2, v1, vcc
	v_add_u32_e32 v41, 0x100, v41
	global_store_dwordx2 v[0:1], v[58:59], off
	s_or_b64 exec, exec, s[4:5]
	v_cmp_gt_i32_e32 vcc, s33, v41
	s_and_saveexec_b64 s[4:5], vcc
	s_cbranch_execz .LBB154_21
.LBB154_27:
	v_add_u32_e32 v0, s80, v41
	v_mov_b32_e32 v1, 0
	v_lshlrev_b64 v[0:1], 3, v[0:1]
	s_waitcnt vmcnt(0)
	v_mov_b32_e32 v2, s77
	v_add_co_u32_e32 v0, vcc, s76, v0
	v_addc_co_u32_e32 v1, vcc, v2, v1, vcc
	v_add_u32_e32 v41, 0x100, v41
	global_store_dwordx2 v[0:1], v[60:61], off
	s_or_b64 exec, exec, s[4:5]
	v_cmp_gt_i32_e32 vcc, s33, v41
	s_and_saveexec_b64 s[4:5], vcc
	s_cbranch_execnz .LBB154_22
	s_branch .LBB154_23
	.section	.rodata,"a",@progbits
	.p2align	6, 0x0
	.amdhsa_kernel _ZN2at6native29vectorized_elementwise_kernelILi16EZZZNS0_33launch_standard_gamma_grad_kernelERNS_18TensorIteratorBaseEENKUlvE_clEvENKUlvE_clEvEUlddE_St5arrayIPcLm3EEEEviT0_T1_
		.amdhsa_group_segment_fixed_size 0
		.amdhsa_private_segment_fixed_size 8
		.amdhsa_kernarg_size 32
		.amdhsa_user_sgpr_count 8
		.amdhsa_user_sgpr_private_segment_buffer 1
		.amdhsa_user_sgpr_dispatch_ptr 0
		.amdhsa_user_sgpr_queue_ptr 0
		.amdhsa_user_sgpr_kernarg_segment_ptr 1
		.amdhsa_user_sgpr_dispatch_id 0
		.amdhsa_user_sgpr_flat_scratch_init 1
		.amdhsa_user_sgpr_kernarg_preload_length 0
		.amdhsa_user_sgpr_kernarg_preload_offset 0
		.amdhsa_user_sgpr_private_segment_size 0
		.amdhsa_uses_dynamic_stack 0
		.amdhsa_system_sgpr_private_segment_wavefront_offset 1
		.amdhsa_system_sgpr_workgroup_id_x 1
		.amdhsa_system_sgpr_workgroup_id_y 0
		.amdhsa_system_sgpr_workgroup_id_z 0
		.amdhsa_system_sgpr_workgroup_info 0
		.amdhsa_system_vgpr_workitem_id 0
		.amdhsa_next_free_vgpr 73
		.amdhsa_next_free_sgpr 86
		.amdhsa_accum_offset 76
		.amdhsa_reserve_vcc 1
		.amdhsa_reserve_flat_scratch 1
		.amdhsa_float_round_mode_32 0
		.amdhsa_float_round_mode_16_64 0
		.amdhsa_float_denorm_mode_32 3
		.amdhsa_float_denorm_mode_16_64 3
		.amdhsa_dx10_clamp 1
		.amdhsa_ieee_mode 1
		.amdhsa_fp16_overflow 0
		.amdhsa_tg_split 0
		.amdhsa_exception_fp_ieee_invalid_op 0
		.amdhsa_exception_fp_denorm_src 0
		.amdhsa_exception_fp_ieee_div_zero 0
		.amdhsa_exception_fp_ieee_overflow 0
		.amdhsa_exception_fp_ieee_underflow 0
		.amdhsa_exception_fp_ieee_inexact 0
		.amdhsa_exception_int_div_zero 0
	.end_amdhsa_kernel
	.section	.text._ZN2at6native29vectorized_elementwise_kernelILi16EZZZNS0_33launch_standard_gamma_grad_kernelERNS_18TensorIteratorBaseEENKUlvE_clEvENKUlvE_clEvEUlddE_St5arrayIPcLm3EEEEviT0_T1_,"axG",@progbits,_ZN2at6native29vectorized_elementwise_kernelILi16EZZZNS0_33launch_standard_gamma_grad_kernelERNS_18TensorIteratorBaseEENKUlvE_clEvENKUlvE_clEvEUlddE_St5arrayIPcLm3EEEEviT0_T1_,comdat
.Lfunc_end154:
	.size	_ZN2at6native29vectorized_elementwise_kernelILi16EZZZNS0_33launch_standard_gamma_grad_kernelERNS_18TensorIteratorBaseEENKUlvE_clEvENKUlvE_clEvEUlddE_St5arrayIPcLm3EEEEviT0_T1_, .Lfunc_end154-_ZN2at6native29vectorized_elementwise_kernelILi16EZZZNS0_33launch_standard_gamma_grad_kernelERNS_18TensorIteratorBaseEENKUlvE_clEvENKUlvE_clEvEUlddE_St5arrayIPcLm3EEEEviT0_T1_
                                        ; -- End function
	.section	.AMDGPU.csdata,"",@progbits
; Kernel info:
; codeLenInByte = 1280
; NumSgprs: 92
; NumVgprs: 73
; NumAgprs: 0
; TotalNumVgprs: 73
; ScratchSize: 8
; MemoryBound: 0
; FloatMode: 240
; IeeeMode: 1
; LDSByteSize: 0 bytes/workgroup (compile time only)
; SGPRBlocks: 11
; VGPRBlocks: 9
; NumSGPRsForWavesPerEU: 92
; NumVGPRsForWavesPerEU: 73
; AccumOffset: 76
; Occupancy: 6
; WaveLimiterHint : 0
; COMPUTE_PGM_RSRC2:SCRATCH_EN: 1
; COMPUTE_PGM_RSRC2:USER_SGPR: 8
; COMPUTE_PGM_RSRC2:TRAP_HANDLER: 0
; COMPUTE_PGM_RSRC2:TGID_X_EN: 1
; COMPUTE_PGM_RSRC2:TGID_Y_EN: 0
; COMPUTE_PGM_RSRC2:TGID_Z_EN: 0
; COMPUTE_PGM_RSRC2:TIDIG_COMP_CNT: 0
; COMPUTE_PGM_RSRC3_GFX90A:ACCUM_OFFSET: 18
; COMPUTE_PGM_RSRC3_GFX90A:TG_SPLIT: 0
	.section	.text._ZN2at6native29vectorized_elementwise_kernelILi8EZZZNS0_33launch_standard_gamma_grad_kernelERNS_18TensorIteratorBaseEENKUlvE_clEvENKUlvE_clEvEUlddE_St5arrayIPcLm3EEEEviT0_T1_,"axG",@progbits,_ZN2at6native29vectorized_elementwise_kernelILi8EZZZNS0_33launch_standard_gamma_grad_kernelERNS_18TensorIteratorBaseEENKUlvE_clEvENKUlvE_clEvEUlddE_St5arrayIPcLm3EEEEviT0_T1_,comdat
	.globl	_ZN2at6native29vectorized_elementwise_kernelILi8EZZZNS0_33launch_standard_gamma_grad_kernelERNS_18TensorIteratorBaseEENKUlvE_clEvENKUlvE_clEvEUlddE_St5arrayIPcLm3EEEEviT0_T1_ ; -- Begin function _ZN2at6native29vectorized_elementwise_kernelILi8EZZZNS0_33launch_standard_gamma_grad_kernelERNS_18TensorIteratorBaseEENKUlvE_clEvENKUlvE_clEvEUlddE_St5arrayIPcLm3EEEEviT0_T1_
	.p2align	8
	.type	_ZN2at6native29vectorized_elementwise_kernelILi8EZZZNS0_33launch_standard_gamma_grad_kernelERNS_18TensorIteratorBaseEENKUlvE_clEvENKUlvE_clEvEUlddE_St5arrayIPcLm3EEEEviT0_T1_,@function
_ZN2at6native29vectorized_elementwise_kernelILi8EZZZNS0_33launch_standard_gamma_grad_kernelERNS_18TensorIteratorBaseEENKUlvE_clEvENKUlvE_clEvEUlddE_St5arrayIPcLm3EEEEviT0_T1_: ; @_ZN2at6native29vectorized_elementwise_kernelILi8EZZZNS0_33launch_standard_gamma_grad_kernelERNS_18TensorIteratorBaseEENKUlvE_clEvENKUlvE_clEvEUlddE_St5arrayIPcLm3EEEEviT0_T1_
; %bb.0:
	s_add_u32 flat_scratch_lo, s6, s9
	s_addc_u32 flat_scratch_hi, s7, 0
	s_load_dword s6, s[4:5], 0x0
	s_load_dwordx4 s[76:79], s[4:5], 0x8
	s_load_dwordx2 s[82:83], s[4:5], 0x18
	s_add_u32 s0, s0, s9
	s_addc_u32 s1, s1, 0
	s_lshl_b32 s80, s8, 10
	s_waitcnt lgkmcnt(0)
	s_sub_i32 s33, s6, s80
	v_mov_b32_e32 v41, v0
	s_cmpk_gt_i32 s33, 0x3ff
	s_mov_b64 s[4:5], -1
	s_mov_b32 s32, 0
	s_cbranch_scc0 .LBB155_2
; %bb.1:
	s_ashr_i32 s81, s80, 31
	s_lshl_b64 s[74:75], s[80:81], 3
	s_add_u32 s4, s78, s74
	s_addc_u32 s5, s79, s75
	v_lshlrev_b32_e32 v46, 5, v41
	global_load_dwordx4 v[42:45], v46, s[4:5]
	s_add_u32 s6, s82, s74
	s_addc_u32 s7, s83, s75
	global_load_dwordx4 v[56:59], v46, s[6:7]
	global_load_dwordx4 v[60:63], v46, s[4:5] offset:16
	global_load_dwordx4 v[64:67], v46, s[6:7] offset:16
	s_getpc_b64 s[84:85]
	s_add_u32 s84, s84, _ZZZZN2at6native33launch_standard_gamma_grad_kernelERNS_18TensorIteratorBaseEENKUlvE_clEvENKUlvE_clEvENKUlddE_clEdd@rel32@lo+4
	s_addc_u32 s85, s85, _ZZZZN2at6native33launch_standard_gamma_grad_kernelERNS_18TensorIteratorBaseEENKUlvE_clEvENKUlvE_clEvENKUlddE_clEdd@rel32@hi+12
	s_waitcnt vmcnt(3)
	v_mov_b32_e32 v0, v42
	v_mov_b32_e32 v1, v43
	s_waitcnt vmcnt(2)
	v_mov_b32_e32 v2, v56
	v_mov_b32_e32 v3, v57
	s_swappc_b64 s[30:31], s[84:85]
	v_mov_b32_e32 v42, v0
	v_mov_b32_e32 v43, v1
	v_mov_b32_e32 v0, v44
	v_mov_b32_e32 v1, v45
	v_mov_b32_e32 v2, v58
	v_mov_b32_e32 v3, v59
	s_swappc_b64 s[30:31], s[84:85]
	v_mov_b32_e32 v44, v0
	v_mov_b32_e32 v45, v1
	v_mov_b32_e32 v0, v60
	v_mov_b32_e32 v1, v61
	;; [unrolled: 7-line block ×3, first 2 shown]
	v_mov_b32_e32 v2, v66
	v_mov_b32_e32 v3, v67
	s_swappc_b64 s[30:31], s[84:85]
	s_add_u32 s4, s76, s74
	s_addc_u32 s5, s77, s75
	v_mov_b32_e32 v58, v0
	v_mov_b32_e32 v59, v1
	global_store_dwordx4 v46, v[42:45], s[4:5]
	global_store_dwordx4 v46, v[56:59], s[4:5] offset:16
	s_mov_b64 s[4:5], 0
.LBB155_2:
	s_andn2_b64 vcc, exec, s[4:5]
	s_cbranch_vccnz .LBB155_23
; %bb.3:
	v_pk_mov_b32 v[42:43], 0, 0
	v_cmp_gt_i32_e64 s[74:75], s33, v41
	v_or_b32_e32 v70, s80, v41
	v_pk_mov_b32 v[0:1], v[42:43], v[42:43] op_sel:[0,1]
	v_pk_mov_b32 v[2:3], v[42:43], v[42:43] op_sel:[0,1]
	v_mov_b32_e32 v4, v41
	s_and_saveexec_b64 s[4:5], s[74:75]
	s_cbranch_execz .LBB155_5
; %bb.4:
	v_mov_b32_e32 v71, 0
	v_lshlrev_b64 v[0:1], 3, v[70:71]
	v_mov_b32_e32 v2, s83
	v_add_co_u32_e32 v4, vcc, s82, v0
	v_addc_co_u32_e32 v5, vcc, v2, v1, vcc
	v_mov_b32_e32 v2, s79
	v_add_co_u32_e32 v6, vcc, s78, v0
	v_addc_co_u32_e32 v7, vcc, v2, v1, vcc
	global_load_dwordx2 v[0:1], v[6:7], off
	global_load_dwordx2 v[2:3], v[4:5], off
	v_or_b32_e32 v4, 0x100, v41
.LBB155_5:
	s_or_b64 exec, exec, s[4:5]
	v_cmp_gt_i32_e32 vcc, s33, v4
	v_pk_mov_b32 v[46:47], v[42:43], v[42:43] op_sel:[0,1]
	s_and_saveexec_b64 s[4:5], vcc
	s_cbranch_execz .LBB155_7
; %bb.6:
	v_add_u32_e32 v6, s80, v4
	v_mov_b32_e32 v7, 0
	v_lshlrev_b64 v[6:7], 3, v[6:7]
	v_mov_b32_e32 v5, s83
	v_add_co_u32_e32 v8, vcc, s82, v6
	v_addc_co_u32_e32 v9, vcc, v5, v7, vcc
	v_mov_b32_e32 v5, s79
	v_add_co_u32_e32 v6, vcc, s78, v6
	v_addc_co_u32_e32 v7, vcc, v5, v7, vcc
	global_load_dwordx2 v[42:43], v[6:7], off
	global_load_dwordx2 v[46:47], v[8:9], off
	v_add_u32_e32 v4, 0x100, v4
.LBB155_7:
	s_or_b64 exec, exec, s[4:5]
	v_pk_mov_b32 v[44:45], 0, 0
	v_cmp_gt_i32_e32 vcc, s33, v4
	v_pk_mov_b32 v[64:65], v[44:45], v[44:45] op_sel:[0,1]
	v_pk_mov_b32 v[66:67], v[44:45], v[44:45] op_sel:[0,1]
	s_and_saveexec_b64 s[4:5], vcc
	s_cbranch_execz .LBB155_9
; %bb.8:
	v_add_u32_e32 v6, s80, v4
	v_mov_b32_e32 v7, 0
	v_lshlrev_b64 v[6:7], 3, v[6:7]
	v_mov_b32_e32 v5, s83
	v_add_co_u32_e32 v8, vcc, s82, v6
	v_addc_co_u32_e32 v9, vcc, v5, v7, vcc
	v_mov_b32_e32 v5, s79
	v_add_co_u32_e32 v6, vcc, s78, v6
	v_addc_co_u32_e32 v7, vcc, v5, v7, vcc
	global_load_dwordx2 v[64:65], v[6:7], off
	global_load_dwordx2 v[66:67], v[8:9], off
	v_add_u32_e32 v4, 0x100, v4
.LBB155_9:
	s_or_b64 exec, exec, s[4:5]
	v_cmp_gt_i32_e32 vcc, s33, v4
	v_pk_mov_b32 v[68:69], v[44:45], v[44:45] op_sel:[0,1]
	s_and_saveexec_b64 s[4:5], vcc
	s_cbranch_execz .LBB155_11
; %bb.10:
	v_add_u32_e32 v4, s80, v4
	v_mov_b32_e32 v5, 0
	v_lshlrev_b64 v[4:5], 3, v[4:5]
	v_mov_b32_e32 v7, s83
	v_add_co_u32_e32 v6, vcc, s82, v4
	v_addc_co_u32_e32 v7, vcc, v7, v5, vcc
	v_mov_b32_e32 v8, s79
	v_add_co_u32_e32 v4, vcc, s78, v4
	v_addc_co_u32_e32 v5, vcc, v8, v5, vcc
	global_load_dwordx2 v[44:45], v[4:5], off
	global_load_dwordx2 v[68:69], v[6:7], off
.LBB155_11:
	s_or_b64 exec, exec, s[4:5]
                                        ; implicit-def: $vgpr56_vgpr57_vgpr58_vgpr59_vgpr60_vgpr61_vgpr62_vgpr63
	s_and_saveexec_b64 s[78:79], s[74:75]
	s_cbranch_execz .LBB155_13
; %bb.12:
	s_getpc_b64 s[4:5]
	s_add_u32 s4, s4, _ZZZZN2at6native33launch_standard_gamma_grad_kernelERNS_18TensorIteratorBaseEENKUlvE_clEvENKUlvE_clEvENKUlddE_clEdd@rel32@lo+4
	s_addc_u32 s5, s5, _ZZZZN2at6native33launch_standard_gamma_grad_kernelERNS_18TensorIteratorBaseEENKUlvE_clEvENKUlvE_clEvENKUlddE_clEdd@rel32@hi+12
	s_swappc_b64 s[30:31], s[4:5]
	v_mov_b32_e32 v56, v0
	v_mov_b32_e32 v57, v1
.LBB155_13:
	s_or_b64 exec, exec, s[78:79]
	v_or_b32_e32 v72, 0x100, v41
	v_cmp_gt_i32_e32 vcc, s33, v72
	s_and_saveexec_b64 s[78:79], vcc
	s_cbranch_execz .LBB155_15
; %bb.14:
	s_waitcnt vmcnt(1)
	v_mov_b32_e32 v0, v42
	v_mov_b32_e32 v1, v43
	s_waitcnt vmcnt(0)
	v_mov_b32_e32 v2, v46
	v_mov_b32_e32 v3, v47
	s_getpc_b64 s[4:5]
	s_add_u32 s4, s4, _ZZZZN2at6native33launch_standard_gamma_grad_kernelERNS_18TensorIteratorBaseEENKUlvE_clEvENKUlvE_clEvENKUlddE_clEdd@rel32@lo+4
	s_addc_u32 s5, s5, _ZZZZN2at6native33launch_standard_gamma_grad_kernelERNS_18TensorIteratorBaseEENKUlvE_clEvENKUlvE_clEvENKUlddE_clEdd@rel32@hi+12
	s_swappc_b64 s[30:31], s[4:5]
	v_mov_b32_e32 v58, v0
	v_mov_b32_e32 v59, v1
.LBB155_15:
	s_or_b64 exec, exec, s[78:79]
	s_waitcnt vmcnt(1)
	v_or_b32_e32 v0, 0x200, v41
	v_cmp_gt_i32_e32 vcc, s33, v0
	s_and_saveexec_b64 s[78:79], vcc
	s_cbranch_execz .LBB155_17
; %bb.16:
	v_mov_b32_e32 v0, v64
	v_mov_b32_e32 v1, v65
	s_waitcnt vmcnt(0)
	v_mov_b32_e32 v2, v66
	v_mov_b32_e32 v3, v67
	s_getpc_b64 s[4:5]
	s_add_u32 s4, s4, _ZZZZN2at6native33launch_standard_gamma_grad_kernelERNS_18TensorIteratorBaseEENKUlvE_clEvENKUlvE_clEvENKUlddE_clEdd@rel32@lo+4
	s_addc_u32 s5, s5, _ZZZZN2at6native33launch_standard_gamma_grad_kernelERNS_18TensorIteratorBaseEENKUlvE_clEvENKUlvE_clEvENKUlddE_clEdd@rel32@hi+12
	s_swappc_b64 s[30:31], s[4:5]
	v_mov_b32_e32 v60, v0
	v_mov_b32_e32 v61, v1
.LBB155_17:
	s_or_b64 exec, exec, s[78:79]
	v_or_b32_e32 v0, 0x300, v41
	v_cmp_gt_i32_e32 vcc, s33, v0
	s_and_saveexec_b64 s[78:79], vcc
	s_cbranch_execnz .LBB155_24
; %bb.18:
	s_or_b64 exec, exec, s[78:79]
	s_and_saveexec_b64 s[4:5], s[74:75]
	s_xor_b64 s[4:5], exec, s[4:5]
	s_cbranch_execnz .LBB155_25
.LBB155_19:
	s_or_b64 exec, exec, s[4:5]
	v_cmp_gt_i32_e32 vcc, s33, v41
	s_and_saveexec_b64 s[4:5], vcc
	s_cbranch_execnz .LBB155_26
.LBB155_20:
	s_or_b64 exec, exec, s[4:5]
	v_cmp_gt_i32_e32 vcc, s33, v41
	s_and_saveexec_b64 s[4:5], vcc
	s_cbranch_execnz .LBB155_27
.LBB155_21:
	s_or_b64 exec, exec, s[4:5]
	v_cmp_gt_i32_e32 vcc, s33, v41
	s_and_saveexec_b64 s[4:5], vcc
	s_cbranch_execz .LBB155_23
.LBB155_22:
	v_add_u32_e32 v0, s80, v41
	v_mov_b32_e32 v1, 0
	v_lshlrev_b64 v[0:1], 3, v[0:1]
	s_waitcnt vmcnt(0)
	v_mov_b32_e32 v2, s77
	v_add_co_u32_e32 v0, vcc, s76, v0
	v_addc_co_u32_e32 v1, vcc, v2, v1, vcc
	global_store_dwordx2 v[0:1], v[62:63], off
.LBB155_23:
	s_endpgm
.LBB155_24:
	v_mov_b32_e32 v0, v44
	v_mov_b32_e32 v1, v45
	s_waitcnt vmcnt(0)
	v_mov_b32_e32 v2, v68
	v_mov_b32_e32 v3, v69
	s_getpc_b64 s[4:5]
	s_add_u32 s4, s4, _ZZZZN2at6native33launch_standard_gamma_grad_kernelERNS_18TensorIteratorBaseEENKUlvE_clEvENKUlvE_clEvENKUlddE_clEdd@rel32@lo+4
	s_addc_u32 s5, s5, _ZZZZN2at6native33launch_standard_gamma_grad_kernelERNS_18TensorIteratorBaseEENKUlvE_clEvENKUlvE_clEvENKUlddE_clEdd@rel32@hi+12
	s_swappc_b64 s[30:31], s[4:5]
	v_mov_b32_e32 v62, v0
	v_mov_b32_e32 v63, v1
	s_or_b64 exec, exec, s[78:79]
	s_and_saveexec_b64 s[4:5], s[74:75]
	s_xor_b64 s[4:5], exec, s[4:5]
	s_cbranch_execz .LBB155_19
.LBB155_25:
	v_mov_b32_e32 v71, 0
	v_lshlrev_b64 v[0:1], 3, v[70:71]
	s_waitcnt vmcnt(0)
	v_mov_b32_e32 v2, s77
	v_add_co_u32_e32 v0, vcc, s76, v0
	v_addc_co_u32_e32 v1, vcc, v2, v1, vcc
	v_mov_b32_e32 v41, v72
	global_store_dwordx2 v[0:1], v[56:57], off
	s_or_b64 exec, exec, s[4:5]
	v_cmp_gt_i32_e32 vcc, s33, v41
	s_and_saveexec_b64 s[4:5], vcc
	s_cbranch_execz .LBB155_20
.LBB155_26:
	v_add_u32_e32 v0, s80, v41
	v_mov_b32_e32 v1, 0
	v_lshlrev_b64 v[0:1], 3, v[0:1]
	s_waitcnt vmcnt(0)
	v_mov_b32_e32 v2, s77
	v_add_co_u32_e32 v0, vcc, s76, v0
	v_addc_co_u32_e32 v1, vcc, v2, v1, vcc
	v_add_u32_e32 v41, 0x100, v41
	global_store_dwordx2 v[0:1], v[58:59], off
	s_or_b64 exec, exec, s[4:5]
	v_cmp_gt_i32_e32 vcc, s33, v41
	s_and_saveexec_b64 s[4:5], vcc
	s_cbranch_execz .LBB155_21
.LBB155_27:
	v_add_u32_e32 v0, s80, v41
	v_mov_b32_e32 v1, 0
	v_lshlrev_b64 v[0:1], 3, v[0:1]
	s_waitcnt vmcnt(0)
	v_mov_b32_e32 v2, s77
	v_add_co_u32_e32 v0, vcc, s76, v0
	v_addc_co_u32_e32 v1, vcc, v2, v1, vcc
	v_add_u32_e32 v41, 0x100, v41
	global_store_dwordx2 v[0:1], v[60:61], off
	s_or_b64 exec, exec, s[4:5]
	v_cmp_gt_i32_e32 vcc, s33, v41
	s_and_saveexec_b64 s[4:5], vcc
	s_cbranch_execnz .LBB155_22
	s_branch .LBB155_23
	.section	.rodata,"a",@progbits
	.p2align	6, 0x0
	.amdhsa_kernel _ZN2at6native29vectorized_elementwise_kernelILi8EZZZNS0_33launch_standard_gamma_grad_kernelERNS_18TensorIteratorBaseEENKUlvE_clEvENKUlvE_clEvEUlddE_St5arrayIPcLm3EEEEviT0_T1_
		.amdhsa_group_segment_fixed_size 0
		.amdhsa_private_segment_fixed_size 8
		.amdhsa_kernarg_size 32
		.amdhsa_user_sgpr_count 8
		.amdhsa_user_sgpr_private_segment_buffer 1
		.amdhsa_user_sgpr_dispatch_ptr 0
		.amdhsa_user_sgpr_queue_ptr 0
		.amdhsa_user_sgpr_kernarg_segment_ptr 1
		.amdhsa_user_sgpr_dispatch_id 0
		.amdhsa_user_sgpr_flat_scratch_init 1
		.amdhsa_user_sgpr_kernarg_preload_length 0
		.amdhsa_user_sgpr_kernarg_preload_offset 0
		.amdhsa_user_sgpr_private_segment_size 0
		.amdhsa_uses_dynamic_stack 0
		.amdhsa_system_sgpr_private_segment_wavefront_offset 1
		.amdhsa_system_sgpr_workgroup_id_x 1
		.amdhsa_system_sgpr_workgroup_id_y 0
		.amdhsa_system_sgpr_workgroup_id_z 0
		.amdhsa_system_sgpr_workgroup_info 0
		.amdhsa_system_vgpr_workitem_id 0
		.amdhsa_next_free_vgpr 73
		.amdhsa_next_free_sgpr 86
		.amdhsa_accum_offset 76
		.amdhsa_reserve_vcc 1
		.amdhsa_reserve_flat_scratch 1
		.amdhsa_float_round_mode_32 0
		.amdhsa_float_round_mode_16_64 0
		.amdhsa_float_denorm_mode_32 3
		.amdhsa_float_denorm_mode_16_64 3
		.amdhsa_dx10_clamp 1
		.amdhsa_ieee_mode 1
		.amdhsa_fp16_overflow 0
		.amdhsa_tg_split 0
		.amdhsa_exception_fp_ieee_invalid_op 0
		.amdhsa_exception_fp_denorm_src 0
		.amdhsa_exception_fp_ieee_div_zero 0
		.amdhsa_exception_fp_ieee_overflow 0
		.amdhsa_exception_fp_ieee_underflow 0
		.amdhsa_exception_fp_ieee_inexact 0
		.amdhsa_exception_int_div_zero 0
	.end_amdhsa_kernel
	.section	.text._ZN2at6native29vectorized_elementwise_kernelILi8EZZZNS0_33launch_standard_gamma_grad_kernelERNS_18TensorIteratorBaseEENKUlvE_clEvENKUlvE_clEvEUlddE_St5arrayIPcLm3EEEEviT0_T1_,"axG",@progbits,_ZN2at6native29vectorized_elementwise_kernelILi8EZZZNS0_33launch_standard_gamma_grad_kernelERNS_18TensorIteratorBaseEENKUlvE_clEvENKUlvE_clEvEUlddE_St5arrayIPcLm3EEEEviT0_T1_,comdat
.Lfunc_end155:
	.size	_ZN2at6native29vectorized_elementwise_kernelILi8EZZZNS0_33launch_standard_gamma_grad_kernelERNS_18TensorIteratorBaseEENKUlvE_clEvENKUlvE_clEvEUlddE_St5arrayIPcLm3EEEEviT0_T1_, .Lfunc_end155-_ZN2at6native29vectorized_elementwise_kernelILi8EZZZNS0_33launch_standard_gamma_grad_kernelERNS_18TensorIteratorBaseEENKUlvE_clEvENKUlvE_clEvEUlddE_St5arrayIPcLm3EEEEviT0_T1_
                                        ; -- End function
	.section	.AMDGPU.csdata,"",@progbits
; Kernel info:
; codeLenInByte = 1280
; NumSgprs: 92
; NumVgprs: 73
; NumAgprs: 0
; TotalNumVgprs: 73
; ScratchSize: 8
; MemoryBound: 0
; FloatMode: 240
; IeeeMode: 1
; LDSByteSize: 0 bytes/workgroup (compile time only)
; SGPRBlocks: 11
; VGPRBlocks: 9
; NumSGPRsForWavesPerEU: 92
; NumVGPRsForWavesPerEU: 73
; AccumOffset: 76
; Occupancy: 6
; WaveLimiterHint : 0
; COMPUTE_PGM_RSRC2:SCRATCH_EN: 1
; COMPUTE_PGM_RSRC2:USER_SGPR: 8
; COMPUTE_PGM_RSRC2:TRAP_HANDLER: 0
; COMPUTE_PGM_RSRC2:TGID_X_EN: 1
; COMPUTE_PGM_RSRC2:TGID_Y_EN: 0
; COMPUTE_PGM_RSRC2:TGID_Z_EN: 0
; COMPUTE_PGM_RSRC2:TIDIG_COMP_CNT: 0
; COMPUTE_PGM_RSRC3_GFX90A:ACCUM_OFFSET: 18
; COMPUTE_PGM_RSRC3_GFX90A:TG_SPLIT: 0
	.section	.text._ZN2at6native29vectorized_elementwise_kernelILi4EZZZNS0_33launch_standard_gamma_grad_kernelERNS_18TensorIteratorBaseEENKUlvE_clEvENKUlvE_clEvEUlddE_St5arrayIPcLm3EEEEviT0_T1_,"axG",@progbits,_ZN2at6native29vectorized_elementwise_kernelILi4EZZZNS0_33launch_standard_gamma_grad_kernelERNS_18TensorIteratorBaseEENKUlvE_clEvENKUlvE_clEvEUlddE_St5arrayIPcLm3EEEEviT0_T1_,comdat
	.globl	_ZN2at6native29vectorized_elementwise_kernelILi4EZZZNS0_33launch_standard_gamma_grad_kernelERNS_18TensorIteratorBaseEENKUlvE_clEvENKUlvE_clEvEUlddE_St5arrayIPcLm3EEEEviT0_T1_ ; -- Begin function _ZN2at6native29vectorized_elementwise_kernelILi4EZZZNS0_33launch_standard_gamma_grad_kernelERNS_18TensorIteratorBaseEENKUlvE_clEvENKUlvE_clEvEUlddE_St5arrayIPcLm3EEEEviT0_T1_
	.p2align	8
	.type	_ZN2at6native29vectorized_elementwise_kernelILi4EZZZNS0_33launch_standard_gamma_grad_kernelERNS_18TensorIteratorBaseEENKUlvE_clEvENKUlvE_clEvEUlddE_St5arrayIPcLm3EEEEviT0_T1_,@function
_ZN2at6native29vectorized_elementwise_kernelILi4EZZZNS0_33launch_standard_gamma_grad_kernelERNS_18TensorIteratorBaseEENKUlvE_clEvENKUlvE_clEvEUlddE_St5arrayIPcLm3EEEEviT0_T1_: ; @_ZN2at6native29vectorized_elementwise_kernelILi4EZZZNS0_33launch_standard_gamma_grad_kernelERNS_18TensorIteratorBaseEENKUlvE_clEvENKUlvE_clEvEUlddE_St5arrayIPcLm3EEEEviT0_T1_
; %bb.0:
	s_add_u32 flat_scratch_lo, s6, s9
	s_addc_u32 flat_scratch_hi, s7, 0
	s_load_dword s6, s[4:5], 0x0
	s_load_dwordx4 s[76:79], s[4:5], 0x8
	s_load_dwordx2 s[82:83], s[4:5], 0x18
	s_add_u32 s0, s0, s9
	s_addc_u32 s1, s1, 0
	s_lshl_b32 s80, s8, 10
	s_waitcnt lgkmcnt(0)
	s_sub_i32 s33, s6, s80
	v_mov_b32_e32 v41, v0
	s_cmpk_gt_i32 s33, 0x3ff
	s_mov_b64 s[4:5], -1
	s_mov_b32 s32, 0
	s_cbranch_scc0 .LBB156_2
; %bb.1:
	s_ashr_i32 s81, s80, 31
	s_lshl_b64 s[74:75], s[80:81], 3
	s_add_u32 s4, s78, s74
	s_addc_u32 s5, s79, s75
	v_lshlrev_b32_e32 v46, 5, v41
	global_load_dwordx4 v[42:45], v46, s[4:5]
	s_add_u32 s6, s82, s74
	s_addc_u32 s7, s83, s75
	global_load_dwordx4 v[56:59], v46, s[6:7]
	global_load_dwordx4 v[60:63], v46, s[4:5] offset:16
	global_load_dwordx4 v[64:67], v46, s[6:7] offset:16
	s_getpc_b64 s[84:85]
	s_add_u32 s84, s84, _ZZZZN2at6native33launch_standard_gamma_grad_kernelERNS_18TensorIteratorBaseEENKUlvE_clEvENKUlvE_clEvENKUlddE_clEdd@rel32@lo+4
	s_addc_u32 s85, s85, _ZZZZN2at6native33launch_standard_gamma_grad_kernelERNS_18TensorIteratorBaseEENKUlvE_clEvENKUlvE_clEvENKUlddE_clEdd@rel32@hi+12
	s_waitcnt vmcnt(3)
	v_mov_b32_e32 v0, v42
	v_mov_b32_e32 v1, v43
	s_waitcnt vmcnt(2)
	v_mov_b32_e32 v2, v56
	v_mov_b32_e32 v3, v57
	s_swappc_b64 s[30:31], s[84:85]
	v_mov_b32_e32 v42, v0
	v_mov_b32_e32 v43, v1
	v_mov_b32_e32 v0, v44
	v_mov_b32_e32 v1, v45
	v_mov_b32_e32 v2, v58
	v_mov_b32_e32 v3, v59
	s_swappc_b64 s[30:31], s[84:85]
	v_mov_b32_e32 v44, v0
	v_mov_b32_e32 v45, v1
	v_mov_b32_e32 v0, v60
	v_mov_b32_e32 v1, v61
	;; [unrolled: 7-line block ×3, first 2 shown]
	v_mov_b32_e32 v2, v66
	v_mov_b32_e32 v3, v67
	s_swappc_b64 s[30:31], s[84:85]
	s_add_u32 s4, s76, s74
	s_addc_u32 s5, s77, s75
	v_mov_b32_e32 v58, v0
	v_mov_b32_e32 v59, v1
	global_store_dwordx4 v46, v[42:45], s[4:5]
	global_store_dwordx4 v46, v[56:59], s[4:5] offset:16
	s_mov_b64 s[4:5], 0
.LBB156_2:
	s_andn2_b64 vcc, exec, s[4:5]
	s_cbranch_vccnz .LBB156_23
; %bb.3:
	v_pk_mov_b32 v[42:43], 0, 0
	v_cmp_gt_i32_e64 s[74:75], s33, v41
	v_or_b32_e32 v70, s80, v41
	v_pk_mov_b32 v[0:1], v[42:43], v[42:43] op_sel:[0,1]
	v_pk_mov_b32 v[2:3], v[42:43], v[42:43] op_sel:[0,1]
	v_mov_b32_e32 v4, v41
	s_and_saveexec_b64 s[4:5], s[74:75]
	s_cbranch_execz .LBB156_5
; %bb.4:
	v_mov_b32_e32 v71, 0
	v_lshlrev_b64 v[0:1], 3, v[70:71]
	v_mov_b32_e32 v2, s83
	v_add_co_u32_e32 v4, vcc, s82, v0
	v_addc_co_u32_e32 v5, vcc, v2, v1, vcc
	v_mov_b32_e32 v2, s79
	v_add_co_u32_e32 v6, vcc, s78, v0
	v_addc_co_u32_e32 v7, vcc, v2, v1, vcc
	global_load_dwordx2 v[0:1], v[6:7], off
	global_load_dwordx2 v[2:3], v[4:5], off
	v_or_b32_e32 v4, 0x100, v41
.LBB156_5:
	s_or_b64 exec, exec, s[4:5]
	v_cmp_gt_i32_e32 vcc, s33, v4
	v_pk_mov_b32 v[46:47], v[42:43], v[42:43] op_sel:[0,1]
	s_and_saveexec_b64 s[4:5], vcc
	s_cbranch_execz .LBB156_7
; %bb.6:
	v_add_u32_e32 v6, s80, v4
	v_mov_b32_e32 v7, 0
	v_lshlrev_b64 v[6:7], 3, v[6:7]
	v_mov_b32_e32 v5, s83
	v_add_co_u32_e32 v8, vcc, s82, v6
	v_addc_co_u32_e32 v9, vcc, v5, v7, vcc
	v_mov_b32_e32 v5, s79
	v_add_co_u32_e32 v6, vcc, s78, v6
	v_addc_co_u32_e32 v7, vcc, v5, v7, vcc
	global_load_dwordx2 v[42:43], v[6:7], off
	global_load_dwordx2 v[46:47], v[8:9], off
	v_add_u32_e32 v4, 0x100, v4
.LBB156_7:
	s_or_b64 exec, exec, s[4:5]
	v_pk_mov_b32 v[44:45], 0, 0
	v_cmp_gt_i32_e32 vcc, s33, v4
	v_pk_mov_b32 v[64:65], v[44:45], v[44:45] op_sel:[0,1]
	v_pk_mov_b32 v[66:67], v[44:45], v[44:45] op_sel:[0,1]
	s_and_saveexec_b64 s[4:5], vcc
	s_cbranch_execz .LBB156_9
; %bb.8:
	v_add_u32_e32 v6, s80, v4
	v_mov_b32_e32 v7, 0
	v_lshlrev_b64 v[6:7], 3, v[6:7]
	v_mov_b32_e32 v5, s83
	v_add_co_u32_e32 v8, vcc, s82, v6
	v_addc_co_u32_e32 v9, vcc, v5, v7, vcc
	v_mov_b32_e32 v5, s79
	v_add_co_u32_e32 v6, vcc, s78, v6
	v_addc_co_u32_e32 v7, vcc, v5, v7, vcc
	global_load_dwordx2 v[64:65], v[6:7], off
	global_load_dwordx2 v[66:67], v[8:9], off
	v_add_u32_e32 v4, 0x100, v4
.LBB156_9:
	s_or_b64 exec, exec, s[4:5]
	v_cmp_gt_i32_e32 vcc, s33, v4
	v_pk_mov_b32 v[68:69], v[44:45], v[44:45] op_sel:[0,1]
	s_and_saveexec_b64 s[4:5], vcc
	s_cbranch_execz .LBB156_11
; %bb.10:
	v_add_u32_e32 v4, s80, v4
	v_mov_b32_e32 v5, 0
	v_lshlrev_b64 v[4:5], 3, v[4:5]
	v_mov_b32_e32 v7, s83
	v_add_co_u32_e32 v6, vcc, s82, v4
	v_addc_co_u32_e32 v7, vcc, v7, v5, vcc
	v_mov_b32_e32 v8, s79
	v_add_co_u32_e32 v4, vcc, s78, v4
	v_addc_co_u32_e32 v5, vcc, v8, v5, vcc
	global_load_dwordx2 v[44:45], v[4:5], off
	global_load_dwordx2 v[68:69], v[6:7], off
.LBB156_11:
	s_or_b64 exec, exec, s[4:5]
                                        ; implicit-def: $vgpr56_vgpr57_vgpr58_vgpr59_vgpr60_vgpr61_vgpr62_vgpr63
	s_and_saveexec_b64 s[78:79], s[74:75]
	s_cbranch_execz .LBB156_13
; %bb.12:
	s_getpc_b64 s[4:5]
	s_add_u32 s4, s4, _ZZZZN2at6native33launch_standard_gamma_grad_kernelERNS_18TensorIteratorBaseEENKUlvE_clEvENKUlvE_clEvENKUlddE_clEdd@rel32@lo+4
	s_addc_u32 s5, s5, _ZZZZN2at6native33launch_standard_gamma_grad_kernelERNS_18TensorIteratorBaseEENKUlvE_clEvENKUlvE_clEvENKUlddE_clEdd@rel32@hi+12
	s_swappc_b64 s[30:31], s[4:5]
	v_mov_b32_e32 v56, v0
	v_mov_b32_e32 v57, v1
.LBB156_13:
	s_or_b64 exec, exec, s[78:79]
	v_or_b32_e32 v72, 0x100, v41
	v_cmp_gt_i32_e32 vcc, s33, v72
	s_and_saveexec_b64 s[78:79], vcc
	s_cbranch_execz .LBB156_15
; %bb.14:
	s_waitcnt vmcnt(1)
	v_mov_b32_e32 v0, v42
	v_mov_b32_e32 v1, v43
	s_waitcnt vmcnt(0)
	v_mov_b32_e32 v2, v46
	v_mov_b32_e32 v3, v47
	s_getpc_b64 s[4:5]
	s_add_u32 s4, s4, _ZZZZN2at6native33launch_standard_gamma_grad_kernelERNS_18TensorIteratorBaseEENKUlvE_clEvENKUlvE_clEvENKUlddE_clEdd@rel32@lo+4
	s_addc_u32 s5, s5, _ZZZZN2at6native33launch_standard_gamma_grad_kernelERNS_18TensorIteratorBaseEENKUlvE_clEvENKUlvE_clEvENKUlddE_clEdd@rel32@hi+12
	s_swappc_b64 s[30:31], s[4:5]
	v_mov_b32_e32 v58, v0
	v_mov_b32_e32 v59, v1
.LBB156_15:
	s_or_b64 exec, exec, s[78:79]
	s_waitcnt vmcnt(1)
	v_or_b32_e32 v0, 0x200, v41
	v_cmp_gt_i32_e32 vcc, s33, v0
	s_and_saveexec_b64 s[78:79], vcc
	s_cbranch_execz .LBB156_17
; %bb.16:
	v_mov_b32_e32 v0, v64
	v_mov_b32_e32 v1, v65
	s_waitcnt vmcnt(0)
	v_mov_b32_e32 v2, v66
	v_mov_b32_e32 v3, v67
	s_getpc_b64 s[4:5]
	s_add_u32 s4, s4, _ZZZZN2at6native33launch_standard_gamma_grad_kernelERNS_18TensorIteratorBaseEENKUlvE_clEvENKUlvE_clEvENKUlddE_clEdd@rel32@lo+4
	s_addc_u32 s5, s5, _ZZZZN2at6native33launch_standard_gamma_grad_kernelERNS_18TensorIteratorBaseEENKUlvE_clEvENKUlvE_clEvENKUlddE_clEdd@rel32@hi+12
	s_swappc_b64 s[30:31], s[4:5]
	v_mov_b32_e32 v60, v0
	v_mov_b32_e32 v61, v1
.LBB156_17:
	s_or_b64 exec, exec, s[78:79]
	v_or_b32_e32 v0, 0x300, v41
	v_cmp_gt_i32_e32 vcc, s33, v0
	s_and_saveexec_b64 s[78:79], vcc
	s_cbranch_execnz .LBB156_24
; %bb.18:
	s_or_b64 exec, exec, s[78:79]
	s_and_saveexec_b64 s[4:5], s[74:75]
	s_xor_b64 s[4:5], exec, s[4:5]
	s_cbranch_execnz .LBB156_25
.LBB156_19:
	s_or_b64 exec, exec, s[4:5]
	v_cmp_gt_i32_e32 vcc, s33, v41
	s_and_saveexec_b64 s[4:5], vcc
	s_cbranch_execnz .LBB156_26
.LBB156_20:
	s_or_b64 exec, exec, s[4:5]
	v_cmp_gt_i32_e32 vcc, s33, v41
	s_and_saveexec_b64 s[4:5], vcc
	s_cbranch_execnz .LBB156_27
.LBB156_21:
	s_or_b64 exec, exec, s[4:5]
	v_cmp_gt_i32_e32 vcc, s33, v41
	s_and_saveexec_b64 s[4:5], vcc
	s_cbranch_execz .LBB156_23
.LBB156_22:
	v_add_u32_e32 v0, s80, v41
	v_mov_b32_e32 v1, 0
	v_lshlrev_b64 v[0:1], 3, v[0:1]
	s_waitcnt vmcnt(0)
	v_mov_b32_e32 v2, s77
	v_add_co_u32_e32 v0, vcc, s76, v0
	v_addc_co_u32_e32 v1, vcc, v2, v1, vcc
	global_store_dwordx2 v[0:1], v[62:63], off
.LBB156_23:
	s_endpgm
.LBB156_24:
	v_mov_b32_e32 v0, v44
	v_mov_b32_e32 v1, v45
	s_waitcnt vmcnt(0)
	v_mov_b32_e32 v2, v68
	v_mov_b32_e32 v3, v69
	s_getpc_b64 s[4:5]
	s_add_u32 s4, s4, _ZZZZN2at6native33launch_standard_gamma_grad_kernelERNS_18TensorIteratorBaseEENKUlvE_clEvENKUlvE_clEvENKUlddE_clEdd@rel32@lo+4
	s_addc_u32 s5, s5, _ZZZZN2at6native33launch_standard_gamma_grad_kernelERNS_18TensorIteratorBaseEENKUlvE_clEvENKUlvE_clEvENKUlddE_clEdd@rel32@hi+12
	s_swappc_b64 s[30:31], s[4:5]
	v_mov_b32_e32 v62, v0
	v_mov_b32_e32 v63, v1
	s_or_b64 exec, exec, s[78:79]
	s_and_saveexec_b64 s[4:5], s[74:75]
	s_xor_b64 s[4:5], exec, s[4:5]
	s_cbranch_execz .LBB156_19
.LBB156_25:
	v_mov_b32_e32 v71, 0
	v_lshlrev_b64 v[0:1], 3, v[70:71]
	s_waitcnt vmcnt(0)
	v_mov_b32_e32 v2, s77
	v_add_co_u32_e32 v0, vcc, s76, v0
	v_addc_co_u32_e32 v1, vcc, v2, v1, vcc
	v_mov_b32_e32 v41, v72
	global_store_dwordx2 v[0:1], v[56:57], off
	s_or_b64 exec, exec, s[4:5]
	v_cmp_gt_i32_e32 vcc, s33, v41
	s_and_saveexec_b64 s[4:5], vcc
	s_cbranch_execz .LBB156_20
.LBB156_26:
	v_add_u32_e32 v0, s80, v41
	v_mov_b32_e32 v1, 0
	v_lshlrev_b64 v[0:1], 3, v[0:1]
	s_waitcnt vmcnt(0)
	v_mov_b32_e32 v2, s77
	v_add_co_u32_e32 v0, vcc, s76, v0
	v_addc_co_u32_e32 v1, vcc, v2, v1, vcc
	v_add_u32_e32 v41, 0x100, v41
	global_store_dwordx2 v[0:1], v[58:59], off
	s_or_b64 exec, exec, s[4:5]
	v_cmp_gt_i32_e32 vcc, s33, v41
	s_and_saveexec_b64 s[4:5], vcc
	s_cbranch_execz .LBB156_21
.LBB156_27:
	v_add_u32_e32 v0, s80, v41
	v_mov_b32_e32 v1, 0
	v_lshlrev_b64 v[0:1], 3, v[0:1]
	s_waitcnt vmcnt(0)
	v_mov_b32_e32 v2, s77
	v_add_co_u32_e32 v0, vcc, s76, v0
	v_addc_co_u32_e32 v1, vcc, v2, v1, vcc
	v_add_u32_e32 v41, 0x100, v41
	global_store_dwordx2 v[0:1], v[60:61], off
	s_or_b64 exec, exec, s[4:5]
	v_cmp_gt_i32_e32 vcc, s33, v41
	s_and_saveexec_b64 s[4:5], vcc
	s_cbranch_execnz .LBB156_22
	s_branch .LBB156_23
	.section	.rodata,"a",@progbits
	.p2align	6, 0x0
	.amdhsa_kernel _ZN2at6native29vectorized_elementwise_kernelILi4EZZZNS0_33launch_standard_gamma_grad_kernelERNS_18TensorIteratorBaseEENKUlvE_clEvENKUlvE_clEvEUlddE_St5arrayIPcLm3EEEEviT0_T1_
		.amdhsa_group_segment_fixed_size 0
		.amdhsa_private_segment_fixed_size 8
		.amdhsa_kernarg_size 32
		.amdhsa_user_sgpr_count 8
		.amdhsa_user_sgpr_private_segment_buffer 1
		.amdhsa_user_sgpr_dispatch_ptr 0
		.amdhsa_user_sgpr_queue_ptr 0
		.amdhsa_user_sgpr_kernarg_segment_ptr 1
		.amdhsa_user_sgpr_dispatch_id 0
		.amdhsa_user_sgpr_flat_scratch_init 1
		.amdhsa_user_sgpr_kernarg_preload_length 0
		.amdhsa_user_sgpr_kernarg_preload_offset 0
		.amdhsa_user_sgpr_private_segment_size 0
		.amdhsa_uses_dynamic_stack 0
		.amdhsa_system_sgpr_private_segment_wavefront_offset 1
		.amdhsa_system_sgpr_workgroup_id_x 1
		.amdhsa_system_sgpr_workgroup_id_y 0
		.amdhsa_system_sgpr_workgroup_id_z 0
		.amdhsa_system_sgpr_workgroup_info 0
		.amdhsa_system_vgpr_workitem_id 0
		.amdhsa_next_free_vgpr 73
		.amdhsa_next_free_sgpr 86
		.amdhsa_accum_offset 76
		.amdhsa_reserve_vcc 1
		.amdhsa_reserve_flat_scratch 1
		.amdhsa_float_round_mode_32 0
		.amdhsa_float_round_mode_16_64 0
		.amdhsa_float_denorm_mode_32 3
		.amdhsa_float_denorm_mode_16_64 3
		.amdhsa_dx10_clamp 1
		.amdhsa_ieee_mode 1
		.amdhsa_fp16_overflow 0
		.amdhsa_tg_split 0
		.amdhsa_exception_fp_ieee_invalid_op 0
		.amdhsa_exception_fp_denorm_src 0
		.amdhsa_exception_fp_ieee_div_zero 0
		.amdhsa_exception_fp_ieee_overflow 0
		.amdhsa_exception_fp_ieee_underflow 0
		.amdhsa_exception_fp_ieee_inexact 0
		.amdhsa_exception_int_div_zero 0
	.end_amdhsa_kernel
	.section	.text._ZN2at6native29vectorized_elementwise_kernelILi4EZZZNS0_33launch_standard_gamma_grad_kernelERNS_18TensorIteratorBaseEENKUlvE_clEvENKUlvE_clEvEUlddE_St5arrayIPcLm3EEEEviT0_T1_,"axG",@progbits,_ZN2at6native29vectorized_elementwise_kernelILi4EZZZNS0_33launch_standard_gamma_grad_kernelERNS_18TensorIteratorBaseEENKUlvE_clEvENKUlvE_clEvEUlddE_St5arrayIPcLm3EEEEviT0_T1_,comdat
.Lfunc_end156:
	.size	_ZN2at6native29vectorized_elementwise_kernelILi4EZZZNS0_33launch_standard_gamma_grad_kernelERNS_18TensorIteratorBaseEENKUlvE_clEvENKUlvE_clEvEUlddE_St5arrayIPcLm3EEEEviT0_T1_, .Lfunc_end156-_ZN2at6native29vectorized_elementwise_kernelILi4EZZZNS0_33launch_standard_gamma_grad_kernelERNS_18TensorIteratorBaseEENKUlvE_clEvENKUlvE_clEvEUlddE_St5arrayIPcLm3EEEEviT0_T1_
                                        ; -- End function
	.section	.AMDGPU.csdata,"",@progbits
; Kernel info:
; codeLenInByte = 1280
; NumSgprs: 92
; NumVgprs: 73
; NumAgprs: 0
; TotalNumVgprs: 73
; ScratchSize: 8
; MemoryBound: 0
; FloatMode: 240
; IeeeMode: 1
; LDSByteSize: 0 bytes/workgroup (compile time only)
; SGPRBlocks: 11
; VGPRBlocks: 9
; NumSGPRsForWavesPerEU: 92
; NumVGPRsForWavesPerEU: 73
; AccumOffset: 76
; Occupancy: 6
; WaveLimiterHint : 0
; COMPUTE_PGM_RSRC2:SCRATCH_EN: 1
; COMPUTE_PGM_RSRC2:USER_SGPR: 8
; COMPUTE_PGM_RSRC2:TRAP_HANDLER: 0
; COMPUTE_PGM_RSRC2:TGID_X_EN: 1
; COMPUTE_PGM_RSRC2:TGID_Y_EN: 0
; COMPUTE_PGM_RSRC2:TGID_Z_EN: 0
; COMPUTE_PGM_RSRC2:TIDIG_COMP_CNT: 0
; COMPUTE_PGM_RSRC3_GFX90A:ACCUM_OFFSET: 18
; COMPUTE_PGM_RSRC3_GFX90A:TG_SPLIT: 0
	.section	.text._ZN2at6native29vectorized_elementwise_kernelILi2EZZZNS0_33launch_standard_gamma_grad_kernelERNS_18TensorIteratorBaseEENKUlvE_clEvENKUlvE_clEvEUlddE_St5arrayIPcLm3EEEEviT0_T1_,"axG",@progbits,_ZN2at6native29vectorized_elementwise_kernelILi2EZZZNS0_33launch_standard_gamma_grad_kernelERNS_18TensorIteratorBaseEENKUlvE_clEvENKUlvE_clEvEUlddE_St5arrayIPcLm3EEEEviT0_T1_,comdat
	.globl	_ZN2at6native29vectorized_elementwise_kernelILi2EZZZNS0_33launch_standard_gamma_grad_kernelERNS_18TensorIteratorBaseEENKUlvE_clEvENKUlvE_clEvEUlddE_St5arrayIPcLm3EEEEviT0_T1_ ; -- Begin function _ZN2at6native29vectorized_elementwise_kernelILi2EZZZNS0_33launch_standard_gamma_grad_kernelERNS_18TensorIteratorBaseEENKUlvE_clEvENKUlvE_clEvEUlddE_St5arrayIPcLm3EEEEviT0_T1_
	.p2align	8
	.type	_ZN2at6native29vectorized_elementwise_kernelILi2EZZZNS0_33launch_standard_gamma_grad_kernelERNS_18TensorIteratorBaseEENKUlvE_clEvENKUlvE_clEvEUlddE_St5arrayIPcLm3EEEEviT0_T1_,@function
_ZN2at6native29vectorized_elementwise_kernelILi2EZZZNS0_33launch_standard_gamma_grad_kernelERNS_18TensorIteratorBaseEENKUlvE_clEvENKUlvE_clEvEUlddE_St5arrayIPcLm3EEEEviT0_T1_: ; @_ZN2at6native29vectorized_elementwise_kernelILi2EZZZNS0_33launch_standard_gamma_grad_kernelERNS_18TensorIteratorBaseEENKUlvE_clEvENKUlvE_clEvEUlddE_St5arrayIPcLm3EEEEviT0_T1_
; %bb.0:
	s_add_u32 flat_scratch_lo, s6, s9
	s_addc_u32 flat_scratch_hi, s7, 0
	s_load_dword s6, s[4:5], 0x0
	s_load_dwordx4 s[76:79], s[4:5], 0x8
	s_load_dwordx2 s[82:83], s[4:5], 0x18
	s_add_u32 s0, s0, s9
	s_addc_u32 s1, s1, 0
	s_lshl_b32 s80, s8, 10
	s_waitcnt lgkmcnt(0)
	s_sub_i32 s33, s6, s80
	v_mov_b32_e32 v41, v0
	s_cmpk_gt_i32 s33, 0x3ff
	s_mov_b64 s[4:5], -1
	s_mov_b32 s32, 0
	s_cbranch_scc0 .LBB157_2
; %bb.1:
	s_ashr_i32 s81, s80, 31
	s_lshl_b64 s[74:75], s[80:81], 3
	s_add_u32 s4, s78, s74
	s_addc_u32 s5, s79, s75
	v_lshlrev_b32_e32 v46, 4, v41
	v_mov_b32_e32 v0, s5
	v_add_co_u32_e32 v1, vcc, s4, v46
	v_addc_co_u32_e32 v2, vcc, 0, v0, vcc
	v_add_co_u32_e32 v0, vcc, 0x1000, v1
	s_add_u32 s6, s82, s74
	v_addc_co_u32_e32 v1, vcc, 0, v2, vcc
	s_addc_u32 s7, s83, s75
	global_load_dwordx4 v[42:45], v[0:1], off
	v_mov_b32_e32 v0, s7
	v_add_co_u32_e32 v1, vcc, s6, v46
	v_addc_co_u32_e32 v2, vcc, 0, v0, vcc
	global_load_dwordx4 v[56:59], v46, s[4:5]
	global_load_dwordx4 v[60:63], v46, s[6:7]
	v_add_co_u32_e32 v0, vcc, 0x1000, v1
	v_addc_co_u32_e32 v1, vcc, 0, v2, vcc
	global_load_dwordx4 v[64:67], v[0:1], off
	s_getpc_b64 s[84:85]
	s_add_u32 s84, s84, _ZZZZN2at6native33launch_standard_gamma_grad_kernelERNS_18TensorIteratorBaseEENKUlvE_clEvENKUlvE_clEvENKUlddE_clEdd@rel32@lo+4
	s_addc_u32 s85, s85, _ZZZZN2at6native33launch_standard_gamma_grad_kernelERNS_18TensorIteratorBaseEENKUlvE_clEvENKUlvE_clEvENKUlddE_clEdd@rel32@hi+12
	s_waitcnt vmcnt(2)
	v_mov_b32_e32 v0, v56
	v_mov_b32_e32 v1, v57
	s_waitcnt vmcnt(1)
	v_mov_b32_e32 v2, v60
	v_mov_b32_e32 v3, v61
	s_swappc_b64 s[30:31], s[84:85]
	v_mov_b32_e32 v56, v0
	v_mov_b32_e32 v57, v1
	v_mov_b32_e32 v0, v58
	v_mov_b32_e32 v1, v59
	v_mov_b32_e32 v2, v62
	v_mov_b32_e32 v3, v63
	s_swappc_b64 s[30:31], s[84:85]
	v_mov_b32_e32 v58, v0
	v_mov_b32_e32 v59, v1
	v_mov_b32_e32 v0, v42
	v_mov_b32_e32 v1, v43
	;; [unrolled: 7-line block ×3, first 2 shown]
	v_mov_b32_e32 v2, v66
	v_mov_b32_e32 v3, v67
	s_swappc_b64 s[30:31], s[84:85]
	s_add_u32 s4, s76, s74
	s_addc_u32 s5, s77, s75
	v_mov_b32_e32 v44, v0
	v_mov_b32_e32 v45, v1
	;; [unrolled: 1-line block ×3, first 2 shown]
	v_add_co_u32_e32 v1, vcc, s4, v46
	v_addc_co_u32_e32 v2, vcc, 0, v0, vcc
	v_add_co_u32_e32 v0, vcc, 0x1000, v1
	v_addc_co_u32_e32 v1, vcc, 0, v2, vcc
	global_store_dwordx4 v46, v[56:59], s[4:5]
	global_store_dwordx4 v[0:1], v[42:45], off
	s_mov_b64 s[4:5], 0
.LBB157_2:
	s_andn2_b64 vcc, exec, s[4:5]
	s_cbranch_vccnz .LBB157_23
; %bb.3:
	v_pk_mov_b32 v[42:43], 0, 0
	v_cmp_gt_i32_e64 s[74:75], s33, v41
	v_or_b32_e32 v70, s80, v41
	v_pk_mov_b32 v[0:1], v[42:43], v[42:43] op_sel:[0,1]
	v_pk_mov_b32 v[2:3], v[42:43], v[42:43] op_sel:[0,1]
	v_mov_b32_e32 v4, v41
	s_and_saveexec_b64 s[4:5], s[74:75]
	s_cbranch_execz .LBB157_5
; %bb.4:
	v_mov_b32_e32 v71, 0
	v_lshlrev_b64 v[0:1], 3, v[70:71]
	v_mov_b32_e32 v2, s83
	v_add_co_u32_e32 v4, vcc, s82, v0
	v_addc_co_u32_e32 v5, vcc, v2, v1, vcc
	v_mov_b32_e32 v2, s79
	v_add_co_u32_e32 v6, vcc, s78, v0
	v_addc_co_u32_e32 v7, vcc, v2, v1, vcc
	global_load_dwordx2 v[0:1], v[6:7], off
	global_load_dwordx2 v[2:3], v[4:5], off
	v_or_b32_e32 v4, 0x100, v41
.LBB157_5:
	s_or_b64 exec, exec, s[4:5]
	v_cmp_gt_i32_e32 vcc, s33, v4
	v_pk_mov_b32 v[46:47], v[42:43], v[42:43] op_sel:[0,1]
	s_and_saveexec_b64 s[4:5], vcc
	s_cbranch_execz .LBB157_7
; %bb.6:
	v_add_u32_e32 v6, s80, v4
	v_mov_b32_e32 v7, 0
	v_lshlrev_b64 v[6:7], 3, v[6:7]
	v_mov_b32_e32 v5, s83
	v_add_co_u32_e32 v8, vcc, s82, v6
	v_addc_co_u32_e32 v9, vcc, v5, v7, vcc
	v_mov_b32_e32 v5, s79
	v_add_co_u32_e32 v6, vcc, s78, v6
	v_addc_co_u32_e32 v7, vcc, v5, v7, vcc
	global_load_dwordx2 v[42:43], v[6:7], off
	global_load_dwordx2 v[46:47], v[8:9], off
	v_add_u32_e32 v4, 0x100, v4
.LBB157_7:
	s_or_b64 exec, exec, s[4:5]
	v_pk_mov_b32 v[44:45], 0, 0
	v_cmp_gt_i32_e32 vcc, s33, v4
	v_pk_mov_b32 v[64:65], v[44:45], v[44:45] op_sel:[0,1]
	v_pk_mov_b32 v[66:67], v[44:45], v[44:45] op_sel:[0,1]
	s_and_saveexec_b64 s[4:5], vcc
	s_cbranch_execz .LBB157_9
; %bb.8:
	v_add_u32_e32 v6, s80, v4
	v_mov_b32_e32 v7, 0
	v_lshlrev_b64 v[6:7], 3, v[6:7]
	v_mov_b32_e32 v5, s83
	v_add_co_u32_e32 v8, vcc, s82, v6
	v_addc_co_u32_e32 v9, vcc, v5, v7, vcc
	v_mov_b32_e32 v5, s79
	v_add_co_u32_e32 v6, vcc, s78, v6
	v_addc_co_u32_e32 v7, vcc, v5, v7, vcc
	global_load_dwordx2 v[64:65], v[6:7], off
	global_load_dwordx2 v[66:67], v[8:9], off
	v_add_u32_e32 v4, 0x100, v4
.LBB157_9:
	s_or_b64 exec, exec, s[4:5]
	v_cmp_gt_i32_e32 vcc, s33, v4
	v_pk_mov_b32 v[68:69], v[44:45], v[44:45] op_sel:[0,1]
	s_and_saveexec_b64 s[4:5], vcc
	s_cbranch_execz .LBB157_11
; %bb.10:
	v_add_u32_e32 v4, s80, v4
	v_mov_b32_e32 v5, 0
	v_lshlrev_b64 v[4:5], 3, v[4:5]
	v_mov_b32_e32 v7, s83
	v_add_co_u32_e32 v6, vcc, s82, v4
	v_addc_co_u32_e32 v7, vcc, v7, v5, vcc
	v_mov_b32_e32 v8, s79
	v_add_co_u32_e32 v4, vcc, s78, v4
	v_addc_co_u32_e32 v5, vcc, v8, v5, vcc
	global_load_dwordx2 v[44:45], v[4:5], off
	global_load_dwordx2 v[68:69], v[6:7], off
.LBB157_11:
	s_or_b64 exec, exec, s[4:5]
                                        ; implicit-def: $vgpr56_vgpr57_vgpr58_vgpr59_vgpr60_vgpr61_vgpr62_vgpr63
	s_and_saveexec_b64 s[78:79], s[74:75]
	s_cbranch_execz .LBB157_13
; %bb.12:
	s_getpc_b64 s[4:5]
	s_add_u32 s4, s4, _ZZZZN2at6native33launch_standard_gamma_grad_kernelERNS_18TensorIteratorBaseEENKUlvE_clEvENKUlvE_clEvENKUlddE_clEdd@rel32@lo+4
	s_addc_u32 s5, s5, _ZZZZN2at6native33launch_standard_gamma_grad_kernelERNS_18TensorIteratorBaseEENKUlvE_clEvENKUlvE_clEvENKUlddE_clEdd@rel32@hi+12
	s_swappc_b64 s[30:31], s[4:5]
	v_mov_b32_e32 v56, v0
	v_mov_b32_e32 v57, v1
.LBB157_13:
	s_or_b64 exec, exec, s[78:79]
	v_or_b32_e32 v72, 0x100, v41
	v_cmp_gt_i32_e32 vcc, s33, v72
	s_and_saveexec_b64 s[78:79], vcc
	s_cbranch_execz .LBB157_15
; %bb.14:
	s_waitcnt vmcnt(1)
	v_mov_b32_e32 v0, v42
	v_mov_b32_e32 v1, v43
	s_waitcnt vmcnt(0)
	v_mov_b32_e32 v2, v46
	v_mov_b32_e32 v3, v47
	s_getpc_b64 s[4:5]
	s_add_u32 s4, s4, _ZZZZN2at6native33launch_standard_gamma_grad_kernelERNS_18TensorIteratorBaseEENKUlvE_clEvENKUlvE_clEvENKUlddE_clEdd@rel32@lo+4
	s_addc_u32 s5, s5, _ZZZZN2at6native33launch_standard_gamma_grad_kernelERNS_18TensorIteratorBaseEENKUlvE_clEvENKUlvE_clEvENKUlddE_clEdd@rel32@hi+12
	s_swappc_b64 s[30:31], s[4:5]
	v_mov_b32_e32 v58, v0
	v_mov_b32_e32 v59, v1
.LBB157_15:
	s_or_b64 exec, exec, s[78:79]
	s_waitcnt vmcnt(1)
	v_or_b32_e32 v0, 0x200, v41
	v_cmp_gt_i32_e32 vcc, s33, v0
	s_and_saveexec_b64 s[78:79], vcc
	s_cbranch_execz .LBB157_17
; %bb.16:
	v_mov_b32_e32 v0, v64
	v_mov_b32_e32 v1, v65
	s_waitcnt vmcnt(0)
	v_mov_b32_e32 v2, v66
	v_mov_b32_e32 v3, v67
	s_getpc_b64 s[4:5]
	s_add_u32 s4, s4, _ZZZZN2at6native33launch_standard_gamma_grad_kernelERNS_18TensorIteratorBaseEENKUlvE_clEvENKUlvE_clEvENKUlddE_clEdd@rel32@lo+4
	s_addc_u32 s5, s5, _ZZZZN2at6native33launch_standard_gamma_grad_kernelERNS_18TensorIteratorBaseEENKUlvE_clEvENKUlvE_clEvENKUlddE_clEdd@rel32@hi+12
	s_swappc_b64 s[30:31], s[4:5]
	v_mov_b32_e32 v60, v0
	v_mov_b32_e32 v61, v1
.LBB157_17:
	s_or_b64 exec, exec, s[78:79]
	v_or_b32_e32 v0, 0x300, v41
	v_cmp_gt_i32_e32 vcc, s33, v0
	s_and_saveexec_b64 s[78:79], vcc
	s_cbranch_execnz .LBB157_24
; %bb.18:
	s_or_b64 exec, exec, s[78:79]
	s_and_saveexec_b64 s[4:5], s[74:75]
	s_xor_b64 s[4:5], exec, s[4:5]
	s_cbranch_execnz .LBB157_25
.LBB157_19:
	s_or_b64 exec, exec, s[4:5]
	v_cmp_gt_i32_e32 vcc, s33, v41
	s_and_saveexec_b64 s[4:5], vcc
	s_cbranch_execnz .LBB157_26
.LBB157_20:
	s_or_b64 exec, exec, s[4:5]
	v_cmp_gt_i32_e32 vcc, s33, v41
	s_and_saveexec_b64 s[4:5], vcc
	s_cbranch_execnz .LBB157_27
.LBB157_21:
	s_or_b64 exec, exec, s[4:5]
	v_cmp_gt_i32_e32 vcc, s33, v41
	s_and_saveexec_b64 s[4:5], vcc
	s_cbranch_execz .LBB157_23
.LBB157_22:
	v_add_u32_e32 v0, s80, v41
	v_mov_b32_e32 v1, 0
	v_lshlrev_b64 v[0:1], 3, v[0:1]
	s_waitcnt vmcnt(0)
	v_mov_b32_e32 v2, s77
	v_add_co_u32_e32 v0, vcc, s76, v0
	v_addc_co_u32_e32 v1, vcc, v2, v1, vcc
	global_store_dwordx2 v[0:1], v[62:63], off
.LBB157_23:
	s_endpgm
.LBB157_24:
	v_mov_b32_e32 v0, v44
	v_mov_b32_e32 v1, v45
	s_waitcnt vmcnt(0)
	v_mov_b32_e32 v2, v68
	v_mov_b32_e32 v3, v69
	s_getpc_b64 s[4:5]
	s_add_u32 s4, s4, _ZZZZN2at6native33launch_standard_gamma_grad_kernelERNS_18TensorIteratorBaseEENKUlvE_clEvENKUlvE_clEvENKUlddE_clEdd@rel32@lo+4
	s_addc_u32 s5, s5, _ZZZZN2at6native33launch_standard_gamma_grad_kernelERNS_18TensorIteratorBaseEENKUlvE_clEvENKUlvE_clEvENKUlddE_clEdd@rel32@hi+12
	s_swappc_b64 s[30:31], s[4:5]
	v_mov_b32_e32 v62, v0
	v_mov_b32_e32 v63, v1
	s_or_b64 exec, exec, s[78:79]
	s_and_saveexec_b64 s[4:5], s[74:75]
	s_xor_b64 s[4:5], exec, s[4:5]
	s_cbranch_execz .LBB157_19
.LBB157_25:
	v_mov_b32_e32 v71, 0
	v_lshlrev_b64 v[0:1], 3, v[70:71]
	s_waitcnt vmcnt(0)
	v_mov_b32_e32 v2, s77
	v_add_co_u32_e32 v0, vcc, s76, v0
	v_addc_co_u32_e32 v1, vcc, v2, v1, vcc
	v_mov_b32_e32 v41, v72
	global_store_dwordx2 v[0:1], v[56:57], off
	s_or_b64 exec, exec, s[4:5]
	v_cmp_gt_i32_e32 vcc, s33, v41
	s_and_saveexec_b64 s[4:5], vcc
	s_cbranch_execz .LBB157_20
.LBB157_26:
	v_add_u32_e32 v0, s80, v41
	v_mov_b32_e32 v1, 0
	v_lshlrev_b64 v[0:1], 3, v[0:1]
	s_waitcnt vmcnt(0)
	v_mov_b32_e32 v2, s77
	v_add_co_u32_e32 v0, vcc, s76, v0
	v_addc_co_u32_e32 v1, vcc, v2, v1, vcc
	v_add_u32_e32 v41, 0x100, v41
	global_store_dwordx2 v[0:1], v[58:59], off
	s_or_b64 exec, exec, s[4:5]
	v_cmp_gt_i32_e32 vcc, s33, v41
	s_and_saveexec_b64 s[4:5], vcc
	s_cbranch_execz .LBB157_21
.LBB157_27:
	v_add_u32_e32 v0, s80, v41
	v_mov_b32_e32 v1, 0
	v_lshlrev_b64 v[0:1], 3, v[0:1]
	s_waitcnt vmcnt(0)
	v_mov_b32_e32 v2, s77
	v_add_co_u32_e32 v0, vcc, s76, v0
	v_addc_co_u32_e32 v1, vcc, v2, v1, vcc
	v_add_u32_e32 v41, 0x100, v41
	global_store_dwordx2 v[0:1], v[60:61], off
	s_or_b64 exec, exec, s[4:5]
	v_cmp_gt_i32_e32 vcc, s33, v41
	s_and_saveexec_b64 s[4:5], vcc
	s_cbranch_execnz .LBB157_22
	s_branch .LBB157_23
	.section	.rodata,"a",@progbits
	.p2align	6, 0x0
	.amdhsa_kernel _ZN2at6native29vectorized_elementwise_kernelILi2EZZZNS0_33launch_standard_gamma_grad_kernelERNS_18TensorIteratorBaseEENKUlvE_clEvENKUlvE_clEvEUlddE_St5arrayIPcLm3EEEEviT0_T1_
		.amdhsa_group_segment_fixed_size 0
		.amdhsa_private_segment_fixed_size 8
		.amdhsa_kernarg_size 32
		.amdhsa_user_sgpr_count 8
		.amdhsa_user_sgpr_private_segment_buffer 1
		.amdhsa_user_sgpr_dispatch_ptr 0
		.amdhsa_user_sgpr_queue_ptr 0
		.amdhsa_user_sgpr_kernarg_segment_ptr 1
		.amdhsa_user_sgpr_dispatch_id 0
		.amdhsa_user_sgpr_flat_scratch_init 1
		.amdhsa_user_sgpr_kernarg_preload_length 0
		.amdhsa_user_sgpr_kernarg_preload_offset 0
		.amdhsa_user_sgpr_private_segment_size 0
		.amdhsa_uses_dynamic_stack 0
		.amdhsa_system_sgpr_private_segment_wavefront_offset 1
		.amdhsa_system_sgpr_workgroup_id_x 1
		.amdhsa_system_sgpr_workgroup_id_y 0
		.amdhsa_system_sgpr_workgroup_id_z 0
		.amdhsa_system_sgpr_workgroup_info 0
		.amdhsa_system_vgpr_workitem_id 0
		.amdhsa_next_free_vgpr 73
		.amdhsa_next_free_sgpr 86
		.amdhsa_accum_offset 76
		.amdhsa_reserve_vcc 1
		.amdhsa_reserve_flat_scratch 1
		.amdhsa_float_round_mode_32 0
		.amdhsa_float_round_mode_16_64 0
		.amdhsa_float_denorm_mode_32 3
		.amdhsa_float_denorm_mode_16_64 3
		.amdhsa_dx10_clamp 1
		.amdhsa_ieee_mode 1
		.amdhsa_fp16_overflow 0
		.amdhsa_tg_split 0
		.amdhsa_exception_fp_ieee_invalid_op 0
		.amdhsa_exception_fp_denorm_src 0
		.amdhsa_exception_fp_ieee_div_zero 0
		.amdhsa_exception_fp_ieee_overflow 0
		.amdhsa_exception_fp_ieee_underflow 0
		.amdhsa_exception_fp_ieee_inexact 0
		.amdhsa_exception_int_div_zero 0
	.end_amdhsa_kernel
	.section	.text._ZN2at6native29vectorized_elementwise_kernelILi2EZZZNS0_33launch_standard_gamma_grad_kernelERNS_18TensorIteratorBaseEENKUlvE_clEvENKUlvE_clEvEUlddE_St5arrayIPcLm3EEEEviT0_T1_,"axG",@progbits,_ZN2at6native29vectorized_elementwise_kernelILi2EZZZNS0_33launch_standard_gamma_grad_kernelERNS_18TensorIteratorBaseEENKUlvE_clEvENKUlvE_clEvEUlddE_St5arrayIPcLm3EEEEviT0_T1_,comdat
.Lfunc_end157:
	.size	_ZN2at6native29vectorized_elementwise_kernelILi2EZZZNS0_33launch_standard_gamma_grad_kernelERNS_18TensorIteratorBaseEENKUlvE_clEvENKUlvE_clEvEUlddE_St5arrayIPcLm3EEEEviT0_T1_, .Lfunc_end157-_ZN2at6native29vectorized_elementwise_kernelILi2EZZZNS0_33launch_standard_gamma_grad_kernelERNS_18TensorIteratorBaseEENKUlvE_clEvENKUlvE_clEvEUlddE_St5arrayIPcLm3EEEEviT0_T1_
                                        ; -- End function
	.section	.AMDGPU.csdata,"",@progbits
; Kernel info:
; codeLenInByte = 1352
; NumSgprs: 92
; NumVgprs: 73
; NumAgprs: 0
; TotalNumVgprs: 73
; ScratchSize: 8
; MemoryBound: 0
; FloatMode: 240
; IeeeMode: 1
; LDSByteSize: 0 bytes/workgroup (compile time only)
; SGPRBlocks: 11
; VGPRBlocks: 9
; NumSGPRsForWavesPerEU: 92
; NumVGPRsForWavesPerEU: 73
; AccumOffset: 76
; Occupancy: 6
; WaveLimiterHint : 1
; COMPUTE_PGM_RSRC2:SCRATCH_EN: 1
; COMPUTE_PGM_RSRC2:USER_SGPR: 8
; COMPUTE_PGM_RSRC2:TRAP_HANDLER: 0
; COMPUTE_PGM_RSRC2:TGID_X_EN: 1
; COMPUTE_PGM_RSRC2:TGID_Y_EN: 0
; COMPUTE_PGM_RSRC2:TGID_Z_EN: 0
; COMPUTE_PGM_RSRC2:TIDIG_COMP_CNT: 0
; COMPUTE_PGM_RSRC3_GFX90A:ACCUM_OFFSET: 18
; COMPUTE_PGM_RSRC3_GFX90A:TG_SPLIT: 0
	.section	.text._ZN2at6native27unrolled_elementwise_kernelIZZZNS0_33launch_standard_gamma_grad_kernelERNS_18TensorIteratorBaseEENKUlvE_clEvENKUlvE_clEvEUlddE_St5arrayIPcLm3EELi4E23TrivialOffsetCalculatorILi2EjESA_ILi1EjENS0_6memory15LoadWithoutCastENSD_16StoreWithoutCastEEEviT_T0_T2_T3_T4_T5_,"axG",@progbits,_ZN2at6native27unrolled_elementwise_kernelIZZZNS0_33launch_standard_gamma_grad_kernelERNS_18TensorIteratorBaseEENKUlvE_clEvENKUlvE_clEvEUlddE_St5arrayIPcLm3EELi4E23TrivialOffsetCalculatorILi2EjESA_ILi1EjENS0_6memory15LoadWithoutCastENSD_16StoreWithoutCastEEEviT_T0_T2_T3_T4_T5_,comdat
	.globl	_ZN2at6native27unrolled_elementwise_kernelIZZZNS0_33launch_standard_gamma_grad_kernelERNS_18TensorIteratorBaseEENKUlvE_clEvENKUlvE_clEvEUlddE_St5arrayIPcLm3EELi4E23TrivialOffsetCalculatorILi2EjESA_ILi1EjENS0_6memory15LoadWithoutCastENSD_16StoreWithoutCastEEEviT_T0_T2_T3_T4_T5_ ; -- Begin function _ZN2at6native27unrolled_elementwise_kernelIZZZNS0_33launch_standard_gamma_grad_kernelERNS_18TensorIteratorBaseEENKUlvE_clEvENKUlvE_clEvEUlddE_St5arrayIPcLm3EELi4E23TrivialOffsetCalculatorILi2EjESA_ILi1EjENS0_6memory15LoadWithoutCastENSD_16StoreWithoutCastEEEviT_T0_T2_T3_T4_T5_
	.p2align	8
	.type	_ZN2at6native27unrolled_elementwise_kernelIZZZNS0_33launch_standard_gamma_grad_kernelERNS_18TensorIteratorBaseEENKUlvE_clEvENKUlvE_clEvEUlddE_St5arrayIPcLm3EELi4E23TrivialOffsetCalculatorILi2EjESA_ILi1EjENS0_6memory15LoadWithoutCastENSD_16StoreWithoutCastEEEviT_T0_T2_T3_T4_T5_,@function
_ZN2at6native27unrolled_elementwise_kernelIZZZNS0_33launch_standard_gamma_grad_kernelERNS_18TensorIteratorBaseEENKUlvE_clEvENKUlvE_clEvEUlddE_St5arrayIPcLm3EELi4E23TrivialOffsetCalculatorILi2EjESA_ILi1EjENS0_6memory15LoadWithoutCastENSD_16StoreWithoutCastEEEviT_T0_T2_T3_T4_T5_: ; @_ZN2at6native27unrolled_elementwise_kernelIZZZNS0_33launch_standard_gamma_grad_kernelERNS_18TensorIteratorBaseEENKUlvE_clEvENKUlvE_clEvEUlddE_St5arrayIPcLm3EELi4E23TrivialOffsetCalculatorILi2EjESA_ILi1EjENS0_6memory15LoadWithoutCastENSD_16StoreWithoutCastEEEviT_T0_T2_T3_T4_T5_
; %bb.0:
	s_add_u32 flat_scratch_lo, s6, s9
	s_addc_u32 flat_scratch_hi, s7, 0
	s_add_u32 s0, s0, s9
	s_load_dword s9, s[4:5], 0x0
	s_load_dwordx4 s[76:79], s[4:5], 0x8
	s_load_dwordx2 s[6:7], s[4:5], 0x18
	s_addc_u32 s1, s1, 0
	s_lshl_b32 s33, s8, 10
	v_mov_b32_e32 v41, v0
	s_waitcnt lgkmcnt(0)
	s_sub_i32 s80, s9, s33
	v_pk_mov_b32 v[42:43], 0, 0
	v_cmp_gt_i32_e64 s[74:75], s80, v41
	v_or_b32_e32 v70, s33, v41
	v_pk_mov_b32 v[0:1], v[42:43], v[42:43] op_sel:[0,1]
	v_pk_mov_b32 v[2:3], v[42:43], v[42:43] op_sel:[0,1]
	v_mov_b32_e32 v4, v41
	s_mov_b32 s32, 0
	s_and_saveexec_b64 s[4:5], s[74:75]
	s_cbranch_execz .LBB158_2
; %bb.1:
	v_mov_b32_e32 v71, 0
	v_lshlrev_b64 v[0:1], 3, v[70:71]
	v_mov_b32_e32 v2, s79
	v_add_co_u32_e32 v4, vcc, s78, v0
	v_addc_co_u32_e32 v5, vcc, v2, v1, vcc
	v_mov_b32_e32 v2, s7
	v_add_co_u32_e32 v6, vcc, s6, v0
	v_addc_co_u32_e32 v7, vcc, v2, v1, vcc
	global_load_dwordx2 v[0:1], v[4:5], off
	global_load_dwordx2 v[2:3], v[6:7], off
	v_or_b32_e32 v4, 0x100, v41
.LBB158_2:
	s_or_b64 exec, exec, s[4:5]
	v_cmp_gt_i32_e32 vcc, s80, v4
	v_pk_mov_b32 v[46:47], v[42:43], v[42:43] op_sel:[0,1]
	s_and_saveexec_b64 s[4:5], vcc
	s_cbranch_execz .LBB158_4
; %bb.3:
	v_add_u32_e32 v6, s33, v4
	v_mov_b32_e32 v7, 0
	v_lshlrev_b64 v[6:7], 3, v[6:7]
	v_mov_b32_e32 v5, s79
	v_add_co_u32_e32 v8, vcc, s78, v6
	v_addc_co_u32_e32 v9, vcc, v5, v7, vcc
	v_mov_b32_e32 v5, s7
	v_add_co_u32_e32 v6, vcc, s6, v6
	v_addc_co_u32_e32 v7, vcc, v5, v7, vcc
	global_load_dwordx2 v[42:43], v[8:9], off
	global_load_dwordx2 v[46:47], v[6:7], off
	v_add_u32_e32 v4, 0x100, v4
.LBB158_4:
	s_or_b64 exec, exec, s[4:5]
	v_pk_mov_b32 v[44:45], 0, 0
	v_cmp_gt_i32_e32 vcc, s80, v4
	v_pk_mov_b32 v[64:65], v[44:45], v[44:45] op_sel:[0,1]
	v_pk_mov_b32 v[66:67], v[44:45], v[44:45] op_sel:[0,1]
	s_and_saveexec_b64 s[4:5], vcc
	s_cbranch_execz .LBB158_6
; %bb.5:
	v_add_u32_e32 v6, s33, v4
	v_mov_b32_e32 v7, 0
	v_lshlrev_b64 v[6:7], 3, v[6:7]
	v_mov_b32_e32 v5, s79
	v_add_co_u32_e32 v8, vcc, s78, v6
	v_addc_co_u32_e32 v9, vcc, v5, v7, vcc
	v_mov_b32_e32 v5, s7
	v_add_co_u32_e32 v6, vcc, s6, v6
	v_addc_co_u32_e32 v7, vcc, v5, v7, vcc
	global_load_dwordx2 v[64:65], v[8:9], off
	global_load_dwordx2 v[66:67], v[6:7], off
	v_add_u32_e32 v4, 0x100, v4
.LBB158_6:
	s_or_b64 exec, exec, s[4:5]
	v_cmp_gt_i32_e32 vcc, s80, v4
	v_pk_mov_b32 v[68:69], v[44:45], v[44:45] op_sel:[0,1]
	s_and_saveexec_b64 s[4:5], vcc
	s_cbranch_execz .LBB158_8
; %bb.7:
	v_add_u32_e32 v4, s33, v4
	v_mov_b32_e32 v5, 0
	v_lshlrev_b64 v[4:5], 3, v[4:5]
	v_mov_b32_e32 v7, s79
	v_add_co_u32_e32 v6, vcc, s78, v4
	v_addc_co_u32_e32 v7, vcc, v7, v5, vcc
	v_mov_b32_e32 v8, s7
	v_add_co_u32_e32 v4, vcc, s6, v4
	v_addc_co_u32_e32 v5, vcc, v8, v5, vcc
	global_load_dwordx2 v[44:45], v[6:7], off
	global_load_dwordx2 v[68:69], v[4:5], off
.LBB158_8:
	s_or_b64 exec, exec, s[4:5]
                                        ; implicit-def: $vgpr56_vgpr57_vgpr58_vgpr59_vgpr60_vgpr61_vgpr62_vgpr63
	s_and_saveexec_b64 s[78:79], s[74:75]
	s_cbranch_execz .LBB158_10
; %bb.9:
	s_getpc_b64 s[4:5]
	s_add_u32 s4, s4, _ZZZZN2at6native33launch_standard_gamma_grad_kernelERNS_18TensorIteratorBaseEENKUlvE_clEvENKUlvE_clEvENKUlddE_clEdd@rel32@lo+4
	s_addc_u32 s5, s5, _ZZZZN2at6native33launch_standard_gamma_grad_kernelERNS_18TensorIteratorBaseEENKUlvE_clEvENKUlvE_clEvENKUlddE_clEdd@rel32@hi+12
	s_swappc_b64 s[30:31], s[4:5]
	v_mov_b32_e32 v56, v0
	v_mov_b32_e32 v57, v1
.LBB158_10:
	s_or_b64 exec, exec, s[78:79]
	v_or_b32_e32 v72, 0x100, v41
	v_cmp_gt_i32_e32 vcc, s80, v72
	s_and_saveexec_b64 s[78:79], vcc
	s_cbranch_execz .LBB158_12
; %bb.11:
	s_waitcnt vmcnt(1)
	v_mov_b32_e32 v0, v42
	v_mov_b32_e32 v1, v43
	s_waitcnt vmcnt(0)
	v_mov_b32_e32 v2, v46
	v_mov_b32_e32 v3, v47
	s_getpc_b64 s[4:5]
	s_add_u32 s4, s4, _ZZZZN2at6native33launch_standard_gamma_grad_kernelERNS_18TensorIteratorBaseEENKUlvE_clEvENKUlvE_clEvENKUlddE_clEdd@rel32@lo+4
	s_addc_u32 s5, s5, _ZZZZN2at6native33launch_standard_gamma_grad_kernelERNS_18TensorIteratorBaseEENKUlvE_clEvENKUlvE_clEvENKUlddE_clEdd@rel32@hi+12
	s_swappc_b64 s[30:31], s[4:5]
	v_mov_b32_e32 v58, v0
	v_mov_b32_e32 v59, v1
.LBB158_12:
	s_or_b64 exec, exec, s[78:79]
	s_waitcnt vmcnt(1)
	v_or_b32_e32 v0, 0x200, v41
	v_cmp_gt_i32_e32 vcc, s80, v0
	s_and_saveexec_b64 s[78:79], vcc
	s_cbranch_execz .LBB158_14
; %bb.13:
	v_mov_b32_e32 v0, v64
	v_mov_b32_e32 v1, v65
	s_waitcnt vmcnt(0)
	v_mov_b32_e32 v2, v66
	v_mov_b32_e32 v3, v67
	s_getpc_b64 s[4:5]
	s_add_u32 s4, s4, _ZZZZN2at6native33launch_standard_gamma_grad_kernelERNS_18TensorIteratorBaseEENKUlvE_clEvENKUlvE_clEvENKUlddE_clEdd@rel32@lo+4
	s_addc_u32 s5, s5, _ZZZZN2at6native33launch_standard_gamma_grad_kernelERNS_18TensorIteratorBaseEENKUlvE_clEvENKUlvE_clEvENKUlddE_clEdd@rel32@hi+12
	s_swappc_b64 s[30:31], s[4:5]
	v_mov_b32_e32 v60, v0
	v_mov_b32_e32 v61, v1
.LBB158_14:
	s_or_b64 exec, exec, s[78:79]
	v_or_b32_e32 v0, 0x300, v41
	v_cmp_gt_i32_e32 vcc, s80, v0
	s_and_saveexec_b64 s[78:79], vcc
	s_cbranch_execnz .LBB158_20
; %bb.15:
	s_or_b64 exec, exec, s[78:79]
	s_and_saveexec_b64 s[4:5], s[74:75]
	s_xor_b64 s[4:5], exec, s[4:5]
	s_cbranch_execnz .LBB158_21
.LBB158_16:
	s_or_b64 exec, exec, s[4:5]
	v_cmp_gt_i32_e32 vcc, s80, v41
	s_and_saveexec_b64 s[4:5], vcc
	s_cbranch_execnz .LBB158_22
.LBB158_17:
	s_or_b64 exec, exec, s[4:5]
	v_cmp_gt_i32_e32 vcc, s80, v41
	s_and_saveexec_b64 s[4:5], vcc
	s_cbranch_execnz .LBB158_23
.LBB158_18:
	s_or_b64 exec, exec, s[4:5]
	v_cmp_gt_i32_e32 vcc, s80, v41
	s_and_saveexec_b64 s[4:5], vcc
	s_cbranch_execnz .LBB158_24
.LBB158_19:
	s_endpgm
.LBB158_20:
	v_mov_b32_e32 v0, v44
	v_mov_b32_e32 v1, v45
	s_waitcnt vmcnt(0)
	v_mov_b32_e32 v2, v68
	v_mov_b32_e32 v3, v69
	s_getpc_b64 s[4:5]
	s_add_u32 s4, s4, _ZZZZN2at6native33launch_standard_gamma_grad_kernelERNS_18TensorIteratorBaseEENKUlvE_clEvENKUlvE_clEvENKUlddE_clEdd@rel32@lo+4
	s_addc_u32 s5, s5, _ZZZZN2at6native33launch_standard_gamma_grad_kernelERNS_18TensorIteratorBaseEENKUlvE_clEvENKUlvE_clEvENKUlddE_clEdd@rel32@hi+12
	s_swappc_b64 s[30:31], s[4:5]
	v_mov_b32_e32 v62, v0
	v_mov_b32_e32 v63, v1
	s_or_b64 exec, exec, s[78:79]
	s_and_saveexec_b64 s[4:5], s[74:75]
	s_xor_b64 s[4:5], exec, s[4:5]
	s_cbranch_execz .LBB158_16
.LBB158_21:
	v_mov_b32_e32 v71, 0
	v_lshlrev_b64 v[0:1], 3, v[70:71]
	s_waitcnt vmcnt(0)
	v_mov_b32_e32 v2, s77
	v_add_co_u32_e32 v0, vcc, s76, v0
	v_addc_co_u32_e32 v1, vcc, v2, v1, vcc
	v_mov_b32_e32 v41, v72
	global_store_dwordx2 v[0:1], v[56:57], off
	s_or_b64 exec, exec, s[4:5]
	v_cmp_gt_i32_e32 vcc, s80, v41
	s_and_saveexec_b64 s[4:5], vcc
	s_cbranch_execz .LBB158_17
.LBB158_22:
	v_add_u32_e32 v0, s33, v41
	v_mov_b32_e32 v1, 0
	v_lshlrev_b64 v[0:1], 3, v[0:1]
	s_waitcnt vmcnt(0)
	v_add_u32_e32 v2, 0x100, v41
	v_mov_b32_e32 v3, s77
	v_add_co_u32_e32 v0, vcc, s76, v0
	v_addc_co_u32_e32 v1, vcc, v3, v1, vcc
	v_mov_b32_e32 v41, v2
	global_store_dwordx2 v[0:1], v[58:59], off
	s_or_b64 exec, exec, s[4:5]
	v_cmp_gt_i32_e32 vcc, s80, v41
	s_and_saveexec_b64 s[4:5], vcc
	s_cbranch_execz .LBB158_18
.LBB158_23:
	v_add_u32_e32 v0, s33, v41
	v_mov_b32_e32 v1, 0
	v_lshlrev_b64 v[0:1], 3, v[0:1]
	s_waitcnt vmcnt(0)
	v_add_u32_e32 v2, 0x100, v41
	v_mov_b32_e32 v3, s77
	v_add_co_u32_e32 v0, vcc, s76, v0
	v_addc_co_u32_e32 v1, vcc, v3, v1, vcc
	v_mov_b32_e32 v41, v2
	global_store_dwordx2 v[0:1], v[60:61], off
	s_or_b64 exec, exec, s[4:5]
	v_cmp_gt_i32_e32 vcc, s80, v41
	s_and_saveexec_b64 s[4:5], vcc
	s_cbranch_execz .LBB158_19
.LBB158_24:
	v_add_u32_e32 v0, s33, v41
	v_mov_b32_e32 v1, 0
	v_lshlrev_b64 v[0:1], 3, v[0:1]
	s_waitcnt vmcnt(0)
	v_mov_b32_e32 v2, s77
	v_add_co_u32_e32 v0, vcc, s76, v0
	v_addc_co_u32_e32 v1, vcc, v2, v1, vcc
	global_store_dwordx2 v[0:1], v[62:63], off
	s_endpgm
	.section	.rodata,"a",@progbits
	.p2align	6, 0x0
	.amdhsa_kernel _ZN2at6native27unrolled_elementwise_kernelIZZZNS0_33launch_standard_gamma_grad_kernelERNS_18TensorIteratorBaseEENKUlvE_clEvENKUlvE_clEvEUlddE_St5arrayIPcLm3EELi4E23TrivialOffsetCalculatorILi2EjESA_ILi1EjENS0_6memory15LoadWithoutCastENSD_16StoreWithoutCastEEEviT_T0_T2_T3_T4_T5_
		.amdhsa_group_segment_fixed_size 0
		.amdhsa_private_segment_fixed_size 8
		.amdhsa_kernarg_size 36
		.amdhsa_user_sgpr_count 8
		.amdhsa_user_sgpr_private_segment_buffer 1
		.amdhsa_user_sgpr_dispatch_ptr 0
		.amdhsa_user_sgpr_queue_ptr 0
		.amdhsa_user_sgpr_kernarg_segment_ptr 1
		.amdhsa_user_sgpr_dispatch_id 0
		.amdhsa_user_sgpr_flat_scratch_init 1
		.amdhsa_user_sgpr_kernarg_preload_length 0
		.amdhsa_user_sgpr_kernarg_preload_offset 0
		.amdhsa_user_sgpr_private_segment_size 0
		.amdhsa_uses_dynamic_stack 0
		.amdhsa_system_sgpr_private_segment_wavefront_offset 1
		.amdhsa_system_sgpr_workgroup_id_x 1
		.amdhsa_system_sgpr_workgroup_id_y 0
		.amdhsa_system_sgpr_workgroup_id_z 0
		.amdhsa_system_sgpr_workgroup_info 0
		.amdhsa_system_vgpr_workitem_id 0
		.amdhsa_next_free_vgpr 73
		.amdhsa_next_free_sgpr 81
		.amdhsa_accum_offset 76
		.amdhsa_reserve_vcc 1
		.amdhsa_reserve_flat_scratch 1
		.amdhsa_float_round_mode_32 0
		.amdhsa_float_round_mode_16_64 0
		.amdhsa_float_denorm_mode_32 3
		.amdhsa_float_denorm_mode_16_64 3
		.amdhsa_dx10_clamp 1
		.amdhsa_ieee_mode 1
		.amdhsa_fp16_overflow 0
		.amdhsa_tg_split 0
		.amdhsa_exception_fp_ieee_invalid_op 0
		.amdhsa_exception_fp_denorm_src 0
		.amdhsa_exception_fp_ieee_div_zero 0
		.amdhsa_exception_fp_ieee_overflow 0
		.amdhsa_exception_fp_ieee_underflow 0
		.amdhsa_exception_fp_ieee_inexact 0
		.amdhsa_exception_int_div_zero 0
	.end_amdhsa_kernel
	.section	.text._ZN2at6native27unrolled_elementwise_kernelIZZZNS0_33launch_standard_gamma_grad_kernelERNS_18TensorIteratorBaseEENKUlvE_clEvENKUlvE_clEvEUlddE_St5arrayIPcLm3EELi4E23TrivialOffsetCalculatorILi2EjESA_ILi1EjENS0_6memory15LoadWithoutCastENSD_16StoreWithoutCastEEEviT_T0_T2_T3_T4_T5_,"axG",@progbits,_ZN2at6native27unrolled_elementwise_kernelIZZZNS0_33launch_standard_gamma_grad_kernelERNS_18TensorIteratorBaseEENKUlvE_clEvENKUlvE_clEvEUlddE_St5arrayIPcLm3EELi4E23TrivialOffsetCalculatorILi2EjESA_ILi1EjENS0_6memory15LoadWithoutCastENSD_16StoreWithoutCastEEEviT_T0_T2_T3_T4_T5_,comdat
.Lfunc_end158:
	.size	_ZN2at6native27unrolled_elementwise_kernelIZZZNS0_33launch_standard_gamma_grad_kernelERNS_18TensorIteratorBaseEENKUlvE_clEvENKUlvE_clEvEUlddE_St5arrayIPcLm3EELi4E23TrivialOffsetCalculatorILi2EjESA_ILi1EjENS0_6memory15LoadWithoutCastENSD_16StoreWithoutCastEEEviT_T0_T2_T3_T4_T5_, .Lfunc_end158-_ZN2at6native27unrolled_elementwise_kernelIZZZNS0_33launch_standard_gamma_grad_kernelERNS_18TensorIteratorBaseEENKUlvE_clEvENKUlvE_clEvEUlddE_St5arrayIPcLm3EELi4E23TrivialOffsetCalculatorILi2EjESA_ILi1EjENS0_6memory15LoadWithoutCastENSD_16StoreWithoutCastEEEviT_T0_T2_T3_T4_T5_
                                        ; -- End function
	.section	.AMDGPU.csdata,"",@progbits
; Kernel info:
; codeLenInByte = 1040
; NumSgprs: 87
; NumVgprs: 73
; NumAgprs: 0
; TotalNumVgprs: 73
; ScratchSize: 8
; MemoryBound: 0
; FloatMode: 240
; IeeeMode: 1
; LDSByteSize: 0 bytes/workgroup (compile time only)
; SGPRBlocks: 10
; VGPRBlocks: 9
; NumSGPRsForWavesPerEU: 87
; NumVGPRsForWavesPerEU: 73
; AccumOffset: 76
; Occupancy: 6
; WaveLimiterHint : 0
; COMPUTE_PGM_RSRC2:SCRATCH_EN: 1
; COMPUTE_PGM_RSRC2:USER_SGPR: 8
; COMPUTE_PGM_RSRC2:TRAP_HANDLER: 0
; COMPUTE_PGM_RSRC2:TGID_X_EN: 1
; COMPUTE_PGM_RSRC2:TGID_Y_EN: 0
; COMPUTE_PGM_RSRC2:TGID_Z_EN: 0
; COMPUTE_PGM_RSRC2:TIDIG_COMP_CNT: 0
; COMPUTE_PGM_RSRC3_GFX90A:ACCUM_OFFSET: 18
; COMPUTE_PGM_RSRC3_GFX90A:TG_SPLIT: 0
	.section	.text._ZN2at6native32elementwise_kernel_manual_unrollILi128ELi4EZNS0_22gpu_kernel_impl_nocastIZZZNS0_33launch_standard_gamma_grad_kernelERNS_18TensorIteratorBaseEENKUlvE_clEvENKUlvE_clEvEUlddE_EEvS4_RKT_EUlibE_EEviT1_,"axG",@progbits,_ZN2at6native32elementwise_kernel_manual_unrollILi128ELi4EZNS0_22gpu_kernel_impl_nocastIZZZNS0_33launch_standard_gamma_grad_kernelERNS_18TensorIteratorBaseEENKUlvE_clEvENKUlvE_clEvEUlddE_EEvS4_RKT_EUlibE_EEviT1_,comdat
	.globl	_ZN2at6native32elementwise_kernel_manual_unrollILi128ELi4EZNS0_22gpu_kernel_impl_nocastIZZZNS0_33launch_standard_gamma_grad_kernelERNS_18TensorIteratorBaseEENKUlvE_clEvENKUlvE_clEvEUlddE_EEvS4_RKT_EUlibE_EEviT1_ ; -- Begin function _ZN2at6native32elementwise_kernel_manual_unrollILi128ELi4EZNS0_22gpu_kernel_impl_nocastIZZZNS0_33launch_standard_gamma_grad_kernelERNS_18TensorIteratorBaseEENKUlvE_clEvENKUlvE_clEvEUlddE_EEvS4_RKT_EUlibE_EEviT1_
	.p2align	8
	.type	_ZN2at6native32elementwise_kernel_manual_unrollILi128ELi4EZNS0_22gpu_kernel_impl_nocastIZZZNS0_33launch_standard_gamma_grad_kernelERNS_18TensorIteratorBaseEENKUlvE_clEvENKUlvE_clEvEUlddE_EEvS4_RKT_EUlibE_EEviT1_,@function
_ZN2at6native32elementwise_kernel_manual_unrollILi128ELi4EZNS0_22gpu_kernel_impl_nocastIZZZNS0_33launch_standard_gamma_grad_kernelERNS_18TensorIteratorBaseEENKUlvE_clEvENKUlvE_clEvEUlddE_EEvS4_RKT_EUlibE_EEviT1_: ; @_ZN2at6native32elementwise_kernel_manual_unrollILi128ELi4EZNS0_22gpu_kernel_impl_nocastIZZZNS0_33launch_standard_gamma_grad_kernelERNS_18TensorIteratorBaseEENKUlvE_clEvENKUlvE_clEvEUlddE_EEvS4_RKT_EUlibE_EEviT1_
; %bb.0:
	s_load_dword s98, s[4:5], 0x0
	s_load_dword s92, s[4:5], 0x8
	s_add_u32 flat_scratch_lo, s6, s9
	s_addc_u32 flat_scratch_hi, s7, 0
	s_add_u32 s0, s0, s9
	s_mov_b64 s[74:75], s[4:5]
	s_addc_u32 s1, s1, 0
	s_or_b32 s74, s74, 8
	v_lshl_or_b32 v41, s8, 9, v0
	s_waitcnt lgkmcnt(0)
	s_add_i32 s33, s92, -1
	v_or_b32_e32 v0, 0x180, v41
	s_cmp_gt_u32 s33, 1
	v_cmp_le_i32_e32 vcc, s98, v0
	s_cselect_b64 s[88:89], -1, 0
	s_mov_b32 s32, 0
	s_and_saveexec_b64 s[4:5], vcc
	s_xor_b64 s[90:91], exec, s[4:5]
	s_cbranch_execz .LBB159_50
; %bb.1:
	s_load_dwordx4 s[84:87], s[74:75], 0x4
	s_load_dwordx4 s[80:83], s[74:75], 0xc4
	;; [unrolled: 1-line block ×3, first 2 shown]
	s_cmp_lg_u32 s92, 0
	s_cselect_b64 s[94:95], -1, 0
	s_min_u32 s93, s33, 15
	s_cmp_gt_u32 s92, 1
	s_cselect_b64 s[4:5], -1, 0
                                        ; implicit-def: $vgpr72 : SGPR spill to VGPR lane
	v_cmp_gt_i32_e32 vcc, s98, v41
	v_writelane_b32 v72, s4, 0
	v_writelane_b32 v72, s5, 1
	s_and_saveexec_b64 s[96:97], vcc
	s_cbranch_execnz .LBB159_5
; %bb.2:
	s_or_b64 exec, exec, s[96:97]
	v_cmp_gt_i32_e32 vcc, s98, v41
	s_and_saveexec_b64 s[96:97], vcc
	s_cbranch_execnz .LBB159_16
.LBB159_3:
	s_or_b64 exec, exec, s[96:97]
	v_cmp_gt_i32_e32 vcc, s98, v41
	s_and_saveexec_b64 s[96:97], vcc
	s_cbranch_execnz .LBB159_27
.LBB159_4:
	s_or_b64 exec, exec, s[96:97]
	v_cmp_gt_i32_e32 vcc, s98, v41
	s_and_saveexec_b64 s[96:97], vcc
	s_cbranch_execnz .LBB159_38
	s_branch .LBB159_49
.LBB159_5:
	s_andn2_b64 vcc, exec, s[88:89]
	s_cbranch_vccnz .LBB159_12
; %bb.6:
	s_andn2_b64 vcc, exec, s[94:95]
	v_mov_b32_e32 v4, 0
	v_mov_b32_e32 v6, 0
	;; [unrolled: 1-line block ×3, first 2 shown]
	s_cbranch_vccnz .LBB159_11
; %bb.7:
	s_add_i32 s4, s93, 1
	s_and_b32 s6, s4, 30
	s_add_u32 s4, s74, 0xffffffec
	s_addc_u32 s5, s75, -1
	v_mov_b32_e32 v42, 0
	v_mov_b32_e32 v0, v41
	;; [unrolled: 1-line block ×4, first 2 shown]
.LBB159_8:                              ; =>This Inner Loop Header: Depth=1
	s_mov_b64 s[16:17], s[4:5]
	s_load_dwordx4 s[8:11], s[16:17], 0x18
	s_load_dwordx2 s[18:19], s[16:17], 0x28
	s_load_dwordx2 s[20:21], s[16:17], 0xe8
	s_load_dwordx4 s[12:15], s[16:17], 0xd8
	s_add_u32 s4, s16, 24
	s_waitcnt lgkmcnt(0)
	v_mul_hi_u32 v1, s9, v0
	v_add_u32_e32 v1, v0, v1
	v_lshrrev_b32_e32 v1, s10, v1
	v_mul_lo_u32 v2, v1, s8
	v_mul_hi_u32 v3, s18, v1
	v_sub_u32_e32 v0, v0, v2
	v_add_u32_e32 v2, v1, v3
	v_mul_lo_u32 v3, v0, s12
	v_mul_lo_u32 v5, v0, s13
	;; [unrolled: 1-line block ×3, first 2 shown]
	v_lshrrev_b32_e32 v0, s19, v2
	v_mul_lo_u32 v2, v0, s11
	v_sub_u32_e32 v1, v1, v2
	s_addc_u32 s5, s17, 0
	s_add_i32 s6, s6, -2
	v_mul_lo_u32 v2, v1, s15
	v_mul_lo_u32 v8, v1, s20
	;; [unrolled: 1-line block ×3, first 2 shown]
	s_cmp_lg_u32 s6, 0
	v_add3_u32 v42, v3, v42, v2
	v_add3_u32 v4, v7, v4, v1
	;; [unrolled: 1-line block ×3, first 2 shown]
	s_cbranch_scc1 .LBB159_8
; %bb.9:
	s_bitcmp1_b32 s93, 0
	s_cselect_b64 s[6:7], -1, 0
	s_and_b64 vcc, exec, s[6:7]
	s_cbranch_vccnz .LBB159_11
; %bb.10:
	s_load_dwordx2 s[6:7], s[4:5], 0x18
	s_load_dword s10, s[4:5], 0x20
	s_load_dword s11, s[4:5], 0xe0
	s_load_dwordx2 s[8:9], s[4:5], 0xd8
	s_waitcnt lgkmcnt(0)
	v_mul_hi_u32 v1, s7, v0
	v_add_u32_e32 v1, v0, v1
	v_lshrrev_b32_e32 v1, s10, v1
	v_mul_lo_u32 v1, v1, s6
	v_sub_u32_e32 v0, v0, v1
	v_mad_u64_u32 v[42:43], s[4:5], v0, s8, v[42:43]
	v_mad_u64_u32 v[6:7], s[4:5], v0, s9, v[6:7]
	;; [unrolled: 1-line block ×3, first 2 shown]
.LBB159_11:
	s_cbranch_execz .LBB159_13
	s_branch .LBB159_15
.LBB159_12:
                                        ; implicit-def: $vgpr4
                                        ; implicit-def: $vgpr6
                                        ; implicit-def: $vgpr42
.LBB159_13:
	s_waitcnt lgkmcnt(0)
	v_mul_hi_u32 v0, s85, v41
	v_add_u32_e32 v0, v41, v0
	v_lshrrev_b32_e32 v0, s86, v0
	v_mul_lo_u32 v1, v0, s84
	v_readlane_b32 s4, v72, 0
	v_sub_u32_e32 v1, v41, v1
	v_readlane_b32 s5, v72, 1
	v_mul_lo_u32 v42, v1, s80
	v_mul_lo_u32 v4, v1, s82
	s_andn2_b64 vcc, exec, s[4:5]
	v_mul_lo_u32 v6, v1, s81
	s_cbranch_vccnz .LBB159_15
; %bb.14:
	s_load_dwordx2 s[4:5], s[74:75], 0x14
	s_load_dwordx2 s[6:7], s[74:75], 0xd4
	s_waitcnt lgkmcnt(0)
	v_mul_hi_u32 v1, s4, v0
	v_add_u32_e32 v1, v0, v1
	v_lshrrev_b32_e32 v1, s5, v1
	v_mul_lo_u32 v1, v1, s87
	v_sub_u32_e32 v0, v0, v1
	v_mad_u64_u32 v[42:43], s[4:5], v0, s83, v[42:43]
	v_mad_u64_u32 v[6:7], s[4:5], v0, s6, v[6:7]
	;; [unrolled: 1-line block ×3, first 2 shown]
.LBB159_15:
	s_load_dwordx2 s[4:5], s[74:75], 0x198
	s_waitcnt lgkmcnt(0)
	global_load_dwordx2 v[0:1], v6, s[78:79]
                                        ; kill: killed $vgpr6
                                        ; kill: killed $vgpr4
	s_nop 1
	global_load_dwordx2 v[2:3], v4, s[4:5]
	s_getpc_b64 s[4:5]
	s_add_u32 s4, s4, _ZZZZN2at6native33launch_standard_gamma_grad_kernelERNS_18TensorIteratorBaseEENKUlvE_clEvENKUlvE_clEvENKUlddE_clEdd@rel32@lo+4
	s_addc_u32 s5, s5, _ZZZZN2at6native33launch_standard_gamma_grad_kernelERNS_18TensorIteratorBaseEENKUlvE_clEvENKUlvE_clEvENKUlddE_clEdd@rel32@hi+12
	s_swappc_b64 s[30:31], s[4:5]
	v_add_u32_e32 v41, 0x80, v41
	global_store_dwordx2 v42, v[0:1], s[76:77]
	s_or_b64 exec, exec, s[96:97]
	v_cmp_gt_i32_e32 vcc, s98, v41
	s_and_saveexec_b64 s[96:97], vcc
	s_cbranch_execz .LBB159_3
.LBB159_16:
	s_andn2_b64 vcc, exec, s[88:89]
	s_cbranch_vccnz .LBB159_23
; %bb.17:
	s_andn2_b64 vcc, exec, s[94:95]
	v_mov_b32_e32 v4, 0
	v_mov_b32_e32 v6, 0
	;; [unrolled: 1-line block ×3, first 2 shown]
	s_cbranch_vccnz .LBB159_22
; %bb.18:
	s_add_i32 s4, s93, 1
	s_and_b32 s6, s4, 30
	s_add_u32 s4, s74, 0xffffffec
	s_addc_u32 s5, s75, -1
	v_mov_b32_e32 v42, 0
	v_mov_b32_e32 v0, v41
	;; [unrolled: 1-line block ×4, first 2 shown]
.LBB159_19:                             ; =>This Inner Loop Header: Depth=1
	s_mov_b64 s[16:17], s[4:5]
	s_load_dwordx4 s[8:11], s[16:17], 0x18
	s_load_dwordx2 s[18:19], s[16:17], 0x28
	s_load_dwordx2 s[20:21], s[16:17], 0xe8
	s_load_dwordx4 s[12:15], s[16:17], 0xd8
	s_add_u32 s4, s16, 24
	s_waitcnt lgkmcnt(0)
	v_mul_hi_u32 v1, s9, v0
	v_add_u32_e32 v1, v0, v1
	v_lshrrev_b32_e32 v1, s10, v1
	v_mul_lo_u32 v2, v1, s8
	v_mul_hi_u32 v3, s18, v1
	v_sub_u32_e32 v0, v0, v2
	v_add_u32_e32 v2, v1, v3
	v_mul_lo_u32 v3, v0, s12
	v_mul_lo_u32 v5, v0, s13
	;; [unrolled: 1-line block ×3, first 2 shown]
	v_lshrrev_b32_e32 v0, s19, v2
	v_mul_lo_u32 v2, v0, s11
	v_sub_u32_e32 v1, v1, v2
	s_addc_u32 s5, s17, 0
	s_add_i32 s6, s6, -2
	v_mul_lo_u32 v2, v1, s15
	v_mul_lo_u32 v8, v1, s20
	;; [unrolled: 1-line block ×3, first 2 shown]
	s_cmp_eq_u32 s6, 0
	v_add3_u32 v42, v3, v42, v2
	v_add3_u32 v4, v7, v4, v1
	v_add3_u32 v6, v5, v6, v8
	s_cbranch_scc0 .LBB159_19
; %bb.20:
	s_bitcmp1_b32 s93, 0
	s_cselect_b64 s[6:7], -1, 0
	s_and_b64 vcc, exec, s[6:7]
	s_cbranch_vccnz .LBB159_22
; %bb.21:
	s_load_dwordx2 s[6:7], s[4:5], 0x18
	s_load_dword s10, s[4:5], 0x20
	s_load_dword s11, s[4:5], 0xe0
	s_load_dwordx2 s[8:9], s[4:5], 0xd8
	s_waitcnt lgkmcnt(0)
	v_mul_hi_u32 v1, s7, v0
	v_add_u32_e32 v1, v0, v1
	v_lshrrev_b32_e32 v1, s10, v1
	v_mul_lo_u32 v1, v1, s6
	v_sub_u32_e32 v0, v0, v1
	v_mad_u64_u32 v[42:43], s[4:5], v0, s8, v[42:43]
	v_mad_u64_u32 v[6:7], s[4:5], v0, s9, v[6:7]
	;; [unrolled: 1-line block ×3, first 2 shown]
.LBB159_22:
	s_cbranch_execz .LBB159_24
	s_branch .LBB159_26
.LBB159_23:
                                        ; implicit-def: $vgpr4
                                        ; implicit-def: $vgpr6
                                        ; implicit-def: $vgpr42
.LBB159_24:
	s_waitcnt lgkmcnt(0)
	v_mul_hi_u32 v0, s85, v41
	v_add_u32_e32 v0, v41, v0
	v_lshrrev_b32_e32 v0, s86, v0
	v_mul_lo_u32 v1, v0, s84
	v_readlane_b32 s4, v72, 0
	v_sub_u32_e32 v1, v41, v1
	v_readlane_b32 s5, v72, 1
	v_mul_lo_u32 v42, v1, s80
	v_mul_lo_u32 v4, v1, s82
	s_andn2_b64 vcc, exec, s[4:5]
	v_mul_lo_u32 v6, v1, s81
	s_cbranch_vccnz .LBB159_26
; %bb.25:
	s_load_dwordx2 s[4:5], s[74:75], 0x14
	s_load_dwordx2 s[6:7], s[74:75], 0xd4
	s_waitcnt lgkmcnt(0)
	v_mul_hi_u32 v1, s4, v0
	v_add_u32_e32 v1, v0, v1
	v_lshrrev_b32_e32 v1, s5, v1
	v_mul_lo_u32 v1, v1, s87
	v_sub_u32_e32 v0, v0, v1
	v_mad_u64_u32 v[42:43], s[4:5], v0, s83, v[42:43]
	v_mad_u64_u32 v[6:7], s[4:5], v0, s6, v[6:7]
	;; [unrolled: 1-line block ×3, first 2 shown]
.LBB159_26:
	s_load_dwordx2 s[4:5], s[74:75], 0x198
	s_waitcnt lgkmcnt(0)
	global_load_dwordx2 v[0:1], v6, s[78:79]
                                        ; kill: killed $vgpr6
                                        ; kill: killed $vgpr4
	s_nop 1
	global_load_dwordx2 v[2:3], v4, s[4:5]
	s_getpc_b64 s[4:5]
	s_add_u32 s4, s4, _ZZZZN2at6native33launch_standard_gamma_grad_kernelERNS_18TensorIteratorBaseEENKUlvE_clEvENKUlvE_clEvENKUlddE_clEdd@rel32@lo+4
	s_addc_u32 s5, s5, _ZZZZN2at6native33launch_standard_gamma_grad_kernelERNS_18TensorIteratorBaseEENKUlvE_clEvENKUlvE_clEvENKUlddE_clEdd@rel32@hi+12
	s_swappc_b64 s[30:31], s[4:5]
	v_add_u32_e32 v41, 0x80, v41
	global_store_dwordx2 v42, v[0:1], s[76:77]
	s_or_b64 exec, exec, s[96:97]
	v_cmp_gt_i32_e32 vcc, s98, v41
	s_and_saveexec_b64 s[96:97], vcc
	s_cbranch_execz .LBB159_4
.LBB159_27:
	s_andn2_b64 vcc, exec, s[88:89]
	s_cbranch_vccnz .LBB159_34
; %bb.28:
	s_andn2_b64 vcc, exec, s[94:95]
	v_mov_b32_e32 v4, 0
	v_mov_b32_e32 v6, 0
	v_mov_b32_e32 v42, 0
	s_cbranch_vccnz .LBB159_33
; %bb.29:
	s_add_i32 s4, s93, 1
	s_and_b32 s6, s4, 30
	s_add_u32 s4, s74, 0xffffffec
	s_addc_u32 s5, s75, -1
	v_mov_b32_e32 v42, 0
	v_mov_b32_e32 v0, v41
	;; [unrolled: 1-line block ×4, first 2 shown]
.LBB159_30:                             ; =>This Inner Loop Header: Depth=1
	s_mov_b64 s[16:17], s[4:5]
	s_load_dwordx4 s[8:11], s[16:17], 0x18
	s_load_dwordx2 s[18:19], s[16:17], 0x28
	s_load_dwordx2 s[20:21], s[16:17], 0xe8
	s_load_dwordx4 s[12:15], s[16:17], 0xd8
	s_add_u32 s4, s16, 24
	s_waitcnt lgkmcnt(0)
	v_mul_hi_u32 v1, s9, v0
	v_add_u32_e32 v1, v0, v1
	v_lshrrev_b32_e32 v1, s10, v1
	v_mul_lo_u32 v2, v1, s8
	v_mul_hi_u32 v3, s18, v1
	v_sub_u32_e32 v0, v0, v2
	v_add_u32_e32 v2, v1, v3
	v_mul_lo_u32 v3, v0, s12
	v_mul_lo_u32 v5, v0, s13
	;; [unrolled: 1-line block ×3, first 2 shown]
	v_lshrrev_b32_e32 v0, s19, v2
	v_mul_lo_u32 v2, v0, s11
	v_sub_u32_e32 v1, v1, v2
	s_addc_u32 s5, s17, 0
	s_add_i32 s6, s6, -2
	v_mul_lo_u32 v2, v1, s15
	v_mul_lo_u32 v8, v1, s20
	;; [unrolled: 1-line block ×3, first 2 shown]
	s_cmp_eq_u32 s6, 0
	v_add3_u32 v42, v3, v42, v2
	v_add3_u32 v4, v7, v4, v1
	;; [unrolled: 1-line block ×3, first 2 shown]
	s_cbranch_scc0 .LBB159_30
; %bb.31:
	s_bitcmp1_b32 s93, 0
	s_cselect_b64 s[6:7], -1, 0
	s_and_b64 vcc, exec, s[6:7]
	s_cbranch_vccnz .LBB159_33
; %bb.32:
	s_load_dwordx2 s[6:7], s[4:5], 0x18
	s_load_dword s10, s[4:5], 0x20
	s_load_dword s11, s[4:5], 0xe0
	s_load_dwordx2 s[8:9], s[4:5], 0xd8
	s_waitcnt lgkmcnt(0)
	v_mul_hi_u32 v1, s7, v0
	v_add_u32_e32 v1, v0, v1
	v_lshrrev_b32_e32 v1, s10, v1
	v_mul_lo_u32 v1, v1, s6
	v_sub_u32_e32 v0, v0, v1
	v_mad_u64_u32 v[42:43], s[4:5], v0, s8, v[42:43]
	v_mad_u64_u32 v[6:7], s[4:5], v0, s9, v[6:7]
	;; [unrolled: 1-line block ×3, first 2 shown]
.LBB159_33:
	s_cbranch_execz .LBB159_35
	s_branch .LBB159_37
.LBB159_34:
                                        ; implicit-def: $vgpr4
                                        ; implicit-def: $vgpr6
                                        ; implicit-def: $vgpr42
.LBB159_35:
	s_waitcnt lgkmcnt(0)
	v_mul_hi_u32 v0, s85, v41
	v_add_u32_e32 v0, v41, v0
	v_lshrrev_b32_e32 v0, s86, v0
	v_mul_lo_u32 v1, v0, s84
	v_readlane_b32 s4, v72, 0
	v_sub_u32_e32 v1, v41, v1
	v_readlane_b32 s5, v72, 1
	v_mul_lo_u32 v42, v1, s80
	v_mul_lo_u32 v4, v1, s82
	s_andn2_b64 vcc, exec, s[4:5]
	v_mul_lo_u32 v6, v1, s81
	s_cbranch_vccnz .LBB159_37
; %bb.36:
	s_load_dwordx2 s[4:5], s[74:75], 0x14
	s_load_dwordx2 s[6:7], s[74:75], 0xd4
	s_waitcnt lgkmcnt(0)
	v_mul_hi_u32 v1, s4, v0
	v_add_u32_e32 v1, v0, v1
	v_lshrrev_b32_e32 v1, s5, v1
	v_mul_lo_u32 v1, v1, s87
	v_sub_u32_e32 v0, v0, v1
	v_mad_u64_u32 v[42:43], s[4:5], v0, s83, v[42:43]
	v_mad_u64_u32 v[6:7], s[4:5], v0, s6, v[6:7]
	;; [unrolled: 1-line block ×3, first 2 shown]
.LBB159_37:
	s_load_dwordx2 s[4:5], s[74:75], 0x198
	s_waitcnt lgkmcnt(0)
	global_load_dwordx2 v[0:1], v6, s[78:79]
                                        ; kill: killed $vgpr6
                                        ; kill: killed $vgpr4
	s_nop 1
	global_load_dwordx2 v[2:3], v4, s[4:5]
	s_getpc_b64 s[4:5]
	s_add_u32 s4, s4, _ZZZZN2at6native33launch_standard_gamma_grad_kernelERNS_18TensorIteratorBaseEENKUlvE_clEvENKUlvE_clEvENKUlddE_clEdd@rel32@lo+4
	s_addc_u32 s5, s5, _ZZZZN2at6native33launch_standard_gamma_grad_kernelERNS_18TensorIteratorBaseEENKUlvE_clEvENKUlvE_clEvENKUlddE_clEdd@rel32@hi+12
	s_swappc_b64 s[30:31], s[4:5]
	v_add_u32_e32 v41, 0x80, v41
	global_store_dwordx2 v42, v[0:1], s[76:77]
	s_or_b64 exec, exec, s[96:97]
	v_cmp_gt_i32_e32 vcc, s98, v41
	s_and_saveexec_b64 s[96:97], vcc
	s_cbranch_execz .LBB159_49
.LBB159_38:
	s_andn2_b64 vcc, exec, s[88:89]
	s_cbranch_vccnz .LBB159_45
; %bb.39:
	s_andn2_b64 vcc, exec, s[94:95]
	v_mov_b32_e32 v4, 0
	v_mov_b32_e32 v6, 0
	;; [unrolled: 1-line block ×3, first 2 shown]
	s_cbranch_vccnz .LBB159_44
; %bb.40:
	s_add_i32 s4, s93, 1
	s_and_b32 s6, s4, 30
	s_add_u32 s4, s74, 0xffffffec
	s_addc_u32 s5, s75, -1
	v_mov_b32_e32 v42, 0
	v_mov_b32_e32 v0, v41
	;; [unrolled: 1-line block ×4, first 2 shown]
.LBB159_41:                             ; =>This Inner Loop Header: Depth=1
	s_mov_b64 s[16:17], s[4:5]
	s_load_dwordx4 s[8:11], s[16:17], 0x18
	s_load_dwordx2 s[18:19], s[16:17], 0x28
	s_load_dwordx2 s[20:21], s[16:17], 0xe8
	s_load_dwordx4 s[12:15], s[16:17], 0xd8
	s_add_u32 s4, s16, 24
	s_waitcnt lgkmcnt(0)
	v_mul_hi_u32 v1, s9, v0
	v_add_u32_e32 v1, v0, v1
	v_lshrrev_b32_e32 v1, s10, v1
	v_mul_lo_u32 v2, v1, s8
	v_mul_hi_u32 v3, s18, v1
	v_sub_u32_e32 v0, v0, v2
	v_add_u32_e32 v2, v1, v3
	v_mul_lo_u32 v3, v0, s12
	v_mul_lo_u32 v5, v0, s13
	;; [unrolled: 1-line block ×3, first 2 shown]
	v_lshrrev_b32_e32 v0, s19, v2
	v_mul_lo_u32 v2, v0, s11
	v_sub_u32_e32 v1, v1, v2
	s_addc_u32 s5, s17, 0
	s_add_i32 s6, s6, -2
	v_mul_lo_u32 v2, v1, s15
	v_mul_lo_u32 v8, v1, s20
	;; [unrolled: 1-line block ×3, first 2 shown]
	s_cmp_eq_u32 s6, 0
	v_add3_u32 v42, v3, v42, v2
	v_add3_u32 v4, v7, v4, v1
	;; [unrolled: 1-line block ×3, first 2 shown]
	s_cbranch_scc0 .LBB159_41
; %bb.42:
	s_bitcmp1_b32 s93, 0
	s_cselect_b64 s[6:7], -1, 0
	s_and_b64 vcc, exec, s[6:7]
	s_cbranch_vccnz .LBB159_44
; %bb.43:
	s_load_dwordx2 s[6:7], s[4:5], 0x18
	s_load_dword s10, s[4:5], 0x20
	s_load_dword s11, s[4:5], 0xe0
	s_load_dwordx2 s[8:9], s[4:5], 0xd8
	s_waitcnt lgkmcnt(0)
	v_mul_hi_u32 v1, s7, v0
	v_add_u32_e32 v1, v0, v1
	v_lshrrev_b32_e32 v1, s10, v1
	v_mul_lo_u32 v1, v1, s6
	v_sub_u32_e32 v0, v0, v1
	v_mad_u64_u32 v[42:43], s[4:5], v0, s8, v[42:43]
	v_mad_u64_u32 v[6:7], s[4:5], v0, s9, v[6:7]
	v_mad_u64_u32 v[4:5], s[4:5], v0, s11, v[4:5]
.LBB159_44:
	s_cbranch_execz .LBB159_46
	s_branch .LBB159_48
.LBB159_45:
                                        ; implicit-def: $vgpr4
                                        ; implicit-def: $vgpr6
                                        ; implicit-def: $vgpr42
.LBB159_46:
	s_waitcnt lgkmcnt(0)
	v_mul_hi_u32 v0, s85, v41
	v_add_u32_e32 v0, v41, v0
	v_lshrrev_b32_e32 v0, s86, v0
	v_mul_lo_u32 v1, v0, s84
	v_readlane_b32 s4, v72, 0
	v_sub_u32_e32 v1, v41, v1
	v_readlane_b32 s5, v72, 1
	v_mul_lo_u32 v42, v1, s80
	v_mul_lo_u32 v4, v1, s82
	s_andn2_b64 vcc, exec, s[4:5]
	v_mul_lo_u32 v6, v1, s81
	s_cbranch_vccnz .LBB159_48
; %bb.47:
	s_load_dwordx2 s[4:5], s[74:75], 0x14
	s_load_dwordx2 s[6:7], s[74:75], 0xd4
	s_waitcnt lgkmcnt(0)
	v_mul_hi_u32 v1, s4, v0
	v_add_u32_e32 v1, v0, v1
	v_lshrrev_b32_e32 v1, s5, v1
	v_mul_lo_u32 v1, v1, s87
	v_sub_u32_e32 v0, v0, v1
	v_mad_u64_u32 v[42:43], s[4:5], v0, s83, v[42:43]
	v_mad_u64_u32 v[6:7], s[4:5], v0, s6, v[6:7]
	;; [unrolled: 1-line block ×3, first 2 shown]
.LBB159_48:
	s_load_dwordx2 s[4:5], s[74:75], 0x198
	s_waitcnt lgkmcnt(0)
	global_load_dwordx2 v[0:1], v6, s[78:79]
                                        ; kill: killed $vgpr6
                                        ; kill: killed $sgpr4_sgpr5
                                        ; kill: killed $sgpr78_sgpr79
                                        ; kill: killed $vgpr4
	s_nop 1
	global_load_dwordx2 v[2:3], v4, s[4:5]
	s_getpc_b64 s[4:5]
	s_add_u32 s4, s4, _ZZZZN2at6native33launch_standard_gamma_grad_kernelERNS_18TensorIteratorBaseEENKUlvE_clEvENKUlvE_clEvENKUlddE_clEdd@rel32@lo+4
	s_addc_u32 s5, s5, _ZZZZN2at6native33launch_standard_gamma_grad_kernelERNS_18TensorIteratorBaseEENKUlvE_clEvENKUlvE_clEvENKUlddE_clEdd@rel32@hi+12
	s_swappc_b64 s[30:31], s[4:5]
	global_store_dwordx2 v42, v[0:1], s[76:77]
.LBB159_49:
	s_or_b64 exec, exec, s[96:97]
                                        ; implicit-def: $vgpr0
                                        ; implicit-def: $vgpr41
.LBB159_50:
	s_andn2_saveexec_b64 s[4:5], s[90:91]
	s_cbranch_execz .LBB159_57
; %bb.51:
	v_cndmask_b32_e64 v1, 0, 1, s[88:89]
	v_cmp_ne_u32_e64 s[4:5], 1, v1
	s_andn2_b64 vcc, exec, s[88:89]
	s_cbranch_vccnz .LBB159_58
; %bb.52:
	s_cmp_lg_u32 s92, 0
	v_mov_b32_e32 v4, 0
	v_mov_b32_e32 v6, 0
	;; [unrolled: 1-line block ×3, first 2 shown]
	s_cbranch_scc0 .LBB159_59
; %bb.53:
	s_min_u32 s8, s33, 15
	s_add_i32 s6, s8, 1
	s_and_b32 s9, s6, 30
	s_add_u32 s6, s74, 0xffffffec
	s_addc_u32 s7, s75, -1
	v_mov_b32_e32 v56, 0
	v_mov_b32_e32 v1, v41
	;; [unrolled: 1-line block ×4, first 2 shown]
.LBB159_54:                             ; =>This Inner Loop Header: Depth=1
	s_mov_b64 s[10:11], s[6:7]
	s_load_dwordx4 s[12:15], s[10:11], 0x18
	s_load_dwordx2 s[20:21], s[10:11], 0x28
	s_load_dwordx2 s[22:23], s[10:11], 0xe8
	s_load_dwordx4 s[16:19], s[10:11], 0xd8
	s_add_u32 s6, s10, 24
	s_waitcnt lgkmcnt(0)
	v_mul_hi_u32 v2, s13, v1
	v_add_u32_e32 v2, v1, v2
	v_lshrrev_b32_e32 v2, s14, v2
	v_mul_lo_u32 v3, v2, s12
	v_mul_hi_u32 v5, s20, v2
	v_sub_u32_e32 v1, v1, v3
	v_add_u32_e32 v3, v2, v5
	v_mul_lo_u32 v5, v1, s16
	v_mul_lo_u32 v7, v1, s17
	;; [unrolled: 1-line block ×3, first 2 shown]
	v_lshrrev_b32_e32 v1, s21, v3
	v_mul_lo_u32 v3, v1, s15
	v_sub_u32_e32 v2, v2, v3
	s_addc_u32 s7, s11, 0
	s_add_i32 s9, s9, -2
	v_mul_lo_u32 v3, v2, s19
	v_mul_lo_u32 v9, v2, s22
	;; [unrolled: 1-line block ×3, first 2 shown]
	s_cmp_lg_u32 s9, 0
	v_add3_u32 v56, v5, v56, v3
	v_add3_u32 v4, v8, v4, v2
	;; [unrolled: 1-line block ×3, first 2 shown]
	s_cbranch_scc1 .LBB159_54
; %bb.55:
	s_bitcmp1_b32 s8, 0
	s_cselect_b64 s[8:9], -1, 0
	s_and_b64 vcc, exec, s[8:9]
	s_cbranch_vccnz .LBB159_59
; %bb.56:
	s_load_dwordx2 s[8:9], s[6:7], 0x18
	s_load_dword s12, s[6:7], 0x20
	s_load_dword s13, s[6:7], 0xe0
	s_load_dwordx2 s[10:11], s[6:7], 0xd8
	s_waitcnt lgkmcnt(0)
	v_mul_hi_u32 v2, s9, v1
	v_add_u32_e32 v2, v1, v2
	v_lshrrev_b32_e32 v2, s12, v2
	v_mul_lo_u32 v2, v2, s8
	v_sub_u32_e32 v1, v1, v2
	v_mad_u64_u32 v[56:57], s[6:7], v1, s10, v[56:57]
	v_mad_u64_u32 v[6:7], s[6:7], v1, s11, v[6:7]
	;; [unrolled: 1-line block ×3, first 2 shown]
	s_cbranch_execz .LBB159_60
	s_branch .LBB159_62
.LBB159_57:
	s_endpgm
.LBB159_58:
                                        ; implicit-def: $vgpr4
                                        ; implicit-def: $vgpr6
                                        ; implicit-def: $vgpr56
	s_branch .LBB159_60
.LBB159_59:
	s_cbranch_execnz .LBB159_62
.LBB159_60:
	s_load_dwordx4 s[8:11], s[74:75], 0x4
	s_load_dwordx4 s[12:15], s[74:75], 0xc4
	s_cmp_lt_u32 s92, 2
	s_waitcnt lgkmcnt(0)
	v_mul_hi_u32 v1, s9, v41
	v_add_u32_e32 v1, v41, v1
	v_lshrrev_b32_e32 v1, s10, v1
	v_mul_lo_u32 v2, v1, s8
	v_sub_u32_e32 v2, v41, v2
	v_mul_lo_u32 v56, v2, s12
	v_mul_lo_u32 v4, v2, s14
	;; [unrolled: 1-line block ×3, first 2 shown]
	s_cbranch_scc1 .LBB159_62
; %bb.61:
	s_load_dwordx4 s[8:11], s[74:75], 0x10
	s_load_dwordx4 s[12:15], s[74:75], 0xd0
	s_waitcnt lgkmcnt(0)
	v_mul_hi_u32 v2, s9, v1
	v_add_u32_e32 v2, v1, v2
	v_lshrrev_b32_e32 v2, s10, v2
	v_mul_lo_u32 v2, v2, s8
	v_sub_u32_e32 v1, v1, v2
	v_mad_u64_u32 v[56:57], s[6:7], v1, s12, v[56:57]
	v_mad_u64_u32 v[6:7], s[6:7], v1, s13, v[6:7]
	v_mad_u64_u32 v[4:5], s[6:7], v1, s14, v[4:5]
.LBB159_62:
	s_and_b64 vcc, exec, s[4:5]
	v_add_u32_e32 v1, 0x80, v41
	s_cbranch_vccnz .LBB159_68
; %bb.63:
	s_cmp_lg_u32 s92, 0
	v_mov_b32_e32 v44, 0
	v_mov_b32_e32 v46, 0
	;; [unrolled: 1-line block ×3, first 2 shown]
	s_cbranch_scc0 .LBB159_69
; %bb.64:
	s_min_u32 s8, s33, 15
	s_add_i32 s6, s8, 1
	s_and_b32 s9, s6, 30
	s_add_u32 s6, s74, 0xffffffec
	s_addc_u32 s7, s75, -1
	v_mov_b32_e32 v58, 0
	v_mov_b32_e32 v2, v1
	;; [unrolled: 1-line block ×4, first 2 shown]
.LBB159_65:                             ; =>This Inner Loop Header: Depth=1
	s_mov_b64 s[10:11], s[6:7]
	s_load_dwordx4 s[12:15], s[10:11], 0x18
	s_load_dwordx2 s[20:21], s[10:11], 0x28
	s_load_dwordx2 s[22:23], s[10:11], 0xe8
	s_load_dwordx4 s[16:19], s[10:11], 0xd8
	s_add_u32 s6, s10, 24
	s_waitcnt lgkmcnt(0)
	v_mul_hi_u32 v3, s13, v2
	v_add_u32_e32 v3, v2, v3
	v_lshrrev_b32_e32 v3, s14, v3
	v_mul_lo_u32 v5, v3, s12
	v_mul_hi_u32 v7, s20, v3
	v_sub_u32_e32 v2, v2, v5
	v_add_u32_e32 v5, v3, v7
	v_mul_lo_u32 v7, v2, s16
	v_mul_lo_u32 v8, v2, s17
	;; [unrolled: 1-line block ×3, first 2 shown]
	v_lshrrev_b32_e32 v2, s21, v5
	v_mul_lo_u32 v5, v2, s15
	v_sub_u32_e32 v3, v3, v5
	s_addc_u32 s7, s11, 0
	s_add_i32 s9, s9, -2
	v_mul_lo_u32 v5, v3, s19
	v_mul_lo_u32 v10, v3, s22
	;; [unrolled: 1-line block ×3, first 2 shown]
	s_cmp_lg_u32 s9, 0
	v_add3_u32 v58, v7, v58, v5
	v_add3_u32 v44, v9, v44, v3
	;; [unrolled: 1-line block ×3, first 2 shown]
	s_cbranch_scc1 .LBB159_65
; %bb.66:
	s_bitcmp1_b32 s8, 0
	s_cselect_b64 s[8:9], -1, 0
	s_and_b64 vcc, exec, s[8:9]
	s_cbranch_vccnz .LBB159_69
; %bb.67:
	s_load_dwordx2 s[8:9], s[6:7], 0x18
	s_load_dword s12, s[6:7], 0x20
	s_load_dword s13, s[6:7], 0xe0
	s_load_dwordx2 s[10:11], s[6:7], 0xd8
	s_waitcnt lgkmcnt(0)
	v_mul_hi_u32 v3, s9, v2
	v_add_u32_e32 v3, v2, v3
	v_lshrrev_b32_e32 v3, s12, v3
	v_mul_lo_u32 v3, v3, s8
	v_sub_u32_e32 v2, v2, v3
	v_mad_u64_u32 v[58:59], s[6:7], v2, s10, v[58:59]
	v_mad_u64_u32 v[46:47], s[6:7], v2, s11, v[46:47]
	;; [unrolled: 1-line block ×3, first 2 shown]
	s_cbranch_execz .LBB159_70
	s_branch .LBB159_72
.LBB159_68:
                                        ; implicit-def: $vgpr44
                                        ; implicit-def: $vgpr46
                                        ; implicit-def: $vgpr58
	s_branch .LBB159_70
.LBB159_69:
	s_cbranch_execnz .LBB159_72
.LBB159_70:
	s_load_dwordx4 s[8:11], s[74:75], 0x4
	s_load_dwordx4 s[12:15], s[74:75], 0xc4
	s_cmp_lt_u32 s92, 2
	s_waitcnt lgkmcnt(0)
	v_mul_hi_u32 v2, s9, v1
	v_add_u32_e32 v2, v1, v2
	v_lshrrev_b32_e32 v2, s10, v2
	v_mul_lo_u32 v3, v2, s8
	v_sub_u32_e32 v1, v1, v3
	v_mul_lo_u32 v58, v1, s12
	v_mul_lo_u32 v44, v1, s14
	;; [unrolled: 1-line block ×3, first 2 shown]
	s_cbranch_scc1 .LBB159_72
; %bb.71:
	s_load_dwordx4 s[8:11], s[74:75], 0x10
	s_load_dwordx4 s[12:15], s[74:75], 0xd0
	s_waitcnt lgkmcnt(0)
	v_mul_hi_u32 v1, s9, v2
	v_add_u32_e32 v1, v2, v1
	v_lshrrev_b32_e32 v1, s10, v1
	v_mul_lo_u32 v1, v1, s8
	v_sub_u32_e32 v1, v2, v1
	v_mad_u64_u32 v[58:59], s[6:7], v1, s12, v[58:59]
	v_mad_u64_u32 v[46:47], s[6:7], v1, s13, v[46:47]
	;; [unrolled: 1-line block ×3, first 2 shown]
.LBB159_72:
	s_and_b64 vcc, exec, s[4:5]
	v_add_u32_e32 v1, 0x100, v41
	s_cbranch_vccnz .LBB159_78
; %bb.73:
	s_cmp_lg_u32 s92, 0
	v_mov_b32_e32 v62, 0
	v_mov_b32_e32 v64, 0
	;; [unrolled: 1-line block ×3, first 2 shown]
	s_cbranch_scc0 .LBB159_79
; %bb.74:
	s_min_u32 s8, s33, 15
	s_add_i32 s6, s8, 1
	s_and_b32 s9, s6, 30
	s_add_u32 s6, s74, 0xffffffec
	s_addc_u32 s7, s75, -1
	v_mov_b32_e32 v60, 0
	v_mov_b32_e32 v2, v1
	;; [unrolled: 1-line block ×4, first 2 shown]
.LBB159_75:                             ; =>This Inner Loop Header: Depth=1
	s_mov_b64 s[10:11], s[6:7]
	s_load_dwordx4 s[12:15], s[10:11], 0x18
	s_load_dwordx2 s[20:21], s[10:11], 0x28
	s_load_dwordx2 s[22:23], s[10:11], 0xe8
	s_load_dwordx4 s[16:19], s[10:11], 0xd8
	s_add_u32 s6, s10, 24
	s_waitcnt lgkmcnt(0)
	v_mul_hi_u32 v3, s13, v2
	v_add_u32_e32 v3, v2, v3
	v_lshrrev_b32_e32 v3, s14, v3
	v_mul_lo_u32 v5, v3, s12
	v_mul_hi_u32 v7, s20, v3
	v_sub_u32_e32 v2, v2, v5
	v_add_u32_e32 v5, v3, v7
	v_mul_lo_u32 v7, v2, s16
	v_mul_lo_u32 v8, v2, s17
	;; [unrolled: 1-line block ×3, first 2 shown]
	v_lshrrev_b32_e32 v2, s21, v5
	v_mul_lo_u32 v5, v2, s15
	v_sub_u32_e32 v3, v3, v5
	s_addc_u32 s7, s11, 0
	s_add_i32 s9, s9, -2
	v_mul_lo_u32 v5, v3, s19
	v_mul_lo_u32 v10, v3, s22
	;; [unrolled: 1-line block ×3, first 2 shown]
	s_cmp_lg_u32 s9, 0
	v_add3_u32 v60, v7, v60, v5
	v_add3_u32 v62, v9, v62, v3
	;; [unrolled: 1-line block ×3, first 2 shown]
	s_cbranch_scc1 .LBB159_75
; %bb.76:
	s_bitcmp1_b32 s8, 0
	s_cselect_b64 s[8:9], -1, 0
	s_and_b64 vcc, exec, s[8:9]
	s_cbranch_vccnz .LBB159_79
; %bb.77:
	s_load_dwordx2 s[8:9], s[6:7], 0x18
	s_load_dword s12, s[6:7], 0x20
	s_load_dword s13, s[6:7], 0xe0
	s_load_dwordx2 s[10:11], s[6:7], 0xd8
	s_waitcnt lgkmcnt(0)
	v_mul_hi_u32 v3, s9, v2
	v_add_u32_e32 v3, v2, v3
	v_lshrrev_b32_e32 v3, s12, v3
	v_mul_lo_u32 v3, v3, s8
	v_sub_u32_e32 v2, v2, v3
	v_mad_u64_u32 v[60:61], s[6:7], v2, s10, v[60:61]
	v_mad_u64_u32 v[64:65], s[6:7], v2, s11, v[64:65]
	;; [unrolled: 1-line block ×3, first 2 shown]
	s_cbranch_execz .LBB159_80
	s_branch .LBB159_82
.LBB159_78:
                                        ; implicit-def: $vgpr62
                                        ; implicit-def: $vgpr64
                                        ; implicit-def: $vgpr60
	s_branch .LBB159_80
.LBB159_79:
	s_cbranch_execnz .LBB159_82
.LBB159_80:
	s_load_dwordx4 s[8:11], s[74:75], 0x4
	s_load_dwordx4 s[12:15], s[74:75], 0xc4
	s_cmp_lt_u32 s92, 2
	s_waitcnt lgkmcnt(0)
	v_mul_hi_u32 v2, s9, v1
	v_add_u32_e32 v2, v1, v2
	v_lshrrev_b32_e32 v2, s10, v2
	v_mul_lo_u32 v3, v2, s8
	v_sub_u32_e32 v1, v1, v3
	v_mul_lo_u32 v60, v1, s12
	v_mul_lo_u32 v62, v1, s14
	;; [unrolled: 1-line block ×3, first 2 shown]
	s_cbranch_scc1 .LBB159_82
; %bb.81:
	s_load_dwordx4 s[8:11], s[74:75], 0x10
	s_load_dwordx4 s[12:15], s[74:75], 0xd0
	s_waitcnt lgkmcnt(0)
	v_mul_hi_u32 v1, s9, v2
	v_add_u32_e32 v1, v2, v1
	v_lshrrev_b32_e32 v1, s10, v1
	v_mul_lo_u32 v1, v1, s8
	v_sub_u32_e32 v1, v2, v1
	v_mad_u64_u32 v[60:61], s[6:7], v1, s12, v[60:61]
	v_mad_u64_u32 v[64:65], s[6:7], v1, s13, v[64:65]
	;; [unrolled: 1-line block ×3, first 2 shown]
.LBB159_82:
	s_and_b64 vcc, exec, s[4:5]
	s_cbranch_vccnz .LBB159_88
; %bb.83:
	s_cmp_lg_u32 s92, 0
	v_mov_b32_e32 v68, 0
	v_mov_b32_e32 v70, 0
	;; [unrolled: 1-line block ×3, first 2 shown]
	s_cbranch_scc0 .LBB159_89
; %bb.84:
	s_min_u32 s6, s33, 15
	s_add_i32 s4, s6, 1
	s_and_b32 s7, s4, 30
	s_add_u32 s4, s74, 0xffffffec
	s_addc_u32 s5, s75, -1
	v_mov_b32_e32 v66, 0
	v_mov_b32_e32 v1, v0
	;; [unrolled: 1-line block ×4, first 2 shown]
.LBB159_85:                             ; =>This Inner Loop Header: Depth=1
	s_mov_b64 s[16:17], s[4:5]
	s_load_dwordx4 s[8:11], s[16:17], 0x18
	s_load_dwordx2 s[18:19], s[16:17], 0x28
	s_load_dwordx2 s[20:21], s[16:17], 0xe8
	s_load_dwordx4 s[12:15], s[16:17], 0xd8
	s_add_u32 s4, s16, 24
	s_waitcnt lgkmcnt(0)
	v_mul_hi_u32 v2, s9, v1
	v_add_u32_e32 v2, v1, v2
	v_lshrrev_b32_e32 v2, s10, v2
	v_mul_lo_u32 v3, v2, s8
	v_mul_hi_u32 v5, s18, v2
	v_sub_u32_e32 v1, v1, v3
	v_add_u32_e32 v3, v2, v5
	v_mul_lo_u32 v5, v1, s12
	v_mul_lo_u32 v7, v1, s13
	v_mul_lo_u32 v8, v1, s14
	v_lshrrev_b32_e32 v1, s19, v3
	v_mul_lo_u32 v3, v1, s11
	v_sub_u32_e32 v2, v2, v3
	s_addc_u32 s5, s17, 0
	s_add_i32 s7, s7, -2
	v_mul_lo_u32 v3, v2, s15
	v_mul_lo_u32 v9, v2, s20
	;; [unrolled: 1-line block ×3, first 2 shown]
	s_cmp_lg_u32 s7, 0
	v_add3_u32 v66, v5, v66, v3
	v_add3_u32 v68, v8, v68, v2
	;; [unrolled: 1-line block ×3, first 2 shown]
	s_cbranch_scc1 .LBB159_85
; %bb.86:
	s_bitcmp1_b32 s6, 0
	s_cselect_b64 s[6:7], -1, 0
	s_and_b64 vcc, exec, s[6:7]
	s_cbranch_vccnz .LBB159_89
; %bb.87:
	s_load_dwordx2 s[6:7], s[4:5], 0x18
	s_load_dword s10, s[4:5], 0x20
	s_load_dword s11, s[4:5], 0xe0
	s_load_dwordx2 s[8:9], s[4:5], 0xd8
	s_waitcnt lgkmcnt(0)
	v_mul_hi_u32 v2, s7, v1
	v_add_u32_e32 v2, v1, v2
	v_lshrrev_b32_e32 v2, s10, v2
	v_mul_lo_u32 v2, v2, s6
	v_sub_u32_e32 v1, v1, v2
	v_mad_u64_u32 v[66:67], s[4:5], v1, s8, v[66:67]
	v_mad_u64_u32 v[70:71], s[4:5], v1, s9, v[70:71]
	;; [unrolled: 1-line block ×3, first 2 shown]
	s_cbranch_execz .LBB159_90
	s_branch .LBB159_92
.LBB159_88:
                                        ; implicit-def: $vgpr68
                                        ; implicit-def: $vgpr70
                                        ; implicit-def: $vgpr66
	s_branch .LBB159_90
.LBB159_89:
	s_cbranch_execnz .LBB159_92
.LBB159_90:
	s_load_dwordx4 s[4:7], s[74:75], 0x4
	s_load_dwordx4 s[8:11], s[74:75], 0xc4
	s_cmp_lt_u32 s92, 2
	s_waitcnt lgkmcnt(0)
	v_mul_hi_u32 v1, s5, v0
	v_add_u32_e32 v1, v0, v1
	v_lshrrev_b32_e32 v1, s6, v1
	v_mul_lo_u32 v2, v1, s4
	v_sub_u32_e32 v0, v0, v2
	v_mul_lo_u32 v66, v0, s8
	v_mul_lo_u32 v68, v0, s10
	;; [unrolled: 1-line block ×3, first 2 shown]
	s_cbranch_scc1 .LBB159_92
; %bb.91:
	s_load_dwordx4 s[4:7], s[74:75], 0x10
	s_load_dwordx4 s[8:11], s[74:75], 0xd0
	s_waitcnt lgkmcnt(0)
	v_mul_hi_u32 v0, s5, v1
	v_add_u32_e32 v0, v1, v0
	v_lshrrev_b32_e32 v0, s6, v0
	v_mul_lo_u32 v0, v0, s4
	v_sub_u32_e32 v0, v1, v0
	v_mad_u64_u32 v[66:67], s[4:5], v0, s8, v[66:67]
	v_mad_u64_u32 v[70:71], s[4:5], v0, s9, v[70:71]
	;; [unrolled: 1-line block ×3, first 2 shown]
.LBB159_92:
	s_waitcnt lgkmcnt(0)
	s_load_dwordx4 s[76:79], s[74:75], 0x188
	s_load_dwordx2 s[80:81], s[74:75], 0x198
	s_getpc_b64 s[74:75]
	s_add_u32 s74, s74, _ZZZZN2at6native33launch_standard_gamma_grad_kernelERNS_18TensorIteratorBaseEENKUlvE_clEvENKUlvE_clEvENKUlddE_clEdd@rel32@lo+4
	s_addc_u32 s75, s75, _ZZZZN2at6native33launch_standard_gamma_grad_kernelERNS_18TensorIteratorBaseEENKUlvE_clEvENKUlvE_clEvENKUlddE_clEdd@rel32@hi+12
	s_waitcnt lgkmcnt(0)
	global_load_dwordx2 v[0:1], v6, s[78:79]
	global_load_dwordx2 v[2:3], v4, s[80:81]
	s_swappc_b64 s[30:31], s[74:75]
	v_mov_b32_e32 v42, v0
	v_mov_b32_e32 v43, v1
	global_load_dwordx2 v[0:1], v46, s[78:79]
	global_load_dwordx2 v[2:3], v44, s[80:81]
	s_swappc_b64 s[30:31], s[74:75]
	v_mov_b32_e32 v44, v0
	v_mov_b32_e32 v45, v1
	;; [unrolled: 5-line block ×3, first 2 shown]
	global_load_dwordx2 v[0:1], v70, s[78:79]
	global_load_dwordx2 v[2:3], v68, s[80:81]
	s_swappc_b64 s[30:31], s[74:75]
	global_store_dwordx2 v56, v[42:43], s[76:77]
	global_store_dwordx2 v58, v[44:45], s[76:77]
	global_store_dwordx2 v60, v[46:47], s[76:77]
	global_store_dwordx2 v66, v[0:1], s[76:77]
	s_endpgm
	.section	.rodata,"a",@progbits
	.p2align	6, 0x0
	.amdhsa_kernel _ZN2at6native32elementwise_kernel_manual_unrollILi128ELi4EZNS0_22gpu_kernel_impl_nocastIZZZNS0_33launch_standard_gamma_grad_kernelERNS_18TensorIteratorBaseEENKUlvE_clEvENKUlvE_clEvEUlddE_EEvS4_RKT_EUlibE_EEviT1_
		.amdhsa_group_segment_fixed_size 0
		.amdhsa_private_segment_fixed_size 8
		.amdhsa_kernarg_size 432
		.amdhsa_user_sgpr_count 8
		.amdhsa_user_sgpr_private_segment_buffer 1
		.amdhsa_user_sgpr_dispatch_ptr 0
		.amdhsa_user_sgpr_queue_ptr 0
		.amdhsa_user_sgpr_kernarg_segment_ptr 1
		.amdhsa_user_sgpr_dispatch_id 0
		.amdhsa_user_sgpr_flat_scratch_init 1
		.amdhsa_user_sgpr_kernarg_preload_length 0
		.amdhsa_user_sgpr_kernarg_preload_offset 0
		.amdhsa_user_sgpr_private_segment_size 0
		.amdhsa_uses_dynamic_stack 0
		.amdhsa_system_sgpr_private_segment_wavefront_offset 1
		.amdhsa_system_sgpr_workgroup_id_x 1
		.amdhsa_system_sgpr_workgroup_id_y 0
		.amdhsa_system_sgpr_workgroup_id_z 0
		.amdhsa_system_sgpr_workgroup_info 0
		.amdhsa_system_vgpr_workitem_id 0
		.amdhsa_next_free_vgpr 73
		.amdhsa_next_free_sgpr 99
		.amdhsa_accum_offset 76
		.amdhsa_reserve_vcc 1
		.amdhsa_reserve_flat_scratch 1
		.amdhsa_float_round_mode_32 0
		.amdhsa_float_round_mode_16_64 0
		.amdhsa_float_denorm_mode_32 3
		.amdhsa_float_denorm_mode_16_64 3
		.amdhsa_dx10_clamp 1
		.amdhsa_ieee_mode 1
		.amdhsa_fp16_overflow 0
		.amdhsa_tg_split 0
		.amdhsa_exception_fp_ieee_invalid_op 0
		.amdhsa_exception_fp_denorm_src 0
		.amdhsa_exception_fp_ieee_div_zero 0
		.amdhsa_exception_fp_ieee_overflow 0
		.amdhsa_exception_fp_ieee_underflow 0
		.amdhsa_exception_fp_ieee_inexact 0
		.amdhsa_exception_int_div_zero 0
	.end_amdhsa_kernel
	.section	.text._ZN2at6native32elementwise_kernel_manual_unrollILi128ELi4EZNS0_22gpu_kernel_impl_nocastIZZZNS0_33launch_standard_gamma_grad_kernelERNS_18TensorIteratorBaseEENKUlvE_clEvENKUlvE_clEvEUlddE_EEvS4_RKT_EUlibE_EEviT1_,"axG",@progbits,_ZN2at6native32elementwise_kernel_manual_unrollILi128ELi4EZNS0_22gpu_kernel_impl_nocastIZZZNS0_33launch_standard_gamma_grad_kernelERNS_18TensorIteratorBaseEENKUlvE_clEvENKUlvE_clEvEUlddE_EEvS4_RKT_EUlibE_EEviT1_,comdat
.Lfunc_end159:
	.size	_ZN2at6native32elementwise_kernel_manual_unrollILi128ELi4EZNS0_22gpu_kernel_impl_nocastIZZZNS0_33launch_standard_gamma_grad_kernelERNS_18TensorIteratorBaseEENKUlvE_clEvENKUlvE_clEvEUlddE_EEvS4_RKT_EUlibE_EEviT1_, .Lfunc_end159-_ZN2at6native32elementwise_kernel_manual_unrollILi128ELi4EZNS0_22gpu_kernel_impl_nocastIZZZNS0_33launch_standard_gamma_grad_kernelERNS_18TensorIteratorBaseEENKUlvE_clEvENKUlvE_clEvEUlddE_EEvS4_RKT_EUlibE_EEviT1_
                                        ; -- End function
	.section	.AMDGPU.csdata,"",@progbits
; Kernel info:
; codeLenInByte = 4952
; NumSgprs: 105
; NumVgprs: 73
; NumAgprs: 0
; TotalNumVgprs: 73
; ScratchSize: 8
; MemoryBound: 0
; FloatMode: 240
; IeeeMode: 1
; LDSByteSize: 0 bytes/workgroup (compile time only)
; SGPRBlocks: 13
; VGPRBlocks: 9
; NumSGPRsForWavesPerEU: 105
; NumVGPRsForWavesPerEU: 73
; AccumOffset: 76
; Occupancy: 6
; WaveLimiterHint : 1
; COMPUTE_PGM_RSRC2:SCRATCH_EN: 1
; COMPUTE_PGM_RSRC2:USER_SGPR: 8
; COMPUTE_PGM_RSRC2:TRAP_HANDLER: 0
; COMPUTE_PGM_RSRC2:TGID_X_EN: 1
; COMPUTE_PGM_RSRC2:TGID_Y_EN: 0
; COMPUTE_PGM_RSRC2:TGID_Z_EN: 0
; COMPUTE_PGM_RSRC2:TIDIG_COMP_CNT: 0
; COMPUTE_PGM_RSRC3_GFX90A:ACCUM_OFFSET: 18
; COMPUTE_PGM_RSRC3_GFX90A:TG_SPLIT: 0
	.section	.text._ZN2at6native32elementwise_kernel_manual_unrollILi128ELi4EZNS0_15gpu_kernel_implIZZZNS0_33launch_standard_gamma_grad_kernelERNS_18TensorIteratorBaseEENKUlvE_clEvENKUlvE_clEvEUlddE_EEvS4_RKT_EUlibE_EEviT1_,"axG",@progbits,_ZN2at6native32elementwise_kernel_manual_unrollILi128ELi4EZNS0_15gpu_kernel_implIZZZNS0_33launch_standard_gamma_grad_kernelERNS_18TensorIteratorBaseEENKUlvE_clEvENKUlvE_clEvEUlddE_EEvS4_RKT_EUlibE_EEviT1_,comdat
	.globl	_ZN2at6native32elementwise_kernel_manual_unrollILi128ELi4EZNS0_15gpu_kernel_implIZZZNS0_33launch_standard_gamma_grad_kernelERNS_18TensorIteratorBaseEENKUlvE_clEvENKUlvE_clEvEUlddE_EEvS4_RKT_EUlibE_EEviT1_ ; -- Begin function _ZN2at6native32elementwise_kernel_manual_unrollILi128ELi4EZNS0_15gpu_kernel_implIZZZNS0_33launch_standard_gamma_grad_kernelERNS_18TensorIteratorBaseEENKUlvE_clEvENKUlvE_clEvEUlddE_EEvS4_RKT_EUlibE_EEviT1_
	.p2align	8
	.type	_ZN2at6native32elementwise_kernel_manual_unrollILi128ELi4EZNS0_15gpu_kernel_implIZZZNS0_33launch_standard_gamma_grad_kernelERNS_18TensorIteratorBaseEENKUlvE_clEvENKUlvE_clEvEUlddE_EEvS4_RKT_EUlibE_EEviT1_,@function
_ZN2at6native32elementwise_kernel_manual_unrollILi128ELi4EZNS0_15gpu_kernel_implIZZZNS0_33launch_standard_gamma_grad_kernelERNS_18TensorIteratorBaseEENKUlvE_clEvENKUlvE_clEvEUlddE_EEvS4_RKT_EUlibE_EEviT1_: ; @_ZN2at6native32elementwise_kernel_manual_unrollILi128ELi4EZNS0_15gpu_kernel_implIZZZNS0_33launch_standard_gamma_grad_kernelERNS_18TensorIteratorBaseEENKUlvE_clEvENKUlvE_clEvEUlddE_EEvS4_RKT_EUlibE_EEviT1_
; %bb.0:
	v_mov_b32_e32 v1, 0
	global_load_ushort v41, v1, s[4:5] offset:45
	global_load_sbyte v63, v1, s[4:5] offset:47
	s_add_u32 flat_scratch_lo, s6, s9
	s_addc_u32 flat_scratch_hi, s7, 0
	s_load_dword s33, s[4:5], 0x0
	s_load_dwordx4 s[76:79], s[4:5], 0x8
	s_load_dwordx2 s[34:35], s[4:5], 0x18
	s_load_dwordx4 s[28:31], s[4:5], 0x20
	v_lshl_or_b32 v62, s8, 9, v0
	s_add_u32 s0, s0, s9
	v_or_b32_e32 v0, 0x180, v62
	s_addc_u32 s1, s1, 0
	s_mov_b64 s[84:85], 0
	s_waitcnt lgkmcnt(0)
	v_cmp_le_i32_e32 vcc, s33, v0
	s_mov_b64 s[88:89], 0
	s_mov_b32 s32, 0
	s_waitcnt vmcnt(1)
	v_lshrrev_b32_e32 v60, 8, v41
	s_and_saveexec_b64 s[4:5], vcc
	s_xor_b64 s[86:87], exec, s[4:5]
	s_cbranch_execz .LBB160_1546
; %bb.1:
	v_cmp_gt_i32_e32 vcc, s33, v62
	s_mov_b64 s[4:5], -1
	s_mov_b64 s[74:75], 0
	s_mov_b64 s[92:93], 0
	;; [unrolled: 1-line block ×3, first 2 shown]
	s_and_saveexec_b64 s[80:81], vcc
	s_cbranch_execz .LBB160_381
; %bb.2:
	v_mul_lo_u32 v0, v62, s29
	v_ashrrev_i32_e32 v1, 31, v0
	v_mov_b32_e32 v3, s79
	v_add_co_u32_e32 v2, vcc, s78, v0
	v_mov_b32_e32 v0, 11
	v_addc_co_u32_e32 v3, vcc, v3, v1, vcc
	v_cmp_lt_i16_sdwa s[4:5], v60, v0 src0_sel:BYTE_0 src1_sel:DWORD
	s_and_b64 vcc, exec, s[4:5]
	s_cbranch_vccnz .LBB160_9
; %bb.3:
	v_mov_b32_e32 v0, 25
	v_cmp_gt_i16_sdwa s[4:5], v60, v0 src0_sel:BYTE_0 src1_sel:DWORD
	s_and_b64 vcc, exec, s[4:5]
	s_cbranch_vccz .LBB160_11
; %bb.4:
	v_mov_b32_e32 v0, 28
	v_cmp_gt_i16_sdwa s[4:5], v60, v0 src0_sel:BYTE_0 src1_sel:DWORD
	s_and_b64 vcc, exec, s[4:5]
	s_cbranch_vccz .LBB160_12
	;; [unrolled: 5-line block ×4, first 2 shown]
; %bb.7:
	v_mov_b32_e32 v0, 46
	v_cmp_eq_u16_sdwa s[4:5], v60, v0 src0_sel:BYTE_0 src1_sel:DWORD
	s_mov_b64 s[6:7], 0
	s_and_b64 vcc, exec, s[4:5]
	s_cbranch_vccz .LBB160_15
; %bb.8:
	global_load_dword v0, v[2:3], off
	s_mov_b64 s[4:5], -1
	s_mov_b64 s[82:83], 0
	s_waitcnt vmcnt(0)
	v_lshlrev_b32_e32 v0, 16, v0
	v_cvt_f64_f32_e32 v[0:1], v0
	s_branch .LBB160_17
.LBB160_9:
	s_mov_b64 s[82:83], 0
                                        ; implicit-def: $vgpr0_vgpr1
	s_mov_b64 s[4:5], 0
	s_cbranch_execnz .LBB160_81
.LBB160_10:
	s_andn2_b64 vcc, exec, s[4:5]
	s_cbranch_vccz .LBB160_128
	s_branch .LBB160_378
.LBB160_11:
	s_mov_b64 s[82:83], 0
	s_mov_b64 s[4:5], 0
                                        ; implicit-def: $vgpr0_vgpr1
	s_cbranch_execnz .LBB160_46
	s_branch .LBB160_80
.LBB160_12:
	s_mov_b64 s[6:7], -1
	s_mov_b64 s[82:83], 0
	s_mov_b64 s[4:5], 0
                                        ; implicit-def: $vgpr0_vgpr1
	s_branch .LBB160_27
.LBB160_13:
	s_mov_b64 s[6:7], -1
	s_mov_b64 s[82:83], 0
	s_mov_b64 s[4:5], 0
                                        ; implicit-def: $vgpr0_vgpr1
	s_branch .LBB160_22
.LBB160_14:
	s_mov_b64 s[6:7], -1
	s_mov_b64 s[82:83], 0
	s_branch .LBB160_16
.LBB160_15:
	s_mov_b64 s[82:83], -1
.LBB160_16:
	s_mov_b64 s[4:5], 0
                                        ; implicit-def: $vgpr0_vgpr1
.LBB160_17:
	s_and_b64 vcc, exec, s[6:7]
	s_cbranch_vccz .LBB160_21
; %bb.18:
	v_mov_b32_e32 v0, 44
	v_cmp_eq_u16_sdwa s[6:7], v60, v0 src0_sel:BYTE_0 src1_sel:DWORD
	s_and_b64 vcc, exec, s[6:7]
	s_cbranch_vccz .LBB160_20
; %bb.19:
	global_load_ubyte v4, v[2:3], off
	s_movk_i32 s6, 0xff
	v_bfrev_b32_e32 v5, 4
	v_mov_b32_e32 v6, 0x7ff80000
	v_bfrev_b32_e32 v7, 28
	s_mov_b64 s[4:5], -1
	s_mov_b64 s[82:83], 0
	s_waitcnt vmcnt(0)
	v_lshlrev_b32_e32 v0, 23, v4
	v_cvt_f64_f32_e32 v[0:1], v0
	v_cmp_ne_u32_e32 vcc, s6, v4
	v_cndmask_b32_e32 v0, v5, v0, vcc
	v_cndmask_b32_e32 v1, v6, v1, vcc
	v_cmp_ne_u32_e32 vcc, 0, v4
	v_cndmask_b32_e32 v1, v7, v1, vcc
	v_cndmask_b32_e32 v0, 0, v0, vcc
	s_branch .LBB160_21
.LBB160_20:
	s_mov_b64 s[82:83], -1
                                        ; implicit-def: $vgpr0_vgpr1
.LBB160_21:
	s_mov_b64 s[6:7], 0
.LBB160_22:
	s_and_b64 vcc, exec, s[6:7]
	s_cbranch_vccz .LBB160_26
; %bb.23:
	v_mov_b32_e32 v0, 29
	v_cmp_eq_u16_sdwa s[6:7], v60, v0 src0_sel:BYTE_0 src1_sel:DWORD
	s_and_b64 vcc, exec, s[6:7]
	s_cbranch_vccz .LBB160_25
; %bb.24:
	global_load_dwordx2 v[0:1], v[2:3], off
	s_mov_b64 s[4:5], -1
	s_mov_b64 s[82:83], 0
	s_mov_b64 s[6:7], 0
	s_waitcnt vmcnt(0)
	v_cvt_f64_u32_e32 v[4:5], v1
	v_cvt_f64_u32_e32 v[0:1], v0
	v_ldexp_f64 v[4:5], v[4:5], 32
	v_add_f64 v[0:1], v[4:5], v[0:1]
	s_branch .LBB160_27
.LBB160_25:
	s_mov_b64 s[82:83], -1
                                        ; implicit-def: $vgpr0_vgpr1
.LBB160_26:
	s_mov_b64 s[6:7], 0
.LBB160_27:
	s_and_b64 vcc, exec, s[6:7]
	s_cbranch_vccz .LBB160_45
; %bb.28:
	v_mov_b32_e32 v0, 27
	v_cmp_lt_i16_sdwa s[4:5], v60, v0 src0_sel:BYTE_0 src1_sel:DWORD
	s_and_b64 vcc, exec, s[4:5]
	s_cbranch_vccnz .LBB160_31
; %bb.29:
	v_cmp_gt_i16_sdwa s[4:5], v60, v0 src0_sel:BYTE_0 src1_sel:DWORD
	s_and_b64 vcc, exec, s[4:5]
	s_cbranch_vccz .LBB160_32
; %bb.30:
	global_load_dword v0, v[2:3], off
	s_mov_b64 s[4:5], 0
	s_waitcnt vmcnt(0)
	v_cvt_f64_u32_e32 v[0:1], v0
	s_branch .LBB160_33
.LBB160_31:
	s_mov_b64 s[4:5], -1
                                        ; implicit-def: $vgpr0_vgpr1
	s_branch .LBB160_36
.LBB160_32:
	s_mov_b64 s[4:5], -1
                                        ; implicit-def: $vgpr0_vgpr1
.LBB160_33:
	s_andn2_b64 vcc, exec, s[4:5]
	s_cbranch_vccnz .LBB160_35
; %bb.34:
	global_load_ushort v0, v[2:3], off
	s_waitcnt vmcnt(0)
	v_cvt_f64_u32_e32 v[0:1], v0
.LBB160_35:
	s_mov_b64 s[4:5], 0
.LBB160_36:
	s_andn2_b64 vcc, exec, s[4:5]
	s_cbranch_vccnz .LBB160_44
; %bb.37:
	global_load_ubyte v4, v[2:3], off
	s_movk_i32 s4, 0x7f
                                        ; implicit-def: $sgpr6_sgpr7
	s_waitcnt vmcnt(0)
	v_cmp_lt_i16_e32 vcc, s4, v4
	s_mov_b64 s[4:5], 0
	s_and_saveexec_b64 s[8:9], vcc
	s_xor_b64 s[8:9], exec, s[8:9]
	s_cbranch_execz .LBB160_57
; %bb.38:
	s_movk_i32 s4, 0x80
	v_cmp_eq_u16_e32 vcc, s4, v4
	s_mov_b64 s[10:11], -1
                                        ; implicit-def: $sgpr6_sgpr7
	s_and_saveexec_b64 s[4:5], vcc
; %bb.39:
	s_mov_b32 s7, 0x7ff80000
	s_brev_b32 s6, 4
	s_xor_b64 s[10:11], exec, -1
; %bb.40:
	s_or_b64 exec, exec, s[4:5]
	s_and_b64 s[4:5], s[10:11], exec
	s_or_saveexec_b64 s[8:9], s[8:9]
	v_pk_mov_b32 v[0:1], s[6:7], s[6:7] op_sel:[0,1]
	s_xor_b64 exec, exec, s[8:9]
	s_cbranch_execnz .LBB160_58
.LBB160_41:
	s_or_b64 exec, exec, s[8:9]
	s_and_saveexec_b64 s[6:7], s[4:5]
	s_cbranch_execz .LBB160_43
.LBB160_42:
	v_and_b32_e32 v1, 0xffff, v4
	v_lshlrev_b32_e32 v0, 24, v4
	v_and_b32_e32 v4, 7, v1
	v_ffbh_u32_e32 v6, v4
	v_min_u32_e32 v6, 32, v6
	v_subrev_u32_e32 v7, 28, v6
	v_bfe_u32 v5, v1, 3, 4
	v_lshlrev_b32_e32 v1, v7, v1
	v_sub_u32_e32 v6, 29, v6
	v_and_b32_e32 v1, 7, v1
	v_cmp_eq_u32_e32 vcc, 0, v5
	v_cndmask_b32_e32 v5, v5, v6, vcc
	v_cndmask_b32_e32 v1, v4, v1, vcc
	v_mov_b32_e32 v4, 0x3b800000
	v_lshlrev_b32_e32 v1, 20, v1
	v_and_b32_e32 v0, 0x80000000, v0
	v_lshl_add_u32 v4, v5, 23, v4
	v_or3_b32 v0, v0, v4, v1
	v_cvt_f64_f32_e32 v[0:1], v0
.LBB160_43:
	s_or_b64 exec, exec, s[6:7]
.LBB160_44:
	s_mov_b64 s[4:5], -1
.LBB160_45:
	s_branch .LBB160_80
.LBB160_46:
	v_mov_b32_e32 v0, 22
	v_cmp_gt_i16_sdwa s[6:7], v60, v0 src0_sel:BYTE_0 src1_sel:DWORD
	s_and_b64 vcc, exec, s[6:7]
	s_cbranch_vccz .LBB160_56
; %bb.47:
	v_mov_b32_e32 v0, 24
	v_cmp_lt_i16_sdwa s[4:5], v60, v0 src0_sel:BYTE_0 src1_sel:DWORD
	s_and_b64 vcc, exec, s[4:5]
	s_cbranch_vccnz .LBB160_59
; %bb.48:
	v_cmp_gt_i16_sdwa s[4:5], v60, v0 src0_sel:BYTE_0 src1_sel:DWORD
	s_and_b64 vcc, exec, s[4:5]
	s_cbranch_vccz .LBB160_60
; %bb.49:
	global_load_ubyte v4, v[2:3], off
	s_movk_i32 s4, 0x7f
                                        ; implicit-def: $sgpr6_sgpr7
	s_waitcnt vmcnt(0)
	v_cmp_lt_i16_e32 vcc, s4, v4
	s_mov_b64 s[4:5], 0
	s_and_saveexec_b64 s[8:9], vcc
	s_xor_b64 s[8:9], exec, s[8:9]
	s_cbranch_execz .LBB160_72
; %bb.50:
	s_movk_i32 s4, 0x80
	v_cmp_eq_u16_e32 vcc, s4, v4
	s_mov_b64 s[10:11], -1
                                        ; implicit-def: $sgpr6_sgpr7
	s_and_saveexec_b64 s[4:5], vcc
; %bb.51:
	s_mov_b32 s7, 0x7ff80000
	s_brev_b32 s6, 4
	s_xor_b64 s[10:11], exec, -1
; %bb.52:
	s_or_b64 exec, exec, s[4:5]
	s_and_b64 s[4:5], s[10:11], exec
	s_or_saveexec_b64 s[8:9], s[8:9]
	v_pk_mov_b32 v[0:1], s[6:7], s[6:7] op_sel:[0,1]
	s_xor_b64 exec, exec, s[8:9]
	s_cbranch_execnz .LBB160_73
.LBB160_53:
	s_or_b64 exec, exec, s[8:9]
	s_and_saveexec_b64 s[6:7], s[4:5]
	s_cbranch_execz .LBB160_55
.LBB160_54:
	v_and_b32_e32 v1, 0xffff, v4
	v_lshlrev_b32_e32 v0, 24, v4
	v_and_b32_e32 v4, 3, v1
	v_ffbh_u32_e32 v6, v4
	v_min_u32_e32 v6, 32, v6
	v_subrev_u32_e32 v7, 29, v6
	v_bfe_u32 v5, v1, 2, 5
	v_lshlrev_b32_e32 v1, v7, v1
	v_sub_u32_e32 v6, 30, v6
	v_and_b32_e32 v1, 3, v1
	v_cmp_eq_u32_e32 vcc, 0, v5
	v_cndmask_b32_e32 v5, v5, v6, vcc
	v_cndmask_b32_e32 v1, v4, v1, vcc
	v_mov_b32_e32 v4, 0x37800000
	v_lshlrev_b32_e32 v1, 21, v1
	v_and_b32_e32 v0, 0x80000000, v0
	v_lshl_add_u32 v4, v5, 23, v4
	v_or3_b32 v0, v0, v4, v1
	v_cvt_f64_f32_e32 v[0:1], v0
.LBB160_55:
	s_or_b64 exec, exec, s[6:7]
	s_mov_b64 s[4:5], 0
	s_branch .LBB160_61
.LBB160_56:
	s_mov_b64 s[6:7], -1
                                        ; implicit-def: $vgpr0_vgpr1
	s_branch .LBB160_67
.LBB160_57:
	s_or_saveexec_b64 s[8:9], s[8:9]
	v_pk_mov_b32 v[0:1], s[6:7], s[6:7] op_sel:[0,1]
	s_xor_b64 exec, exec, s[8:9]
	s_cbranch_execz .LBB160_41
.LBB160_58:
	v_cmp_ne_u16_e32 vcc, 0, v4
	s_andn2_b64 s[4:5], s[4:5], exec
	s_and_b64 s[6:7], vcc, exec
	v_pk_mov_b32 v[0:1], 0, 0
	s_or_b64 s[4:5], s[4:5], s[6:7]
	s_or_b64 exec, exec, s[8:9]
	s_and_saveexec_b64 s[6:7], s[4:5]
	s_cbranch_execnz .LBB160_42
	s_branch .LBB160_43
.LBB160_59:
	s_mov_b64 s[4:5], -1
                                        ; implicit-def: $vgpr0_vgpr1
	s_branch .LBB160_64
.LBB160_60:
	s_mov_b64 s[4:5], -1
                                        ; implicit-def: $vgpr0_vgpr1
.LBB160_61:
	s_and_b64 vcc, exec, s[4:5]
	s_cbranch_vccz .LBB160_63
; %bb.62:
	global_load_ubyte v0, v[2:3], off
	s_mov_b32 s4, 0x7f800000
	s_waitcnt vmcnt(0)
	v_lshlrev_b32_e32 v0, 24, v0
	v_and_b32_e32 v1, 0x7f000000, v0
	v_ffbh_u32_e32 v4, v1
	v_min_u32_e32 v4, 32, v4
	v_sub_u32_e64 v4, v4, 4 clamp
	v_lshlrev_b32_e32 v6, v4, v1
	v_lshlrev_b32_e32 v4, 23, v4
	v_lshrrev_b32_e32 v6, 4, v6
	v_add_u32_e32 v5, 0x1000000, v1
	v_sub_u32_e32 v4, v6, v4
	v_ashrrev_i32_e32 v5, 8, v5
	v_add_u32_e32 v4, 0x3c000000, v4
	v_and_or_b32 v4, v5, s4, v4
	v_cmp_ne_u32_e32 vcc, 0, v1
	v_cndmask_b32_e32 v1, 0, v4, vcc
	s_brev_b32 s4, 1
	v_and_or_b32 v0, v0, s4, v1
	v_cvt_f64_f32_e32 v[0:1], v0
.LBB160_63:
	s_mov_b64 s[4:5], 0
.LBB160_64:
	s_andn2_b64 vcc, exec, s[4:5]
	s_cbranch_vccnz .LBB160_66
; %bb.65:
	global_load_ubyte v0, v[2:3], off
	s_movk_i32 s4, 0x7f00
	s_brev_b32 s5, 16
	s_waitcnt vmcnt(0)
	v_lshlrev_b16_e32 v1, 8, v0
	v_lshlrev_b32_e32 v0, 25, v0
	v_lshrrev_b32_e32 v4, 4, v0
	v_and_or_b32 v5, v1, s4, 0.5
	v_or_b32_e32 v4, 0x70000000, v4
	v_add_f32_e32 v5, -0.5, v5
	v_mul_f32_e32 v4, 0x7800000, v4
	v_cmp_gt_u32_e32 vcc, s5, v0
	v_bfe_i32 v1, v1, 0, 16
	v_cndmask_b32_e32 v0, v4, v5, vcc
	s_brev_b32 s4, 1
	v_and_or_b32 v0, v1, s4, v0
	v_cvt_f64_f32_e32 v[0:1], v0
.LBB160_66:
	s_mov_b64 s[6:7], 0
	s_mov_b64 s[4:5], -1
.LBB160_67:
	s_andn2_b64 vcc, exec, s[6:7]
	s_cbranch_vccnz .LBB160_80
; %bb.68:
	v_mov_b32_e32 v0, 14
	v_cmp_gt_i16_sdwa s[6:7], v60, v0 src0_sel:BYTE_0 src1_sel:DWORD
	s_and_b64 vcc, exec, s[6:7]
	s_cbranch_vccz .LBB160_71
; %bb.69:
	v_mov_b32_e32 v0, 15
	v_cmp_eq_u16_sdwa s[6:7], v60, v0 src0_sel:BYTE_0 src1_sel:DWORD
	s_and_b64 vcc, exec, s[6:7]
	s_cbranch_vccz .LBB160_74
; %bb.70:
	global_load_ushort v0, v[2:3], off
	s_mov_b64 s[4:5], -1
	s_mov_b64 s[82:83], 0
	s_waitcnt vmcnt(0)
	v_lshlrev_b32_e32 v0, 16, v0
	v_cvt_f64_f32_e32 v[0:1], v0
	s_branch .LBB160_75
.LBB160_71:
	s_mov_b64 s[6:7], -1
                                        ; implicit-def: $vgpr0_vgpr1
	s_branch .LBB160_76
.LBB160_72:
	s_or_saveexec_b64 s[8:9], s[8:9]
	v_pk_mov_b32 v[0:1], s[6:7], s[6:7] op_sel:[0,1]
	s_xor_b64 exec, exec, s[8:9]
	s_cbranch_execz .LBB160_53
.LBB160_73:
	v_cmp_ne_u16_e32 vcc, 0, v4
	s_andn2_b64 s[4:5], s[4:5], exec
	s_and_b64 s[6:7], vcc, exec
	v_pk_mov_b32 v[0:1], 0, 0
	s_or_b64 s[4:5], s[4:5], s[6:7]
	s_or_b64 exec, exec, s[8:9]
	s_and_saveexec_b64 s[6:7], s[4:5]
	s_cbranch_execnz .LBB160_54
	s_branch .LBB160_55
.LBB160_74:
	s_mov_b64 s[82:83], -1
                                        ; implicit-def: $vgpr0_vgpr1
.LBB160_75:
	s_mov_b64 s[6:7], 0
.LBB160_76:
	s_and_b64 vcc, exec, s[6:7]
	s_cbranch_vccz .LBB160_80
; %bb.77:
	v_mov_b32_e32 v0, 11
	v_cmp_eq_u16_sdwa s[6:7], v60, v0 src0_sel:BYTE_0 src1_sel:DWORD
	s_and_b64 vcc, exec, s[6:7]
	s_cbranch_vccz .LBB160_79
; %bb.78:
	global_load_ubyte v1, v[2:3], off
	v_mov_b32_e32 v4, 0x3ff00000
	v_mov_b32_e32 v0, 0
	s_mov_b64 s[4:5], -1
	s_mov_b64 s[82:83], 0
	s_waitcnt vmcnt(0)
	v_cmp_ne_u16_e32 vcc, 0, v1
	v_cndmask_b32_e32 v1, 0, v4, vcc
	s_branch .LBB160_80
.LBB160_79:
	s_mov_b64 s[82:83], -1
                                        ; implicit-def: $vgpr0_vgpr1
.LBB160_80:
	s_branch .LBB160_10
.LBB160_81:
	v_mov_b32_e32 v0, 5
	v_cmp_lt_i16_sdwa s[4:5], v60, v0 src0_sel:BYTE_0 src1_sel:DWORD
	s_and_b64 vcc, exec, s[4:5]
	s_cbranch_vccnz .LBB160_86
; %bb.82:
	v_mov_b32_e32 v0, 8
	v_cmp_lt_i16_sdwa s[4:5], v60, v0 src0_sel:BYTE_0 src1_sel:DWORD
	s_and_b64 vcc, exec, s[4:5]
	s_cbranch_vccnz .LBB160_87
; %bb.83:
	;; [unrolled: 5-line block ×3, first 2 shown]
	v_cmp_gt_i16_sdwa s[4:5], v60, v0 src0_sel:BYTE_0 src1_sel:DWORD
	s_and_b64 vcc, exec, s[4:5]
	s_cbranch_vccz .LBB160_89
; %bb.85:
	global_load_dwordx2 v[0:1], v[2:3], off
	s_mov_b64 s[4:5], 0
	s_branch .LBB160_90
.LBB160_86:
                                        ; implicit-def: $vgpr0_vgpr1
	s_branch .LBB160_108
.LBB160_87:
	s_mov_b64 s[4:5], -1
                                        ; implicit-def: $vgpr0_vgpr1
	s_branch .LBB160_96
.LBB160_88:
	s_mov_b64 s[4:5], -1
                                        ; implicit-def: $vgpr0_vgpr1
	s_branch .LBB160_93
.LBB160_89:
	s_mov_b64 s[4:5], -1
                                        ; implicit-def: $vgpr0_vgpr1
.LBB160_90:
	s_andn2_b64 vcc, exec, s[4:5]
	s_cbranch_vccnz .LBB160_92
; %bb.91:
	global_load_dword v0, v[2:3], off
	s_waitcnt vmcnt(0)
	v_cvt_f64_f32_e32 v[0:1], v0
.LBB160_92:
	s_mov_b64 s[4:5], 0
.LBB160_93:
	s_andn2_b64 vcc, exec, s[4:5]
	s_cbranch_vccnz .LBB160_95
; %bb.94:
	global_load_dword v0, v[2:3], off
	s_waitcnt vmcnt(0)
	v_cvt_f32_f16_e32 v0, v0
	v_cvt_f64_f32_e32 v[0:1], v0
.LBB160_95:
	s_mov_b64 s[4:5], 0
.LBB160_96:
	s_andn2_b64 vcc, exec, s[4:5]
	s_cbranch_vccnz .LBB160_107
; %bb.97:
	s_waitcnt vmcnt(0)
	v_mov_b32_e32 v0, 6
	v_cmp_lt_i16_sdwa s[4:5], v60, v0 src0_sel:BYTE_0 src1_sel:DWORD
	s_and_b64 vcc, exec, s[4:5]
	s_cbranch_vccnz .LBB160_100
; %bb.98:
	v_cmp_gt_i16_sdwa s[4:5], v60, v0 src0_sel:BYTE_0 src1_sel:DWORD
	s_and_b64 vcc, exec, s[4:5]
	s_cbranch_vccz .LBB160_101
; %bb.99:
	global_load_dwordx2 v[0:1], v[2:3], off
	s_mov_b64 s[4:5], 0
	s_branch .LBB160_102
.LBB160_100:
	s_mov_b64 s[4:5], -1
                                        ; implicit-def: $vgpr0_vgpr1
	s_branch .LBB160_105
.LBB160_101:
	s_mov_b64 s[4:5], -1
                                        ; implicit-def: $vgpr0_vgpr1
.LBB160_102:
	s_andn2_b64 vcc, exec, s[4:5]
	s_cbranch_vccnz .LBB160_104
; %bb.103:
	global_load_dword v0, v[2:3], off
	s_waitcnt vmcnt(0)
	v_cvt_f64_f32_e32 v[0:1], v0
.LBB160_104:
	s_mov_b64 s[4:5], 0
.LBB160_105:
	s_andn2_b64 vcc, exec, s[4:5]
	s_cbranch_vccnz .LBB160_107
; %bb.106:
	global_load_ushort v0, v[2:3], off
	s_waitcnt vmcnt(0)
	v_cvt_f32_f16_e32 v0, v0
	v_cvt_f64_f32_e32 v[0:1], v0
.LBB160_107:
	s_cbranch_execnz .LBB160_127
.LBB160_108:
	s_waitcnt vmcnt(0)
	v_mov_b32_e32 v0, 2
	v_cmp_lt_i16_sdwa s[4:5], v60, v0 src0_sel:BYTE_0 src1_sel:DWORD
	s_and_b64 vcc, exec, s[4:5]
	s_cbranch_vccnz .LBB160_112
; %bb.109:
	v_mov_b32_e32 v0, 3
	v_cmp_lt_i16_sdwa s[4:5], v60, v0 src0_sel:BYTE_0 src1_sel:DWORD
	s_and_b64 vcc, exec, s[4:5]
	s_cbranch_vccnz .LBB160_113
; %bb.110:
	v_cmp_gt_i16_sdwa s[4:5], v60, v0 src0_sel:BYTE_0 src1_sel:DWORD
	s_and_b64 vcc, exec, s[4:5]
	s_cbranch_vccz .LBB160_114
; %bb.111:
	global_load_dwordx2 v[0:1], v[2:3], off
	s_mov_b64 s[4:5], 0
	s_waitcnt vmcnt(0)
	v_cvt_f64_i32_e32 v[4:5], v1
	v_cvt_f64_u32_e32 v[0:1], v0
	v_ldexp_f64 v[4:5], v[4:5], 32
	v_add_f64 v[0:1], v[4:5], v[0:1]
	s_branch .LBB160_115
.LBB160_112:
	s_mov_b64 s[4:5], -1
                                        ; implicit-def: $vgpr0_vgpr1
	s_branch .LBB160_121
.LBB160_113:
	s_mov_b64 s[4:5], -1
                                        ; implicit-def: $vgpr0_vgpr1
	s_branch .LBB160_118
.LBB160_114:
	s_mov_b64 s[4:5], -1
                                        ; implicit-def: $vgpr0_vgpr1
.LBB160_115:
	s_andn2_b64 vcc, exec, s[4:5]
	s_cbranch_vccnz .LBB160_117
; %bb.116:
	global_load_dword v0, v[2:3], off
	s_waitcnt vmcnt(0)
	v_cvt_f64_i32_e32 v[0:1], v0
.LBB160_117:
	s_mov_b64 s[4:5], 0
.LBB160_118:
	s_andn2_b64 vcc, exec, s[4:5]
	s_cbranch_vccnz .LBB160_120
; %bb.119:
	global_load_sshort v0, v[2:3], off
	s_waitcnt vmcnt(0)
	v_cvt_f64_i32_e32 v[0:1], v0
.LBB160_120:
	s_mov_b64 s[4:5], 0
.LBB160_121:
	s_andn2_b64 vcc, exec, s[4:5]
	s_cbranch_vccnz .LBB160_127
; %bb.122:
	v_mov_b32_e32 v0, 0
	v_cmp_gt_i16_sdwa s[4:5], v60, v0 src0_sel:BYTE_0 src1_sel:DWORD
	s_and_b64 vcc, exec, s[4:5]
	s_cbranch_vccz .LBB160_124
; %bb.123:
	global_load_sbyte v0, v[2:3], off
	s_mov_b64 s[4:5], 0
	s_waitcnt vmcnt(0)
	v_cvt_f64_i32_e32 v[0:1], v0
	s_branch .LBB160_125
.LBB160_124:
	s_mov_b64 s[4:5], -1
                                        ; implicit-def: $vgpr0_vgpr1
.LBB160_125:
	s_andn2_b64 vcc, exec, s[4:5]
	s_cbranch_vccnz .LBB160_127
; %bb.126:
	global_load_ubyte v0, v[2:3], off
	s_waitcnt vmcnt(0)
	v_cvt_f64_u32_e32 v[0:1], v0
.LBB160_127:
.LBB160_128:
	v_mul_lo_u32 v2, v62, s30
	v_ashrrev_i32_e32 v3, 31, v2
	v_mov_b32_e32 v5, s35
	v_add_co_u32_e32 v4, vcc, s34, v2
	v_mov_b32_e32 v2, 11
	v_addc_co_u32_e32 v5, vcc, v5, v3, vcc
	s_waitcnt vmcnt(0)
	v_cmp_lt_i16_sdwa s[4:5], v63, v2 src0_sel:BYTE_0 src1_sel:DWORD
	s_and_b64 vcc, exec, s[4:5]
	s_cbranch_vccnz .LBB160_135
; %bb.129:
	v_mov_b32_e32 v2, 25
	v_cmp_gt_i16_sdwa s[4:5], v63, v2 src0_sel:BYTE_0 src1_sel:DWORD
	s_and_b64 vcc, exec, s[4:5]
	s_cbranch_vccz .LBB160_144
; %bb.130:
	v_mov_b32_e32 v2, 28
	v_cmp_gt_i16_sdwa s[4:5], v63, v2 src0_sel:BYTE_0 src1_sel:DWORD
	s_and_b64 vcc, exec, s[4:5]
	s_cbranch_vccz .LBB160_146
	;; [unrolled: 5-line block ×4, first 2 shown]
; %bb.133:
	v_mov_b32_e32 v2, 46
	v_cmp_eq_u16_sdwa s[4:5], v63, v2 src0_sel:BYTE_0 src1_sel:DWORD
	s_mov_b64 s[6:7], 0
	s_and_b64 vcc, exec, s[4:5]
	s_cbranch_vccz .LBB160_152
; %bb.134:
	global_load_dword v2, v[4:5], off
	s_mov_b64 s[4:5], -1
	s_waitcnt vmcnt(0)
	v_lshlrev_b32_e32 v2, 16, v2
	v_cvt_f64_f32_e32 v[2:3], v2
	s_branch .LBB160_154
.LBB160_135:
                                        ; implicit-def: $vgpr2_vgpr3
	s_mov_b64 s[4:5], 0
	s_cbranch_execnz .LBB160_330
.LBB160_136:
	s_andn2_b64 vcc, exec, s[4:5]
	s_cbranch_vccnz .LBB160_378
.LBB160_137:
	s_mov_b32 s94, s30
	s_mov_b64 s[88:89], s[86:87]
	s_mov_b64 s[86:87], s[34:35]
	s_getpc_b64 s[4:5]
	s_add_u32 s4, s4, _ZZZZN2at6native33launch_standard_gamma_grad_kernelERNS_18TensorIteratorBaseEENKUlvE_clEvENKUlvE_clEvENKUlddE_clEdd@rel32@lo+4
	s_addc_u32 s5, s5, _ZZZZN2at6native33launch_standard_gamma_grad_kernelERNS_18TensorIteratorBaseEENKUlvE_clEvENKUlvE_clEvENKUlddE_clEdd@rel32@hi+12
	s_mov_b64 s[92:93], s[28:29]
	s_swappc_b64 s[30:31], s[4:5]
	s_mov_b64 s[28:29], s[92:93]
	v_mul_lo_u32 v2, v62, s28
	v_ashrrev_i32_e32 v3, 31, v2
	v_mov_b32_e32 v5, s77
	v_add_co_u32_e32 v4, vcc, s76, v2
	v_mov_b32_e32 v2, 11
	v_addc_co_u32_e32 v5, vcc, v5, v3, vcc
	v_cmp_lt_i16_sdwa s[4:5], v41, v2 src0_sel:BYTE_0 src1_sel:DWORD
	s_mov_b32 s30, s94
	s_and_b64 vcc, exec, s[4:5]
	s_cbranch_vccnz .LBB160_145
; %bb.138:
	v_mov_b32_e32 v2, 25
	v_cmp_gt_i16_sdwa s[4:5], v41, v2 src0_sel:BYTE_0 src1_sel:DWORD
	s_and_b64 vcc, exec, s[4:5]
	s_cbranch_vccz .LBB160_147
; %bb.139:
	v_mov_b32_e32 v2, 28
	v_cmp_gt_i16_sdwa s[4:5], v41, v2 src0_sel:BYTE_0 src1_sel:DWORD
	s_and_b64 vcc, exec, s[4:5]
	s_mov_b64 s[34:35], s[86:87]
	s_cbranch_vccz .LBB160_149
; %bb.140:
	v_mov_b32_e32 v2, 43
	v_cmp_gt_i16_sdwa s[4:5], v41, v2 src0_sel:BYTE_0 src1_sel:DWORD
	s_and_b64 vcc, exec, s[4:5]
	s_mov_b64 s[86:87], s[88:89]
	s_cbranch_vccz .LBB160_151
; %bb.141:
	v_mov_b32_e32 v2, 45
	v_cmp_gt_i16_sdwa s[4:5], v41, v2 src0_sel:BYTE_0 src1_sel:DWORD
	s_and_b64 vcc, exec, s[4:5]
	s_cbranch_vccz .LBB160_157
; %bb.142:
	v_mov_b32_e32 v2, 46
	v_cmp_eq_u16_sdwa s[6:7], v41, v2 src0_sel:BYTE_0 src1_sel:DWORD
	s_mov_b64 s[8:9], 0
	s_mov_b64 s[4:5], -1
	s_and_b64 vcc, exec, s[6:7]
	s_mov_b64 s[6:7], 0
	s_cbranch_vccz .LBB160_158
; %bb.143:
	v_cvt_f32_f64_e32 v2, v[0:1]
	v_bfe_u32 v3, v2, 16, 1
	s_movk_i32 s4, 0x7fff
	v_add3_u32 v3, v2, v3, s4
	v_lshrrev_b32_e32 v3, 16, v3
	v_mov_b32_e32 v6, 0x7fc0
	v_cmp_o_f32_e32 vcc, v2, v2
	v_cndmask_b32_e32 v2, v6, v3, vcc
	global_store_dword v[4:5], v2, off
	s_mov_b64 s[6:7], -1
	s_mov_b64 s[4:5], 0
	s_branch .LBB160_158
.LBB160_144:
	s_mov_b64 s[6:7], -1
	s_mov_b64 s[4:5], 0
                                        ; implicit-def: $vgpr2_vgpr3
	s_branch .LBB160_294
.LBB160_145:
	s_mov_b64 s[8:9], -1
	s_mov_b64 s[4:5], 0
	s_mov_b64 s[6:7], 0
	;; [unrolled: 1-line block ×4, first 2 shown]
	s_branch .LBB160_227
.LBB160_146:
	s_mov_b64 s[6:7], -1
	s_mov_b64 s[4:5], 0
                                        ; implicit-def: $vgpr2_vgpr3
	s_branch .LBB160_275
.LBB160_147:
	s_mov_b64 s[8:9], -1
	s_mov_b64 s[4:5], 0
	s_mov_b64 s[6:7], 0
	;; [unrolled: 1-line block ×4, first 2 shown]
	s_branch .LBB160_185
.LBB160_148:
	s_mov_b64 s[6:7], -1
	s_mov_b64 s[4:5], 0
                                        ; implicit-def: $vgpr2_vgpr3
	s_branch .LBB160_270
.LBB160_149:
	s_mov_b64 s[8:9], -1
	s_mov_b64 s[4:5], 0
	s_mov_b64 s[6:7], 0
	;; [unrolled: 1-line block ×3, first 2 shown]
	s_branch .LBB160_168
.LBB160_150:
	s_mov_b64 s[6:7], -1
	s_branch .LBB160_153
.LBB160_151:
	s_mov_b64 s[8:9], -1
	s_mov_b64 s[4:5], 0
	s_mov_b64 s[6:7], 0
	s_branch .LBB160_164
.LBB160_152:
	s_mov_b64 s[90:91], -1
.LBB160_153:
	s_mov_b64 s[4:5], 0
                                        ; implicit-def: $vgpr2_vgpr3
.LBB160_154:
	s_and_b64 vcc, exec, s[6:7]
	s_cbranch_vccz .LBB160_269
; %bb.155:
	v_mov_b32_e32 v2, 44
	v_cmp_eq_u16_sdwa s[6:7], v63, v2 src0_sel:BYTE_0 src1_sel:DWORD
	s_and_b64 vcc, exec, s[6:7]
	s_cbranch_vccz .LBB160_268
; %bb.156:
	global_load_ubyte v6, v[4:5], off
	s_movk_i32 s6, 0xff
	v_bfrev_b32_e32 v7, 4
	v_mov_b32_e32 v8, 0x7ff80000
	v_bfrev_b32_e32 v9, 28
	s_mov_b64 s[4:5], -1
	s_mov_b64 s[90:91], 0
	s_waitcnt vmcnt(0)
	v_lshlrev_b32_e32 v2, 23, v6
	v_cvt_f64_f32_e32 v[2:3], v2
	v_cmp_ne_u32_e32 vcc, s6, v6
	v_cndmask_b32_e32 v2, v7, v2, vcc
	v_cndmask_b32_e32 v3, v8, v3, vcc
	v_cmp_ne_u32_e32 vcc, 0, v6
	v_cndmask_b32_e32 v3, v9, v3, vcc
	v_cndmask_b32_e32 v2, 0, v2, vcc
	s_branch .LBB160_269
.LBB160_157:
	s_mov_b64 s[8:9], -1
	s_mov_b64 s[4:5], 0
	s_mov_b64 s[6:7], 0
.LBB160_158:
	s_and_b64 vcc, exec, s[8:9]
	s_cbranch_vccz .LBB160_163
; %bb.159:
	v_mov_b32_e32 v2, 44
	v_cmp_eq_u16_sdwa s[8:9], v41, v2 src0_sel:BYTE_0 src1_sel:DWORD
	s_mov_b64 s[4:5], -1
	s_and_b64 vcc, exec, s[8:9]
	s_cbranch_vccz .LBB160_163
; %bb.160:
	v_cvt_f32_f64_e32 v2, v[0:1]
	v_bfe_u32 v3, v2, 23, 8
	s_movk_i32 s4, 0xff
	v_cmp_ne_u32_e32 vcc, s4, v3
	v_mov_b32_e32 v6, 0xff
	s_and_saveexec_b64 s[6:7], vcc
; %bb.161:
	s_mov_b32 s4, 0x3fffff
	v_lshrrev_b32_e32 v6, 23, v2
	v_and_b32_e32 v7, 0x400000, v2
	v_and_or_b32 v2, v2, s4, v3
	v_cmp_ne_u32_e32 vcc, 0, v7
	v_cmp_ne_u32_e64 s[4:5], 0, v2
	s_and_b64 s[4:5], vcc, s[4:5]
	v_cndmask_b32_e64 v2, 0, 1, s[4:5]
	v_add_u32_e32 v6, v6, v2
; %bb.162:
	s_or_b64 exec, exec, s[6:7]
	s_mov_b64 s[6:7], -1
	s_mov_b64 s[4:5], 0
	global_store_byte v[4:5], v6, off
.LBB160_163:
	s_mov_b64 s[8:9], 0
.LBB160_164:
	s_and_b64 vcc, exec, s[8:9]
	s_cbranch_vccz .LBB160_167
; %bb.165:
	v_mov_b32_e32 v2, 29
	v_cmp_eq_u16_sdwa s[8:9], v41, v2 src0_sel:BYTE_0 src1_sel:DWORD
	s_mov_b64 s[4:5], -1
	s_and_b64 vcc, exec, s[8:9]
	s_cbranch_vccz .LBB160_167
; %bb.166:
	v_trunc_f64_e32 v[2:3], v[0:1]
	s_movk_i32 s4, 0xffe0
	v_ldexp_f64 v[6:7], v[2:3], s4
	v_floor_f64_e32 v[6:7], v[6:7]
	v_fmac_f64_e32 v[2:3], 0xc1f00000, v[6:7]
	v_cvt_u32_f64_e32 v9, v[6:7]
	v_cvt_u32_f64_e32 v8, v[2:3]
	global_store_dwordx2 v[4:5], v[8:9], off
	s_mov_b64 s[6:7], -1
	s_mov_b64 s[4:5], 0
.LBB160_167:
	s_mov_b64 s[8:9], 0
.LBB160_168:
	s_and_b64 vcc, exec, s[8:9]
	s_cbranch_vccz .LBB160_184
; %bb.169:
	v_mov_b32_e32 v2, 27
	v_cmp_lt_i16_sdwa s[8:9], v41, v2 src0_sel:BYTE_0 src1_sel:DWORD
	s_mov_b64 s[6:7], -1
	s_and_b64 vcc, exec, s[8:9]
	s_cbranch_vccnz .LBB160_175
; %bb.170:
	v_cmp_gt_i16_sdwa s[8:9], v41, v2 src0_sel:BYTE_0 src1_sel:DWORD
	s_and_b64 vcc, exec, s[8:9]
	v_cvt_u32_f64_e32 v2, v[0:1]
	s_cbranch_vccz .LBB160_172
; %bb.171:
	s_mov_b64 s[6:7], 0
	global_store_dword v[4:5], v2, off
.LBB160_172:
	s_andn2_b64 vcc, exec, s[6:7]
	s_cbranch_vccnz .LBB160_174
; %bb.173:
	global_store_short v[4:5], v2, off
.LBB160_174:
	s_mov_b64 s[6:7], 0
.LBB160_175:
	s_andn2_b64 vcc, exec, s[6:7]
	s_cbranch_vccnz .LBB160_183
; %bb.176:
	v_cvt_f32_f64_e32 v2, v[0:1]
	v_and_b32_e32 v3, 0x7fffffff, v2
	s_mov_b32 s6, 0x43800000
	v_cmp_gt_u32_e32 vcc, s6, v3
	v_mov_b32_e32 v6, 0x80
	s_and_saveexec_b64 s[6:7], vcc
	s_cbranch_execz .LBB160_182
; %bb.177:
	s_mov_b32 s8, 0x3bffffff
	v_cmp_lt_u32_e32 vcc, s8, v3
	s_mov_b64 s[8:9], 0
                                        ; implicit-def: $vgpr3
	s_and_saveexec_b64 s[10:11], vcc
	s_xor_b64 s[10:11], exec, s[10:11]
	s_cbranch_execz .LBB160_410
; %bb.178:
	v_bfe_u32 v3, v2, 20, 1
	s_mov_b32 s12, 0x487ffff
	v_add3_u32 v3, v2, v3, s12
	s_mov_b64 s[8:9], exec
	v_lshrrev_b32_e32 v3, 20, v3
	s_or_saveexec_b64 s[10:11], s[10:11]
                                        ; implicit-def: $sgpr12
	s_xor_b64 exec, exec, s[10:11]
	s_cbranch_execnz .LBB160_411
.LBB160_179:
	s_or_b64 exec, exec, s[10:11]
	v_mov_b32_e32 v6, s12
	s_and_saveexec_b64 s[10:11], s[8:9]
.LBB160_180:
	v_lshrrev_b32_e32 v2, 24, v2
	s_movk_i32 s8, 0x80
	v_and_or_b32 v6, v2, s8, v3
.LBB160_181:
	s_or_b64 exec, exec, s[10:11]
.LBB160_182:
	s_or_b64 exec, exec, s[6:7]
	global_store_byte v[4:5], v6, off
.LBB160_183:
	s_mov_b64 s[6:7], -1
.LBB160_184:
	s_mov_b64 s[8:9], 0
.LBB160_185:
	s_and_b64 vcc, exec, s[8:9]
	s_cbranch_vccz .LBB160_226
; %bb.186:
	v_mov_b32_e32 v2, 22
	v_cmp_gt_i16_sdwa s[10:11], v41, v2 src0_sel:BYTE_0 src1_sel:DWORD
	s_mov_b64 s[8:9], -1
	s_and_b64 vcc, exec, s[10:11]
	s_cbranch_vccz .LBB160_218
; %bb.187:
	v_mov_b32_e32 v2, 24
	v_cmp_lt_i16_sdwa s[8:9], v41, v2 src0_sel:BYTE_0 src1_sel:DWORD
	s_mov_b64 s[6:7], -1
	s_and_b64 vcc, exec, s[8:9]
	s_cbranch_vccnz .LBB160_207
; %bb.188:
	v_cmp_gt_i16_sdwa s[8:9], v41, v2 src0_sel:BYTE_0 src1_sel:DWORD
	s_and_b64 vcc, exec, s[8:9]
	s_cbranch_vccz .LBB160_196
; %bb.189:
	v_cvt_f32_f64_e32 v2, v[0:1]
	v_and_b32_e32 v3, 0x7fffffff, v2
	s_mov_b32 s6, 0x47800000
	v_cmp_gt_u32_e32 vcc, s6, v3
	v_mov_b32_e32 v6, 0x80
	s_and_saveexec_b64 s[6:7], vcc
	s_cbranch_execz .LBB160_195
; %bb.190:
	s_mov_b32 s8, 0x37ffffff
	v_cmp_lt_u32_e32 vcc, s8, v3
	s_mov_b64 s[8:9], 0
                                        ; implicit-def: $vgpr3
	s_and_saveexec_b64 s[10:11], vcc
	s_xor_b64 s[10:11], exec, s[10:11]
	s_cbranch_execz .LBB160_529
; %bb.191:
	v_bfe_u32 v3, v2, 21, 1
	s_mov_b32 s12, 0x88fffff
	v_add3_u32 v3, v2, v3, s12
	s_mov_b64 s[8:9], exec
	v_lshrrev_b32_e32 v3, 21, v3
	s_or_saveexec_b64 s[10:11], s[10:11]
                                        ; implicit-def: $sgpr12
	s_xor_b64 exec, exec, s[10:11]
	s_cbranch_execnz .LBB160_530
.LBB160_192:
	s_or_b64 exec, exec, s[10:11]
	v_mov_b32_e32 v6, s12
	s_and_saveexec_b64 s[10:11], s[8:9]
.LBB160_193:
	v_lshrrev_b32_e32 v2, 24, v2
	s_movk_i32 s8, 0x80
	v_and_or_b32 v6, v2, s8, v3
.LBB160_194:
	s_or_b64 exec, exec, s[10:11]
.LBB160_195:
	s_or_b64 exec, exec, s[6:7]
	s_mov_b64 s[6:7], 0
	global_store_byte v[4:5], v6, off
.LBB160_196:
	s_and_b64 vcc, exec, s[6:7]
	s_cbranch_vccz .LBB160_206
; %bb.197:
	v_cvt_f32_f64_e32 v2, v[0:1]
	v_and_b32_e32 v6, 0x7fffffff, v2
	s_mov_b32 s6, 0x43f00000
	v_cmp_gt_u32_e32 vcc, s6, v6
                                        ; implicit-def: $vgpr3
	s_and_saveexec_b64 s[6:7], vcc
	s_xor_b64 s[6:7], exec, s[6:7]
	s_cbranch_execz .LBB160_203
; %bb.198:
	s_mov_b32 s8, 0x3c7fffff
	v_cmp_lt_u32_e32 vcc, s8, v6
                                        ; implicit-def: $vgpr3
	s_and_saveexec_b64 s[8:9], vcc
	s_xor_b64 s[8:9], exec, s[8:9]
; %bb.199:
	v_bfe_u32 v3, v2, 20, 1
	s_mov_b32 s10, 0x407ffff
	v_add3_u32 v3, v2, v3, s10
	v_lshrrev_b32_e32 v6, 20, v3
	v_and_b32_e32 v3, 0xff00000, v3
	s_mov_b32 s10, 0x7f00000
	v_mov_b32_e32 v7, 0x7e
	v_cmp_ne_u32_e32 vcc, s10, v3
	v_cndmask_b32_e32 v3, v7, v6, vcc
; %bb.200:
	s_andn2_saveexec_b64 s[8:9], s[8:9]
; %bb.201:
	s_mov_b32 s10, 0x46800000
	v_add_f32_e64 v3, |v2|, s10
; %bb.202:
	s_or_b64 exec, exec, s[8:9]
                                        ; implicit-def: $vgpr6
.LBB160_203:
	s_andn2_saveexec_b64 s[6:7], s[6:7]
; %bb.204:
	s_mov_b32 s8, 0x7f800000
	v_mov_b32_e32 v3, 0x7e
	v_mov_b32_e32 v7, 0x7f
	v_cmp_lt_u32_e32 vcc, s8, v6
	v_cndmask_b32_e32 v3, v3, v7, vcc
; %bb.205:
	s_or_b64 exec, exec, s[6:7]
	v_lshrrev_b32_e32 v2, 24, v2
	s_movk_i32 s6, 0x80
	v_and_or_b32 v2, v2, s6, v3
	global_store_byte v[4:5], v2, off
.LBB160_206:
	s_mov_b64 s[6:7], 0
.LBB160_207:
	s_andn2_b64 vcc, exec, s[6:7]
	s_cbranch_vccnz .LBB160_217
; %bb.208:
	v_cvt_f32_f64_e32 v2, v[0:1]
	v_and_b32_e32 v6, 0x7fffffff, v2
	s_mov_b32 s6, 0x47800000
	v_cmp_gt_u32_e32 vcc, s6, v6
                                        ; implicit-def: $vgpr3
	s_and_saveexec_b64 s[6:7], vcc
	s_xor_b64 s[6:7], exec, s[6:7]
	s_cbranch_execz .LBB160_214
; %bb.209:
	s_mov_b32 s8, 0x387fffff
	v_cmp_lt_u32_e32 vcc, s8, v6
                                        ; implicit-def: $vgpr3
	s_and_saveexec_b64 s[8:9], vcc
	s_xor_b64 s[8:9], exec, s[8:9]
; %bb.210:
	v_bfe_u32 v3, v2, 21, 1
	s_mov_b32 s10, 0x80fffff
	v_add3_u32 v3, v2, v3, s10
	v_lshrrev_b32_e32 v3, 21, v3
; %bb.211:
	s_andn2_saveexec_b64 s[8:9], s[8:9]
; %bb.212:
	s_mov_b32 s10, 0x43000000
	v_add_f32_e64 v3, |v2|, s10
; %bb.213:
	s_or_b64 exec, exec, s[8:9]
                                        ; implicit-def: $vgpr6
.LBB160_214:
	s_andn2_saveexec_b64 s[6:7], s[6:7]
; %bb.215:
	s_mov_b32 s8, 0x7f800000
	v_mov_b32_e32 v3, 0x7c
	v_mov_b32_e32 v7, 0x7f
	v_cmp_lt_u32_e32 vcc, s8, v6
	v_cndmask_b32_e32 v3, v3, v7, vcc
; %bb.216:
	s_or_b64 exec, exec, s[6:7]
	v_lshrrev_b32_e32 v2, 24, v2
	s_movk_i32 s6, 0x80
	v_and_or_b32 v2, v2, s6, v3
	global_store_byte v[4:5], v2, off
.LBB160_217:
	s_mov_b64 s[8:9], 0
	s_mov_b64 s[6:7], -1
.LBB160_218:
	s_andn2_b64 vcc, exec, s[8:9]
	s_cbranch_vccnz .LBB160_226
; %bb.219:
	v_mov_b32_e32 v2, 14
	v_cmp_gt_i16_sdwa s[10:11], v41, v2 src0_sel:BYTE_0 src1_sel:DWORD
	s_mov_b64 s[8:9], -1
	s_and_b64 vcc, exec, s[10:11]
	s_cbranch_vccz .LBB160_223
; %bb.220:
	v_mov_b32_e32 v2, 15
	v_cmp_eq_u16_sdwa s[8:9], v41, v2 src0_sel:BYTE_0 src1_sel:DWORD
	s_mov_b64 s[4:5], -1
	s_and_b64 vcc, exec, s[8:9]
	s_cbranch_vccz .LBB160_222
; %bb.221:
	v_cvt_f32_f64_e32 v2, v[0:1]
	v_bfe_u32 v3, v2, 16, 1
	s_movk_i32 s4, 0x7fff
	v_add3_u32 v3, v2, v3, s4
	v_lshrrev_b32_e32 v3, 16, v3
	v_mov_b32_e32 v6, 0x7fc0
	v_cmp_o_f32_e32 vcc, v2, v2
	v_cndmask_b32_e32 v2, v6, v3, vcc
	global_store_short v[4:5], v2, off
	s_mov_b64 s[6:7], -1
	s_mov_b64 s[4:5], 0
.LBB160_222:
	s_mov_b64 s[8:9], 0
.LBB160_223:
	s_and_b64 vcc, exec, s[8:9]
	s_cbranch_vccz .LBB160_226
; %bb.224:
	v_mov_b32_e32 v2, 11
	v_cmp_eq_u16_sdwa s[8:9], v41, v2 src0_sel:BYTE_0 src1_sel:DWORD
	s_mov_b64 s[4:5], -1
	s_and_b64 vcc, exec, s[8:9]
	s_cbranch_vccz .LBB160_226
; %bb.225:
	v_cmp_neq_f64_e32 vcc, 0, v[0:1]
	s_mov_b64 s[4:5], 0
	v_cndmask_b32_e64 v2, 0, 1, vcc
	s_mov_b64 s[6:7], -1
	global_store_byte v[4:5], v2, off
.LBB160_226:
	s_mov_b64 s[8:9], 0
.LBB160_227:
	s_and_b64 vcc, exec, s[8:9]
	s_cbranch_vccz .LBB160_266
; %bb.228:
	v_mov_b32_e32 v2, 5
	v_cmp_lt_i16_sdwa s[8:9], v41, v2 src0_sel:BYTE_0 src1_sel:DWORD
	s_mov_b64 s[6:7], -1
	s_and_b64 vcc, exec, s[8:9]
	s_cbranch_vccnz .LBB160_249
; %bb.229:
	v_mov_b32_e32 v2, 8
	v_cmp_lt_i16_sdwa s[8:9], v41, v2 src0_sel:BYTE_0 src1_sel:DWORD
	s_and_b64 vcc, exec, s[8:9]
	s_cbranch_vccnz .LBB160_239
; %bb.230:
	v_mov_b32_e32 v2, 9
	v_cmp_lt_i16_sdwa s[8:9], v41, v2 src0_sel:BYTE_0 src1_sel:DWORD
	s_and_b64 vcc, exec, s[8:9]
	s_cbranch_vccnz .LBB160_236
; %bb.231:
	v_cmp_gt_i16_sdwa s[8:9], v41, v2 src0_sel:BYTE_0 src1_sel:DWORD
	s_and_b64 vcc, exec, s[8:9]
	s_cbranch_vccz .LBB160_233
; %bb.232:
	v_mov_b32_e32 v2, 0
	v_mov_b32_e32 v3, v2
	global_store_dwordx4 v[4:5], v[0:3], off
	s_mov_b64 s[6:7], 0
.LBB160_233:
	s_andn2_b64 vcc, exec, s[6:7]
	s_cbranch_vccnz .LBB160_235
; %bb.234:
	v_cvt_f32_f64_e32 v2, v[0:1]
	v_mov_b32_e32 v3, 0
	global_store_dwordx2 v[4:5], v[2:3], off
.LBB160_235:
	s_mov_b64 s[6:7], 0
.LBB160_236:
	s_andn2_b64 vcc, exec, s[6:7]
	s_cbranch_vccnz .LBB160_238
; %bb.237:
	v_cvt_f32_f64_e32 v2, v[0:1]
	v_cvt_f16_f32_e32 v2, v2
	global_store_dword v[4:5], v2, off
.LBB160_238:
	s_mov_b64 s[6:7], 0
.LBB160_239:
	s_andn2_b64 vcc, exec, s[6:7]
	s_cbranch_vccnz .LBB160_248
; %bb.240:
	v_mov_b32_e32 v2, 6
	v_cmp_lt_i16_sdwa s[8:9], v41, v2 src0_sel:BYTE_0 src1_sel:DWORD
	s_mov_b64 s[6:7], -1
	s_and_b64 vcc, exec, s[8:9]
	s_cbranch_vccnz .LBB160_246
; %bb.241:
	v_cmp_gt_i16_sdwa s[8:9], v41, v2 src0_sel:BYTE_0 src1_sel:DWORD
	s_and_b64 vcc, exec, s[8:9]
	s_cbranch_vccz .LBB160_243
; %bb.242:
	global_store_dwordx2 v[4:5], v[0:1], off
	s_mov_b64 s[6:7], 0
.LBB160_243:
	s_andn2_b64 vcc, exec, s[6:7]
	s_cbranch_vccnz .LBB160_245
; %bb.244:
	v_cvt_f32_f64_e32 v2, v[0:1]
	global_store_dword v[4:5], v2, off
.LBB160_245:
	s_mov_b64 s[6:7], 0
.LBB160_246:
	s_andn2_b64 vcc, exec, s[6:7]
	s_cbranch_vccnz .LBB160_248
; %bb.247:
	v_cvt_f32_f64_e32 v2, v[0:1]
	v_cvt_f16_f32_e32 v2, v2
	global_store_short v[4:5], v2, off
.LBB160_248:
	s_mov_b64 s[6:7], 0
.LBB160_249:
	s_andn2_b64 vcc, exec, s[6:7]
	s_cbranch_vccnz .LBB160_265
; %bb.250:
	v_mov_b32_e32 v2, 2
	v_cmp_lt_i16_sdwa s[8:9], v41, v2 src0_sel:BYTE_0 src1_sel:DWORD
	s_mov_b64 s[6:7], -1
	s_and_b64 vcc, exec, s[8:9]
	s_cbranch_vccnz .LBB160_260
; %bb.251:
	v_mov_b32_e32 v2, 3
	v_cmp_lt_i16_sdwa s[8:9], v41, v2 src0_sel:BYTE_0 src1_sel:DWORD
	s_and_b64 vcc, exec, s[8:9]
	s_cbranch_vccnz .LBB160_257
; %bb.252:
	v_cmp_gt_i16_sdwa s[8:9], v41, v2 src0_sel:BYTE_0 src1_sel:DWORD
	s_and_b64 vcc, exec, s[8:9]
	s_cbranch_vccz .LBB160_254
; %bb.253:
	v_trunc_f64_e32 v[2:3], v[0:1]
	s_movk_i32 s6, 0xffe0
	v_ldexp_f64 v[6:7], v[2:3], s6
	v_floor_f64_e32 v[6:7], v[6:7]
	v_fmac_f64_e32 v[2:3], 0xc1f00000, v[6:7]
	v_cvt_i32_f64_e32 v9, v[6:7]
	v_cvt_u32_f64_e32 v8, v[2:3]
	global_store_dwordx2 v[4:5], v[8:9], off
	s_mov_b64 s[6:7], 0
.LBB160_254:
	s_andn2_b64 vcc, exec, s[6:7]
	s_cbranch_vccnz .LBB160_256
; %bb.255:
	v_cvt_i32_f64_e32 v2, v[0:1]
	global_store_dword v[4:5], v2, off
.LBB160_256:
	s_mov_b64 s[6:7], 0
.LBB160_257:
	s_andn2_b64 vcc, exec, s[6:7]
	s_cbranch_vccnz .LBB160_259
; %bb.258:
	v_cvt_i32_f64_e32 v2, v[0:1]
	global_store_short v[4:5], v2, off
.LBB160_259:
	s_mov_b64 s[6:7], 0
.LBB160_260:
	s_andn2_b64 vcc, exec, s[6:7]
	s_cbranch_vccnz .LBB160_265
; %bb.261:
	v_mov_b32_e32 v2, 0
	v_cmp_gt_i16_sdwa s[8:9], v41, v2 src0_sel:BYTE_0 src1_sel:DWORD
	s_mov_b64 s[6:7], -1
	s_and_b64 vcc, exec, s[8:9]
	s_cbranch_vccz .LBB160_263
; %bb.262:
	v_cvt_i32_f64_e32 v2, v[0:1]
	global_store_byte v[4:5], v2, off
	s_mov_b64 s[6:7], 0
.LBB160_263:
	s_andn2_b64 vcc, exec, s[6:7]
	s_cbranch_vccnz .LBB160_265
; %bb.264:
	v_trunc_f64_e32 v[0:1], v[0:1]
	s_movk_i32 s6, 0xffe0
	v_ldexp_f64 v[2:3], v[0:1], s6
	v_floor_f64_e32 v[2:3], v[2:3]
	v_fmac_f64_e32 v[0:1], 0xc1f00000, v[2:3]
	v_cvt_u32_f64_e32 v0, v[0:1]
	global_store_byte v[4:5], v0, off
.LBB160_265:
	s_mov_b64 s[6:7], -1
.LBB160_266:
	s_andn2_b64 vcc, exec, s[6:7]
	s_cbranch_vccnz .LBB160_379
; %bb.267:
	v_add_u32_e32 v62, 0x80, v62
	s_mov_b64 s[6:7], -1
	s_branch .LBB160_380
.LBB160_268:
	s_mov_b64 s[90:91], -1
                                        ; implicit-def: $vgpr2_vgpr3
.LBB160_269:
	s_mov_b64 s[6:7], 0
.LBB160_270:
	s_and_b64 vcc, exec, s[6:7]
	s_cbranch_vccz .LBB160_274
; %bb.271:
	v_mov_b32_e32 v2, 29
	v_cmp_eq_u16_sdwa s[6:7], v63, v2 src0_sel:BYTE_0 src1_sel:DWORD
	s_and_b64 vcc, exec, s[6:7]
	s_cbranch_vccz .LBB160_273
; %bb.272:
	global_load_dwordx2 v[2:3], v[4:5], off
	s_mov_b64 s[4:5], -1
	s_mov_b64 s[90:91], 0
	s_mov_b64 s[6:7], 0
	s_waitcnt vmcnt(0)
	v_cvt_f64_u32_e32 v[6:7], v3
	v_cvt_f64_u32_e32 v[2:3], v2
	v_ldexp_f64 v[6:7], v[6:7], 32
	v_add_f64 v[2:3], v[6:7], v[2:3]
	s_branch .LBB160_275
.LBB160_273:
	s_mov_b64 s[90:91], -1
                                        ; implicit-def: $vgpr2_vgpr3
.LBB160_274:
	s_mov_b64 s[6:7], 0
.LBB160_275:
	s_and_b64 vcc, exec, s[6:7]
	s_cbranch_vccz .LBB160_293
; %bb.276:
	v_mov_b32_e32 v2, 27
	v_cmp_lt_i16_sdwa s[4:5], v63, v2 src0_sel:BYTE_0 src1_sel:DWORD
	s_and_b64 vcc, exec, s[4:5]
	s_cbranch_vccnz .LBB160_279
; %bb.277:
	v_cmp_gt_i16_sdwa s[4:5], v63, v2 src0_sel:BYTE_0 src1_sel:DWORD
	s_and_b64 vcc, exec, s[4:5]
	s_cbranch_vccz .LBB160_280
; %bb.278:
	global_load_dword v2, v[4:5], off
	s_mov_b64 s[4:5], 0
	s_waitcnt vmcnt(0)
	v_cvt_f64_u32_e32 v[2:3], v2
	s_branch .LBB160_281
.LBB160_279:
	s_mov_b64 s[4:5], -1
                                        ; implicit-def: $vgpr2_vgpr3
	s_branch .LBB160_284
.LBB160_280:
	s_mov_b64 s[4:5], -1
                                        ; implicit-def: $vgpr2_vgpr3
.LBB160_281:
	s_andn2_b64 vcc, exec, s[4:5]
	s_cbranch_vccnz .LBB160_283
; %bb.282:
	global_load_ushort v2, v[4:5], off
	s_waitcnt vmcnt(0)
	v_cvt_f64_u32_e32 v[2:3], v2
.LBB160_283:
	s_mov_b64 s[4:5], 0
.LBB160_284:
	s_andn2_b64 vcc, exec, s[4:5]
	s_cbranch_vccnz .LBB160_292
; %bb.285:
	global_load_ubyte v6, v[4:5], off
	s_movk_i32 s4, 0x7f
                                        ; implicit-def: $sgpr6_sgpr7
	s_waitcnt vmcnt(0)
	v_cmp_lt_i16_e32 vcc, s4, v6
	s_mov_b64 s[4:5], 0
	s_and_saveexec_b64 s[8:9], vcc
	s_xor_b64 s[8:9], exec, s[8:9]
	s_cbranch_execz .LBB160_306
; %bb.286:
	s_movk_i32 s4, 0x80
	v_cmp_eq_u16_e32 vcc, s4, v6
	s_mov_b64 s[10:11], -1
                                        ; implicit-def: $sgpr6_sgpr7
	s_and_saveexec_b64 s[4:5], vcc
; %bb.287:
	s_mov_b32 s7, 0x7ff80000
	s_brev_b32 s6, 4
	s_xor_b64 s[10:11], exec, -1
; %bb.288:
	s_or_b64 exec, exec, s[4:5]
	s_and_b64 s[4:5], s[10:11], exec
	s_or_saveexec_b64 s[8:9], s[8:9]
	v_pk_mov_b32 v[2:3], s[6:7], s[6:7] op_sel:[0,1]
	s_xor_b64 exec, exec, s[8:9]
	s_cbranch_execnz .LBB160_307
.LBB160_289:
	s_or_b64 exec, exec, s[8:9]
	s_and_saveexec_b64 s[6:7], s[4:5]
	s_cbranch_execz .LBB160_291
.LBB160_290:
	v_and_b32_e32 v3, 0xffff, v6
	v_lshlrev_b32_e32 v2, 24, v6
	v_and_b32_e32 v6, 7, v3
	v_ffbh_u32_e32 v8, v6
	v_min_u32_e32 v8, 32, v8
	v_subrev_u32_e32 v9, 28, v8
	v_bfe_u32 v7, v3, 3, 4
	v_lshlrev_b32_e32 v3, v9, v3
	v_sub_u32_e32 v8, 29, v8
	v_and_b32_e32 v3, 7, v3
	v_cmp_eq_u32_e32 vcc, 0, v7
	v_cndmask_b32_e32 v7, v7, v8, vcc
	v_cndmask_b32_e32 v3, v6, v3, vcc
	v_mov_b32_e32 v6, 0x3b800000
	v_lshlrev_b32_e32 v3, 20, v3
	v_and_b32_e32 v2, 0x80000000, v2
	v_lshl_add_u32 v6, v7, 23, v6
	v_or3_b32 v2, v2, v6, v3
	v_cvt_f64_f32_e32 v[2:3], v2
.LBB160_291:
	s_or_b64 exec, exec, s[6:7]
.LBB160_292:
	s_mov_b64 s[4:5], -1
.LBB160_293:
	s_mov_b64 s[6:7], 0
.LBB160_294:
	s_and_b64 vcc, exec, s[6:7]
	s_cbranch_vccz .LBB160_329
; %bb.295:
	v_mov_b32_e32 v2, 22
	v_cmp_gt_i16_sdwa s[6:7], v63, v2 src0_sel:BYTE_0 src1_sel:DWORD
	s_and_b64 vcc, exec, s[6:7]
	s_cbranch_vccz .LBB160_305
; %bb.296:
	v_mov_b32_e32 v2, 24
	v_cmp_lt_i16_sdwa s[4:5], v63, v2 src0_sel:BYTE_0 src1_sel:DWORD
	s_and_b64 vcc, exec, s[4:5]
	s_cbranch_vccnz .LBB160_308
; %bb.297:
	v_cmp_gt_i16_sdwa s[4:5], v63, v2 src0_sel:BYTE_0 src1_sel:DWORD
	s_and_b64 vcc, exec, s[4:5]
	s_cbranch_vccz .LBB160_309
; %bb.298:
	global_load_ubyte v6, v[4:5], off
	s_movk_i32 s4, 0x7f
                                        ; implicit-def: $sgpr6_sgpr7
	s_waitcnt vmcnt(0)
	v_cmp_lt_i16_e32 vcc, s4, v6
	s_mov_b64 s[4:5], 0
	s_and_saveexec_b64 s[8:9], vcc
	s_xor_b64 s[8:9], exec, s[8:9]
	s_cbranch_execz .LBB160_321
; %bb.299:
	s_movk_i32 s4, 0x80
	v_cmp_eq_u16_e32 vcc, s4, v6
	s_mov_b64 s[10:11], -1
                                        ; implicit-def: $sgpr6_sgpr7
	s_and_saveexec_b64 s[4:5], vcc
; %bb.300:
	s_mov_b32 s7, 0x7ff80000
	s_brev_b32 s6, 4
	s_xor_b64 s[10:11], exec, -1
; %bb.301:
	s_or_b64 exec, exec, s[4:5]
	s_and_b64 s[4:5], s[10:11], exec
	s_or_saveexec_b64 s[8:9], s[8:9]
	v_pk_mov_b32 v[2:3], s[6:7], s[6:7] op_sel:[0,1]
	s_xor_b64 exec, exec, s[8:9]
	s_cbranch_execnz .LBB160_322
.LBB160_302:
	s_or_b64 exec, exec, s[8:9]
	s_and_saveexec_b64 s[6:7], s[4:5]
	s_cbranch_execz .LBB160_304
.LBB160_303:
	v_and_b32_e32 v3, 0xffff, v6
	v_lshlrev_b32_e32 v2, 24, v6
	v_and_b32_e32 v6, 3, v3
	v_ffbh_u32_e32 v8, v6
	v_min_u32_e32 v8, 32, v8
	v_subrev_u32_e32 v9, 29, v8
	v_bfe_u32 v7, v3, 2, 5
	v_lshlrev_b32_e32 v3, v9, v3
	v_sub_u32_e32 v8, 30, v8
	v_and_b32_e32 v3, 3, v3
	v_cmp_eq_u32_e32 vcc, 0, v7
	v_cndmask_b32_e32 v7, v7, v8, vcc
	v_cndmask_b32_e32 v3, v6, v3, vcc
	v_mov_b32_e32 v6, 0x37800000
	v_lshlrev_b32_e32 v3, 21, v3
	v_and_b32_e32 v2, 0x80000000, v2
	v_lshl_add_u32 v6, v7, 23, v6
	v_or3_b32 v2, v2, v6, v3
	v_cvt_f64_f32_e32 v[2:3], v2
.LBB160_304:
	s_or_b64 exec, exec, s[6:7]
	s_mov_b64 s[4:5], 0
	s_branch .LBB160_310
.LBB160_305:
	s_mov_b64 s[6:7], -1
                                        ; implicit-def: $vgpr2_vgpr3
	s_branch .LBB160_316
.LBB160_306:
	s_or_saveexec_b64 s[8:9], s[8:9]
	v_pk_mov_b32 v[2:3], s[6:7], s[6:7] op_sel:[0,1]
	s_xor_b64 exec, exec, s[8:9]
	s_cbranch_execz .LBB160_289
.LBB160_307:
	v_cmp_ne_u16_e32 vcc, 0, v6
	s_andn2_b64 s[4:5], s[4:5], exec
	s_and_b64 s[6:7], vcc, exec
	v_pk_mov_b32 v[2:3], 0, 0
	s_or_b64 s[4:5], s[4:5], s[6:7]
	s_or_b64 exec, exec, s[8:9]
	s_and_saveexec_b64 s[6:7], s[4:5]
	s_cbranch_execnz .LBB160_290
	s_branch .LBB160_291
.LBB160_308:
	s_mov_b64 s[4:5], -1
                                        ; implicit-def: $vgpr2_vgpr3
	s_branch .LBB160_313
.LBB160_309:
	s_mov_b64 s[4:5], -1
                                        ; implicit-def: $vgpr2_vgpr3
.LBB160_310:
	s_and_b64 vcc, exec, s[4:5]
	s_cbranch_vccz .LBB160_312
; %bb.311:
	global_load_ubyte v2, v[4:5], off
	s_mov_b32 s4, 0x7f800000
	s_waitcnt vmcnt(0)
	v_lshlrev_b32_e32 v2, 24, v2
	v_and_b32_e32 v3, 0x7f000000, v2
	v_ffbh_u32_e32 v6, v3
	v_min_u32_e32 v6, 32, v6
	v_sub_u32_e64 v6, v6, 4 clamp
	v_lshlrev_b32_e32 v8, v6, v3
	v_lshlrev_b32_e32 v6, 23, v6
	v_lshrrev_b32_e32 v8, 4, v8
	v_add_u32_e32 v7, 0x1000000, v3
	v_sub_u32_e32 v6, v8, v6
	v_ashrrev_i32_e32 v7, 8, v7
	v_add_u32_e32 v6, 0x3c000000, v6
	v_and_or_b32 v6, v7, s4, v6
	v_cmp_ne_u32_e32 vcc, 0, v3
	v_cndmask_b32_e32 v3, 0, v6, vcc
	s_brev_b32 s4, 1
	v_and_or_b32 v2, v2, s4, v3
	v_cvt_f64_f32_e32 v[2:3], v2
.LBB160_312:
	s_mov_b64 s[4:5], 0
.LBB160_313:
	s_andn2_b64 vcc, exec, s[4:5]
	s_cbranch_vccnz .LBB160_315
; %bb.314:
	global_load_ubyte v2, v[4:5], off
	s_movk_i32 s4, 0x7f00
	s_brev_b32 s5, 16
	s_waitcnt vmcnt(0)
	v_lshlrev_b16_e32 v3, 8, v2
	v_lshlrev_b32_e32 v2, 25, v2
	v_lshrrev_b32_e32 v6, 4, v2
	v_and_or_b32 v7, v3, s4, 0.5
	v_or_b32_e32 v6, 0x70000000, v6
	v_add_f32_e32 v7, -0.5, v7
	v_mul_f32_e32 v6, 0x7800000, v6
	v_cmp_gt_u32_e32 vcc, s5, v2
	v_bfe_i32 v3, v3, 0, 16
	v_cndmask_b32_e32 v2, v6, v7, vcc
	s_brev_b32 s4, 1
	v_and_or_b32 v2, v3, s4, v2
	v_cvt_f64_f32_e32 v[2:3], v2
.LBB160_315:
	s_mov_b64 s[6:7], 0
	s_mov_b64 s[4:5], -1
.LBB160_316:
	s_andn2_b64 vcc, exec, s[6:7]
	s_cbranch_vccnz .LBB160_329
; %bb.317:
	v_mov_b32_e32 v2, 14
	v_cmp_gt_i16_sdwa s[6:7], v63, v2 src0_sel:BYTE_0 src1_sel:DWORD
	s_and_b64 vcc, exec, s[6:7]
	s_cbranch_vccz .LBB160_320
; %bb.318:
	v_mov_b32_e32 v2, 15
	v_cmp_eq_u16_sdwa s[6:7], v63, v2 src0_sel:BYTE_0 src1_sel:DWORD
	s_and_b64 vcc, exec, s[6:7]
	s_cbranch_vccz .LBB160_323
; %bb.319:
	global_load_ushort v2, v[4:5], off
	s_mov_b64 s[4:5], -1
	s_mov_b64 s[90:91], 0
	s_waitcnt vmcnt(0)
	v_lshlrev_b32_e32 v2, 16, v2
	v_cvt_f64_f32_e32 v[2:3], v2
	s_branch .LBB160_324
.LBB160_320:
	s_mov_b64 s[6:7], -1
                                        ; implicit-def: $vgpr2_vgpr3
	s_branch .LBB160_325
.LBB160_321:
	s_or_saveexec_b64 s[8:9], s[8:9]
	v_pk_mov_b32 v[2:3], s[6:7], s[6:7] op_sel:[0,1]
	s_xor_b64 exec, exec, s[8:9]
	s_cbranch_execz .LBB160_302
.LBB160_322:
	v_cmp_ne_u16_e32 vcc, 0, v6
	s_andn2_b64 s[4:5], s[4:5], exec
	s_and_b64 s[6:7], vcc, exec
	v_pk_mov_b32 v[2:3], 0, 0
	s_or_b64 s[4:5], s[4:5], s[6:7]
	s_or_b64 exec, exec, s[8:9]
	s_and_saveexec_b64 s[6:7], s[4:5]
	s_cbranch_execnz .LBB160_303
	s_branch .LBB160_304
.LBB160_323:
	s_mov_b64 s[90:91], -1
                                        ; implicit-def: $vgpr2_vgpr3
.LBB160_324:
	s_mov_b64 s[6:7], 0
.LBB160_325:
	s_and_b64 vcc, exec, s[6:7]
	s_cbranch_vccz .LBB160_329
; %bb.326:
	v_mov_b32_e32 v2, 11
	v_cmp_eq_u16_sdwa s[6:7], v63, v2 src0_sel:BYTE_0 src1_sel:DWORD
	s_and_b64 vcc, exec, s[6:7]
	s_cbranch_vccz .LBB160_328
; %bb.327:
	global_load_ubyte v3, v[4:5], off
	v_mov_b32_e32 v6, 0x3ff00000
	v_mov_b32_e32 v2, 0
	s_mov_b64 s[4:5], -1
	s_mov_b64 s[90:91], 0
	s_waitcnt vmcnt(0)
	v_cmp_ne_u16_e32 vcc, 0, v3
	v_cndmask_b32_e32 v3, 0, v6, vcc
	s_branch .LBB160_329
.LBB160_328:
	s_mov_b64 s[90:91], -1
                                        ; implicit-def: $vgpr2_vgpr3
.LBB160_329:
	s_branch .LBB160_136
.LBB160_330:
	v_mov_b32_e32 v2, 5
	v_cmp_lt_i16_sdwa s[4:5], v63, v2 src0_sel:BYTE_0 src1_sel:DWORD
	s_and_b64 vcc, exec, s[4:5]
	s_cbranch_vccnz .LBB160_335
; %bb.331:
	v_mov_b32_e32 v2, 8
	v_cmp_lt_i16_sdwa s[4:5], v63, v2 src0_sel:BYTE_0 src1_sel:DWORD
	s_and_b64 vcc, exec, s[4:5]
	s_cbranch_vccnz .LBB160_336
; %bb.332:
	v_mov_b32_e32 v2, 9
	v_cmp_lt_i16_sdwa s[4:5], v63, v2 src0_sel:BYTE_0 src1_sel:DWORD
	s_and_b64 vcc, exec, s[4:5]
	s_cbranch_vccnz .LBB160_337
; %bb.333:
	v_cmp_gt_i16_sdwa s[4:5], v63, v2 src0_sel:BYTE_0 src1_sel:DWORD
	s_and_b64 vcc, exec, s[4:5]
	s_cbranch_vccz .LBB160_338
; %bb.334:
	global_load_dwordx2 v[2:3], v[4:5], off
	s_mov_b64 s[4:5], 0
	s_branch .LBB160_339
.LBB160_335:
	s_mov_b64 s[4:5], -1
                                        ; implicit-def: $vgpr2_vgpr3
	s_branch .LBB160_357
.LBB160_336:
	s_mov_b64 s[4:5], -1
                                        ; implicit-def: $vgpr2_vgpr3
	s_branch .LBB160_345
.LBB160_337:
	s_mov_b64 s[4:5], -1
                                        ; implicit-def: $vgpr2_vgpr3
	s_branch .LBB160_342
.LBB160_338:
	s_mov_b64 s[4:5], -1
                                        ; implicit-def: $vgpr2_vgpr3
.LBB160_339:
	s_andn2_b64 vcc, exec, s[4:5]
	s_cbranch_vccnz .LBB160_341
; %bb.340:
	global_load_dword v2, v[4:5], off
	s_waitcnt vmcnt(0)
	v_cvt_f64_f32_e32 v[2:3], v2
.LBB160_341:
	s_mov_b64 s[4:5], 0
.LBB160_342:
	s_andn2_b64 vcc, exec, s[4:5]
	s_cbranch_vccnz .LBB160_344
; %bb.343:
	global_load_dword v2, v[4:5], off
	s_waitcnt vmcnt(0)
	v_cvt_f32_f16_e32 v2, v2
	v_cvt_f64_f32_e32 v[2:3], v2
.LBB160_344:
	s_mov_b64 s[4:5], 0
.LBB160_345:
	s_andn2_b64 vcc, exec, s[4:5]
	s_cbranch_vccnz .LBB160_356
; %bb.346:
	s_waitcnt vmcnt(0)
	v_mov_b32_e32 v2, 6
	v_cmp_lt_i16_sdwa s[4:5], v63, v2 src0_sel:BYTE_0 src1_sel:DWORD
	s_and_b64 vcc, exec, s[4:5]
	s_cbranch_vccnz .LBB160_349
; %bb.347:
	v_cmp_gt_i16_sdwa s[4:5], v63, v2 src0_sel:BYTE_0 src1_sel:DWORD
	s_and_b64 vcc, exec, s[4:5]
	s_cbranch_vccz .LBB160_350
; %bb.348:
	global_load_dwordx2 v[2:3], v[4:5], off
	s_mov_b64 s[4:5], 0
	s_branch .LBB160_351
.LBB160_349:
	s_mov_b64 s[4:5], -1
                                        ; implicit-def: $vgpr2_vgpr3
	s_branch .LBB160_354
.LBB160_350:
	s_mov_b64 s[4:5], -1
                                        ; implicit-def: $vgpr2_vgpr3
.LBB160_351:
	s_andn2_b64 vcc, exec, s[4:5]
	s_cbranch_vccnz .LBB160_353
; %bb.352:
	global_load_dword v2, v[4:5], off
	s_waitcnt vmcnt(0)
	v_cvt_f64_f32_e32 v[2:3], v2
.LBB160_353:
	s_mov_b64 s[4:5], 0
.LBB160_354:
	s_andn2_b64 vcc, exec, s[4:5]
	s_cbranch_vccnz .LBB160_356
; %bb.355:
	global_load_ushort v2, v[4:5], off
	s_waitcnt vmcnt(0)
	v_cvt_f32_f16_e32 v2, v2
	v_cvt_f64_f32_e32 v[2:3], v2
.LBB160_356:
	s_mov_b64 s[4:5], 0
.LBB160_357:
	s_andn2_b64 vcc, exec, s[4:5]
	s_cbranch_vccnz .LBB160_377
; %bb.358:
	s_waitcnt vmcnt(0)
	v_mov_b32_e32 v2, 2
	v_cmp_lt_i16_sdwa s[4:5], v63, v2 src0_sel:BYTE_0 src1_sel:DWORD
	s_and_b64 vcc, exec, s[4:5]
	s_cbranch_vccnz .LBB160_362
; %bb.359:
	v_mov_b32_e32 v2, 3
	v_cmp_lt_i16_sdwa s[4:5], v63, v2 src0_sel:BYTE_0 src1_sel:DWORD
	s_and_b64 vcc, exec, s[4:5]
	s_cbranch_vccnz .LBB160_363
; %bb.360:
	v_cmp_gt_i16_sdwa s[4:5], v63, v2 src0_sel:BYTE_0 src1_sel:DWORD
	s_and_b64 vcc, exec, s[4:5]
	s_cbranch_vccz .LBB160_364
; %bb.361:
	global_load_dwordx2 v[2:3], v[4:5], off
	s_mov_b64 s[4:5], 0
	s_waitcnt vmcnt(0)
	v_cvt_f64_i32_e32 v[6:7], v3
	v_cvt_f64_u32_e32 v[2:3], v2
	v_ldexp_f64 v[6:7], v[6:7], 32
	v_add_f64 v[2:3], v[6:7], v[2:3]
	s_branch .LBB160_365
.LBB160_362:
	s_mov_b64 s[4:5], -1
                                        ; implicit-def: $vgpr2_vgpr3
	s_branch .LBB160_371
.LBB160_363:
	s_mov_b64 s[4:5], -1
                                        ; implicit-def: $vgpr2_vgpr3
	s_branch .LBB160_368
.LBB160_364:
	s_mov_b64 s[4:5], -1
                                        ; implicit-def: $vgpr2_vgpr3
.LBB160_365:
	s_andn2_b64 vcc, exec, s[4:5]
	s_cbranch_vccnz .LBB160_367
; %bb.366:
	global_load_dword v2, v[4:5], off
	s_waitcnt vmcnt(0)
	v_cvt_f64_i32_e32 v[2:3], v2
.LBB160_367:
	s_mov_b64 s[4:5], 0
.LBB160_368:
	s_andn2_b64 vcc, exec, s[4:5]
	s_cbranch_vccnz .LBB160_370
; %bb.369:
	global_load_sshort v2, v[4:5], off
	s_waitcnt vmcnt(0)
	v_cvt_f64_i32_e32 v[2:3], v2
.LBB160_370:
	s_mov_b64 s[4:5], 0
.LBB160_371:
	s_andn2_b64 vcc, exec, s[4:5]
	s_cbranch_vccnz .LBB160_377
; %bb.372:
	v_mov_b32_e32 v2, 0
	v_cmp_gt_i16_sdwa s[4:5], v63, v2 src0_sel:BYTE_0 src1_sel:DWORD
	s_and_b64 vcc, exec, s[4:5]
	s_cbranch_vccz .LBB160_374
; %bb.373:
	global_load_sbyte v2, v[4:5], off
	s_mov_b64 s[4:5], 0
	s_waitcnt vmcnt(0)
	v_cvt_f64_i32_e32 v[2:3], v2
	s_branch .LBB160_375
.LBB160_374:
	s_mov_b64 s[4:5], -1
                                        ; implicit-def: $vgpr2_vgpr3
.LBB160_375:
	s_andn2_b64 vcc, exec, s[4:5]
	s_cbranch_vccnz .LBB160_377
; %bb.376:
	global_load_ubyte v2, v[4:5], off
	s_waitcnt vmcnt(0)
	v_cvt_f64_u32_e32 v[2:3], v2
.LBB160_377:
	s_branch .LBB160_137
.LBB160_378:
	s_mov_b64 s[4:5], 0
.LBB160_379:
	s_mov_b64 s[6:7], 0
                                        ; implicit-def: $vgpr62
.LBB160_380:
	s_and_b64 s[88:89], s[4:5], exec
	s_and_b64 s[90:91], s[90:91], exec
	;; [unrolled: 1-line block ×3, first 2 shown]
	s_orn2_b64 s[4:5], s[6:7], exec
.LBB160_381:
	s_or_b64 exec, exec, s[80:81]
	s_mov_b64 s[8:9], 0
	s_mov_b64 s[6:7], 0
                                        ; implicit-def: $vgpr2
                                        ; implicit-def: $vgpr0_vgpr1
                                        ; implicit-def: $vgpr4_vgpr5
	s_and_saveexec_b64 s[94:95], s[4:5]
	s_cbranch_execz .LBB160_390
; %bb.382:
	v_cmp_gt_i32_e32 vcc, s33, v62
	s_mov_b64 s[4:5], -1
	s_mov_b64 s[98:99], s[92:93]
	s_mov_b64 s[74:75], s[90:91]
	;; [unrolled: 1-line block ×3, first 2 shown]
	s_and_saveexec_b64 s[80:81], vcc
	s_cbranch_execz .LBB160_771
; %bb.383:
	s_waitcnt vmcnt(0)
	v_mul_lo_u32 v0, v62, s29
	v_ashrrev_i32_e32 v1, 31, v0
	v_mov_b32_e32 v3, s79
	v_add_co_u32_e32 v2, vcc, s78, v0
	v_mov_b32_e32 v0, 11
	v_addc_co_u32_e32 v3, vcc, v3, v1, vcc
	v_cmp_lt_i16_sdwa s[4:5], v60, v0 src0_sel:BYTE_0 src1_sel:DWORD
	s_and_b64 vcc, exec, s[4:5]
	s_cbranch_vccnz .LBB160_393
; %bb.384:
	v_mov_b32_e32 v0, 25
	v_cmp_gt_i16_sdwa s[4:5], v60, v0 src0_sel:BYTE_0 src1_sel:DWORD
	s_and_b64 vcc, exec, s[4:5]
	s_cbranch_vccz .LBB160_402
; %bb.385:
	v_mov_b32_e32 v0, 28
	v_cmp_gt_i16_sdwa s[4:5], v60, v0 src0_sel:BYTE_0 src1_sel:DWORD
	s_and_b64 vcc, exec, s[4:5]
	s_cbranch_vccz .LBB160_404
; %bb.386:
	v_mov_b32_e32 v0, 43
	v_cmp_gt_i16_sdwa s[4:5], v60, v0 src0_sel:BYTE_0 src1_sel:DWORD
	s_and_b64 vcc, exec, s[4:5]
	s_cbranch_vccz .LBB160_406
; %bb.387:
	v_mov_b32_e32 v0, 45
	v_cmp_gt_i16_sdwa s[4:5], v60, v0 src0_sel:BYTE_0 src1_sel:DWORD
	s_and_b64 vcc, exec, s[4:5]
	s_cbranch_vccz .LBB160_408
; %bb.388:
	v_mov_b32_e32 v0, 46
	v_cmp_eq_u16_sdwa s[4:5], v60, v0 src0_sel:BYTE_0 src1_sel:DWORD
	s_and_b64 vcc, exec, s[4:5]
	s_cbranch_vccz .LBB160_412
; %bb.389:
	global_load_dword v0, v[2:3], off
	s_mov_b64 s[4:5], -1
	s_mov_b64 s[82:83], 0
	s_waitcnt vmcnt(0)
	v_lshlrev_b32_e32 v0, 16, v0
	v_cvt_f64_f32_e32 v[0:1], v0
	s_branch .LBB160_413
.LBB160_390:
	s_or_b64 exec, exec, s[94:95]
	s_mov_b64 s[80:81], 0
	s_and_saveexec_b64 s[4:5], s[92:93]
	s_cbranch_execnz .LBB160_1250
.LBB160_391:
	s_or_b64 exec, exec, s[4:5]
	s_and_saveexec_b64 s[4:5], s[74:75]
	s_xor_b64 s[4:5], exec, s[4:5]
	s_cbranch_execz .LBB160_1251
.LBB160_392:
	s_waitcnt vmcnt(0)
	global_load_ubyte v3, v[0:1], off
	v_mov_b32_e32 v5, 0x3ff00000
	v_mov_b32_e32 v4, 0
	s_or_b64 s[6:7], s[6:7], exec
	s_waitcnt vmcnt(0)
	v_cmp_ne_u16_e32 vcc, 0, v3
	v_cndmask_b32_e32 v5, 0, v5, vcc
	s_or_b64 exec, exec, s[4:5]
	s_and_saveexec_b64 s[4:5], s[8:9]
	s_cbranch_execz .LBB160_1297
	s_branch .LBB160_1252
.LBB160_393:
	s_mov_b64 s[4:5], 0
                                        ; implicit-def: $vgpr0_vgpr1
	s_mov_b64 s[82:83], s[92:93]
	s_cbranch_execnz .LBB160_479
.LBB160_394:
	s_andn2_b64 vcc, exec, s[4:5]
	s_cbranch_vccnz .LBB160_527
.LBB160_395:
	v_mul_lo_u32 v2, v62, s30
	v_ashrrev_i32_e32 v3, 31, v2
	v_mov_b32_e32 v5, s35
	v_add_co_u32_e32 v4, vcc, s34, v2
	v_mov_b32_e32 v2, 11
	v_addc_co_u32_e32 v5, vcc, v5, v3, vcc
	v_cmp_lt_i16_sdwa s[4:5], v63, v2 src0_sel:BYTE_0 src1_sel:DWORD
	s_and_b64 vcc, exec, s[4:5]
	s_cbranch_vccnz .LBB160_403
; %bb.396:
	v_mov_b32_e32 v2, 25
	v_cmp_gt_i16_sdwa s[4:5], v63, v2 src0_sel:BYTE_0 src1_sel:DWORD
	s_and_b64 vcc, exec, s[4:5]
	s_cbranch_vccz .LBB160_405
; %bb.397:
	v_mov_b32_e32 v2, 28
	v_cmp_gt_i16_sdwa s[4:5], v63, v2 src0_sel:BYTE_0 src1_sel:DWORD
	s_and_b64 vcc, exec, s[4:5]
	s_cbranch_vccz .LBB160_407
	;; [unrolled: 5-line block ×4, first 2 shown]
; %bb.400:
	v_mov_b32_e32 v2, 46
	v_cmp_eq_u16_sdwa s[4:5], v63, v2 src0_sel:BYTE_0 src1_sel:DWORD
	s_mov_b64 s[6:7], 0
	s_and_b64 vcc, exec, s[4:5]
	s_cbranch_vccz .LBB160_531
; %bb.401:
	global_load_dword v2, v[4:5], off
	s_mov_b64 s[4:5], -1
	s_mov_b64 s[18:19], 0
	s_waitcnt vmcnt(0)
	v_lshlrev_b32_e32 v2, 16, v2
	v_cvt_f64_f32_e32 v[2:3], v2
	s_branch .LBB160_532
.LBB160_402:
	s_mov_b64 s[6:7], -1
	s_mov_b64 s[4:5], 0
	s_mov_b64 s[82:83], s[92:93]
                                        ; implicit-def: $vgpr0_vgpr1
	s_branch .LBB160_443
.LBB160_403:
	s_mov_b64 s[6:7], -1
	s_mov_b64 s[4:5], 0
                                        ; implicit-def: $vgpr2_vgpr3
	s_mov_b64 s[18:19], s[90:91]
	s_branch .LBB160_597
.LBB160_404:
	s_mov_b64 s[6:7], -1
	s_mov_b64 s[4:5], 0
	s_mov_b64 s[82:83], s[92:93]
                                        ; implicit-def: $vgpr0_vgpr1
	s_branch .LBB160_424
.LBB160_405:
	s_mov_b64 s[6:7], -1
	s_mov_b64 s[4:5], 0
	s_mov_b64 s[18:19], s[90:91]
                                        ; implicit-def: $vgpr2_vgpr3
	s_branch .LBB160_561
.LBB160_406:
	s_mov_b64 s[6:7], -1
	s_mov_b64 s[4:5], 0
	s_mov_b64 s[82:83], s[92:93]
                                        ; implicit-def: $vgpr0_vgpr1
	s_branch .LBB160_419
.LBB160_407:
	s_mov_b64 s[6:7], -1
	s_mov_b64 s[4:5], 0
	s_mov_b64 s[18:19], s[90:91]
                                        ; implicit-def: $vgpr2_vgpr3
	s_branch .LBB160_542
.LBB160_408:
	s_mov_b64 s[6:7], -1
	s_mov_b64 s[4:5], 0
	s_mov_b64 s[82:83], s[92:93]
                                        ; implicit-def: $vgpr0_vgpr1
	s_branch .LBB160_413
.LBB160_409:
	s_mov_b64 s[6:7], -1
	s_mov_b64 s[4:5], 0
	s_mov_b64 s[18:19], s[90:91]
                                        ; implicit-def: $vgpr2_vgpr3
	s_branch .LBB160_537
.LBB160_410:
	s_or_saveexec_b64 s[10:11], s[10:11]
                                        ; implicit-def: $sgpr12
	s_xor_b64 exec, exec, s[10:11]
	s_cbranch_execz .LBB160_179
.LBB160_411:
	s_mov_b32 s12, 0x46000000
	v_add_f32_e64 v3, |v2|, s12
	v_and_b32_e32 v3, 0xff, v3
	v_cmp_ne_u32_e32 vcc, 0, v3
	s_andn2_b64 s[8:9], s[8:9], exec
	s_and_b64 s[14:15], vcc, exec
	s_mov_b32 s12, 0
	s_or_b64 s[8:9], s[8:9], s[14:15]
	s_or_b64 exec, exec, s[10:11]
	v_mov_b32_e32 v6, s12
	s_and_saveexec_b64 s[10:11], s[8:9]
	s_cbranch_execnz .LBB160_180
	s_branch .LBB160_181
.LBB160_412:
	s_mov_b64 s[82:83], -1
                                        ; implicit-def: $vgpr0_vgpr1
	s_mov_b64 s[4:5], 0
.LBB160_413:
	s_and_b64 vcc, exec, s[6:7]
	s_cbranch_vccz .LBB160_418
; %bb.414:
	v_mov_b32_e32 v0, 44
	v_cmp_eq_u16_sdwa s[6:7], v60, v0 src0_sel:BYTE_0 src1_sel:DWORD
	s_and_b64 vcc, exec, s[6:7]
	s_cbranch_vccz .LBB160_417
; %bb.415:
	global_load_ubyte v4, v[2:3], off
	s_movk_i32 s6, 0xff
	v_bfrev_b32_e32 v5, 4
	v_mov_b32_e32 v6, 0x7ff80000
	v_bfrev_b32_e32 v7, 28
	s_mov_b64 s[4:5], -1
	s_mov_b64 s[82:83], 0
	s_waitcnt vmcnt(0)
	v_lshlrev_b32_e32 v0, 23, v4
	v_cvt_f64_f32_e32 v[0:1], v0
	v_cmp_ne_u32_e32 vcc, s6, v4
	v_cndmask_b32_e32 v0, v5, v0, vcc
	v_cndmask_b32_e32 v1, v6, v1, vcc
	v_cmp_ne_u32_e32 vcc, 0, v4
	v_cndmask_b32_e32 v1, v7, v1, vcc
	v_cndmask_b32_e32 v0, 0, v0, vcc
	s_branch .LBB160_418
.LBB160_416:
	s_mov_b64 s[6:7], -1
	s_mov_b64 s[4:5], 0
	s_mov_b64 s[18:19], s[90:91]
                                        ; implicit-def: $vgpr2_vgpr3
	s_branch .LBB160_532
.LBB160_417:
	s_mov_b64 s[82:83], -1
                                        ; implicit-def: $vgpr0_vgpr1
.LBB160_418:
	s_mov_b64 s[6:7], 0
.LBB160_419:
	s_and_b64 vcc, exec, s[6:7]
	s_cbranch_vccz .LBB160_423
; %bb.420:
	v_mov_b32_e32 v0, 29
	v_cmp_eq_u16_sdwa s[6:7], v60, v0 src0_sel:BYTE_0 src1_sel:DWORD
	s_and_b64 vcc, exec, s[6:7]
	s_cbranch_vccz .LBB160_422
; %bb.421:
	global_load_dwordx2 v[0:1], v[2:3], off
	s_mov_b64 s[4:5], -1
	s_mov_b64 s[82:83], 0
	s_mov_b64 s[6:7], 0
	s_waitcnt vmcnt(0)
	v_cvt_f64_u32_e32 v[4:5], v1
	v_cvt_f64_u32_e32 v[0:1], v0
	v_ldexp_f64 v[4:5], v[4:5], 32
	v_add_f64 v[0:1], v[4:5], v[0:1]
	s_branch .LBB160_424
.LBB160_422:
	s_mov_b64 s[82:83], -1
                                        ; implicit-def: $vgpr0_vgpr1
.LBB160_423:
	s_mov_b64 s[6:7], 0
.LBB160_424:
	s_and_b64 vcc, exec, s[6:7]
	s_cbranch_vccz .LBB160_442
; %bb.425:
	v_mov_b32_e32 v0, 27
	v_cmp_lt_i16_sdwa s[4:5], v60, v0 src0_sel:BYTE_0 src1_sel:DWORD
	s_and_b64 vcc, exec, s[4:5]
	s_cbranch_vccnz .LBB160_428
; %bb.426:
	v_cmp_gt_i16_sdwa s[4:5], v60, v0 src0_sel:BYTE_0 src1_sel:DWORD
	s_and_b64 vcc, exec, s[4:5]
	s_cbranch_vccz .LBB160_429
; %bb.427:
	global_load_dword v0, v[2:3], off
	s_mov_b64 s[4:5], 0
	s_waitcnt vmcnt(0)
	v_cvt_f64_u32_e32 v[0:1], v0
	s_branch .LBB160_430
.LBB160_428:
	s_mov_b64 s[4:5], -1
                                        ; implicit-def: $vgpr0_vgpr1
	s_branch .LBB160_433
.LBB160_429:
	s_mov_b64 s[4:5], -1
                                        ; implicit-def: $vgpr0_vgpr1
.LBB160_430:
	s_andn2_b64 vcc, exec, s[4:5]
	s_cbranch_vccnz .LBB160_432
; %bb.431:
	global_load_ushort v0, v[2:3], off
	s_waitcnt vmcnt(0)
	v_cvt_f64_u32_e32 v[0:1], v0
.LBB160_432:
	s_mov_b64 s[4:5], 0
.LBB160_433:
	s_andn2_b64 vcc, exec, s[4:5]
	s_cbranch_vccnz .LBB160_441
; %bb.434:
	global_load_ubyte v4, v[2:3], off
	s_movk_i32 s4, 0x7f
                                        ; implicit-def: $sgpr6_sgpr7
	s_waitcnt vmcnt(0)
	v_cmp_lt_i16_e32 vcc, s4, v4
	s_mov_b64 s[4:5], 0
	s_and_saveexec_b64 s[8:9], vcc
	s_xor_b64 s[8:9], exec, s[8:9]
	s_cbranch_execz .LBB160_455
; %bb.435:
	s_movk_i32 s4, 0x80
	v_cmp_eq_u16_e32 vcc, s4, v4
	s_mov_b64 s[10:11], -1
                                        ; implicit-def: $sgpr6_sgpr7
	s_and_saveexec_b64 s[4:5], vcc
; %bb.436:
	s_mov_b32 s7, 0x7ff80000
	s_brev_b32 s6, 4
	s_xor_b64 s[10:11], exec, -1
; %bb.437:
	s_or_b64 exec, exec, s[4:5]
	s_and_b64 s[4:5], s[10:11], exec
	s_or_saveexec_b64 s[8:9], s[8:9]
	v_pk_mov_b32 v[0:1], s[6:7], s[6:7] op_sel:[0,1]
	s_xor_b64 exec, exec, s[8:9]
	s_cbranch_execnz .LBB160_456
.LBB160_438:
	s_or_b64 exec, exec, s[8:9]
	s_and_saveexec_b64 s[6:7], s[4:5]
	s_cbranch_execz .LBB160_440
.LBB160_439:
	v_and_b32_e32 v1, 0xffff, v4
	v_lshlrev_b32_e32 v0, 24, v4
	v_and_b32_e32 v4, 7, v1
	v_ffbh_u32_e32 v6, v4
	v_min_u32_e32 v6, 32, v6
	v_subrev_u32_e32 v7, 28, v6
	v_bfe_u32 v5, v1, 3, 4
	v_lshlrev_b32_e32 v1, v7, v1
	v_sub_u32_e32 v6, 29, v6
	v_and_b32_e32 v1, 7, v1
	v_cmp_eq_u32_e32 vcc, 0, v5
	v_cndmask_b32_e32 v5, v5, v6, vcc
	v_cndmask_b32_e32 v1, v4, v1, vcc
	v_mov_b32_e32 v4, 0x3b800000
	v_lshlrev_b32_e32 v1, 20, v1
	v_and_b32_e32 v0, 0x80000000, v0
	v_lshl_add_u32 v4, v5, 23, v4
	v_or3_b32 v0, v0, v4, v1
	v_cvt_f64_f32_e32 v[0:1], v0
.LBB160_440:
	s_or_b64 exec, exec, s[6:7]
.LBB160_441:
	s_mov_b64 s[4:5], -1
.LBB160_442:
	s_mov_b64 s[6:7], 0
.LBB160_443:
	s_and_b64 vcc, exec, s[6:7]
	s_cbranch_vccz .LBB160_478
; %bb.444:
	v_mov_b32_e32 v0, 22
	v_cmp_gt_i16_sdwa s[6:7], v60, v0 src0_sel:BYTE_0 src1_sel:DWORD
	s_and_b64 vcc, exec, s[6:7]
	s_cbranch_vccz .LBB160_454
; %bb.445:
	v_mov_b32_e32 v0, 24
	v_cmp_lt_i16_sdwa s[4:5], v60, v0 src0_sel:BYTE_0 src1_sel:DWORD
	s_and_b64 vcc, exec, s[4:5]
	s_cbranch_vccnz .LBB160_457
; %bb.446:
	v_cmp_gt_i16_sdwa s[4:5], v60, v0 src0_sel:BYTE_0 src1_sel:DWORD
	s_and_b64 vcc, exec, s[4:5]
	s_cbranch_vccz .LBB160_458
; %bb.447:
	global_load_ubyte v4, v[2:3], off
	s_movk_i32 s4, 0x7f
                                        ; implicit-def: $sgpr6_sgpr7
	s_waitcnt vmcnt(0)
	v_cmp_lt_i16_e32 vcc, s4, v4
	s_mov_b64 s[4:5], 0
	s_and_saveexec_b64 s[8:9], vcc
	s_xor_b64 s[8:9], exec, s[8:9]
	s_cbranch_execz .LBB160_470
; %bb.448:
	s_movk_i32 s4, 0x80
	v_cmp_eq_u16_e32 vcc, s4, v4
	s_mov_b64 s[10:11], -1
                                        ; implicit-def: $sgpr6_sgpr7
	s_and_saveexec_b64 s[4:5], vcc
; %bb.449:
	s_mov_b32 s7, 0x7ff80000
	s_brev_b32 s6, 4
	s_xor_b64 s[10:11], exec, -1
; %bb.450:
	s_or_b64 exec, exec, s[4:5]
	s_and_b64 s[4:5], s[10:11], exec
	s_or_saveexec_b64 s[8:9], s[8:9]
	v_pk_mov_b32 v[0:1], s[6:7], s[6:7] op_sel:[0,1]
	s_xor_b64 exec, exec, s[8:9]
	s_cbranch_execnz .LBB160_471
.LBB160_451:
	s_or_b64 exec, exec, s[8:9]
	s_and_saveexec_b64 s[6:7], s[4:5]
	s_cbranch_execz .LBB160_453
.LBB160_452:
	v_and_b32_e32 v1, 0xffff, v4
	v_lshlrev_b32_e32 v0, 24, v4
	v_and_b32_e32 v4, 3, v1
	v_ffbh_u32_e32 v6, v4
	v_min_u32_e32 v6, 32, v6
	v_subrev_u32_e32 v7, 29, v6
	v_bfe_u32 v5, v1, 2, 5
	v_lshlrev_b32_e32 v1, v7, v1
	v_sub_u32_e32 v6, 30, v6
	v_and_b32_e32 v1, 3, v1
	v_cmp_eq_u32_e32 vcc, 0, v5
	v_cndmask_b32_e32 v5, v5, v6, vcc
	v_cndmask_b32_e32 v1, v4, v1, vcc
	v_mov_b32_e32 v4, 0x37800000
	v_lshlrev_b32_e32 v1, 21, v1
	v_and_b32_e32 v0, 0x80000000, v0
	v_lshl_add_u32 v4, v5, 23, v4
	v_or3_b32 v0, v0, v4, v1
	v_cvt_f64_f32_e32 v[0:1], v0
.LBB160_453:
	s_or_b64 exec, exec, s[6:7]
	s_mov_b64 s[4:5], 0
	s_branch .LBB160_459
.LBB160_454:
	s_mov_b64 s[6:7], -1
                                        ; implicit-def: $vgpr0_vgpr1
	s_branch .LBB160_465
.LBB160_455:
	s_or_saveexec_b64 s[8:9], s[8:9]
	v_pk_mov_b32 v[0:1], s[6:7], s[6:7] op_sel:[0,1]
	s_xor_b64 exec, exec, s[8:9]
	s_cbranch_execz .LBB160_438
.LBB160_456:
	v_cmp_ne_u16_e32 vcc, 0, v4
	s_andn2_b64 s[4:5], s[4:5], exec
	s_and_b64 s[6:7], vcc, exec
	v_pk_mov_b32 v[0:1], 0, 0
	s_or_b64 s[4:5], s[4:5], s[6:7]
	s_or_b64 exec, exec, s[8:9]
	s_and_saveexec_b64 s[6:7], s[4:5]
	s_cbranch_execnz .LBB160_439
	s_branch .LBB160_440
.LBB160_457:
	s_mov_b64 s[4:5], -1
                                        ; implicit-def: $vgpr0_vgpr1
	s_branch .LBB160_462
.LBB160_458:
	s_mov_b64 s[4:5], -1
                                        ; implicit-def: $vgpr0_vgpr1
.LBB160_459:
	s_and_b64 vcc, exec, s[4:5]
	s_cbranch_vccz .LBB160_461
; %bb.460:
	global_load_ubyte v0, v[2:3], off
	s_mov_b32 s4, 0x7f800000
	s_waitcnt vmcnt(0)
	v_lshlrev_b32_e32 v0, 24, v0
	v_and_b32_e32 v1, 0x7f000000, v0
	v_ffbh_u32_e32 v4, v1
	v_min_u32_e32 v4, 32, v4
	v_sub_u32_e64 v4, v4, 4 clamp
	v_lshlrev_b32_e32 v6, v4, v1
	v_lshlrev_b32_e32 v4, 23, v4
	v_lshrrev_b32_e32 v6, 4, v6
	v_add_u32_e32 v5, 0x1000000, v1
	v_sub_u32_e32 v4, v6, v4
	v_ashrrev_i32_e32 v5, 8, v5
	v_add_u32_e32 v4, 0x3c000000, v4
	v_and_or_b32 v4, v5, s4, v4
	v_cmp_ne_u32_e32 vcc, 0, v1
	v_cndmask_b32_e32 v1, 0, v4, vcc
	s_brev_b32 s4, 1
	v_and_or_b32 v0, v0, s4, v1
	v_cvt_f64_f32_e32 v[0:1], v0
.LBB160_461:
	s_mov_b64 s[4:5], 0
.LBB160_462:
	s_andn2_b64 vcc, exec, s[4:5]
	s_cbranch_vccnz .LBB160_464
; %bb.463:
	global_load_ubyte v0, v[2:3], off
	s_movk_i32 s4, 0x7f00
	s_brev_b32 s5, 16
	s_waitcnt vmcnt(0)
	v_lshlrev_b16_e32 v1, 8, v0
	v_lshlrev_b32_e32 v0, 25, v0
	v_lshrrev_b32_e32 v4, 4, v0
	v_and_or_b32 v5, v1, s4, 0.5
	v_or_b32_e32 v4, 0x70000000, v4
	v_add_f32_e32 v5, -0.5, v5
	v_mul_f32_e32 v4, 0x7800000, v4
	v_cmp_gt_u32_e32 vcc, s5, v0
	v_bfe_i32 v1, v1, 0, 16
	v_cndmask_b32_e32 v0, v4, v5, vcc
	s_brev_b32 s4, 1
	v_and_or_b32 v0, v1, s4, v0
	v_cvt_f64_f32_e32 v[0:1], v0
.LBB160_464:
	s_mov_b64 s[6:7], 0
	s_mov_b64 s[4:5], -1
.LBB160_465:
	s_andn2_b64 vcc, exec, s[6:7]
	s_cbranch_vccnz .LBB160_478
; %bb.466:
	v_mov_b32_e32 v0, 14
	v_cmp_gt_i16_sdwa s[6:7], v60, v0 src0_sel:BYTE_0 src1_sel:DWORD
	s_and_b64 vcc, exec, s[6:7]
	s_cbranch_vccz .LBB160_469
; %bb.467:
	v_mov_b32_e32 v0, 15
	v_cmp_eq_u16_sdwa s[6:7], v60, v0 src0_sel:BYTE_0 src1_sel:DWORD
	s_and_b64 vcc, exec, s[6:7]
	s_cbranch_vccz .LBB160_472
; %bb.468:
	global_load_ushort v0, v[2:3], off
	s_mov_b64 s[4:5], -1
	s_mov_b64 s[82:83], 0
	s_waitcnt vmcnt(0)
	v_lshlrev_b32_e32 v0, 16, v0
	v_cvt_f64_f32_e32 v[0:1], v0
	s_branch .LBB160_473
.LBB160_469:
	s_mov_b64 s[6:7], -1
                                        ; implicit-def: $vgpr0_vgpr1
	s_branch .LBB160_474
.LBB160_470:
	s_or_saveexec_b64 s[8:9], s[8:9]
	v_pk_mov_b32 v[0:1], s[6:7], s[6:7] op_sel:[0,1]
	s_xor_b64 exec, exec, s[8:9]
	s_cbranch_execz .LBB160_451
.LBB160_471:
	v_cmp_ne_u16_e32 vcc, 0, v4
	s_andn2_b64 s[4:5], s[4:5], exec
	s_and_b64 s[6:7], vcc, exec
	v_pk_mov_b32 v[0:1], 0, 0
	s_or_b64 s[4:5], s[4:5], s[6:7]
	s_or_b64 exec, exec, s[8:9]
	s_and_saveexec_b64 s[6:7], s[4:5]
	s_cbranch_execnz .LBB160_452
	s_branch .LBB160_453
.LBB160_472:
	s_mov_b64 s[82:83], -1
                                        ; implicit-def: $vgpr0_vgpr1
.LBB160_473:
	s_mov_b64 s[6:7], 0
.LBB160_474:
	s_and_b64 vcc, exec, s[6:7]
	s_cbranch_vccz .LBB160_478
; %bb.475:
	v_mov_b32_e32 v0, 11
	v_cmp_eq_u16_sdwa s[6:7], v60, v0 src0_sel:BYTE_0 src1_sel:DWORD
	s_and_b64 vcc, exec, s[6:7]
	s_cbranch_vccz .LBB160_477
; %bb.476:
	global_load_ubyte v1, v[2:3], off
	v_mov_b32_e32 v4, 0x3ff00000
	v_mov_b32_e32 v0, 0
	s_mov_b64 s[4:5], -1
	s_mov_b64 s[82:83], 0
	s_waitcnt vmcnt(0)
	v_cmp_ne_u16_e32 vcc, 0, v1
	v_cndmask_b32_e32 v1, 0, v4, vcc
	s_branch .LBB160_478
.LBB160_477:
	s_mov_b64 s[82:83], -1
                                        ; implicit-def: $vgpr0_vgpr1
.LBB160_478:
	s_branch .LBB160_394
.LBB160_479:
	v_mov_b32_e32 v0, 5
	v_cmp_lt_i16_sdwa s[4:5], v60, v0 src0_sel:BYTE_0 src1_sel:DWORD
	s_and_b64 vcc, exec, s[4:5]
	s_cbranch_vccnz .LBB160_484
; %bb.480:
	v_mov_b32_e32 v0, 8
	v_cmp_lt_i16_sdwa s[4:5], v60, v0 src0_sel:BYTE_0 src1_sel:DWORD
	s_and_b64 vcc, exec, s[4:5]
	s_cbranch_vccnz .LBB160_485
; %bb.481:
	;; [unrolled: 5-line block ×3, first 2 shown]
	v_cmp_gt_i16_sdwa s[4:5], v60, v0 src0_sel:BYTE_0 src1_sel:DWORD
	s_and_b64 vcc, exec, s[4:5]
	s_cbranch_vccz .LBB160_487
; %bb.483:
	global_load_dwordx2 v[0:1], v[2:3], off
	s_mov_b64 s[4:5], 0
	s_branch .LBB160_488
.LBB160_484:
	s_mov_b64 s[4:5], -1
                                        ; implicit-def: $vgpr0_vgpr1
	s_branch .LBB160_506
.LBB160_485:
	s_mov_b64 s[4:5], -1
                                        ; implicit-def: $vgpr0_vgpr1
	s_branch .LBB160_494
.LBB160_486:
	s_mov_b64 s[4:5], -1
                                        ; implicit-def: $vgpr0_vgpr1
	s_branch .LBB160_491
.LBB160_487:
	s_mov_b64 s[4:5], -1
                                        ; implicit-def: $vgpr0_vgpr1
.LBB160_488:
	s_andn2_b64 vcc, exec, s[4:5]
	s_cbranch_vccnz .LBB160_490
; %bb.489:
	global_load_dword v0, v[2:3], off
	s_waitcnt vmcnt(0)
	v_cvt_f64_f32_e32 v[0:1], v0
.LBB160_490:
	s_mov_b64 s[4:5], 0
.LBB160_491:
	s_andn2_b64 vcc, exec, s[4:5]
	s_cbranch_vccnz .LBB160_493
; %bb.492:
	global_load_dword v0, v[2:3], off
	s_waitcnt vmcnt(0)
	v_cvt_f32_f16_e32 v0, v0
	v_cvt_f64_f32_e32 v[0:1], v0
.LBB160_493:
	s_mov_b64 s[4:5], 0
.LBB160_494:
	s_andn2_b64 vcc, exec, s[4:5]
	s_cbranch_vccnz .LBB160_505
; %bb.495:
	s_waitcnt vmcnt(0)
	v_mov_b32_e32 v0, 6
	v_cmp_lt_i16_sdwa s[4:5], v60, v0 src0_sel:BYTE_0 src1_sel:DWORD
	s_and_b64 vcc, exec, s[4:5]
	s_cbranch_vccnz .LBB160_498
; %bb.496:
	v_cmp_gt_i16_sdwa s[4:5], v60, v0 src0_sel:BYTE_0 src1_sel:DWORD
	s_and_b64 vcc, exec, s[4:5]
	s_cbranch_vccz .LBB160_499
; %bb.497:
	global_load_dwordx2 v[0:1], v[2:3], off
	s_mov_b64 s[4:5], 0
	s_branch .LBB160_500
.LBB160_498:
	s_mov_b64 s[4:5], -1
                                        ; implicit-def: $vgpr0_vgpr1
	s_branch .LBB160_503
.LBB160_499:
	s_mov_b64 s[4:5], -1
                                        ; implicit-def: $vgpr0_vgpr1
.LBB160_500:
	s_andn2_b64 vcc, exec, s[4:5]
	s_cbranch_vccnz .LBB160_502
; %bb.501:
	global_load_dword v0, v[2:3], off
	s_waitcnt vmcnt(0)
	v_cvt_f64_f32_e32 v[0:1], v0
.LBB160_502:
	s_mov_b64 s[4:5], 0
.LBB160_503:
	s_andn2_b64 vcc, exec, s[4:5]
	s_cbranch_vccnz .LBB160_505
; %bb.504:
	global_load_ushort v0, v[2:3], off
	s_waitcnt vmcnt(0)
	v_cvt_f32_f16_e32 v0, v0
	v_cvt_f64_f32_e32 v[0:1], v0
.LBB160_505:
	s_mov_b64 s[4:5], 0
.LBB160_506:
	s_andn2_b64 vcc, exec, s[4:5]
	s_cbranch_vccnz .LBB160_526
; %bb.507:
	s_waitcnt vmcnt(0)
	v_mov_b32_e32 v0, 2
	v_cmp_lt_i16_sdwa s[4:5], v60, v0 src0_sel:BYTE_0 src1_sel:DWORD
	s_and_b64 vcc, exec, s[4:5]
	s_cbranch_vccnz .LBB160_511
; %bb.508:
	v_mov_b32_e32 v0, 3
	v_cmp_lt_i16_sdwa s[4:5], v60, v0 src0_sel:BYTE_0 src1_sel:DWORD
	s_and_b64 vcc, exec, s[4:5]
	s_cbranch_vccnz .LBB160_512
; %bb.509:
	v_cmp_gt_i16_sdwa s[4:5], v60, v0 src0_sel:BYTE_0 src1_sel:DWORD
	s_and_b64 vcc, exec, s[4:5]
	s_cbranch_vccz .LBB160_513
; %bb.510:
	global_load_dwordx2 v[0:1], v[2:3], off
	s_mov_b64 s[4:5], 0
	s_waitcnt vmcnt(0)
	v_cvt_f64_i32_e32 v[4:5], v1
	v_cvt_f64_u32_e32 v[0:1], v0
	v_ldexp_f64 v[4:5], v[4:5], 32
	v_add_f64 v[0:1], v[4:5], v[0:1]
	s_branch .LBB160_514
.LBB160_511:
	s_mov_b64 s[4:5], -1
                                        ; implicit-def: $vgpr0_vgpr1
	s_branch .LBB160_520
.LBB160_512:
	s_mov_b64 s[4:5], -1
                                        ; implicit-def: $vgpr0_vgpr1
	s_branch .LBB160_517
.LBB160_513:
	s_mov_b64 s[4:5], -1
                                        ; implicit-def: $vgpr0_vgpr1
.LBB160_514:
	s_andn2_b64 vcc, exec, s[4:5]
	s_cbranch_vccnz .LBB160_516
; %bb.515:
	global_load_dword v0, v[2:3], off
	s_waitcnt vmcnt(0)
	v_cvt_f64_i32_e32 v[0:1], v0
.LBB160_516:
	s_mov_b64 s[4:5], 0
.LBB160_517:
	s_andn2_b64 vcc, exec, s[4:5]
	s_cbranch_vccnz .LBB160_519
; %bb.518:
	global_load_sshort v0, v[2:3], off
	s_waitcnt vmcnt(0)
	v_cvt_f64_i32_e32 v[0:1], v0
.LBB160_519:
	s_mov_b64 s[4:5], 0
.LBB160_520:
	s_andn2_b64 vcc, exec, s[4:5]
	s_cbranch_vccnz .LBB160_526
; %bb.521:
	v_mov_b32_e32 v0, 0
	v_cmp_gt_i16_sdwa s[4:5], v60, v0 src0_sel:BYTE_0 src1_sel:DWORD
	s_and_b64 vcc, exec, s[4:5]
	s_cbranch_vccz .LBB160_523
; %bb.522:
	global_load_sbyte v0, v[2:3], off
	s_mov_b64 s[4:5], 0
	s_waitcnt vmcnt(0)
	v_cvt_f64_i32_e32 v[0:1], v0
	s_branch .LBB160_524
.LBB160_523:
	s_mov_b64 s[4:5], -1
                                        ; implicit-def: $vgpr0_vgpr1
.LBB160_524:
	s_andn2_b64 vcc, exec, s[4:5]
	s_cbranch_vccnz .LBB160_526
; %bb.525:
	global_load_ubyte v0, v[2:3], off
	s_waitcnt vmcnt(0)
	v_cvt_f64_u32_e32 v[0:1], v0
.LBB160_526:
	s_branch .LBB160_395
.LBB160_527:
	s_mov_b64 s[6:7], 0
	s_mov_b64 s[4:5], s[88:89]
	;; [unrolled: 1-line block ×3, first 2 shown]
.LBB160_528:
                                        ; implicit-def: $vgpr62
	s_branch .LBB160_770
.LBB160_529:
	s_or_saveexec_b64 s[10:11], s[10:11]
                                        ; implicit-def: $sgpr12
	s_xor_b64 exec, exec, s[10:11]
	s_cbranch_execz .LBB160_192
.LBB160_530:
	s_mov_b32 s12, 0x42800000
	v_add_f32_e64 v3, |v2|, s12
	v_and_b32_e32 v3, 0xff, v3
	v_cmp_ne_u32_e32 vcc, 0, v3
	s_andn2_b64 s[8:9], s[8:9], exec
	s_and_b64 s[14:15], vcc, exec
	s_mov_b32 s12, 0
	s_or_b64 s[8:9], s[8:9], s[14:15]
	s_or_b64 exec, exec, s[10:11]
	v_mov_b32_e32 v6, s12
	s_and_saveexec_b64 s[10:11], s[8:9]
	s_cbranch_execnz .LBB160_193
	s_branch .LBB160_194
.LBB160_531:
	s_mov_b64 s[18:19], -1
                                        ; implicit-def: $vgpr2_vgpr3
	s_mov_b64 s[4:5], 0
.LBB160_532:
	s_and_b64 vcc, exec, s[6:7]
	s_cbranch_vccz .LBB160_536
; %bb.533:
	v_mov_b32_e32 v2, 44
	v_cmp_eq_u16_sdwa s[6:7], v63, v2 src0_sel:BYTE_0 src1_sel:DWORD
	s_and_b64 vcc, exec, s[6:7]
	s_cbranch_vccz .LBB160_535
; %bb.534:
	global_load_ubyte v6, v[4:5], off
	s_movk_i32 s6, 0xff
	v_bfrev_b32_e32 v7, 4
	v_mov_b32_e32 v8, 0x7ff80000
	v_bfrev_b32_e32 v9, 28
	s_mov_b64 s[4:5], -1
	s_mov_b64 s[18:19], 0
	s_waitcnt vmcnt(0)
	v_lshlrev_b32_e32 v2, 23, v6
	v_cvt_f64_f32_e32 v[2:3], v2
	v_cmp_ne_u32_e32 vcc, s6, v6
	v_cndmask_b32_e32 v2, v7, v2, vcc
	v_cndmask_b32_e32 v3, v8, v3, vcc
	v_cmp_ne_u32_e32 vcc, 0, v6
	v_cndmask_b32_e32 v3, v9, v3, vcc
	v_cndmask_b32_e32 v2, 0, v2, vcc
	s_branch .LBB160_536
.LBB160_535:
	s_mov_b64 s[18:19], -1
                                        ; implicit-def: $vgpr2_vgpr3
.LBB160_536:
	s_mov_b64 s[6:7], 0
.LBB160_537:
	s_and_b64 vcc, exec, s[6:7]
	s_cbranch_vccz .LBB160_541
; %bb.538:
	v_mov_b32_e32 v2, 29
	v_cmp_eq_u16_sdwa s[6:7], v63, v2 src0_sel:BYTE_0 src1_sel:DWORD
	s_and_b64 vcc, exec, s[6:7]
	s_cbranch_vccz .LBB160_540
; %bb.539:
	global_load_dwordx2 v[2:3], v[4:5], off
	s_mov_b64 s[4:5], -1
	s_mov_b64 s[18:19], 0
	s_mov_b64 s[6:7], 0
	s_waitcnt vmcnt(0)
	v_cvt_f64_u32_e32 v[6:7], v3
	v_cvt_f64_u32_e32 v[2:3], v2
	v_ldexp_f64 v[6:7], v[6:7], 32
	v_add_f64 v[2:3], v[6:7], v[2:3]
	s_branch .LBB160_542
.LBB160_540:
	s_mov_b64 s[18:19], -1
                                        ; implicit-def: $vgpr2_vgpr3
.LBB160_541:
	s_mov_b64 s[6:7], 0
.LBB160_542:
	s_and_b64 vcc, exec, s[6:7]
	s_cbranch_vccz .LBB160_560
; %bb.543:
	v_mov_b32_e32 v2, 27
	v_cmp_lt_i16_sdwa s[4:5], v63, v2 src0_sel:BYTE_0 src1_sel:DWORD
	s_and_b64 vcc, exec, s[4:5]
	s_cbranch_vccnz .LBB160_546
; %bb.544:
	v_cmp_gt_i16_sdwa s[4:5], v63, v2 src0_sel:BYTE_0 src1_sel:DWORD
	s_and_b64 vcc, exec, s[4:5]
	s_cbranch_vccz .LBB160_547
; %bb.545:
	global_load_dword v2, v[4:5], off
	s_mov_b64 s[4:5], 0
	s_waitcnt vmcnt(0)
	v_cvt_f64_u32_e32 v[2:3], v2
	s_branch .LBB160_548
.LBB160_546:
	s_mov_b64 s[4:5], -1
                                        ; implicit-def: $vgpr2_vgpr3
	s_branch .LBB160_551
.LBB160_547:
	s_mov_b64 s[4:5], -1
                                        ; implicit-def: $vgpr2_vgpr3
.LBB160_548:
	s_andn2_b64 vcc, exec, s[4:5]
	s_cbranch_vccnz .LBB160_550
; %bb.549:
	global_load_ushort v2, v[4:5], off
	s_waitcnt vmcnt(0)
	v_cvt_f64_u32_e32 v[2:3], v2
.LBB160_550:
	s_mov_b64 s[4:5], 0
.LBB160_551:
	s_andn2_b64 vcc, exec, s[4:5]
	s_cbranch_vccnz .LBB160_559
; %bb.552:
	global_load_ubyte v6, v[4:5], off
	s_movk_i32 s4, 0x7f
                                        ; implicit-def: $sgpr6_sgpr7
	s_waitcnt vmcnt(0)
	v_cmp_lt_i16_e32 vcc, s4, v6
	s_mov_b64 s[4:5], 0
	s_and_saveexec_b64 s[8:9], vcc
	s_xor_b64 s[8:9], exec, s[8:9]
	s_cbranch_execz .LBB160_573
; %bb.553:
	s_movk_i32 s4, 0x80
	v_cmp_eq_u16_e32 vcc, s4, v6
	s_mov_b64 s[10:11], -1
                                        ; implicit-def: $sgpr6_sgpr7
	s_and_saveexec_b64 s[4:5], vcc
; %bb.554:
	s_mov_b32 s7, 0x7ff80000
	s_brev_b32 s6, 4
	s_xor_b64 s[10:11], exec, -1
; %bb.555:
	s_or_b64 exec, exec, s[4:5]
	s_and_b64 s[4:5], s[10:11], exec
	s_or_saveexec_b64 s[8:9], s[8:9]
	v_pk_mov_b32 v[2:3], s[6:7], s[6:7] op_sel:[0,1]
	s_xor_b64 exec, exec, s[8:9]
	s_cbranch_execnz .LBB160_574
.LBB160_556:
	s_or_b64 exec, exec, s[8:9]
	s_and_saveexec_b64 s[6:7], s[4:5]
	s_cbranch_execz .LBB160_558
.LBB160_557:
	v_and_b32_e32 v3, 0xffff, v6
	v_lshlrev_b32_e32 v2, 24, v6
	v_and_b32_e32 v6, 7, v3
	v_ffbh_u32_e32 v8, v6
	v_min_u32_e32 v8, 32, v8
	v_subrev_u32_e32 v9, 28, v8
	v_bfe_u32 v7, v3, 3, 4
	v_lshlrev_b32_e32 v3, v9, v3
	v_sub_u32_e32 v8, 29, v8
	v_and_b32_e32 v3, 7, v3
	v_cmp_eq_u32_e32 vcc, 0, v7
	v_cndmask_b32_e32 v7, v7, v8, vcc
	v_cndmask_b32_e32 v3, v6, v3, vcc
	v_mov_b32_e32 v6, 0x3b800000
	v_lshlrev_b32_e32 v3, 20, v3
	v_and_b32_e32 v2, 0x80000000, v2
	v_lshl_add_u32 v6, v7, 23, v6
	v_or3_b32 v2, v2, v6, v3
	v_cvt_f64_f32_e32 v[2:3], v2
.LBB160_558:
	s_or_b64 exec, exec, s[6:7]
.LBB160_559:
	s_mov_b64 s[4:5], -1
.LBB160_560:
	s_mov_b64 s[6:7], 0
.LBB160_561:
	s_and_b64 vcc, exec, s[6:7]
	s_cbranch_vccz .LBB160_596
; %bb.562:
	v_mov_b32_e32 v2, 22
	v_cmp_gt_i16_sdwa s[6:7], v63, v2 src0_sel:BYTE_0 src1_sel:DWORD
	s_and_b64 vcc, exec, s[6:7]
	s_cbranch_vccz .LBB160_572
; %bb.563:
	v_mov_b32_e32 v2, 24
	v_cmp_lt_i16_sdwa s[4:5], v63, v2 src0_sel:BYTE_0 src1_sel:DWORD
	s_and_b64 vcc, exec, s[4:5]
	s_cbranch_vccnz .LBB160_575
; %bb.564:
	v_cmp_gt_i16_sdwa s[4:5], v63, v2 src0_sel:BYTE_0 src1_sel:DWORD
	s_and_b64 vcc, exec, s[4:5]
	s_cbranch_vccz .LBB160_576
; %bb.565:
	global_load_ubyte v6, v[4:5], off
	s_movk_i32 s4, 0x7f
                                        ; implicit-def: $sgpr6_sgpr7
	s_waitcnt vmcnt(0)
	v_cmp_lt_i16_e32 vcc, s4, v6
	s_mov_b64 s[4:5], 0
	s_and_saveexec_b64 s[8:9], vcc
	s_xor_b64 s[8:9], exec, s[8:9]
	s_cbranch_execz .LBB160_588
; %bb.566:
	s_movk_i32 s4, 0x80
	v_cmp_eq_u16_e32 vcc, s4, v6
	s_mov_b64 s[10:11], -1
                                        ; implicit-def: $sgpr6_sgpr7
	s_and_saveexec_b64 s[4:5], vcc
; %bb.567:
	s_mov_b32 s7, 0x7ff80000
	s_brev_b32 s6, 4
	s_xor_b64 s[10:11], exec, -1
; %bb.568:
	s_or_b64 exec, exec, s[4:5]
	s_and_b64 s[4:5], s[10:11], exec
	s_or_saveexec_b64 s[8:9], s[8:9]
	v_pk_mov_b32 v[2:3], s[6:7], s[6:7] op_sel:[0,1]
	s_xor_b64 exec, exec, s[8:9]
	s_cbranch_execnz .LBB160_589
.LBB160_569:
	s_or_b64 exec, exec, s[8:9]
	s_and_saveexec_b64 s[6:7], s[4:5]
	s_cbranch_execz .LBB160_571
.LBB160_570:
	v_and_b32_e32 v3, 0xffff, v6
	v_lshlrev_b32_e32 v2, 24, v6
	v_and_b32_e32 v6, 3, v3
	v_ffbh_u32_e32 v8, v6
	v_min_u32_e32 v8, 32, v8
	v_subrev_u32_e32 v9, 29, v8
	v_bfe_u32 v7, v3, 2, 5
	v_lshlrev_b32_e32 v3, v9, v3
	v_sub_u32_e32 v8, 30, v8
	v_and_b32_e32 v3, 3, v3
	v_cmp_eq_u32_e32 vcc, 0, v7
	v_cndmask_b32_e32 v7, v7, v8, vcc
	v_cndmask_b32_e32 v3, v6, v3, vcc
	v_mov_b32_e32 v6, 0x37800000
	v_lshlrev_b32_e32 v3, 21, v3
	v_and_b32_e32 v2, 0x80000000, v2
	v_lshl_add_u32 v6, v7, 23, v6
	v_or3_b32 v2, v2, v6, v3
	v_cvt_f64_f32_e32 v[2:3], v2
.LBB160_571:
	s_or_b64 exec, exec, s[6:7]
	s_mov_b64 s[4:5], 0
	s_branch .LBB160_577
.LBB160_572:
	s_mov_b64 s[6:7], -1
                                        ; implicit-def: $vgpr2_vgpr3
	s_branch .LBB160_583
.LBB160_573:
	s_or_saveexec_b64 s[8:9], s[8:9]
	v_pk_mov_b32 v[2:3], s[6:7], s[6:7] op_sel:[0,1]
	s_xor_b64 exec, exec, s[8:9]
	s_cbranch_execz .LBB160_556
.LBB160_574:
	v_cmp_ne_u16_e32 vcc, 0, v6
	s_andn2_b64 s[4:5], s[4:5], exec
	s_and_b64 s[6:7], vcc, exec
	v_pk_mov_b32 v[2:3], 0, 0
	s_or_b64 s[4:5], s[4:5], s[6:7]
	s_or_b64 exec, exec, s[8:9]
	s_and_saveexec_b64 s[6:7], s[4:5]
	s_cbranch_execnz .LBB160_557
	s_branch .LBB160_558
.LBB160_575:
	s_mov_b64 s[4:5], -1
                                        ; implicit-def: $vgpr2_vgpr3
	s_branch .LBB160_580
.LBB160_576:
	s_mov_b64 s[4:5], -1
                                        ; implicit-def: $vgpr2_vgpr3
.LBB160_577:
	s_and_b64 vcc, exec, s[4:5]
	s_cbranch_vccz .LBB160_579
; %bb.578:
	global_load_ubyte v2, v[4:5], off
	s_mov_b32 s4, 0x7f800000
	s_waitcnt vmcnt(0)
	v_lshlrev_b32_e32 v2, 24, v2
	v_and_b32_e32 v3, 0x7f000000, v2
	v_ffbh_u32_e32 v6, v3
	v_min_u32_e32 v6, 32, v6
	v_sub_u32_e64 v6, v6, 4 clamp
	v_lshlrev_b32_e32 v8, v6, v3
	v_lshlrev_b32_e32 v6, 23, v6
	v_lshrrev_b32_e32 v8, 4, v8
	v_add_u32_e32 v7, 0x1000000, v3
	v_sub_u32_e32 v6, v8, v6
	v_ashrrev_i32_e32 v7, 8, v7
	v_add_u32_e32 v6, 0x3c000000, v6
	v_and_or_b32 v6, v7, s4, v6
	v_cmp_ne_u32_e32 vcc, 0, v3
	v_cndmask_b32_e32 v3, 0, v6, vcc
	s_brev_b32 s4, 1
	v_and_or_b32 v2, v2, s4, v3
	v_cvt_f64_f32_e32 v[2:3], v2
.LBB160_579:
	s_mov_b64 s[4:5], 0
.LBB160_580:
	s_andn2_b64 vcc, exec, s[4:5]
	s_cbranch_vccnz .LBB160_582
; %bb.581:
	global_load_ubyte v2, v[4:5], off
	s_movk_i32 s4, 0x7f00
	s_brev_b32 s5, 16
	s_waitcnt vmcnt(0)
	v_lshlrev_b16_e32 v3, 8, v2
	v_lshlrev_b32_e32 v2, 25, v2
	v_lshrrev_b32_e32 v6, 4, v2
	v_and_or_b32 v7, v3, s4, 0.5
	v_or_b32_e32 v6, 0x70000000, v6
	v_add_f32_e32 v7, -0.5, v7
	v_mul_f32_e32 v6, 0x7800000, v6
	v_cmp_gt_u32_e32 vcc, s5, v2
	v_bfe_i32 v3, v3, 0, 16
	v_cndmask_b32_e32 v2, v6, v7, vcc
	s_brev_b32 s4, 1
	v_and_or_b32 v2, v3, s4, v2
	v_cvt_f64_f32_e32 v[2:3], v2
.LBB160_582:
	s_mov_b64 s[6:7], 0
	s_mov_b64 s[4:5], -1
.LBB160_583:
	s_andn2_b64 vcc, exec, s[6:7]
	s_cbranch_vccnz .LBB160_596
; %bb.584:
	v_mov_b32_e32 v2, 14
	v_cmp_gt_i16_sdwa s[6:7], v63, v2 src0_sel:BYTE_0 src1_sel:DWORD
	s_and_b64 vcc, exec, s[6:7]
	s_cbranch_vccz .LBB160_587
; %bb.585:
	v_mov_b32_e32 v2, 15
	v_cmp_eq_u16_sdwa s[6:7], v63, v2 src0_sel:BYTE_0 src1_sel:DWORD
	s_and_b64 vcc, exec, s[6:7]
	s_cbranch_vccz .LBB160_590
; %bb.586:
	global_load_ushort v2, v[4:5], off
	s_mov_b64 s[4:5], -1
	s_mov_b64 s[18:19], 0
	s_waitcnt vmcnt(0)
	v_lshlrev_b32_e32 v2, 16, v2
	v_cvt_f64_f32_e32 v[2:3], v2
	s_branch .LBB160_591
.LBB160_587:
	s_mov_b64 s[6:7], -1
                                        ; implicit-def: $vgpr2_vgpr3
	s_branch .LBB160_592
.LBB160_588:
	s_or_saveexec_b64 s[8:9], s[8:9]
	v_pk_mov_b32 v[2:3], s[6:7], s[6:7] op_sel:[0,1]
	s_xor_b64 exec, exec, s[8:9]
	s_cbranch_execz .LBB160_569
.LBB160_589:
	v_cmp_ne_u16_e32 vcc, 0, v6
	s_andn2_b64 s[4:5], s[4:5], exec
	s_and_b64 s[6:7], vcc, exec
	v_pk_mov_b32 v[2:3], 0, 0
	s_or_b64 s[4:5], s[4:5], s[6:7]
	s_or_b64 exec, exec, s[8:9]
	s_and_saveexec_b64 s[6:7], s[4:5]
	s_cbranch_execnz .LBB160_570
	s_branch .LBB160_571
.LBB160_590:
	s_mov_b64 s[18:19], -1
                                        ; implicit-def: $vgpr2_vgpr3
.LBB160_591:
	s_mov_b64 s[6:7], 0
.LBB160_592:
	s_and_b64 vcc, exec, s[6:7]
	s_cbranch_vccz .LBB160_596
; %bb.593:
	v_mov_b32_e32 v2, 11
	v_cmp_eq_u16_sdwa s[6:7], v63, v2 src0_sel:BYTE_0 src1_sel:DWORD
	s_and_b64 vcc, exec, s[6:7]
	s_cbranch_vccz .LBB160_595
; %bb.594:
	global_load_ubyte v3, v[4:5], off
	v_mov_b32_e32 v6, 0x3ff00000
	v_mov_b32_e32 v2, 0
	s_mov_b64 s[4:5], -1
	s_mov_b64 s[18:19], 0
	s_waitcnt vmcnt(0)
	v_cmp_ne_u16_e32 vcc, 0, v3
	v_cndmask_b32_e32 v3, 0, v6, vcc
	s_branch .LBB160_596
.LBB160_595:
	s_mov_b64 s[18:19], -1
                                        ; implicit-def: $vgpr2_vgpr3
.LBB160_596:
	s_mov_b64 s[6:7], 0
.LBB160_597:
	s_and_b64 vcc, exec, s[6:7]
	s_cbranch_vccz .LBB160_646
; %bb.598:
	v_mov_b32_e32 v2, 5
	v_cmp_lt_i16_sdwa s[4:5], v63, v2 src0_sel:BYTE_0 src1_sel:DWORD
	s_and_b64 vcc, exec, s[4:5]
	s_cbranch_vccnz .LBB160_603
; %bb.599:
	v_mov_b32_e32 v2, 8
	v_cmp_lt_i16_sdwa s[4:5], v63, v2 src0_sel:BYTE_0 src1_sel:DWORD
	s_and_b64 vcc, exec, s[4:5]
	s_cbranch_vccnz .LBB160_604
	;; [unrolled: 5-line block ×3, first 2 shown]
; %bb.601:
	v_cmp_gt_i16_sdwa s[4:5], v63, v2 src0_sel:BYTE_0 src1_sel:DWORD
	s_and_b64 vcc, exec, s[4:5]
	s_cbranch_vccz .LBB160_606
; %bb.602:
	global_load_dwordx2 v[2:3], v[4:5], off
	s_mov_b64 s[4:5], 0
	s_branch .LBB160_607
.LBB160_603:
	s_mov_b64 s[4:5], -1
                                        ; implicit-def: $vgpr2_vgpr3
	s_branch .LBB160_625
.LBB160_604:
	s_mov_b64 s[4:5], -1
                                        ; implicit-def: $vgpr2_vgpr3
	s_branch .LBB160_613
.LBB160_605:
	s_mov_b64 s[4:5], -1
                                        ; implicit-def: $vgpr2_vgpr3
	s_branch .LBB160_610
.LBB160_606:
	s_mov_b64 s[4:5], -1
                                        ; implicit-def: $vgpr2_vgpr3
.LBB160_607:
	s_andn2_b64 vcc, exec, s[4:5]
	s_cbranch_vccnz .LBB160_609
; %bb.608:
	global_load_dword v2, v[4:5], off
	s_waitcnt vmcnt(0)
	v_cvt_f64_f32_e32 v[2:3], v2
.LBB160_609:
	s_mov_b64 s[4:5], 0
.LBB160_610:
	s_andn2_b64 vcc, exec, s[4:5]
	s_cbranch_vccnz .LBB160_612
; %bb.611:
	global_load_dword v2, v[4:5], off
	s_waitcnt vmcnt(0)
	v_cvt_f32_f16_e32 v2, v2
	v_cvt_f64_f32_e32 v[2:3], v2
.LBB160_612:
	s_mov_b64 s[4:5], 0
.LBB160_613:
	s_andn2_b64 vcc, exec, s[4:5]
	s_cbranch_vccnz .LBB160_624
; %bb.614:
	s_waitcnt vmcnt(0)
	v_mov_b32_e32 v2, 6
	v_cmp_lt_i16_sdwa s[4:5], v63, v2 src0_sel:BYTE_0 src1_sel:DWORD
	s_and_b64 vcc, exec, s[4:5]
	s_cbranch_vccnz .LBB160_617
; %bb.615:
	v_cmp_gt_i16_sdwa s[4:5], v63, v2 src0_sel:BYTE_0 src1_sel:DWORD
	s_and_b64 vcc, exec, s[4:5]
	s_cbranch_vccz .LBB160_618
; %bb.616:
	global_load_dwordx2 v[2:3], v[4:5], off
	s_mov_b64 s[4:5], 0
	s_branch .LBB160_619
.LBB160_617:
	s_mov_b64 s[4:5], -1
                                        ; implicit-def: $vgpr2_vgpr3
	s_branch .LBB160_622
.LBB160_618:
	s_mov_b64 s[4:5], -1
                                        ; implicit-def: $vgpr2_vgpr3
.LBB160_619:
	s_andn2_b64 vcc, exec, s[4:5]
	s_cbranch_vccnz .LBB160_621
; %bb.620:
	global_load_dword v2, v[4:5], off
	s_waitcnt vmcnt(0)
	v_cvt_f64_f32_e32 v[2:3], v2
.LBB160_621:
	s_mov_b64 s[4:5], 0
.LBB160_622:
	s_andn2_b64 vcc, exec, s[4:5]
	s_cbranch_vccnz .LBB160_624
; %bb.623:
	global_load_ushort v2, v[4:5], off
	s_waitcnt vmcnt(0)
	v_cvt_f32_f16_e32 v2, v2
	v_cvt_f64_f32_e32 v[2:3], v2
.LBB160_624:
	s_mov_b64 s[4:5], 0
.LBB160_625:
	s_andn2_b64 vcc, exec, s[4:5]
	s_cbranch_vccnz .LBB160_645
; %bb.626:
	s_waitcnt vmcnt(0)
	v_mov_b32_e32 v2, 2
	v_cmp_lt_i16_sdwa s[4:5], v63, v2 src0_sel:BYTE_0 src1_sel:DWORD
	s_and_b64 vcc, exec, s[4:5]
	s_cbranch_vccnz .LBB160_630
; %bb.627:
	v_mov_b32_e32 v2, 3
	v_cmp_lt_i16_sdwa s[4:5], v63, v2 src0_sel:BYTE_0 src1_sel:DWORD
	s_and_b64 vcc, exec, s[4:5]
	s_cbranch_vccnz .LBB160_631
; %bb.628:
	v_cmp_gt_i16_sdwa s[4:5], v63, v2 src0_sel:BYTE_0 src1_sel:DWORD
	s_and_b64 vcc, exec, s[4:5]
	s_cbranch_vccz .LBB160_632
; %bb.629:
	global_load_dwordx2 v[2:3], v[4:5], off
	s_mov_b64 s[4:5], 0
	s_waitcnt vmcnt(0)
	v_cvt_f64_i32_e32 v[6:7], v3
	v_cvt_f64_u32_e32 v[2:3], v2
	v_ldexp_f64 v[6:7], v[6:7], 32
	v_add_f64 v[2:3], v[6:7], v[2:3]
	s_branch .LBB160_633
.LBB160_630:
	s_mov_b64 s[4:5], -1
                                        ; implicit-def: $vgpr2_vgpr3
	s_branch .LBB160_639
.LBB160_631:
	s_mov_b64 s[4:5], -1
                                        ; implicit-def: $vgpr2_vgpr3
	s_branch .LBB160_636
.LBB160_632:
	s_mov_b64 s[4:5], -1
                                        ; implicit-def: $vgpr2_vgpr3
.LBB160_633:
	s_andn2_b64 vcc, exec, s[4:5]
	s_cbranch_vccnz .LBB160_635
; %bb.634:
	global_load_dword v2, v[4:5], off
	s_waitcnt vmcnt(0)
	v_cvt_f64_i32_e32 v[2:3], v2
.LBB160_635:
	s_mov_b64 s[4:5], 0
.LBB160_636:
	s_andn2_b64 vcc, exec, s[4:5]
	s_cbranch_vccnz .LBB160_638
; %bb.637:
	global_load_sshort v2, v[4:5], off
	s_waitcnt vmcnt(0)
	v_cvt_f64_i32_e32 v[2:3], v2
.LBB160_638:
	s_mov_b64 s[4:5], 0
.LBB160_639:
	s_andn2_b64 vcc, exec, s[4:5]
	s_cbranch_vccnz .LBB160_645
; %bb.640:
	v_mov_b32_e32 v2, 0
	v_cmp_gt_i16_sdwa s[4:5], v63, v2 src0_sel:BYTE_0 src1_sel:DWORD
	s_and_b64 vcc, exec, s[4:5]
	s_cbranch_vccz .LBB160_642
; %bb.641:
	global_load_sbyte v2, v[4:5], off
	s_mov_b64 s[4:5], 0
	s_waitcnt vmcnt(0)
	v_cvt_f64_i32_e32 v[2:3], v2
	s_branch .LBB160_643
.LBB160_642:
	s_mov_b64 s[4:5], -1
                                        ; implicit-def: $vgpr2_vgpr3
.LBB160_643:
	s_andn2_b64 vcc, exec, s[4:5]
	s_cbranch_vccnz .LBB160_645
; %bb.644:
	global_load_ubyte v2, v[4:5], off
	s_waitcnt vmcnt(0)
	v_cvt_f64_u32_e32 v[2:3], v2
.LBB160_645:
	s_mov_b64 s[4:5], -1
.LBB160_646:
	s_andn2_b64 vcc, exec, s[4:5]
	s_cbranch_vccnz .LBB160_654
; %bb.647:
	s_mov_b64 s[98:99], s[78:79]
	s_mov_b64 s[96:97], s[76:77]
	s_mov_b32 s78, s30
	s_mov_b64 s[84:85], s[86:87]
	s_mov_b64 s[86:87], s[18:19]
	;; [unrolled: 1-line block ×3, first 2 shown]
	s_getpc_b64 s[4:5]
	s_add_u32 s4, s4, _ZZZZN2at6native33launch_standard_gamma_grad_kernelERNS_18TensorIteratorBaseEENKUlvE_clEvENKUlvE_clEvENKUlddE_clEdd@rel32@lo+4
	s_addc_u32 s5, s5, _ZZZZN2at6native33launch_standard_gamma_grad_kernelERNS_18TensorIteratorBaseEENKUlvE_clEvENKUlvE_clEvENKUlddE_clEdd@rel32@hi+12
	s_mov_b64 s[76:77], s[28:29]
	s_swappc_b64 s[30:31], s[4:5]
	s_mov_b64 s[28:29], s[76:77]
	s_mov_b32 s30, s78
	s_mov_b64 s[76:77], s[96:97]
	v_mul_lo_u32 v2, v62, s28
	v_ashrrev_i32_e32 v3, 31, v2
	v_mov_b32_e32 v5, s77
	v_add_co_u32_e32 v4, vcc, s76, v2
	v_mov_b32_e32 v2, 11
	v_addc_co_u32_e32 v5, vcc, v5, v3, vcc
	v_cmp_lt_i16_sdwa s[4:5], v41, v2 src0_sel:BYTE_0 src1_sel:DWORD
	s_mov_b64 s[78:79], s[98:99]
	s_and_b64 vcc, exec, s[4:5]
	s_cbranch_vccnz .LBB160_655
; %bb.648:
	v_mov_b32_e32 v2, 25
	v_cmp_gt_i16_sdwa s[4:5], v41, v2 src0_sel:BYTE_0 src1_sel:DWORD
	s_and_b64 vcc, exec, s[4:5]
	s_cbranch_vccz .LBB160_656
; %bb.649:
	v_mov_b32_e32 v2, 28
	v_cmp_gt_i16_sdwa s[4:5], v41, v2 src0_sel:BYTE_0 src1_sel:DWORD
	s_and_b64 vcc, exec, s[4:5]
	s_mov_b64 s[34:35], s[74:75]
	s_mov_b64 s[18:19], s[86:87]
	s_cbranch_vccz .LBB160_657
; %bb.650:
	v_mov_b32_e32 v2, 43
	v_cmp_gt_i16_sdwa s[4:5], v41, v2 src0_sel:BYTE_0 src1_sel:DWORD
	s_and_b64 vcc, exec, s[4:5]
	s_mov_b64 s[86:87], s[84:85]
	s_cbranch_vccz .LBB160_658
; %bb.651:
	v_mov_b32_e32 v2, 45
	v_cmp_gt_i16_sdwa s[4:5], v41, v2 src0_sel:BYTE_0 src1_sel:DWORD
	s_and_b64 vcc, exec, s[4:5]
	s_mov_b64 s[84:85], 0
	s_cbranch_vccz .LBB160_659
; %bb.652:
	v_mov_b32_e32 v2, 46
	v_cmp_eq_u16_sdwa s[6:7], v41, v2 src0_sel:BYTE_0 src1_sel:DWORD
	s_mov_b64 s[8:9], 0
	s_mov_b64 s[4:5], -1
	s_and_b64 vcc, exec, s[6:7]
	s_mov_b64 s[6:7], 0
	s_cbranch_vccz .LBB160_660
; %bb.653:
	v_cvt_f32_f64_e32 v2, v[0:1]
	v_bfe_u32 v3, v2, 16, 1
	s_movk_i32 s4, 0x7fff
	v_add3_u32 v3, v2, v3, s4
	v_lshrrev_b32_e32 v3, 16, v3
	v_mov_b32_e32 v6, 0x7fc0
	v_cmp_o_f32_e32 vcc, v2, v2
	v_cndmask_b32_e32 v2, v6, v3, vcc
	global_store_dword v[4:5], v2, off
	s_mov_b64 s[6:7], -1
	s_mov_b64 s[4:5], 0
	s_branch .LBB160_660
.LBB160_654:
	s_mov_b64 s[6:7], 0
                                        ; implicit-def: $vgpr62
	s_mov_b64 s[4:5], s[88:89]
	s_branch .LBB160_770
.LBB160_655:
	s_mov_b64 s[8:9], -1
	s_mov_b64 s[6:7], 0
	s_mov_b64 s[4:5], s[88:89]
	;; [unrolled: 1-line block ×6, first 2 shown]
	s_branch .LBB160_729
.LBB160_656:
	s_mov_b64 s[8:9], -1
	s_mov_b64 s[6:7], 0
	s_mov_b64 s[4:5], s[88:89]
	;; [unrolled: 1-line block ×6, first 2 shown]
	s_branch .LBB160_687
.LBB160_657:
	s_mov_b64 s[8:9], -1
	s_mov_b64 s[6:7], 0
	s_mov_b64 s[4:5], s[88:89]
	;; [unrolled: 1-line block ×4, first 2 shown]
	s_branch .LBB160_670
.LBB160_658:
	s_mov_b64 s[8:9], -1
	s_mov_b64 s[6:7], 0
	s_mov_b64 s[4:5], s[88:89]
	;; [unrolled: 1-line block ×3, first 2 shown]
	s_branch .LBB160_666
.LBB160_659:
	s_mov_b64 s[8:9], -1
	s_mov_b64 s[6:7], 0
	s_mov_b64 s[4:5], s[88:89]
.LBB160_660:
	s_and_b64 vcc, exec, s[8:9]
	s_cbranch_vccz .LBB160_665
; %bb.661:
	v_mov_b32_e32 v2, 44
	v_cmp_eq_u16_sdwa s[8:9], v41, v2 src0_sel:BYTE_0 src1_sel:DWORD
	s_mov_b64 s[4:5], -1
	s_and_b64 vcc, exec, s[8:9]
	s_cbranch_vccz .LBB160_665
; %bb.662:
	v_cvt_f32_f64_e32 v2, v[0:1]
	v_bfe_u32 v3, v2, 23, 8
	s_movk_i32 s4, 0xff
	v_cmp_ne_u32_e32 vcc, s4, v3
	v_mov_b32_e32 v6, 0xff
	s_and_saveexec_b64 s[6:7], vcc
; %bb.663:
	s_mov_b32 s4, 0x3fffff
	v_lshrrev_b32_e32 v6, 23, v2
	v_and_b32_e32 v7, 0x400000, v2
	v_and_or_b32 v2, v2, s4, v3
	v_cmp_ne_u32_e32 vcc, 0, v7
	v_cmp_ne_u32_e64 s[4:5], 0, v2
	s_and_b64 s[4:5], vcc, s[4:5]
	v_cndmask_b32_e64 v2, 0, 1, s[4:5]
	v_add_u32_e32 v6, v6, v2
; %bb.664:
	s_or_b64 exec, exec, s[6:7]
	s_mov_b64 s[6:7], -1
	s_mov_b64 s[4:5], 0
	global_store_byte v[4:5], v6, off
.LBB160_665:
	s_mov_b64 s[8:9], 0
.LBB160_666:
	s_and_b64 vcc, exec, s[8:9]
	s_cbranch_vccz .LBB160_669
; %bb.667:
	v_mov_b32_e32 v2, 29
	v_cmp_eq_u16_sdwa s[8:9], v41, v2 src0_sel:BYTE_0 src1_sel:DWORD
	s_mov_b64 s[4:5], -1
	s_and_b64 vcc, exec, s[8:9]
	s_cbranch_vccz .LBB160_669
; %bb.668:
	v_trunc_f64_e32 v[2:3], v[0:1]
	s_movk_i32 s4, 0xffe0
	v_ldexp_f64 v[6:7], v[2:3], s4
	v_floor_f64_e32 v[6:7], v[6:7]
	v_fmac_f64_e32 v[2:3], 0xc1f00000, v[6:7]
	v_cvt_u32_f64_e32 v9, v[6:7]
	v_cvt_u32_f64_e32 v8, v[2:3]
	global_store_dwordx2 v[4:5], v[8:9], off
	s_mov_b64 s[6:7], -1
	s_mov_b64 s[4:5], 0
.LBB160_669:
	s_mov_b64 s[8:9], 0
.LBB160_670:
	s_and_b64 vcc, exec, s[8:9]
	s_cbranch_vccz .LBB160_686
; %bb.671:
	v_mov_b32_e32 v2, 27
	v_cmp_lt_i16_sdwa s[8:9], v41, v2 src0_sel:BYTE_0 src1_sel:DWORD
	s_mov_b64 s[6:7], -1
	s_and_b64 vcc, exec, s[8:9]
	s_cbranch_vccnz .LBB160_677
; %bb.672:
	v_cmp_gt_i16_sdwa s[8:9], v41, v2 src0_sel:BYTE_0 src1_sel:DWORD
	s_and_b64 vcc, exec, s[8:9]
	v_cvt_u32_f64_e32 v2, v[0:1]
	s_cbranch_vccz .LBB160_674
; %bb.673:
	s_mov_b64 s[6:7], 0
	global_store_dword v[4:5], v2, off
.LBB160_674:
	s_andn2_b64 vcc, exec, s[6:7]
	s_cbranch_vccnz .LBB160_676
; %bb.675:
	global_store_short v[4:5], v2, off
.LBB160_676:
	s_mov_b64 s[6:7], 0
.LBB160_677:
	s_andn2_b64 vcc, exec, s[6:7]
	s_cbranch_vccnz .LBB160_685
; %bb.678:
	v_cvt_f32_f64_e32 v2, v[0:1]
	v_and_b32_e32 v3, 0x7fffffff, v2
	s_mov_b32 s6, 0x43800000
	v_cmp_gt_u32_e32 vcc, s6, v3
	v_mov_b32_e32 v6, 0x80
	s_and_saveexec_b64 s[6:7], vcc
	s_cbranch_execz .LBB160_684
; %bb.679:
	s_mov_b32 s8, 0x3bffffff
	v_cmp_lt_u32_e32 vcc, s8, v3
	s_mov_b64 s[8:9], 0
                                        ; implicit-def: $vgpr3
	s_and_saveexec_b64 s[10:11], vcc
	s_xor_b64 s[10:11], exec, s[10:11]
	s_cbranch_execz .LBB160_786
; %bb.680:
	v_bfe_u32 v3, v2, 20, 1
	s_mov_b32 s12, 0x487ffff
	v_add3_u32 v3, v2, v3, s12
	s_mov_b64 s[8:9], exec
	v_lshrrev_b32_e32 v3, 20, v3
	s_or_saveexec_b64 s[10:11], s[10:11]
                                        ; implicit-def: $sgpr12
	s_xor_b64 exec, exec, s[10:11]
	s_cbranch_execnz .LBB160_787
.LBB160_681:
	s_or_b64 exec, exec, s[10:11]
	v_mov_b32_e32 v6, s12
	s_and_saveexec_b64 s[10:11], s[8:9]
.LBB160_682:
	v_lshrrev_b32_e32 v2, 24, v2
	s_movk_i32 s8, 0x80
	v_and_or_b32 v6, v2, s8, v3
.LBB160_683:
	s_or_b64 exec, exec, s[10:11]
.LBB160_684:
	s_or_b64 exec, exec, s[6:7]
	global_store_byte v[4:5], v6, off
.LBB160_685:
	s_mov_b64 s[6:7], -1
.LBB160_686:
	s_mov_b64 s[8:9], 0
.LBB160_687:
	s_and_b64 vcc, exec, s[8:9]
	s_cbranch_vccz .LBB160_728
; %bb.688:
	v_mov_b32_e32 v2, 22
	v_cmp_gt_i16_sdwa s[10:11], v41, v2 src0_sel:BYTE_0 src1_sel:DWORD
	s_mov_b64 s[8:9], -1
	s_and_b64 vcc, exec, s[10:11]
	s_cbranch_vccz .LBB160_720
; %bb.689:
	v_mov_b32_e32 v2, 24
	v_cmp_lt_i16_sdwa s[8:9], v41, v2 src0_sel:BYTE_0 src1_sel:DWORD
	s_mov_b64 s[6:7], -1
	s_and_b64 vcc, exec, s[8:9]
	s_cbranch_vccnz .LBB160_709
; %bb.690:
	v_cmp_gt_i16_sdwa s[8:9], v41, v2 src0_sel:BYTE_0 src1_sel:DWORD
	s_and_b64 vcc, exec, s[8:9]
	s_cbranch_vccz .LBB160_698
; %bb.691:
	v_cvt_f32_f64_e32 v2, v[0:1]
	v_and_b32_e32 v3, 0x7fffffff, v2
	s_mov_b32 s6, 0x47800000
	v_cmp_gt_u32_e32 vcc, s6, v3
	v_mov_b32_e32 v6, 0x80
	s_and_saveexec_b64 s[6:7], vcc
	s_cbranch_execz .LBB160_697
; %bb.692:
	s_mov_b32 s8, 0x37ffffff
	v_cmp_lt_u32_e32 vcc, s8, v3
	s_mov_b64 s[8:9], 0
                                        ; implicit-def: $vgpr3
	s_and_saveexec_b64 s[10:11], vcc
	s_xor_b64 s[10:11], exec, s[10:11]
	s_cbranch_execz .LBB160_917
; %bb.693:
	v_bfe_u32 v3, v2, 21, 1
	s_mov_b32 s12, 0x88fffff
	v_add3_u32 v3, v2, v3, s12
	s_mov_b64 s[8:9], exec
	v_lshrrev_b32_e32 v3, 21, v3
	s_or_saveexec_b64 s[10:11], s[10:11]
                                        ; implicit-def: $sgpr12
	s_xor_b64 exec, exec, s[10:11]
	s_cbranch_execnz .LBB160_918
.LBB160_694:
	s_or_b64 exec, exec, s[10:11]
	v_mov_b32_e32 v6, s12
	s_and_saveexec_b64 s[10:11], s[8:9]
.LBB160_695:
	v_lshrrev_b32_e32 v2, 24, v2
	s_movk_i32 s8, 0x80
	v_and_or_b32 v6, v2, s8, v3
.LBB160_696:
	s_or_b64 exec, exec, s[10:11]
.LBB160_697:
	s_or_b64 exec, exec, s[6:7]
	s_mov_b64 s[6:7], 0
	global_store_byte v[4:5], v6, off
.LBB160_698:
	s_and_b64 vcc, exec, s[6:7]
	s_cbranch_vccz .LBB160_708
; %bb.699:
	v_cvt_f32_f64_e32 v2, v[0:1]
	v_and_b32_e32 v6, 0x7fffffff, v2
	s_mov_b32 s6, 0x43f00000
	v_cmp_gt_u32_e32 vcc, s6, v6
                                        ; implicit-def: $vgpr3
	s_and_saveexec_b64 s[6:7], vcc
	s_xor_b64 s[6:7], exec, s[6:7]
	s_cbranch_execz .LBB160_705
; %bb.700:
	s_mov_b32 s8, 0x3c7fffff
	v_cmp_lt_u32_e32 vcc, s8, v6
                                        ; implicit-def: $vgpr3
	s_and_saveexec_b64 s[8:9], vcc
	s_xor_b64 s[8:9], exec, s[8:9]
; %bb.701:
	v_bfe_u32 v3, v2, 20, 1
	s_mov_b32 s10, 0x407ffff
	v_add3_u32 v3, v2, v3, s10
	v_lshrrev_b32_e32 v6, 20, v3
	v_and_b32_e32 v3, 0xff00000, v3
	s_mov_b32 s10, 0x7f00000
	v_mov_b32_e32 v7, 0x7e
	v_cmp_ne_u32_e32 vcc, s10, v3
	v_cndmask_b32_e32 v3, v7, v6, vcc
; %bb.702:
	s_andn2_saveexec_b64 s[8:9], s[8:9]
; %bb.703:
	s_mov_b32 s10, 0x46800000
	v_add_f32_e64 v3, |v2|, s10
; %bb.704:
	s_or_b64 exec, exec, s[8:9]
                                        ; implicit-def: $vgpr6
.LBB160_705:
	s_andn2_saveexec_b64 s[6:7], s[6:7]
; %bb.706:
	s_mov_b32 s8, 0x7f800000
	v_mov_b32_e32 v3, 0x7e
	v_mov_b32_e32 v7, 0x7f
	v_cmp_lt_u32_e32 vcc, s8, v6
	v_cndmask_b32_e32 v3, v3, v7, vcc
; %bb.707:
	s_or_b64 exec, exec, s[6:7]
	v_lshrrev_b32_e32 v2, 24, v2
	s_movk_i32 s6, 0x80
	v_and_or_b32 v2, v2, s6, v3
	global_store_byte v[4:5], v2, off
.LBB160_708:
	s_mov_b64 s[6:7], 0
.LBB160_709:
	s_andn2_b64 vcc, exec, s[6:7]
	s_cbranch_vccnz .LBB160_719
; %bb.710:
	v_cvt_f32_f64_e32 v2, v[0:1]
	v_and_b32_e32 v6, 0x7fffffff, v2
	s_mov_b32 s6, 0x47800000
	v_cmp_gt_u32_e32 vcc, s6, v6
                                        ; implicit-def: $vgpr3
	s_and_saveexec_b64 s[6:7], vcc
	s_xor_b64 s[6:7], exec, s[6:7]
	s_cbranch_execz .LBB160_716
; %bb.711:
	s_mov_b32 s8, 0x387fffff
	v_cmp_lt_u32_e32 vcc, s8, v6
                                        ; implicit-def: $vgpr3
	s_and_saveexec_b64 s[8:9], vcc
	s_xor_b64 s[8:9], exec, s[8:9]
; %bb.712:
	v_bfe_u32 v3, v2, 21, 1
	s_mov_b32 s10, 0x80fffff
	v_add3_u32 v3, v2, v3, s10
	v_lshrrev_b32_e32 v3, 21, v3
; %bb.713:
	s_andn2_saveexec_b64 s[8:9], s[8:9]
; %bb.714:
	s_mov_b32 s10, 0x43000000
	v_add_f32_e64 v3, |v2|, s10
; %bb.715:
	s_or_b64 exec, exec, s[8:9]
                                        ; implicit-def: $vgpr6
.LBB160_716:
	s_andn2_saveexec_b64 s[6:7], s[6:7]
; %bb.717:
	s_mov_b32 s8, 0x7f800000
	v_mov_b32_e32 v3, 0x7c
	v_mov_b32_e32 v7, 0x7f
	v_cmp_lt_u32_e32 vcc, s8, v6
	v_cndmask_b32_e32 v3, v3, v7, vcc
; %bb.718:
	s_or_b64 exec, exec, s[6:7]
	v_lshrrev_b32_e32 v2, 24, v2
	s_movk_i32 s6, 0x80
	v_and_or_b32 v2, v2, s6, v3
	global_store_byte v[4:5], v2, off
.LBB160_719:
	s_mov_b64 s[8:9], 0
	s_mov_b64 s[6:7], -1
.LBB160_720:
	s_andn2_b64 vcc, exec, s[8:9]
	s_cbranch_vccnz .LBB160_728
; %bb.721:
	v_mov_b32_e32 v2, 14
	v_cmp_gt_i16_sdwa s[10:11], v41, v2 src0_sel:BYTE_0 src1_sel:DWORD
	s_mov_b64 s[8:9], -1
	s_and_b64 vcc, exec, s[10:11]
	s_cbranch_vccz .LBB160_725
; %bb.722:
	v_mov_b32_e32 v2, 15
	v_cmp_eq_u16_sdwa s[8:9], v41, v2 src0_sel:BYTE_0 src1_sel:DWORD
	s_mov_b64 s[4:5], -1
	s_and_b64 vcc, exec, s[8:9]
	s_cbranch_vccz .LBB160_724
; %bb.723:
	v_cvt_f32_f64_e32 v2, v[0:1]
	v_bfe_u32 v3, v2, 16, 1
	s_movk_i32 s4, 0x7fff
	v_add3_u32 v3, v2, v3, s4
	v_lshrrev_b32_e32 v3, 16, v3
	v_mov_b32_e32 v6, 0x7fc0
	v_cmp_o_f32_e32 vcc, v2, v2
	v_cndmask_b32_e32 v2, v6, v3, vcc
	global_store_short v[4:5], v2, off
	s_mov_b64 s[6:7], -1
	s_mov_b64 s[4:5], 0
.LBB160_724:
	s_mov_b64 s[8:9], 0
.LBB160_725:
	s_and_b64 vcc, exec, s[8:9]
	s_cbranch_vccz .LBB160_728
; %bb.726:
	v_mov_b32_e32 v2, 11
	v_cmp_eq_u16_sdwa s[8:9], v41, v2 src0_sel:BYTE_0 src1_sel:DWORD
	s_mov_b64 s[4:5], -1
	s_and_b64 vcc, exec, s[8:9]
	s_cbranch_vccz .LBB160_728
; %bb.727:
	v_cmp_neq_f64_e32 vcc, 0, v[0:1]
	s_mov_b64 s[4:5], 0
	v_cndmask_b32_e64 v2, 0, 1, vcc
	s_mov_b64 s[6:7], -1
	global_store_byte v[4:5], v2, off
.LBB160_728:
	s_mov_b64 s[8:9], 0
.LBB160_729:
	s_and_b64 vcc, exec, s[8:9]
	s_cbranch_vccz .LBB160_768
; %bb.730:
	v_mov_b32_e32 v2, 5
	v_cmp_lt_i16_sdwa s[8:9], v41, v2 src0_sel:BYTE_0 src1_sel:DWORD
	s_mov_b64 s[6:7], -1
	s_and_b64 vcc, exec, s[8:9]
	s_cbranch_vccnz .LBB160_751
; %bb.731:
	v_mov_b32_e32 v2, 8
	v_cmp_lt_i16_sdwa s[8:9], v41, v2 src0_sel:BYTE_0 src1_sel:DWORD
	s_and_b64 vcc, exec, s[8:9]
	s_cbranch_vccnz .LBB160_741
; %bb.732:
	v_mov_b32_e32 v2, 9
	v_cmp_lt_i16_sdwa s[8:9], v41, v2 src0_sel:BYTE_0 src1_sel:DWORD
	s_and_b64 vcc, exec, s[8:9]
	s_cbranch_vccnz .LBB160_738
; %bb.733:
	v_cmp_gt_i16_sdwa s[8:9], v41, v2 src0_sel:BYTE_0 src1_sel:DWORD
	s_and_b64 vcc, exec, s[8:9]
	s_cbranch_vccz .LBB160_735
; %bb.734:
	v_mov_b32_e32 v2, 0
	v_mov_b32_e32 v3, v2
	s_mov_b64 s[6:7], 0
	global_store_dwordx4 v[4:5], v[0:3], off
.LBB160_735:
	s_andn2_b64 vcc, exec, s[6:7]
	s_cbranch_vccnz .LBB160_737
; %bb.736:
	v_cvt_f32_f64_e32 v2, v[0:1]
	v_mov_b32_e32 v3, 0
	global_store_dwordx2 v[4:5], v[2:3], off
.LBB160_737:
	s_mov_b64 s[6:7], 0
.LBB160_738:
	s_andn2_b64 vcc, exec, s[6:7]
	s_cbranch_vccnz .LBB160_740
; %bb.739:
	v_cvt_f32_f64_e32 v2, v[0:1]
	v_cvt_f16_f32_e32 v2, v2
	global_store_dword v[4:5], v2, off
.LBB160_740:
	s_mov_b64 s[6:7], 0
.LBB160_741:
	s_andn2_b64 vcc, exec, s[6:7]
	s_cbranch_vccnz .LBB160_750
; %bb.742:
	v_mov_b32_e32 v2, 6
	v_cmp_lt_i16_sdwa s[8:9], v41, v2 src0_sel:BYTE_0 src1_sel:DWORD
	s_mov_b64 s[6:7], -1
	s_and_b64 vcc, exec, s[8:9]
	s_cbranch_vccnz .LBB160_748
; %bb.743:
	v_cmp_gt_i16_sdwa s[8:9], v41, v2 src0_sel:BYTE_0 src1_sel:DWORD
	s_and_b64 vcc, exec, s[8:9]
	s_cbranch_vccz .LBB160_745
; %bb.744:
	s_mov_b64 s[6:7], 0
	global_store_dwordx2 v[4:5], v[0:1], off
.LBB160_745:
	s_andn2_b64 vcc, exec, s[6:7]
	s_cbranch_vccnz .LBB160_747
; %bb.746:
	v_cvt_f32_f64_e32 v2, v[0:1]
	global_store_dword v[4:5], v2, off
.LBB160_747:
	s_mov_b64 s[6:7], 0
.LBB160_748:
	s_andn2_b64 vcc, exec, s[6:7]
	s_cbranch_vccnz .LBB160_750
; %bb.749:
	v_cvt_f32_f64_e32 v2, v[0:1]
	v_cvt_f16_f32_e32 v2, v2
	global_store_short v[4:5], v2, off
.LBB160_750:
	s_mov_b64 s[6:7], 0
.LBB160_751:
	s_andn2_b64 vcc, exec, s[6:7]
	s_cbranch_vccnz .LBB160_767
; %bb.752:
	v_mov_b32_e32 v2, 2
	v_cmp_lt_i16_sdwa s[8:9], v41, v2 src0_sel:BYTE_0 src1_sel:DWORD
	s_mov_b64 s[6:7], -1
	s_and_b64 vcc, exec, s[8:9]
	s_cbranch_vccnz .LBB160_762
; %bb.753:
	v_mov_b32_e32 v2, 3
	v_cmp_lt_i16_sdwa s[8:9], v41, v2 src0_sel:BYTE_0 src1_sel:DWORD
	s_and_b64 vcc, exec, s[8:9]
	s_cbranch_vccnz .LBB160_759
; %bb.754:
	v_cmp_gt_i16_sdwa s[8:9], v41, v2 src0_sel:BYTE_0 src1_sel:DWORD
	s_and_b64 vcc, exec, s[8:9]
	s_cbranch_vccz .LBB160_756
; %bb.755:
	v_trunc_f64_e32 v[2:3], v[0:1]
	s_movk_i32 s6, 0xffe0
	v_ldexp_f64 v[6:7], v[2:3], s6
	v_floor_f64_e32 v[6:7], v[6:7]
	v_fmac_f64_e32 v[2:3], 0xc1f00000, v[6:7]
	v_cvt_i32_f64_e32 v9, v[6:7]
	v_cvt_u32_f64_e32 v8, v[2:3]
	s_mov_b64 s[6:7], 0
	global_store_dwordx2 v[4:5], v[8:9], off
.LBB160_756:
	s_andn2_b64 vcc, exec, s[6:7]
	s_cbranch_vccnz .LBB160_758
; %bb.757:
	v_cvt_i32_f64_e32 v2, v[0:1]
	global_store_dword v[4:5], v2, off
.LBB160_758:
	s_mov_b64 s[6:7], 0
.LBB160_759:
	s_andn2_b64 vcc, exec, s[6:7]
	s_cbranch_vccnz .LBB160_761
; %bb.760:
	v_cvt_i32_f64_e32 v2, v[0:1]
	global_store_short v[4:5], v2, off
.LBB160_761:
	s_mov_b64 s[6:7], 0
.LBB160_762:
	s_andn2_b64 vcc, exec, s[6:7]
	s_cbranch_vccnz .LBB160_767
; %bb.763:
	v_mov_b32_e32 v2, 0
	v_cmp_gt_i16_sdwa s[8:9], v41, v2 src0_sel:BYTE_0 src1_sel:DWORD
	s_mov_b64 s[6:7], -1
	s_and_b64 vcc, exec, s[8:9]
	s_cbranch_vccz .LBB160_765
; %bb.764:
	v_cvt_i32_f64_e32 v2, v[0:1]
	s_mov_b64 s[6:7], 0
	global_store_byte v[4:5], v2, off
.LBB160_765:
	s_andn2_b64 vcc, exec, s[6:7]
	s_cbranch_vccnz .LBB160_767
; %bb.766:
	v_trunc_f64_e32 v[0:1], v[0:1]
	s_movk_i32 s6, 0xffe0
	v_ldexp_f64 v[2:3], v[0:1], s6
	v_floor_f64_e32 v[2:3], v[2:3]
	v_fmac_f64_e32 v[0:1], 0xc1f00000, v[2:3]
	v_cvt_u32_f64_e32 v0, v[0:1]
	global_store_byte v[4:5], v0, off
.LBB160_767:
	s_mov_b64 s[6:7], -1
.LBB160_768:
	s_andn2_b64 vcc, exec, s[6:7]
	s_cbranch_vccnz .LBB160_781
; %bb.769:
	v_add_u32_e32 v62, 0x80, v62
	s_mov_b64 s[6:7], -1
.LBB160_770:
	s_andn2_b64 s[8:9], s[88:89], exec
	s_and_b64 s[4:5], s[4:5], exec
	s_or_b64 s[42:43], s[8:9], s[4:5]
	s_andn2_b64 s[4:5], s[90:91], exec
	s_and_b64 s[8:9], s[18:19], exec
	s_or_b64 s[74:75], s[4:5], s[8:9]
	;; [unrolled: 3-line block ×3, first 2 shown]
	s_orn2_b64 s[4:5], s[6:7], exec
.LBB160_771:
	s_or_b64 exec, exec, s[80:81]
	s_mov_b64 s[10:11], 0
	s_mov_b64 s[8:9], 0
	;; [unrolled: 1-line block ×3, first 2 shown]
                                        ; implicit-def: $vgpr2
                                        ; implicit-def: $vgpr0_vgpr1
                                        ; implicit-def: $vgpr4_vgpr5
	s_and_saveexec_b64 s[36:37], s[4:5]
	s_cbranch_execz .LBB160_1249
; %bb.772:
	s_mov_b64 s[18:19], -1
	s_mov_b64 s[4:5], s[98:99]
	s_mov_b64 s[6:7], s[74:75]
	;; [unrolled: 1-line block ×3, first 2 shown]
	v_cmp_gt_i32_e32 vcc, s33, v62
	s_mov_b64 s[10:11], exec
                                        ; implicit-def: $vgpr64 : SGPR spill to VGPR lane
	v_writelane_b32 v64, s10, 0
	v_writelane_b32 v64, s11, 1
	s_and_b64 s[10:11], s[10:11], vcc
	s_mov_b64 exec, s[10:11]
	s_cbranch_execz .LBB160_1165
; %bb.773:
	s_waitcnt vmcnt(0)
	v_mul_lo_u32 v0, v62, s29
	v_ashrrev_i32_e32 v1, 31, v0
	v_mov_b32_e32 v3, s79
	v_add_co_u32_e32 v2, vcc, s78, v0
	v_mov_b32_e32 v0, 11
	v_addc_co_u32_e32 v3, vcc, v3, v1, vcc
	v_cmp_lt_i16_sdwa s[4:5], v60, v0 src0_sel:BYTE_0 src1_sel:DWORD
	s_and_b64 vcc, exec, s[4:5]
	s_cbranch_vccnz .LBB160_780
; %bb.774:
	v_mov_b32_e32 v0, 25
	v_cmp_gt_i16_sdwa s[4:5], v60, v0 src0_sel:BYTE_0 src1_sel:DWORD
	s_and_b64 vcc, exec, s[4:5]
	s_cbranch_vccz .LBB160_782
; %bb.775:
	v_mov_b32_e32 v0, 28
	v_cmp_gt_i16_sdwa s[4:5], v60, v0 src0_sel:BYTE_0 src1_sel:DWORD
	s_and_b64 vcc, exec, s[4:5]
	s_cbranch_vccz .LBB160_783
	;; [unrolled: 5-line block ×4, first 2 shown]
; %bb.778:
	v_mov_b32_e32 v0, 46
	v_cmp_eq_u16_sdwa s[4:5], v60, v0 src0_sel:BYTE_0 src1_sel:DWORD
	s_mov_b64 s[6:7], 0
	s_and_b64 vcc, exec, s[4:5]
	s_cbranch_vccz .LBB160_788
; %bb.779:
	global_load_dword v0, v[2:3], off
	s_mov_b64 s[8:9], 0
	v_writelane_b32 v64, s8, 2
	s_mov_b64 s[4:5], -1
	v_writelane_b32 v64, s9, 3
	s_waitcnt vmcnt(0)
	v_lshlrev_b32_e32 v0, 16, v0
	v_cvt_f64_f32_e32 v[0:1], v0
	s_branch .LBB160_789
.LBB160_780:
	v_writelane_b32 v64, s98, 2
	s_mov_b64 s[6:7], -1
	s_mov_b64 s[4:5], 0
                                        ; implicit-def: $vgpr0_vgpr1
	v_writelane_b32 v64, s99, 3
	s_branch .LBB160_854
.LBB160_781:
	s_mov_b64 s[6:7], 0
	s_branch .LBB160_528
.LBB160_782:
	s_mov_b64 s[6:7], -1
	s_mov_b64 s[4:5], 0
	v_writelane_b32 v64, s98, 2
                                        ; implicit-def: $vgpr0_vgpr1
	v_writelane_b32 v64, s99, 3
	s_branch .LBB160_818
.LBB160_783:
	s_mov_b64 s[6:7], -1
	s_mov_b64 s[4:5], 0
	v_writelane_b32 v64, s98, 2
                                        ; implicit-def: $vgpr0_vgpr1
	v_writelane_b32 v64, s99, 3
	s_branch .LBB160_799
.LBB160_784:
	s_mov_b64 s[6:7], -1
	s_mov_b64 s[4:5], 0
	v_writelane_b32 v64, s98, 2
                                        ; implicit-def: $vgpr0_vgpr1
	v_writelane_b32 v64, s99, 3
	s_branch .LBB160_794
.LBB160_785:
	s_mov_b64 s[6:7], -1
	s_mov_b64 s[4:5], 0
	v_writelane_b32 v64, s98, 2
	v_writelane_b32 v64, s99, 3
                                        ; implicit-def: $vgpr0_vgpr1
	s_branch .LBB160_789
.LBB160_786:
	s_or_saveexec_b64 s[10:11], s[10:11]
                                        ; implicit-def: $sgpr12
	s_xor_b64 exec, exec, s[10:11]
	s_cbranch_execz .LBB160_681
.LBB160_787:
	s_mov_b32 s12, 0x46000000
	v_add_f32_e64 v3, |v2|, s12
	v_and_b32_e32 v3, 0xff, v3
	v_cmp_ne_u32_e32 vcc, 0, v3
	s_andn2_b64 s[8:9], s[8:9], exec
	s_and_b64 s[14:15], vcc, exec
	s_mov_b32 s12, 0
	s_or_b64 s[8:9], s[8:9], s[14:15]
	s_or_b64 exec, exec, s[10:11]
	v_mov_b32_e32 v6, s12
	s_and_saveexec_b64 s[10:11], s[8:9]
	s_cbranch_execnz .LBB160_682
	s_branch .LBB160_683
.LBB160_788:
	s_mov_b64 s[4:5], -1
	v_writelane_b32 v64, s4, 2
	v_writelane_b32 v64, s5, 3
                                        ; implicit-def: $vgpr0_vgpr1
	s_mov_b64 s[4:5], 0
.LBB160_789:
	s_and_b64 vcc, exec, s[6:7]
	s_cbranch_vccz .LBB160_793
; %bb.790:
	v_mov_b32_e32 v0, 44
	v_cmp_eq_u16_sdwa s[6:7], v60, v0 src0_sel:BYTE_0 src1_sel:DWORD
	s_and_b64 vcc, exec, s[6:7]
	s_cbranch_vccz .LBB160_792
; %bb.791:
	global_load_ubyte v4, v[2:3], off
	s_movk_i32 s6, 0xff
	v_bfrev_b32_e32 v5, 4
	v_mov_b32_e32 v6, 0x7ff80000
	v_bfrev_b32_e32 v7, 28
	s_mov_b64 s[4:5], -1
	s_waitcnt vmcnt(0)
	v_lshlrev_b32_e32 v0, 23, v4
	v_cvt_f64_f32_e32 v[0:1], v0
	v_cmp_ne_u32_e32 vcc, s6, v4
	v_cndmask_b32_e32 v0, v5, v0, vcc
	v_cndmask_b32_e32 v1, v6, v1, vcc
	v_cmp_ne_u32_e32 vcc, 0, v4
	s_mov_b64 s[6:7], 0
	v_cndmask_b32_e32 v1, v7, v1, vcc
	v_cndmask_b32_e32 v0, 0, v0, vcc
	v_writelane_b32 v64, s6, 2
	v_writelane_b32 v64, s7, 3
	s_branch .LBB160_793
.LBB160_792:
	s_mov_b64 s[6:7], -1
	v_writelane_b32 v64, s6, 2
	v_writelane_b32 v64, s7, 3
                                        ; implicit-def: $vgpr0_vgpr1
.LBB160_793:
	s_mov_b64 s[6:7], 0
.LBB160_794:
	s_and_b64 vcc, exec, s[6:7]
	s_cbranch_vccz .LBB160_798
; %bb.795:
	v_mov_b32_e32 v0, 29
	v_cmp_eq_u16_sdwa s[6:7], v60, v0 src0_sel:BYTE_0 src1_sel:DWORD
	s_and_b64 vcc, exec, s[6:7]
	s_cbranch_vccz .LBB160_797
; %bb.796:
	global_load_dwordx2 v[0:1], v[2:3], off
	s_mov_b64 s[6:7], 0
	v_writelane_b32 v64, s6, 2
	s_mov_b64 s[4:5], -1
	v_writelane_b32 v64, s7, 3
	s_mov_b64 s[6:7], 0
	s_waitcnt vmcnt(0)
	v_cvt_f64_u32_e32 v[4:5], v1
	v_cvt_f64_u32_e32 v[0:1], v0
	v_ldexp_f64 v[4:5], v[4:5], 32
	v_add_f64 v[0:1], v[4:5], v[0:1]
	s_branch .LBB160_799
.LBB160_797:
	s_mov_b64 s[6:7], -1
	v_writelane_b32 v64, s6, 2
	v_writelane_b32 v64, s7, 3
                                        ; implicit-def: $vgpr0_vgpr1
.LBB160_798:
	s_mov_b64 s[6:7], 0
.LBB160_799:
	s_and_b64 vcc, exec, s[6:7]
	s_cbranch_vccz .LBB160_817
; %bb.800:
	v_mov_b32_e32 v0, 27
	v_cmp_lt_i16_sdwa s[4:5], v60, v0 src0_sel:BYTE_0 src1_sel:DWORD
	s_and_b64 vcc, exec, s[4:5]
	s_cbranch_vccnz .LBB160_803
; %bb.801:
	v_cmp_gt_i16_sdwa s[4:5], v60, v0 src0_sel:BYTE_0 src1_sel:DWORD
	s_and_b64 vcc, exec, s[4:5]
	s_cbranch_vccz .LBB160_804
; %bb.802:
	global_load_dword v0, v[2:3], off
	s_mov_b64 s[4:5], 0
	s_waitcnt vmcnt(0)
	v_cvt_f64_u32_e32 v[0:1], v0
	s_branch .LBB160_805
.LBB160_803:
	s_mov_b64 s[4:5], -1
                                        ; implicit-def: $vgpr0_vgpr1
	s_branch .LBB160_808
.LBB160_804:
	s_mov_b64 s[4:5], -1
                                        ; implicit-def: $vgpr0_vgpr1
.LBB160_805:
	s_andn2_b64 vcc, exec, s[4:5]
	s_cbranch_vccnz .LBB160_807
; %bb.806:
	global_load_ushort v0, v[2:3], off
	s_waitcnt vmcnt(0)
	v_cvt_f64_u32_e32 v[0:1], v0
.LBB160_807:
	s_mov_b64 s[4:5], 0
.LBB160_808:
	s_andn2_b64 vcc, exec, s[4:5]
	s_cbranch_vccnz .LBB160_816
; %bb.809:
	global_load_ubyte v4, v[2:3], off
	s_movk_i32 s4, 0x7f
                                        ; implicit-def: $sgpr6_sgpr7
	s_waitcnt vmcnt(0)
	v_cmp_lt_i16_e32 vcc, s4, v4
	s_mov_b64 s[4:5], 0
	s_and_saveexec_b64 s[8:9], vcc
	s_xor_b64 s[8:9], exec, s[8:9]
	s_cbranch_execz .LBB160_830
; %bb.810:
	s_movk_i32 s4, 0x80
	v_cmp_eq_u16_e32 vcc, s4, v4
	s_mov_b64 s[10:11], -1
                                        ; implicit-def: $sgpr6_sgpr7
	s_and_saveexec_b64 s[4:5], vcc
; %bb.811:
	s_mov_b32 s7, 0x7ff80000
	s_brev_b32 s6, 4
	s_xor_b64 s[10:11], exec, -1
; %bb.812:
	s_or_b64 exec, exec, s[4:5]
	s_and_b64 s[4:5], s[10:11], exec
	s_or_saveexec_b64 s[8:9], s[8:9]
	v_pk_mov_b32 v[0:1], s[6:7], s[6:7] op_sel:[0,1]
	s_xor_b64 exec, exec, s[8:9]
	s_cbranch_execnz .LBB160_831
.LBB160_813:
	s_or_b64 exec, exec, s[8:9]
	s_and_saveexec_b64 s[6:7], s[4:5]
	s_cbranch_execz .LBB160_815
.LBB160_814:
	v_and_b32_e32 v1, 0xffff, v4
	v_lshlrev_b32_e32 v0, 24, v4
	v_and_b32_e32 v4, 7, v1
	v_ffbh_u32_e32 v6, v4
	v_min_u32_e32 v6, 32, v6
	v_subrev_u32_e32 v7, 28, v6
	v_bfe_u32 v5, v1, 3, 4
	v_lshlrev_b32_e32 v1, v7, v1
	v_sub_u32_e32 v6, 29, v6
	v_and_b32_e32 v1, 7, v1
	v_cmp_eq_u32_e32 vcc, 0, v5
	v_cndmask_b32_e32 v5, v5, v6, vcc
	v_cndmask_b32_e32 v1, v4, v1, vcc
	v_mov_b32_e32 v4, 0x3b800000
	v_lshlrev_b32_e32 v1, 20, v1
	v_and_b32_e32 v0, 0x80000000, v0
	v_lshl_add_u32 v4, v5, 23, v4
	v_or3_b32 v0, v0, v4, v1
	v_cvt_f64_f32_e32 v[0:1], v0
.LBB160_815:
	s_or_b64 exec, exec, s[6:7]
.LBB160_816:
	s_mov_b64 s[4:5], -1
.LBB160_817:
	s_mov_b64 s[6:7], 0
.LBB160_818:
	s_and_b64 vcc, exec, s[6:7]
	s_cbranch_vccz .LBB160_853
; %bb.819:
	v_mov_b32_e32 v0, 22
	v_cmp_gt_i16_sdwa s[6:7], v60, v0 src0_sel:BYTE_0 src1_sel:DWORD
	s_and_b64 vcc, exec, s[6:7]
	s_cbranch_vccz .LBB160_829
; %bb.820:
	v_mov_b32_e32 v0, 24
	v_cmp_lt_i16_sdwa s[4:5], v60, v0 src0_sel:BYTE_0 src1_sel:DWORD
	s_and_b64 vcc, exec, s[4:5]
	s_cbranch_vccnz .LBB160_832
; %bb.821:
	v_cmp_gt_i16_sdwa s[4:5], v60, v0 src0_sel:BYTE_0 src1_sel:DWORD
	s_and_b64 vcc, exec, s[4:5]
	s_cbranch_vccz .LBB160_833
; %bb.822:
	global_load_ubyte v4, v[2:3], off
	s_movk_i32 s4, 0x7f
                                        ; implicit-def: $sgpr6_sgpr7
	s_waitcnt vmcnt(0)
	v_cmp_lt_i16_e32 vcc, s4, v4
	s_mov_b64 s[4:5], 0
	s_and_saveexec_b64 s[8:9], vcc
	s_xor_b64 s[8:9], exec, s[8:9]
	s_cbranch_execz .LBB160_845
; %bb.823:
	s_movk_i32 s4, 0x80
	v_cmp_eq_u16_e32 vcc, s4, v4
	s_mov_b64 s[10:11], -1
                                        ; implicit-def: $sgpr6_sgpr7
	s_and_saveexec_b64 s[4:5], vcc
; %bb.824:
	s_mov_b32 s7, 0x7ff80000
	s_brev_b32 s6, 4
	s_xor_b64 s[10:11], exec, -1
; %bb.825:
	s_or_b64 exec, exec, s[4:5]
	s_and_b64 s[4:5], s[10:11], exec
	s_or_saveexec_b64 s[8:9], s[8:9]
	v_pk_mov_b32 v[0:1], s[6:7], s[6:7] op_sel:[0,1]
	s_xor_b64 exec, exec, s[8:9]
	s_cbranch_execnz .LBB160_846
.LBB160_826:
	s_or_b64 exec, exec, s[8:9]
	s_and_saveexec_b64 s[6:7], s[4:5]
	s_cbranch_execz .LBB160_828
.LBB160_827:
	v_and_b32_e32 v1, 0xffff, v4
	v_lshlrev_b32_e32 v0, 24, v4
	v_and_b32_e32 v4, 3, v1
	v_ffbh_u32_e32 v6, v4
	v_min_u32_e32 v6, 32, v6
	v_subrev_u32_e32 v7, 29, v6
	v_bfe_u32 v5, v1, 2, 5
	v_lshlrev_b32_e32 v1, v7, v1
	v_sub_u32_e32 v6, 30, v6
	v_and_b32_e32 v1, 3, v1
	v_cmp_eq_u32_e32 vcc, 0, v5
	v_cndmask_b32_e32 v5, v5, v6, vcc
	v_cndmask_b32_e32 v1, v4, v1, vcc
	v_mov_b32_e32 v4, 0x37800000
	v_lshlrev_b32_e32 v1, 21, v1
	v_and_b32_e32 v0, 0x80000000, v0
	v_lshl_add_u32 v4, v5, 23, v4
	v_or3_b32 v0, v0, v4, v1
	v_cvt_f64_f32_e32 v[0:1], v0
.LBB160_828:
	s_or_b64 exec, exec, s[6:7]
	s_mov_b64 s[4:5], 0
	s_branch .LBB160_834
.LBB160_829:
	s_mov_b64 s[6:7], -1
                                        ; implicit-def: $vgpr0_vgpr1
	s_branch .LBB160_840
.LBB160_830:
	s_or_saveexec_b64 s[8:9], s[8:9]
	v_pk_mov_b32 v[0:1], s[6:7], s[6:7] op_sel:[0,1]
	s_xor_b64 exec, exec, s[8:9]
	s_cbranch_execz .LBB160_813
.LBB160_831:
	v_cmp_ne_u16_e32 vcc, 0, v4
	s_andn2_b64 s[4:5], s[4:5], exec
	s_and_b64 s[6:7], vcc, exec
	v_pk_mov_b32 v[0:1], 0, 0
	s_or_b64 s[4:5], s[4:5], s[6:7]
	s_or_b64 exec, exec, s[8:9]
	s_and_saveexec_b64 s[6:7], s[4:5]
	s_cbranch_execnz .LBB160_814
	s_branch .LBB160_815
.LBB160_832:
	s_mov_b64 s[4:5], -1
                                        ; implicit-def: $vgpr0_vgpr1
	s_branch .LBB160_837
.LBB160_833:
	s_mov_b64 s[4:5], -1
                                        ; implicit-def: $vgpr0_vgpr1
.LBB160_834:
	s_and_b64 vcc, exec, s[4:5]
	s_cbranch_vccz .LBB160_836
; %bb.835:
	global_load_ubyte v0, v[2:3], off
	s_mov_b32 s4, 0x7f800000
	s_waitcnt vmcnt(0)
	v_lshlrev_b32_e32 v0, 24, v0
	v_and_b32_e32 v1, 0x7f000000, v0
	v_ffbh_u32_e32 v4, v1
	v_min_u32_e32 v4, 32, v4
	v_sub_u32_e64 v4, v4, 4 clamp
	v_lshlrev_b32_e32 v6, v4, v1
	v_lshlrev_b32_e32 v4, 23, v4
	v_lshrrev_b32_e32 v6, 4, v6
	v_add_u32_e32 v5, 0x1000000, v1
	v_sub_u32_e32 v4, v6, v4
	v_ashrrev_i32_e32 v5, 8, v5
	v_add_u32_e32 v4, 0x3c000000, v4
	v_and_or_b32 v4, v5, s4, v4
	v_cmp_ne_u32_e32 vcc, 0, v1
	v_cndmask_b32_e32 v1, 0, v4, vcc
	s_brev_b32 s4, 1
	v_and_or_b32 v0, v0, s4, v1
	v_cvt_f64_f32_e32 v[0:1], v0
.LBB160_836:
	s_mov_b64 s[4:5], 0
.LBB160_837:
	s_andn2_b64 vcc, exec, s[4:5]
	s_cbranch_vccnz .LBB160_839
; %bb.838:
	global_load_ubyte v0, v[2:3], off
	s_movk_i32 s4, 0x7f00
	s_brev_b32 s5, 16
	s_waitcnt vmcnt(0)
	v_lshlrev_b16_e32 v1, 8, v0
	v_lshlrev_b32_e32 v0, 25, v0
	v_lshrrev_b32_e32 v4, 4, v0
	v_and_or_b32 v5, v1, s4, 0.5
	v_or_b32_e32 v4, 0x70000000, v4
	v_add_f32_e32 v5, -0.5, v5
	v_mul_f32_e32 v4, 0x7800000, v4
	v_cmp_gt_u32_e32 vcc, s5, v0
	v_bfe_i32 v1, v1, 0, 16
	v_cndmask_b32_e32 v0, v4, v5, vcc
	s_brev_b32 s4, 1
	v_and_or_b32 v0, v1, s4, v0
	v_cvt_f64_f32_e32 v[0:1], v0
.LBB160_839:
	s_mov_b64 s[6:7], 0
	s_mov_b64 s[4:5], -1
.LBB160_840:
	s_andn2_b64 vcc, exec, s[6:7]
	s_cbranch_vccnz .LBB160_853
; %bb.841:
	v_mov_b32_e32 v0, 14
	v_cmp_gt_i16_sdwa s[6:7], v60, v0 src0_sel:BYTE_0 src1_sel:DWORD
	s_and_b64 vcc, exec, s[6:7]
	s_cbranch_vccz .LBB160_844
; %bb.842:
	v_mov_b32_e32 v0, 15
	v_cmp_eq_u16_sdwa s[6:7], v60, v0 src0_sel:BYTE_0 src1_sel:DWORD
	s_and_b64 vcc, exec, s[6:7]
	s_cbranch_vccz .LBB160_847
; %bb.843:
	global_load_ushort v0, v[2:3], off
	s_mov_b64 s[6:7], 0
	v_writelane_b32 v64, s6, 2
	s_mov_b64 s[4:5], -1
	v_writelane_b32 v64, s7, 3
	s_waitcnt vmcnt(0)
	v_lshlrev_b32_e32 v0, 16, v0
	v_cvt_f64_f32_e32 v[0:1], v0
	s_branch .LBB160_848
.LBB160_844:
	s_mov_b64 s[6:7], -1
                                        ; implicit-def: $vgpr0_vgpr1
	s_branch .LBB160_849
.LBB160_845:
	s_or_saveexec_b64 s[8:9], s[8:9]
	v_pk_mov_b32 v[0:1], s[6:7], s[6:7] op_sel:[0,1]
	s_xor_b64 exec, exec, s[8:9]
	s_cbranch_execz .LBB160_826
.LBB160_846:
	v_cmp_ne_u16_e32 vcc, 0, v4
	s_andn2_b64 s[4:5], s[4:5], exec
	s_and_b64 s[6:7], vcc, exec
	v_pk_mov_b32 v[0:1], 0, 0
	s_or_b64 s[4:5], s[4:5], s[6:7]
	s_or_b64 exec, exec, s[8:9]
	s_and_saveexec_b64 s[6:7], s[4:5]
	s_cbranch_execnz .LBB160_827
	s_branch .LBB160_828
.LBB160_847:
	s_mov_b64 s[6:7], -1
	v_writelane_b32 v64, s6, 2
	v_writelane_b32 v64, s7, 3
                                        ; implicit-def: $vgpr0_vgpr1
.LBB160_848:
	s_mov_b64 s[6:7], 0
.LBB160_849:
	s_and_b64 vcc, exec, s[6:7]
	s_cbranch_vccz .LBB160_853
; %bb.850:
	v_mov_b32_e32 v0, 11
	v_cmp_eq_u16_sdwa s[6:7], v60, v0 src0_sel:BYTE_0 src1_sel:DWORD
	s_and_b64 vcc, exec, s[6:7]
	s_cbranch_vccz .LBB160_852
; %bb.851:
	global_load_ubyte v1, v[2:3], off
	v_mov_b32_e32 v4, 0x3ff00000
	s_mov_b64 s[6:7], 0
	v_mov_b32_e32 v0, 0
	s_mov_b64 s[4:5], -1
	v_writelane_b32 v64, s6, 2
	v_writelane_b32 v64, s7, 3
	s_waitcnt vmcnt(0)
	v_cmp_ne_u16_e32 vcc, 0, v1
	v_cndmask_b32_e32 v1, 0, v4, vcc
	s_branch .LBB160_853
.LBB160_852:
	s_mov_b64 s[6:7], -1
	v_writelane_b32 v64, s6, 2
	v_writelane_b32 v64, s7, 3
                                        ; implicit-def: $vgpr0_vgpr1
.LBB160_853:
	s_mov_b64 s[6:7], 0
.LBB160_854:
	s_and_b64 vcc, exec, s[6:7]
	s_cbranch_vccz .LBB160_903
; %bb.855:
	v_mov_b32_e32 v0, 5
	v_cmp_lt_i16_sdwa s[4:5], v60, v0 src0_sel:BYTE_0 src1_sel:DWORD
	s_and_b64 vcc, exec, s[4:5]
	s_cbranch_vccnz .LBB160_860
; %bb.856:
	v_mov_b32_e32 v0, 8
	v_cmp_lt_i16_sdwa s[4:5], v60, v0 src0_sel:BYTE_0 src1_sel:DWORD
	s_and_b64 vcc, exec, s[4:5]
	s_cbranch_vccnz .LBB160_861
	;; [unrolled: 5-line block ×3, first 2 shown]
; %bb.858:
	v_cmp_gt_i16_sdwa s[4:5], v60, v0 src0_sel:BYTE_0 src1_sel:DWORD
	s_and_b64 vcc, exec, s[4:5]
	s_cbranch_vccz .LBB160_863
; %bb.859:
	global_load_dwordx2 v[0:1], v[2:3], off
	s_mov_b64 s[4:5], 0
	s_branch .LBB160_864
.LBB160_860:
	s_mov_b64 s[4:5], -1
                                        ; implicit-def: $vgpr0_vgpr1
	s_branch .LBB160_882
.LBB160_861:
	s_mov_b64 s[4:5], -1
                                        ; implicit-def: $vgpr0_vgpr1
	s_branch .LBB160_870
.LBB160_862:
	s_mov_b64 s[4:5], -1
                                        ; implicit-def: $vgpr0_vgpr1
	s_branch .LBB160_867
.LBB160_863:
	s_mov_b64 s[4:5], -1
                                        ; implicit-def: $vgpr0_vgpr1
.LBB160_864:
	s_andn2_b64 vcc, exec, s[4:5]
	s_cbranch_vccnz .LBB160_866
; %bb.865:
	global_load_dword v0, v[2:3], off
	s_waitcnt vmcnt(0)
	v_cvt_f64_f32_e32 v[0:1], v0
.LBB160_866:
	s_mov_b64 s[4:5], 0
.LBB160_867:
	s_andn2_b64 vcc, exec, s[4:5]
	s_cbranch_vccnz .LBB160_869
; %bb.868:
	global_load_dword v0, v[2:3], off
	s_waitcnt vmcnt(0)
	v_cvt_f32_f16_e32 v0, v0
	v_cvt_f64_f32_e32 v[0:1], v0
.LBB160_869:
	s_mov_b64 s[4:5], 0
.LBB160_870:
	s_andn2_b64 vcc, exec, s[4:5]
	s_cbranch_vccnz .LBB160_881
; %bb.871:
	s_waitcnt vmcnt(0)
	v_mov_b32_e32 v0, 6
	v_cmp_lt_i16_sdwa s[4:5], v60, v0 src0_sel:BYTE_0 src1_sel:DWORD
	s_and_b64 vcc, exec, s[4:5]
	s_cbranch_vccnz .LBB160_874
; %bb.872:
	v_cmp_gt_i16_sdwa s[4:5], v60, v0 src0_sel:BYTE_0 src1_sel:DWORD
	s_and_b64 vcc, exec, s[4:5]
	s_cbranch_vccz .LBB160_875
; %bb.873:
	global_load_dwordx2 v[0:1], v[2:3], off
	s_mov_b64 s[4:5], 0
	s_branch .LBB160_876
.LBB160_874:
	s_mov_b64 s[4:5], -1
                                        ; implicit-def: $vgpr0_vgpr1
	s_branch .LBB160_879
.LBB160_875:
	s_mov_b64 s[4:5], -1
                                        ; implicit-def: $vgpr0_vgpr1
.LBB160_876:
	s_andn2_b64 vcc, exec, s[4:5]
	s_cbranch_vccnz .LBB160_878
; %bb.877:
	global_load_dword v0, v[2:3], off
	s_waitcnt vmcnt(0)
	v_cvt_f64_f32_e32 v[0:1], v0
.LBB160_878:
	s_mov_b64 s[4:5], 0
.LBB160_879:
	s_andn2_b64 vcc, exec, s[4:5]
	s_cbranch_vccnz .LBB160_881
; %bb.880:
	global_load_ushort v0, v[2:3], off
	s_waitcnt vmcnt(0)
	v_cvt_f32_f16_e32 v0, v0
	v_cvt_f64_f32_e32 v[0:1], v0
.LBB160_881:
	s_mov_b64 s[4:5], 0
.LBB160_882:
	s_andn2_b64 vcc, exec, s[4:5]
	s_cbranch_vccnz .LBB160_902
; %bb.883:
	s_waitcnt vmcnt(0)
	v_mov_b32_e32 v0, 2
	v_cmp_lt_i16_sdwa s[4:5], v60, v0 src0_sel:BYTE_0 src1_sel:DWORD
	s_and_b64 vcc, exec, s[4:5]
	s_cbranch_vccnz .LBB160_887
; %bb.884:
	v_mov_b32_e32 v0, 3
	v_cmp_lt_i16_sdwa s[4:5], v60, v0 src0_sel:BYTE_0 src1_sel:DWORD
	s_and_b64 vcc, exec, s[4:5]
	s_cbranch_vccnz .LBB160_888
; %bb.885:
	v_cmp_gt_i16_sdwa s[4:5], v60, v0 src0_sel:BYTE_0 src1_sel:DWORD
	s_and_b64 vcc, exec, s[4:5]
	s_cbranch_vccz .LBB160_889
; %bb.886:
	global_load_dwordx2 v[0:1], v[2:3], off
	s_mov_b64 s[4:5], 0
	s_waitcnt vmcnt(0)
	v_cvt_f64_i32_e32 v[4:5], v1
	v_cvt_f64_u32_e32 v[0:1], v0
	v_ldexp_f64 v[4:5], v[4:5], 32
	v_add_f64 v[0:1], v[4:5], v[0:1]
	s_branch .LBB160_890
.LBB160_887:
	s_mov_b64 s[4:5], -1
                                        ; implicit-def: $vgpr0_vgpr1
	s_branch .LBB160_896
.LBB160_888:
	s_mov_b64 s[4:5], -1
                                        ; implicit-def: $vgpr0_vgpr1
	s_branch .LBB160_893
.LBB160_889:
	s_mov_b64 s[4:5], -1
                                        ; implicit-def: $vgpr0_vgpr1
.LBB160_890:
	s_andn2_b64 vcc, exec, s[4:5]
	s_cbranch_vccnz .LBB160_892
; %bb.891:
	global_load_dword v0, v[2:3], off
	s_waitcnt vmcnt(0)
	v_cvt_f64_i32_e32 v[0:1], v0
.LBB160_892:
	s_mov_b64 s[4:5], 0
.LBB160_893:
	s_andn2_b64 vcc, exec, s[4:5]
	s_cbranch_vccnz .LBB160_895
; %bb.894:
	global_load_sshort v0, v[2:3], off
	s_waitcnt vmcnt(0)
	v_cvt_f64_i32_e32 v[0:1], v0
.LBB160_895:
	s_mov_b64 s[4:5], 0
.LBB160_896:
	s_andn2_b64 vcc, exec, s[4:5]
	s_cbranch_vccnz .LBB160_902
; %bb.897:
	v_mov_b32_e32 v0, 0
	v_cmp_gt_i16_sdwa s[4:5], v60, v0 src0_sel:BYTE_0 src1_sel:DWORD
	s_and_b64 vcc, exec, s[4:5]
	s_cbranch_vccz .LBB160_899
; %bb.898:
	global_load_sbyte v0, v[2:3], off
	s_mov_b64 s[4:5], 0
	s_waitcnt vmcnt(0)
	v_cvt_f64_i32_e32 v[0:1], v0
	s_branch .LBB160_900
.LBB160_899:
	s_mov_b64 s[4:5], -1
                                        ; implicit-def: $vgpr0_vgpr1
.LBB160_900:
	s_andn2_b64 vcc, exec, s[4:5]
	s_cbranch_vccnz .LBB160_902
; %bb.901:
	global_load_ubyte v0, v[2:3], off
	s_waitcnt vmcnt(0)
	v_cvt_f64_u32_e32 v[0:1], v0
.LBB160_902:
	s_mov_b64 s[4:5], -1
.LBB160_903:
	s_andn2_b64 vcc, exec, s[4:5]
	s_cbranch_vccnz .LBB160_911
; %bb.904:
	v_mul_lo_u32 v2, v62, s30
	v_ashrrev_i32_e32 v3, 31, v2
	v_mov_b32_e32 v5, s35
	v_add_co_u32_e32 v4, vcc, s34, v2
	v_mov_b32_e32 v2, 11
	v_addc_co_u32_e32 v5, vcc, v5, v3, vcc
	v_cmp_lt_i16_sdwa s[4:5], v63, v2 src0_sel:BYTE_0 src1_sel:DWORD
	s_and_b64 vcc, exec, s[4:5]
	s_cbranch_vccnz .LBB160_912
; %bb.905:
	v_mov_b32_e32 v2, 25
	v_cmp_gt_i16_sdwa s[4:5], v63, v2 src0_sel:BYTE_0 src1_sel:DWORD
	s_and_b64 vcc, exec, s[4:5]
	s_cbranch_vccz .LBB160_913
; %bb.906:
	v_mov_b32_e32 v2, 28
	v_cmp_gt_i16_sdwa s[4:5], v63, v2 src0_sel:BYTE_0 src1_sel:DWORD
	s_and_b64 vcc, exec, s[4:5]
	s_cbranch_vccz .LBB160_914
; %bb.907:
	v_mov_b32_e32 v2, 43
	v_cmp_gt_i16_sdwa s[4:5], v63, v2 src0_sel:BYTE_0 src1_sel:DWORD
	s_and_b64 vcc, exec, s[4:5]
	s_cbranch_vccz .LBB160_915
; %bb.908:
	v_mov_b32_e32 v2, 45
	v_cmp_gt_i16_sdwa s[4:5], v63, v2 src0_sel:BYTE_0 src1_sel:DWORD
	s_and_b64 vcc, exec, s[4:5]
	s_cbranch_vccz .LBB160_916
; %bb.909:
	v_mov_b32_e32 v2, 46
	v_cmp_eq_u16_sdwa s[4:5], v63, v2 src0_sel:BYTE_0 src1_sel:DWORD
	s_mov_b64 s[6:7], 0
	s_and_b64 vcc, exec, s[4:5]
	s_cbranch_vccz .LBB160_919
; %bb.910:
	global_load_dword v2, v[4:5], off
	s_mov_b64 s[8:9], 0
	v_writelane_b32 v64, s8, 4
	s_mov_b64 s[4:5], -1
	v_writelane_b32 v64, s9, 5
	s_waitcnt vmcnt(0)
	v_lshlrev_b32_e32 v2, 16, v2
	v_cvt_f64_f32_e32 v[2:3], v2
	s_branch .LBB160_920
.LBB160_911:
	s_mov_b64 s[10:11], 0
                                        ; implicit-def: $vgpr62
	s_mov_b64 s[4:5], s[42:43]
	s_mov_b64 s[12:13], s[74:75]
	s_branch .LBB160_1164
.LBB160_912:
	v_writelane_b32 v64, s74, 4
	s_mov_b64 s[6:7], -1
	s_mov_b64 s[4:5], 0
                                        ; implicit-def: $vgpr2_vgpr3
	v_writelane_b32 v64, s75, 5
	s_branch .LBB160_988
.LBB160_913:
	s_mov_b64 s[6:7], -1
	s_mov_b64 s[4:5], 0
	v_writelane_b32 v64, s74, 4
                                        ; implicit-def: $vgpr2_vgpr3
	v_writelane_b32 v64, s75, 5
	s_branch .LBB160_951
.LBB160_914:
	s_mov_b64 s[6:7], -1
	s_mov_b64 s[4:5], 0
	v_writelane_b32 v64, s74, 4
                                        ; implicit-def: $vgpr2_vgpr3
	v_writelane_b32 v64, s75, 5
	s_branch .LBB160_932
.LBB160_915:
	s_mov_b64 s[6:7], -1
	s_mov_b64 s[4:5], 0
	v_writelane_b32 v64, s74, 4
                                        ; implicit-def: $vgpr2_vgpr3
	v_writelane_b32 v64, s75, 5
	s_branch .LBB160_926
.LBB160_916:
	s_mov_b64 s[6:7], -1
	s_mov_b64 s[4:5], 0
	v_writelane_b32 v64, s74, 4
	v_writelane_b32 v64, s75, 5
                                        ; implicit-def: $vgpr2_vgpr3
	s_branch .LBB160_920
.LBB160_917:
	s_or_saveexec_b64 s[10:11], s[10:11]
                                        ; implicit-def: $sgpr12
	s_xor_b64 exec, exec, s[10:11]
	s_cbranch_execz .LBB160_694
.LBB160_918:
	s_mov_b32 s12, 0x42800000
	v_add_f32_e64 v3, |v2|, s12
	v_and_b32_e32 v3, 0xff, v3
	v_cmp_ne_u32_e32 vcc, 0, v3
	s_andn2_b64 s[8:9], s[8:9], exec
	s_and_b64 s[14:15], vcc, exec
	s_mov_b32 s12, 0
	s_or_b64 s[8:9], s[8:9], s[14:15]
	s_or_b64 exec, exec, s[10:11]
	v_mov_b32_e32 v6, s12
	s_and_saveexec_b64 s[10:11], s[8:9]
	s_cbranch_execnz .LBB160_695
	s_branch .LBB160_696
.LBB160_919:
	s_mov_b64 s[4:5], -1
	v_writelane_b32 v64, s4, 4
	v_writelane_b32 v64, s5, 5
                                        ; implicit-def: $vgpr2_vgpr3
	s_mov_b64 s[4:5], 0
.LBB160_920:
	s_and_b64 vcc, exec, s[6:7]
	s_cbranch_vccz .LBB160_925
; %bb.921:
	v_mov_b32_e32 v2, 44
	v_cmp_eq_u16_sdwa s[6:7], v63, v2 src0_sel:BYTE_0 src1_sel:DWORD
	s_and_b64 vcc, exec, s[6:7]
	s_cbranch_vccz .LBB160_923
; %bb.922:
	global_load_ubyte v6, v[4:5], off
	s_movk_i32 s6, 0xff
	v_bfrev_b32_e32 v7, 4
	v_mov_b32_e32 v8, 0x7ff80000
	v_bfrev_b32_e32 v9, 28
	s_mov_b64 s[4:5], -1
	s_waitcnt vmcnt(0)
	v_lshlrev_b32_e32 v2, 23, v6
	v_cvt_f64_f32_e32 v[2:3], v2
	v_cmp_ne_u32_e32 vcc, s6, v6
	v_cndmask_b32_e32 v2, v7, v2, vcc
	v_cndmask_b32_e32 v3, v8, v3, vcc
	v_cmp_ne_u32_e32 vcc, 0, v6
	v_cndmask_b32_e32 v3, v9, v3, vcc
	v_cndmask_b32_e32 v2, 0, v2, vcc
	s_mov_b64 s[6:7], 0
	s_branch .LBB160_924
.LBB160_923:
	s_mov_b64 s[6:7], -1
                                        ; implicit-def: $vgpr2_vgpr3
.LBB160_924:
	v_writelane_b32 v64, s6, 4
	v_writelane_b32 v64, s7, 5
.LBB160_925:
	s_mov_b64 s[6:7], 0
.LBB160_926:
	s_and_b64 vcc, exec, s[6:7]
	s_cbranch_vccz .LBB160_931
; %bb.927:
	v_mov_b32_e32 v2, 29
	v_cmp_eq_u16_sdwa s[6:7], v63, v2 src0_sel:BYTE_0 src1_sel:DWORD
	s_and_b64 vcc, exec, s[6:7]
	s_cbranch_vccz .LBB160_929
; %bb.928:
	global_load_dwordx2 v[2:3], v[4:5], off
	s_mov_b64 s[4:5], -1
	s_mov_b64 s[6:7], 0
	s_waitcnt vmcnt(0)
	v_cvt_f64_u32_e32 v[6:7], v3
	v_cvt_f64_u32_e32 v[2:3], v2
	v_ldexp_f64 v[6:7], v[6:7], 32
	v_add_f64 v[2:3], v[6:7], v[2:3]
	s_branch .LBB160_930
.LBB160_929:
	s_mov_b64 s[6:7], -1
                                        ; implicit-def: $vgpr2_vgpr3
.LBB160_930:
	v_writelane_b32 v64, s6, 4
	v_writelane_b32 v64, s7, 5
.LBB160_931:
	s_mov_b64 s[6:7], 0
.LBB160_932:
	s_and_b64 vcc, exec, s[6:7]
	s_cbranch_vccz .LBB160_950
; %bb.933:
	v_mov_b32_e32 v2, 27
	v_cmp_lt_i16_sdwa s[4:5], v63, v2 src0_sel:BYTE_0 src1_sel:DWORD
	s_and_b64 vcc, exec, s[4:5]
	s_cbranch_vccnz .LBB160_936
; %bb.934:
	v_cmp_gt_i16_sdwa s[4:5], v63, v2 src0_sel:BYTE_0 src1_sel:DWORD
	s_and_b64 vcc, exec, s[4:5]
	s_cbranch_vccz .LBB160_937
; %bb.935:
	global_load_dword v2, v[4:5], off
	s_mov_b64 s[4:5], 0
	s_waitcnt vmcnt(0)
	v_cvt_f64_u32_e32 v[2:3], v2
	s_branch .LBB160_938
.LBB160_936:
	s_mov_b64 s[4:5], -1
                                        ; implicit-def: $vgpr2_vgpr3
	s_branch .LBB160_941
.LBB160_937:
	s_mov_b64 s[4:5], -1
                                        ; implicit-def: $vgpr2_vgpr3
.LBB160_938:
	s_andn2_b64 vcc, exec, s[4:5]
	s_cbranch_vccnz .LBB160_940
; %bb.939:
	global_load_ushort v2, v[4:5], off
	s_waitcnt vmcnt(0)
	v_cvt_f64_u32_e32 v[2:3], v2
.LBB160_940:
	s_mov_b64 s[4:5], 0
.LBB160_941:
	s_andn2_b64 vcc, exec, s[4:5]
	s_cbranch_vccnz .LBB160_949
; %bb.942:
	global_load_ubyte v6, v[4:5], off
	s_movk_i32 s4, 0x7f
                                        ; implicit-def: $sgpr6_sgpr7
	s_waitcnt vmcnt(0)
	v_cmp_lt_i16_e32 vcc, s4, v6
	s_mov_b64 s[4:5], 0
	s_and_saveexec_b64 s[8:9], vcc
	s_xor_b64 s[8:9], exec, s[8:9]
	s_cbranch_execz .LBB160_963
; %bb.943:
	s_movk_i32 s4, 0x80
	v_cmp_eq_u16_e32 vcc, s4, v6
	s_mov_b64 s[10:11], -1
                                        ; implicit-def: $sgpr6_sgpr7
	s_and_saveexec_b64 s[4:5], vcc
; %bb.944:
	s_mov_b32 s7, 0x7ff80000
	s_brev_b32 s6, 4
	s_xor_b64 s[10:11], exec, -1
; %bb.945:
	s_or_b64 exec, exec, s[4:5]
	s_and_b64 s[4:5], s[10:11], exec
	s_or_saveexec_b64 s[8:9], s[8:9]
	v_pk_mov_b32 v[2:3], s[6:7], s[6:7] op_sel:[0,1]
	s_xor_b64 exec, exec, s[8:9]
	s_cbranch_execnz .LBB160_964
.LBB160_946:
	s_or_b64 exec, exec, s[8:9]
	s_and_saveexec_b64 s[6:7], s[4:5]
	s_cbranch_execz .LBB160_948
.LBB160_947:
	v_and_b32_e32 v3, 0xffff, v6
	v_lshlrev_b32_e32 v2, 24, v6
	v_and_b32_e32 v6, 7, v3
	v_ffbh_u32_e32 v8, v6
	v_min_u32_e32 v8, 32, v8
	v_subrev_u32_e32 v9, 28, v8
	v_bfe_u32 v7, v3, 3, 4
	v_lshlrev_b32_e32 v3, v9, v3
	v_sub_u32_e32 v8, 29, v8
	v_and_b32_e32 v3, 7, v3
	v_cmp_eq_u32_e32 vcc, 0, v7
	v_cndmask_b32_e32 v7, v7, v8, vcc
	v_cndmask_b32_e32 v3, v6, v3, vcc
	v_mov_b32_e32 v6, 0x3b800000
	v_lshlrev_b32_e32 v3, 20, v3
	v_and_b32_e32 v2, 0x80000000, v2
	v_lshl_add_u32 v6, v7, 23, v6
	v_or3_b32 v2, v2, v6, v3
	v_cvt_f64_f32_e32 v[2:3], v2
.LBB160_948:
	s_or_b64 exec, exec, s[6:7]
.LBB160_949:
	s_mov_b64 s[4:5], -1
.LBB160_950:
	s_mov_b64 s[6:7], 0
.LBB160_951:
	s_and_b64 vcc, exec, s[6:7]
	s_cbranch_vccz .LBB160_987
; %bb.952:
	v_mov_b32_e32 v2, 22
	v_cmp_gt_i16_sdwa s[6:7], v63, v2 src0_sel:BYTE_0 src1_sel:DWORD
	s_and_b64 vcc, exec, s[6:7]
	s_cbranch_vccz .LBB160_962
; %bb.953:
	v_mov_b32_e32 v2, 24
	v_cmp_lt_i16_sdwa s[4:5], v63, v2 src0_sel:BYTE_0 src1_sel:DWORD
	s_and_b64 vcc, exec, s[4:5]
	s_cbranch_vccnz .LBB160_965
; %bb.954:
	v_cmp_gt_i16_sdwa s[4:5], v63, v2 src0_sel:BYTE_0 src1_sel:DWORD
	s_and_b64 vcc, exec, s[4:5]
	s_cbranch_vccz .LBB160_966
; %bb.955:
	global_load_ubyte v6, v[4:5], off
	s_movk_i32 s4, 0x7f
                                        ; implicit-def: $sgpr6_sgpr7
	s_waitcnt vmcnt(0)
	v_cmp_lt_i16_e32 vcc, s4, v6
	s_mov_b64 s[4:5], 0
	s_and_saveexec_b64 s[8:9], vcc
	s_xor_b64 s[8:9], exec, s[8:9]
	s_cbranch_execz .LBB160_978
; %bb.956:
	s_movk_i32 s4, 0x80
	v_cmp_eq_u16_e32 vcc, s4, v6
	s_mov_b64 s[10:11], -1
                                        ; implicit-def: $sgpr6_sgpr7
	s_and_saveexec_b64 s[4:5], vcc
; %bb.957:
	s_mov_b32 s7, 0x7ff80000
	s_brev_b32 s6, 4
	s_xor_b64 s[10:11], exec, -1
; %bb.958:
	s_or_b64 exec, exec, s[4:5]
	s_and_b64 s[4:5], s[10:11], exec
	s_or_saveexec_b64 s[8:9], s[8:9]
	v_pk_mov_b32 v[2:3], s[6:7], s[6:7] op_sel:[0,1]
	s_xor_b64 exec, exec, s[8:9]
	s_cbranch_execnz .LBB160_979
.LBB160_959:
	s_or_b64 exec, exec, s[8:9]
	s_and_saveexec_b64 s[6:7], s[4:5]
	s_cbranch_execz .LBB160_961
.LBB160_960:
	v_and_b32_e32 v3, 0xffff, v6
	v_lshlrev_b32_e32 v2, 24, v6
	v_and_b32_e32 v6, 3, v3
	v_ffbh_u32_e32 v8, v6
	v_min_u32_e32 v8, 32, v8
	v_subrev_u32_e32 v9, 29, v8
	v_bfe_u32 v7, v3, 2, 5
	v_lshlrev_b32_e32 v3, v9, v3
	v_sub_u32_e32 v8, 30, v8
	v_and_b32_e32 v3, 3, v3
	v_cmp_eq_u32_e32 vcc, 0, v7
	v_cndmask_b32_e32 v7, v7, v8, vcc
	v_cndmask_b32_e32 v3, v6, v3, vcc
	v_mov_b32_e32 v6, 0x37800000
	v_lshlrev_b32_e32 v3, 21, v3
	v_and_b32_e32 v2, 0x80000000, v2
	v_lshl_add_u32 v6, v7, 23, v6
	v_or3_b32 v2, v2, v6, v3
	v_cvt_f64_f32_e32 v[2:3], v2
.LBB160_961:
	s_or_b64 exec, exec, s[6:7]
	s_mov_b64 s[4:5], 0
	s_branch .LBB160_967
.LBB160_962:
	s_mov_b64 s[6:7], -1
                                        ; implicit-def: $vgpr2_vgpr3
	s_branch .LBB160_973
.LBB160_963:
	s_or_saveexec_b64 s[8:9], s[8:9]
	v_pk_mov_b32 v[2:3], s[6:7], s[6:7] op_sel:[0,1]
	s_xor_b64 exec, exec, s[8:9]
	s_cbranch_execz .LBB160_946
.LBB160_964:
	v_cmp_ne_u16_e32 vcc, 0, v6
	s_andn2_b64 s[4:5], s[4:5], exec
	s_and_b64 s[6:7], vcc, exec
	v_pk_mov_b32 v[2:3], 0, 0
	s_or_b64 s[4:5], s[4:5], s[6:7]
	s_or_b64 exec, exec, s[8:9]
	s_and_saveexec_b64 s[6:7], s[4:5]
	s_cbranch_execnz .LBB160_947
	s_branch .LBB160_948
.LBB160_965:
	s_mov_b64 s[4:5], -1
                                        ; implicit-def: $vgpr2_vgpr3
	s_branch .LBB160_970
.LBB160_966:
	s_mov_b64 s[4:5], -1
                                        ; implicit-def: $vgpr2_vgpr3
.LBB160_967:
	s_and_b64 vcc, exec, s[4:5]
	s_cbranch_vccz .LBB160_969
; %bb.968:
	global_load_ubyte v2, v[4:5], off
	s_mov_b32 s4, 0x7f800000
	s_waitcnt vmcnt(0)
	v_lshlrev_b32_e32 v2, 24, v2
	v_and_b32_e32 v3, 0x7f000000, v2
	v_ffbh_u32_e32 v6, v3
	v_min_u32_e32 v6, 32, v6
	v_sub_u32_e64 v6, v6, 4 clamp
	v_lshlrev_b32_e32 v8, v6, v3
	v_lshlrev_b32_e32 v6, 23, v6
	v_lshrrev_b32_e32 v8, 4, v8
	v_add_u32_e32 v7, 0x1000000, v3
	v_sub_u32_e32 v6, v8, v6
	v_ashrrev_i32_e32 v7, 8, v7
	v_add_u32_e32 v6, 0x3c000000, v6
	v_and_or_b32 v6, v7, s4, v6
	v_cmp_ne_u32_e32 vcc, 0, v3
	v_cndmask_b32_e32 v3, 0, v6, vcc
	s_brev_b32 s4, 1
	v_and_or_b32 v2, v2, s4, v3
	v_cvt_f64_f32_e32 v[2:3], v2
.LBB160_969:
	s_mov_b64 s[4:5], 0
.LBB160_970:
	s_andn2_b64 vcc, exec, s[4:5]
	s_cbranch_vccnz .LBB160_972
; %bb.971:
	global_load_ubyte v2, v[4:5], off
	s_movk_i32 s4, 0x7f00
	s_brev_b32 s5, 16
	s_waitcnt vmcnt(0)
	v_lshlrev_b16_e32 v3, 8, v2
	v_lshlrev_b32_e32 v2, 25, v2
	v_lshrrev_b32_e32 v6, 4, v2
	v_and_or_b32 v7, v3, s4, 0.5
	v_or_b32_e32 v6, 0x70000000, v6
	v_add_f32_e32 v7, -0.5, v7
	v_mul_f32_e32 v6, 0x7800000, v6
	v_cmp_gt_u32_e32 vcc, s5, v2
	v_bfe_i32 v3, v3, 0, 16
	v_cndmask_b32_e32 v2, v6, v7, vcc
	s_brev_b32 s4, 1
	v_and_or_b32 v2, v3, s4, v2
	v_cvt_f64_f32_e32 v[2:3], v2
.LBB160_972:
	s_mov_b64 s[6:7], 0
	s_mov_b64 s[4:5], -1
.LBB160_973:
	s_andn2_b64 vcc, exec, s[6:7]
	s_cbranch_vccnz .LBB160_987
; %bb.974:
	v_mov_b32_e32 v2, 14
	v_cmp_gt_i16_sdwa s[6:7], v63, v2 src0_sel:BYTE_0 src1_sel:DWORD
	s_and_b64 vcc, exec, s[6:7]
	s_cbranch_vccz .LBB160_977
; %bb.975:
	v_mov_b32_e32 v2, 15
	v_cmp_eq_u16_sdwa s[6:7], v63, v2 src0_sel:BYTE_0 src1_sel:DWORD
	s_and_b64 vcc, exec, s[6:7]
	s_cbranch_vccz .LBB160_980
; %bb.976:
	global_load_ushort v2, v[4:5], off
	s_mov_b64 s[6:7], 0
	v_writelane_b32 v64, s6, 4
	s_mov_b64 s[4:5], -1
	v_writelane_b32 v64, s7, 5
	s_waitcnt vmcnt(0)
	v_lshlrev_b32_e32 v2, 16, v2
	v_cvt_f64_f32_e32 v[2:3], v2
	s_branch .LBB160_981
.LBB160_977:
	s_mov_b64 s[6:7], -1
                                        ; implicit-def: $vgpr2_vgpr3
	s_branch .LBB160_982
.LBB160_978:
	s_or_saveexec_b64 s[8:9], s[8:9]
	v_pk_mov_b32 v[2:3], s[6:7], s[6:7] op_sel:[0,1]
	s_xor_b64 exec, exec, s[8:9]
	s_cbranch_execz .LBB160_959
.LBB160_979:
	v_cmp_ne_u16_e32 vcc, 0, v6
	s_andn2_b64 s[4:5], s[4:5], exec
	s_and_b64 s[6:7], vcc, exec
	v_pk_mov_b32 v[2:3], 0, 0
	s_or_b64 s[4:5], s[4:5], s[6:7]
	s_or_b64 exec, exec, s[8:9]
	s_and_saveexec_b64 s[6:7], s[4:5]
	s_cbranch_execnz .LBB160_960
	s_branch .LBB160_961
.LBB160_980:
	s_mov_b64 s[6:7], -1
	v_writelane_b32 v64, s6, 4
	v_writelane_b32 v64, s7, 5
                                        ; implicit-def: $vgpr2_vgpr3
.LBB160_981:
	s_mov_b64 s[6:7], 0
.LBB160_982:
	s_and_b64 vcc, exec, s[6:7]
	s_cbranch_vccz .LBB160_987
; %bb.983:
	v_mov_b32_e32 v2, 11
	v_cmp_eq_u16_sdwa s[6:7], v63, v2 src0_sel:BYTE_0 src1_sel:DWORD
	s_and_b64 vcc, exec, s[6:7]
	s_cbranch_vccz .LBB160_985
; %bb.984:
	global_load_ubyte v3, v[4:5], off
	v_mov_b32_e32 v6, 0x3ff00000
	v_mov_b32_e32 v2, 0
	s_mov_b64 s[4:5], -1
	s_mov_b64 s[6:7], 0
	s_waitcnt vmcnt(0)
	v_cmp_ne_u16_e32 vcc, 0, v3
	v_cndmask_b32_e32 v3, 0, v6, vcc
	s_branch .LBB160_986
.LBB160_985:
	s_mov_b64 s[6:7], -1
                                        ; implicit-def: $vgpr2_vgpr3
.LBB160_986:
	v_writelane_b32 v64, s6, 4
	v_writelane_b32 v64, s7, 5
.LBB160_987:
	s_mov_b64 s[6:7], 0
.LBB160_988:
	s_and_b64 vcc, exec, s[6:7]
	s_cbranch_vccz .LBB160_1037
; %bb.989:
	v_mov_b32_e32 v2, 5
	v_cmp_lt_i16_sdwa s[4:5], v63, v2 src0_sel:BYTE_0 src1_sel:DWORD
	s_and_b64 vcc, exec, s[4:5]
	s_cbranch_vccnz .LBB160_994
; %bb.990:
	v_mov_b32_e32 v2, 8
	v_cmp_lt_i16_sdwa s[4:5], v63, v2 src0_sel:BYTE_0 src1_sel:DWORD
	s_and_b64 vcc, exec, s[4:5]
	s_cbranch_vccnz .LBB160_995
	;; [unrolled: 5-line block ×3, first 2 shown]
; %bb.992:
	v_cmp_gt_i16_sdwa s[4:5], v63, v2 src0_sel:BYTE_0 src1_sel:DWORD
	s_and_b64 vcc, exec, s[4:5]
	s_cbranch_vccz .LBB160_997
; %bb.993:
	global_load_dwordx2 v[2:3], v[4:5], off
	s_mov_b64 s[4:5], 0
	s_branch .LBB160_998
.LBB160_994:
	s_mov_b64 s[4:5], -1
                                        ; implicit-def: $vgpr2_vgpr3
	s_branch .LBB160_1016
.LBB160_995:
	s_mov_b64 s[4:5], -1
                                        ; implicit-def: $vgpr2_vgpr3
	s_branch .LBB160_1004
.LBB160_996:
	s_mov_b64 s[4:5], -1
                                        ; implicit-def: $vgpr2_vgpr3
	s_branch .LBB160_1001
.LBB160_997:
	s_mov_b64 s[4:5], -1
                                        ; implicit-def: $vgpr2_vgpr3
.LBB160_998:
	s_andn2_b64 vcc, exec, s[4:5]
	s_cbranch_vccnz .LBB160_1000
; %bb.999:
	global_load_dword v2, v[4:5], off
	s_waitcnt vmcnt(0)
	v_cvt_f64_f32_e32 v[2:3], v2
.LBB160_1000:
	s_mov_b64 s[4:5], 0
.LBB160_1001:
	s_andn2_b64 vcc, exec, s[4:5]
	s_cbranch_vccnz .LBB160_1003
; %bb.1002:
	global_load_dword v2, v[4:5], off
	s_waitcnt vmcnt(0)
	v_cvt_f32_f16_e32 v2, v2
	v_cvt_f64_f32_e32 v[2:3], v2
.LBB160_1003:
	s_mov_b64 s[4:5], 0
.LBB160_1004:
	s_andn2_b64 vcc, exec, s[4:5]
	s_cbranch_vccnz .LBB160_1015
; %bb.1005:
	s_waitcnt vmcnt(0)
	v_mov_b32_e32 v2, 6
	v_cmp_lt_i16_sdwa s[4:5], v63, v2 src0_sel:BYTE_0 src1_sel:DWORD
	s_and_b64 vcc, exec, s[4:5]
	s_cbranch_vccnz .LBB160_1008
; %bb.1006:
	v_cmp_gt_i16_sdwa s[4:5], v63, v2 src0_sel:BYTE_0 src1_sel:DWORD
	s_and_b64 vcc, exec, s[4:5]
	s_cbranch_vccz .LBB160_1009
; %bb.1007:
	global_load_dwordx2 v[2:3], v[4:5], off
	s_mov_b64 s[4:5], 0
	s_branch .LBB160_1010
.LBB160_1008:
	s_mov_b64 s[4:5], -1
                                        ; implicit-def: $vgpr2_vgpr3
	s_branch .LBB160_1013
.LBB160_1009:
	s_mov_b64 s[4:5], -1
                                        ; implicit-def: $vgpr2_vgpr3
.LBB160_1010:
	s_andn2_b64 vcc, exec, s[4:5]
	s_cbranch_vccnz .LBB160_1012
; %bb.1011:
	global_load_dword v2, v[4:5], off
	s_waitcnt vmcnt(0)
	v_cvt_f64_f32_e32 v[2:3], v2
.LBB160_1012:
	s_mov_b64 s[4:5], 0
.LBB160_1013:
	s_andn2_b64 vcc, exec, s[4:5]
	s_cbranch_vccnz .LBB160_1015
; %bb.1014:
	global_load_ushort v2, v[4:5], off
	s_waitcnt vmcnt(0)
	v_cvt_f32_f16_e32 v2, v2
	v_cvt_f64_f32_e32 v[2:3], v2
.LBB160_1015:
	s_mov_b64 s[4:5], 0
.LBB160_1016:
	s_andn2_b64 vcc, exec, s[4:5]
	s_cbranch_vccnz .LBB160_1036
; %bb.1017:
	s_waitcnt vmcnt(0)
	v_mov_b32_e32 v2, 2
	v_cmp_lt_i16_sdwa s[4:5], v63, v2 src0_sel:BYTE_0 src1_sel:DWORD
	s_and_b64 vcc, exec, s[4:5]
	s_cbranch_vccnz .LBB160_1021
; %bb.1018:
	v_mov_b32_e32 v2, 3
	v_cmp_lt_i16_sdwa s[4:5], v63, v2 src0_sel:BYTE_0 src1_sel:DWORD
	s_and_b64 vcc, exec, s[4:5]
	s_cbranch_vccnz .LBB160_1022
; %bb.1019:
	v_cmp_gt_i16_sdwa s[4:5], v63, v2 src0_sel:BYTE_0 src1_sel:DWORD
	s_and_b64 vcc, exec, s[4:5]
	s_cbranch_vccz .LBB160_1023
; %bb.1020:
	global_load_dwordx2 v[2:3], v[4:5], off
	s_mov_b64 s[4:5], 0
	s_waitcnt vmcnt(0)
	v_cvt_f64_i32_e32 v[6:7], v3
	v_cvt_f64_u32_e32 v[2:3], v2
	v_ldexp_f64 v[6:7], v[6:7], 32
	v_add_f64 v[2:3], v[6:7], v[2:3]
	s_branch .LBB160_1024
.LBB160_1021:
	s_mov_b64 s[4:5], -1
                                        ; implicit-def: $vgpr2_vgpr3
	s_branch .LBB160_1030
.LBB160_1022:
	s_mov_b64 s[4:5], -1
                                        ; implicit-def: $vgpr2_vgpr3
	s_branch .LBB160_1027
.LBB160_1023:
	s_mov_b64 s[4:5], -1
                                        ; implicit-def: $vgpr2_vgpr3
.LBB160_1024:
	s_andn2_b64 vcc, exec, s[4:5]
	s_cbranch_vccnz .LBB160_1026
; %bb.1025:
	global_load_dword v2, v[4:5], off
	s_waitcnt vmcnt(0)
	v_cvt_f64_i32_e32 v[2:3], v2
.LBB160_1026:
	s_mov_b64 s[4:5], 0
.LBB160_1027:
	s_andn2_b64 vcc, exec, s[4:5]
	s_cbranch_vccnz .LBB160_1029
; %bb.1028:
	global_load_sshort v2, v[4:5], off
	s_waitcnt vmcnt(0)
	v_cvt_f64_i32_e32 v[2:3], v2
.LBB160_1029:
	s_mov_b64 s[4:5], 0
.LBB160_1030:
	s_andn2_b64 vcc, exec, s[4:5]
	s_cbranch_vccnz .LBB160_1036
; %bb.1031:
	v_mov_b32_e32 v2, 0
	v_cmp_gt_i16_sdwa s[4:5], v63, v2 src0_sel:BYTE_0 src1_sel:DWORD
	s_and_b64 vcc, exec, s[4:5]
	s_cbranch_vccz .LBB160_1033
; %bb.1032:
	global_load_sbyte v2, v[4:5], off
	s_mov_b64 s[4:5], 0
	s_waitcnt vmcnt(0)
	v_cvt_f64_i32_e32 v[2:3], v2
	s_branch .LBB160_1034
.LBB160_1033:
	s_mov_b64 s[4:5], -1
                                        ; implicit-def: $vgpr2_vgpr3
.LBB160_1034:
	s_andn2_b64 vcc, exec, s[4:5]
	s_cbranch_vccnz .LBB160_1036
; %bb.1035:
	global_load_ubyte v2, v[4:5], off
	s_waitcnt vmcnt(0)
	v_cvt_f64_u32_e32 v[2:3], v2
.LBB160_1036:
	s_mov_b64 s[4:5], -1
.LBB160_1037:
	s_andn2_b64 vcc, exec, s[4:5]
	s_cbranch_vccnz .LBB160_1045
; %bb.1038:
	s_mov_b64 s[82:83], s[78:79]
	v_writelane_b32 v64, s88, 6
	s_mov_b64 s[80:81], s[76:77]
	s_mov_b32 s78, s30
	v_writelane_b32 v64, s89, 7
	s_mov_b64 s[88:89], s[92:93]
	s_mov_b64 s[92:93], s[42:43]
	;; [unrolled: 1-line block ×6, first 2 shown]
	s_getpc_b64 s[4:5]
	s_add_u32 s4, s4, _ZZZZN2at6native33launch_standard_gamma_grad_kernelERNS_18TensorIteratorBaseEENKUlvE_clEvENKUlvE_clEvENKUlddE_clEdd@rel32@lo+4
	s_addc_u32 s5, s5, _ZZZZN2at6native33launch_standard_gamma_grad_kernelERNS_18TensorIteratorBaseEENKUlvE_clEvENKUlvE_clEvENKUlddE_clEdd@rel32@hi+12
	s_mov_b64 s[76:77], s[28:29]
	s_swappc_b64 s[30:31], s[4:5]
	s_mov_b64 s[28:29], s[76:77]
	s_mov_b32 s30, s78
	s_mov_b64 s[76:77], s[80:81]
	v_mul_lo_u32 v2, v62, s28
	v_ashrrev_i32_e32 v3, 31, v2
	v_mov_b32_e32 v5, s77
	v_add_co_u32_e32 v4, vcc, s76, v2
	v_mov_b32_e32 v2, 11
	v_addc_co_u32_e32 v5, vcc, v5, v3, vcc
	v_cmp_lt_i16_sdwa s[4:5], v41, v2 src0_sel:BYTE_0 src1_sel:DWORD
	s_mov_b64 s[78:79], s[82:83]
	s_and_b64 vcc, exec, s[4:5]
	s_cbranch_vccnz .LBB160_1046
; %bb.1039:
	v_mov_b32_e32 v2, 25
	v_cmp_gt_i16_sdwa s[4:5], v41, v2 src0_sel:BYTE_0 src1_sel:DWORD
	s_and_b64 vcc, exec, s[4:5]
	s_mov_b64 s[42:43], s[92:93]
	s_cbranch_vccz .LBB160_1047
; %bb.1040:
	v_mov_b32_e32 v2, 28
	v_cmp_gt_i16_sdwa s[4:5], v41, v2 src0_sel:BYTE_0 src1_sel:DWORD
	s_and_b64 vcc, exec, s[4:5]
	s_mov_b64 s[34:35], s[86:87]
	s_mov_b64 s[36:37], s[94:95]
	;; [unrolled: 1-line block ×3, first 2 shown]
	s_cbranch_vccz .LBB160_1048
; %bb.1041:
	v_mov_b32_e32 v2, 43
	v_cmp_gt_i16_sdwa s[4:5], v41, v2 src0_sel:BYTE_0 src1_sel:DWORD
	v_readlane_b32 s88, v64, 6
	s_and_b64 vcc, exec, s[4:5]
	s_mov_b64 s[86:87], s[84:85]
	s_mov_b64 s[94:95], s[96:97]
	v_readlane_b32 s89, v64, 7
	s_cbranch_vccz .LBB160_1049
; %bb.1042:
	v_mov_b32_e32 v2, 45
	v_cmp_gt_i16_sdwa s[4:5], v41, v2 src0_sel:BYTE_0 src1_sel:DWORD
	s_and_b64 vcc, exec, s[4:5]
	s_mov_b64 s[84:85], 0
	s_cbranch_vccz .LBB160_1050
; %bb.1043:
	v_mov_b32_e32 v2, 46
	v_cmp_eq_u16_sdwa s[6:7], v41, v2 src0_sel:BYTE_0 src1_sel:DWORD
	s_mov_b64 s[8:9], 0
	s_mov_b64 s[4:5], -1
	s_and_b64 vcc, exec, s[6:7]
	s_mov_b64 s[6:7], 0
	s_cbranch_vccz .LBB160_1051
; %bb.1044:
	v_cvt_f32_f64_e32 v2, v[0:1]
	v_bfe_u32 v3, v2, 16, 1
	s_movk_i32 s4, 0x7fff
	v_add3_u32 v3, v2, v3, s4
	v_lshrrev_b32_e32 v3, 16, v3
	v_mov_b32_e32 v6, 0x7fc0
	v_cmp_o_f32_e32 vcc, v2, v2
	v_cndmask_b32_e32 v2, v6, v3, vcc
	global_store_dword v[4:5], v2, off
	s_mov_b64 s[6:7], -1
	s_mov_b64 s[4:5], 0
	s_branch .LBB160_1051
.LBB160_1045:
	s_mov_b64 s[10:11], 0
	s_mov_b64 s[4:5], s[42:43]
	s_branch .LBB160_1162
.LBB160_1046:
	s_mov_b64 s[42:43], s[92:93]
	s_mov_b64 s[4:5], s[92:93]
	;; [unrolled: 1-line block ×3, first 2 shown]
	v_readlane_b32 s88, v64, 6
	s_mov_b64 s[8:9], -1
	s_mov_b64 s[6:7], 0
	s_mov_b64 s[34:35], s[86:87]
	;; [unrolled: 1-line block ×6, first 2 shown]
	v_readlane_b32 s89, v64, 7
	s_branch .LBB160_1120
.LBB160_1047:
	s_mov_b64 s[92:93], s[88:89]
	v_readlane_b32 s88, v64, 6
	s_mov_b64 s[8:9], -1
	s_mov_b64 s[6:7], 0
	s_mov_b64 s[4:5], s[42:43]
	;; [unrolled: 1-line block ×7, first 2 shown]
	v_readlane_b32 s89, v64, 7
	s_branch .LBB160_1078
.LBB160_1048:
	v_readlane_b32 s88, v64, 6
	s_mov_b64 s[8:9], -1
	s_mov_b64 s[6:7], 0
	s_mov_b64 s[4:5], s[42:43]
	;; [unrolled: 1-line block ×5, first 2 shown]
	v_readlane_b32 s89, v64, 7
	s_branch .LBB160_1061
.LBB160_1049:
	s_mov_b64 s[8:9], -1
	s_mov_b64 s[6:7], 0
	s_mov_b64 s[4:5], s[42:43]
	s_mov_b64 s[84:85], 0
	s_branch .LBB160_1057
.LBB160_1050:
	s_mov_b64 s[8:9], -1
	s_mov_b64 s[6:7], 0
	s_mov_b64 s[4:5], s[42:43]
.LBB160_1051:
	s_and_b64 vcc, exec, s[8:9]
	s_cbranch_vccz .LBB160_1056
; %bb.1052:
	v_mov_b32_e32 v2, 44
	v_cmp_eq_u16_sdwa s[8:9], v41, v2 src0_sel:BYTE_0 src1_sel:DWORD
	s_mov_b64 s[4:5], -1
	s_and_b64 vcc, exec, s[8:9]
	s_cbranch_vccz .LBB160_1056
; %bb.1053:
	v_cvt_f32_f64_e32 v2, v[0:1]
	v_bfe_u32 v3, v2, 23, 8
	s_movk_i32 s4, 0xff
	v_cmp_ne_u32_e32 vcc, s4, v3
	v_mov_b32_e32 v6, 0xff
	s_and_saveexec_b64 s[6:7], vcc
; %bb.1054:
	s_mov_b32 s4, 0x3fffff
	v_lshrrev_b32_e32 v6, 23, v2
	v_and_b32_e32 v7, 0x400000, v2
	v_and_or_b32 v2, v2, s4, v3
	v_cmp_ne_u32_e32 vcc, 0, v7
	v_cmp_ne_u32_e64 s[4:5], 0, v2
	s_and_b64 s[4:5], vcc, s[4:5]
	v_cndmask_b32_e64 v2, 0, 1, s[4:5]
	v_add_u32_e32 v6, v6, v2
; %bb.1055:
	s_or_b64 exec, exec, s[6:7]
	s_mov_b64 s[6:7], -1
	s_mov_b64 s[4:5], 0
	global_store_byte v[4:5], v6, off
.LBB160_1056:
	s_mov_b64 s[8:9], 0
.LBB160_1057:
	s_and_b64 vcc, exec, s[8:9]
	s_cbranch_vccz .LBB160_1060
; %bb.1058:
	v_mov_b32_e32 v2, 29
	v_cmp_eq_u16_sdwa s[8:9], v41, v2 src0_sel:BYTE_0 src1_sel:DWORD
	s_mov_b64 s[4:5], -1
	s_and_b64 vcc, exec, s[8:9]
	s_cbranch_vccz .LBB160_1060
; %bb.1059:
	v_trunc_f64_e32 v[2:3], v[0:1]
	s_movk_i32 s4, 0xffe0
	v_ldexp_f64 v[6:7], v[2:3], s4
	v_floor_f64_e32 v[6:7], v[6:7]
	v_fmac_f64_e32 v[2:3], 0xc1f00000, v[6:7]
	v_cvt_u32_f64_e32 v9, v[6:7]
	v_cvt_u32_f64_e32 v8, v[2:3]
	global_store_dwordx2 v[4:5], v[8:9], off
	s_mov_b64 s[6:7], -1
	s_mov_b64 s[4:5], 0
.LBB160_1060:
	s_mov_b64 s[8:9], 0
.LBB160_1061:
	s_and_b64 vcc, exec, s[8:9]
	s_cbranch_vccz .LBB160_1077
; %bb.1062:
	v_mov_b32_e32 v2, 27
	v_cmp_lt_i16_sdwa s[8:9], v41, v2 src0_sel:BYTE_0 src1_sel:DWORD
	s_mov_b64 s[6:7], -1
	s_and_b64 vcc, exec, s[8:9]
	s_cbranch_vccnz .LBB160_1068
; %bb.1063:
	v_cmp_gt_i16_sdwa s[8:9], v41, v2 src0_sel:BYTE_0 src1_sel:DWORD
	s_and_b64 vcc, exec, s[8:9]
	v_cvt_u32_f64_e32 v2, v[0:1]
	s_cbranch_vccz .LBB160_1065
; %bb.1064:
	s_mov_b64 s[6:7], 0
	global_store_dword v[4:5], v2, off
.LBB160_1065:
	s_andn2_b64 vcc, exec, s[6:7]
	s_cbranch_vccnz .LBB160_1067
; %bb.1066:
	global_store_short v[4:5], v2, off
.LBB160_1067:
	s_mov_b64 s[6:7], 0
.LBB160_1068:
	s_andn2_b64 vcc, exec, s[6:7]
	s_cbranch_vccnz .LBB160_1076
; %bb.1069:
	v_cvt_f32_f64_e32 v2, v[0:1]
	v_and_b32_e32 v3, 0x7fffffff, v2
	s_mov_b32 s6, 0x43800000
	v_cmp_gt_u32_e32 vcc, s6, v3
	v_mov_b32_e32 v6, 0x80
	s_and_saveexec_b64 s[6:7], vcc
	s_cbranch_execz .LBB160_1075
; %bb.1070:
	s_mov_b32 s8, 0x3bffffff
	v_cmp_lt_u32_e32 vcc, s8, v3
	s_mov_b64 s[8:9], 0
                                        ; implicit-def: $vgpr3
	s_and_saveexec_b64 s[10:11], vcc
	s_xor_b64 s[10:11], exec, s[10:11]
	s_cbranch_execz .LBB160_1179
; %bb.1071:
	v_bfe_u32 v3, v2, 20, 1
	s_mov_b32 s12, 0x487ffff
	v_add3_u32 v3, v2, v3, s12
	s_mov_b64 s[8:9], exec
	v_lshrrev_b32_e32 v3, 20, v3
	s_or_saveexec_b64 s[10:11], s[10:11]
                                        ; implicit-def: $sgpr12
	s_xor_b64 exec, exec, s[10:11]
	s_cbranch_execnz .LBB160_1180
.LBB160_1072:
	s_or_b64 exec, exec, s[10:11]
	v_mov_b32_e32 v6, s12
	s_and_saveexec_b64 s[10:11], s[8:9]
.LBB160_1073:
	v_lshrrev_b32_e32 v2, 24, v2
	s_movk_i32 s8, 0x80
	v_and_or_b32 v6, v2, s8, v3
.LBB160_1074:
	s_or_b64 exec, exec, s[10:11]
.LBB160_1075:
	s_or_b64 exec, exec, s[6:7]
	global_store_byte v[4:5], v6, off
.LBB160_1076:
	s_mov_b64 s[6:7], -1
.LBB160_1077:
	s_mov_b64 s[8:9], 0
.LBB160_1078:
	s_and_b64 vcc, exec, s[8:9]
	s_cbranch_vccz .LBB160_1119
; %bb.1079:
	v_mov_b32_e32 v2, 22
	v_cmp_gt_i16_sdwa s[10:11], v41, v2 src0_sel:BYTE_0 src1_sel:DWORD
	s_mov_b64 s[8:9], -1
	s_and_b64 vcc, exec, s[10:11]
	s_cbranch_vccz .LBB160_1111
; %bb.1080:
	v_mov_b32_e32 v2, 24
	v_cmp_lt_i16_sdwa s[8:9], v41, v2 src0_sel:BYTE_0 src1_sel:DWORD
	s_mov_b64 s[6:7], -1
	s_and_b64 vcc, exec, s[8:9]
	s_cbranch_vccnz .LBB160_1100
; %bb.1081:
	v_cmp_gt_i16_sdwa s[8:9], v41, v2 src0_sel:BYTE_0 src1_sel:DWORD
	s_and_b64 vcc, exec, s[8:9]
	s_cbranch_vccz .LBB160_1089
; %bb.1082:
	v_cvt_f32_f64_e32 v2, v[0:1]
	v_and_b32_e32 v3, 0x7fffffff, v2
	s_mov_b32 s6, 0x47800000
	v_cmp_gt_u32_e32 vcc, s6, v3
	v_mov_b32_e32 v6, 0x80
	s_and_saveexec_b64 s[6:7], vcc
	s_cbranch_execz .LBB160_1088
; %bb.1083:
	s_mov_b32 s8, 0x37ffffff
	v_cmp_lt_u32_e32 vcc, s8, v3
	s_mov_b64 s[8:9], 0
                                        ; implicit-def: $vgpr3
	s_and_saveexec_b64 s[10:11], vcc
	s_xor_b64 s[10:11], exec, s[10:11]
	s_cbranch_execz .LBB160_2202
; %bb.1084:
	v_bfe_u32 v3, v2, 21, 1
	s_mov_b32 s12, 0x88fffff
	v_add3_u32 v3, v2, v3, s12
	s_mov_b64 s[8:9], exec
	v_lshrrev_b32_e32 v3, 21, v3
	s_or_saveexec_b64 s[10:11], s[10:11]
                                        ; implicit-def: $sgpr12
	s_xor_b64 exec, exec, s[10:11]
	s_cbranch_execnz .LBB160_2203
.LBB160_1085:
	s_or_b64 exec, exec, s[10:11]
	v_mov_b32_e32 v6, s12
	s_and_saveexec_b64 s[10:11], s[8:9]
.LBB160_1086:
	v_lshrrev_b32_e32 v2, 24, v2
	s_movk_i32 s8, 0x80
	v_and_or_b32 v6, v2, s8, v3
.LBB160_1087:
	s_or_b64 exec, exec, s[10:11]
.LBB160_1088:
	s_or_b64 exec, exec, s[6:7]
	s_mov_b64 s[6:7], 0
	global_store_byte v[4:5], v6, off
.LBB160_1089:
	s_and_b64 vcc, exec, s[6:7]
	s_cbranch_vccz .LBB160_1099
; %bb.1090:
	v_cvt_f32_f64_e32 v2, v[0:1]
	v_and_b32_e32 v6, 0x7fffffff, v2
	s_mov_b32 s6, 0x43f00000
	v_cmp_gt_u32_e32 vcc, s6, v6
                                        ; implicit-def: $vgpr3
	s_and_saveexec_b64 s[6:7], vcc
	s_xor_b64 s[6:7], exec, s[6:7]
	s_cbranch_execz .LBB160_1096
; %bb.1091:
	s_mov_b32 s8, 0x3c7fffff
	v_cmp_lt_u32_e32 vcc, s8, v6
                                        ; implicit-def: $vgpr3
	s_and_saveexec_b64 s[8:9], vcc
	s_xor_b64 s[8:9], exec, s[8:9]
; %bb.1092:
	v_bfe_u32 v3, v2, 20, 1
	s_mov_b32 s10, 0x407ffff
	v_add3_u32 v3, v2, v3, s10
	v_lshrrev_b32_e32 v6, 20, v3
	v_and_b32_e32 v3, 0xff00000, v3
	s_mov_b32 s10, 0x7f00000
	v_mov_b32_e32 v7, 0x7e
	v_cmp_ne_u32_e32 vcc, s10, v3
	v_cndmask_b32_e32 v3, v7, v6, vcc
; %bb.1093:
	s_andn2_saveexec_b64 s[8:9], s[8:9]
; %bb.1094:
	s_mov_b32 s10, 0x46800000
	v_add_f32_e64 v3, |v2|, s10
; %bb.1095:
	s_or_b64 exec, exec, s[8:9]
                                        ; implicit-def: $vgpr6
.LBB160_1096:
	s_andn2_saveexec_b64 s[6:7], s[6:7]
; %bb.1097:
	s_mov_b32 s8, 0x7f800000
	v_mov_b32_e32 v3, 0x7e
	v_mov_b32_e32 v7, 0x7f
	v_cmp_lt_u32_e32 vcc, s8, v6
	v_cndmask_b32_e32 v3, v3, v7, vcc
; %bb.1098:
	s_or_b64 exec, exec, s[6:7]
	v_lshrrev_b32_e32 v2, 24, v2
	s_movk_i32 s6, 0x80
	v_and_or_b32 v2, v2, s6, v3
	global_store_byte v[4:5], v2, off
.LBB160_1099:
	s_mov_b64 s[6:7], 0
.LBB160_1100:
	s_andn2_b64 vcc, exec, s[6:7]
	s_cbranch_vccnz .LBB160_1110
; %bb.1101:
	v_cvt_f32_f64_e32 v2, v[0:1]
	v_and_b32_e32 v6, 0x7fffffff, v2
	s_mov_b32 s6, 0x47800000
	v_cmp_gt_u32_e32 vcc, s6, v6
                                        ; implicit-def: $vgpr3
	s_and_saveexec_b64 s[6:7], vcc
	s_xor_b64 s[6:7], exec, s[6:7]
	s_cbranch_execz .LBB160_1107
; %bb.1102:
	s_mov_b32 s8, 0x387fffff
	v_cmp_lt_u32_e32 vcc, s8, v6
                                        ; implicit-def: $vgpr3
	s_and_saveexec_b64 s[8:9], vcc
	s_xor_b64 s[8:9], exec, s[8:9]
; %bb.1103:
	v_bfe_u32 v3, v2, 21, 1
	s_mov_b32 s10, 0x80fffff
	v_add3_u32 v3, v2, v3, s10
	v_lshrrev_b32_e32 v3, 21, v3
; %bb.1104:
	s_andn2_saveexec_b64 s[8:9], s[8:9]
; %bb.1105:
	s_mov_b32 s10, 0x43000000
	v_add_f32_e64 v3, |v2|, s10
; %bb.1106:
	s_or_b64 exec, exec, s[8:9]
                                        ; implicit-def: $vgpr6
.LBB160_1107:
	s_andn2_saveexec_b64 s[6:7], s[6:7]
; %bb.1108:
	s_mov_b32 s8, 0x7f800000
	v_mov_b32_e32 v3, 0x7c
	v_mov_b32_e32 v7, 0x7f
	v_cmp_lt_u32_e32 vcc, s8, v6
	v_cndmask_b32_e32 v3, v3, v7, vcc
; %bb.1109:
	s_or_b64 exec, exec, s[6:7]
	v_lshrrev_b32_e32 v2, 24, v2
	s_movk_i32 s6, 0x80
	v_and_or_b32 v2, v2, s6, v3
	global_store_byte v[4:5], v2, off
.LBB160_1110:
	s_mov_b64 s[8:9], 0
	s_mov_b64 s[6:7], -1
.LBB160_1111:
	s_andn2_b64 vcc, exec, s[8:9]
	s_cbranch_vccnz .LBB160_1119
; %bb.1112:
	v_mov_b32_e32 v2, 14
	v_cmp_gt_i16_sdwa s[10:11], v41, v2 src0_sel:BYTE_0 src1_sel:DWORD
	s_mov_b64 s[8:9], -1
	s_and_b64 vcc, exec, s[10:11]
	s_cbranch_vccz .LBB160_1116
; %bb.1113:
	v_mov_b32_e32 v2, 15
	v_cmp_eq_u16_sdwa s[8:9], v41, v2 src0_sel:BYTE_0 src1_sel:DWORD
	s_mov_b64 s[4:5], -1
	s_and_b64 vcc, exec, s[8:9]
	s_cbranch_vccz .LBB160_1115
; %bb.1114:
	v_cvt_f32_f64_e32 v2, v[0:1]
	v_bfe_u32 v3, v2, 16, 1
	s_movk_i32 s4, 0x7fff
	v_add3_u32 v3, v2, v3, s4
	v_lshrrev_b32_e32 v3, 16, v3
	v_mov_b32_e32 v6, 0x7fc0
	v_cmp_o_f32_e32 vcc, v2, v2
	v_cndmask_b32_e32 v2, v6, v3, vcc
	global_store_short v[4:5], v2, off
	s_mov_b64 s[6:7], -1
	s_mov_b64 s[4:5], 0
.LBB160_1115:
	s_mov_b64 s[8:9], 0
.LBB160_1116:
	s_and_b64 vcc, exec, s[8:9]
	s_cbranch_vccz .LBB160_1119
; %bb.1117:
	v_mov_b32_e32 v2, 11
	v_cmp_eq_u16_sdwa s[8:9], v41, v2 src0_sel:BYTE_0 src1_sel:DWORD
	s_mov_b64 s[4:5], -1
	s_and_b64 vcc, exec, s[8:9]
	s_cbranch_vccz .LBB160_1119
; %bb.1118:
	v_cmp_neq_f64_e32 vcc, 0, v[0:1]
	s_mov_b64 s[4:5], 0
	v_cndmask_b32_e64 v2, 0, 1, vcc
	s_mov_b64 s[6:7], -1
	global_store_byte v[4:5], v2, off
.LBB160_1119:
	s_mov_b64 s[8:9], 0
.LBB160_1120:
	s_and_b64 vcc, exec, s[8:9]
	s_cbranch_vccz .LBB160_1159
; %bb.1121:
	v_mov_b32_e32 v2, 5
	v_cmp_lt_i16_sdwa s[8:9], v41, v2 src0_sel:BYTE_0 src1_sel:DWORD
	s_mov_b64 s[6:7], -1
	s_and_b64 vcc, exec, s[8:9]
	s_cbranch_vccnz .LBB160_1142
; %bb.1122:
	v_mov_b32_e32 v2, 8
	v_cmp_lt_i16_sdwa s[8:9], v41, v2 src0_sel:BYTE_0 src1_sel:DWORD
	s_and_b64 vcc, exec, s[8:9]
	s_cbranch_vccnz .LBB160_1132
; %bb.1123:
	v_mov_b32_e32 v2, 9
	v_cmp_lt_i16_sdwa s[8:9], v41, v2 src0_sel:BYTE_0 src1_sel:DWORD
	s_and_b64 vcc, exec, s[8:9]
	s_cbranch_vccnz .LBB160_1129
; %bb.1124:
	v_cmp_gt_i16_sdwa s[8:9], v41, v2 src0_sel:BYTE_0 src1_sel:DWORD
	s_and_b64 vcc, exec, s[8:9]
	s_cbranch_vccz .LBB160_1126
; %bb.1125:
	v_mov_b32_e32 v2, 0
	v_mov_b32_e32 v3, v2
	s_mov_b64 s[6:7], 0
	global_store_dwordx4 v[4:5], v[0:3], off
.LBB160_1126:
	s_andn2_b64 vcc, exec, s[6:7]
	s_cbranch_vccnz .LBB160_1128
; %bb.1127:
	v_cvt_f32_f64_e32 v2, v[0:1]
	v_mov_b32_e32 v3, 0
	global_store_dwordx2 v[4:5], v[2:3], off
.LBB160_1128:
	s_mov_b64 s[6:7], 0
.LBB160_1129:
	s_andn2_b64 vcc, exec, s[6:7]
	s_cbranch_vccnz .LBB160_1131
; %bb.1130:
	v_cvt_f32_f64_e32 v2, v[0:1]
	v_cvt_f16_f32_e32 v2, v2
	global_store_dword v[4:5], v2, off
.LBB160_1131:
	s_mov_b64 s[6:7], 0
.LBB160_1132:
	s_andn2_b64 vcc, exec, s[6:7]
	s_cbranch_vccnz .LBB160_1141
; %bb.1133:
	v_mov_b32_e32 v2, 6
	v_cmp_lt_i16_sdwa s[8:9], v41, v2 src0_sel:BYTE_0 src1_sel:DWORD
	s_mov_b64 s[6:7], -1
	s_and_b64 vcc, exec, s[8:9]
	s_cbranch_vccnz .LBB160_1139
; %bb.1134:
	v_cmp_gt_i16_sdwa s[8:9], v41, v2 src0_sel:BYTE_0 src1_sel:DWORD
	s_and_b64 vcc, exec, s[8:9]
	s_cbranch_vccz .LBB160_1136
; %bb.1135:
	s_mov_b64 s[6:7], 0
	global_store_dwordx2 v[4:5], v[0:1], off
.LBB160_1136:
	s_andn2_b64 vcc, exec, s[6:7]
	s_cbranch_vccnz .LBB160_1138
; %bb.1137:
	v_cvt_f32_f64_e32 v2, v[0:1]
	global_store_dword v[4:5], v2, off
.LBB160_1138:
	s_mov_b64 s[6:7], 0
.LBB160_1139:
	s_andn2_b64 vcc, exec, s[6:7]
	s_cbranch_vccnz .LBB160_1141
; %bb.1140:
	v_cvt_f32_f64_e32 v2, v[0:1]
	v_cvt_f16_f32_e32 v2, v2
	global_store_short v[4:5], v2, off
.LBB160_1141:
	s_mov_b64 s[6:7], 0
.LBB160_1142:
	s_andn2_b64 vcc, exec, s[6:7]
	s_cbranch_vccnz .LBB160_1158
; %bb.1143:
	v_mov_b32_e32 v2, 2
	v_cmp_lt_i16_sdwa s[8:9], v41, v2 src0_sel:BYTE_0 src1_sel:DWORD
	s_mov_b64 s[6:7], -1
	s_and_b64 vcc, exec, s[8:9]
	s_cbranch_vccnz .LBB160_1153
; %bb.1144:
	v_mov_b32_e32 v2, 3
	v_cmp_lt_i16_sdwa s[8:9], v41, v2 src0_sel:BYTE_0 src1_sel:DWORD
	s_and_b64 vcc, exec, s[8:9]
	s_cbranch_vccnz .LBB160_1150
; %bb.1145:
	v_cmp_gt_i16_sdwa s[8:9], v41, v2 src0_sel:BYTE_0 src1_sel:DWORD
	s_and_b64 vcc, exec, s[8:9]
	s_cbranch_vccz .LBB160_1147
; %bb.1146:
	v_trunc_f64_e32 v[2:3], v[0:1]
	s_movk_i32 s6, 0xffe0
	v_ldexp_f64 v[6:7], v[2:3], s6
	v_floor_f64_e32 v[6:7], v[6:7]
	v_fmac_f64_e32 v[2:3], 0xc1f00000, v[6:7]
	v_cvt_i32_f64_e32 v9, v[6:7]
	v_cvt_u32_f64_e32 v8, v[2:3]
	s_mov_b64 s[6:7], 0
	global_store_dwordx2 v[4:5], v[8:9], off
.LBB160_1147:
	s_andn2_b64 vcc, exec, s[6:7]
	s_cbranch_vccnz .LBB160_1149
; %bb.1148:
	v_cvt_i32_f64_e32 v2, v[0:1]
	global_store_dword v[4:5], v2, off
.LBB160_1149:
	s_mov_b64 s[6:7], 0
.LBB160_1150:
	s_andn2_b64 vcc, exec, s[6:7]
	s_cbranch_vccnz .LBB160_1152
; %bb.1151:
	v_cvt_i32_f64_e32 v2, v[0:1]
	global_store_short v[4:5], v2, off
.LBB160_1152:
	s_mov_b64 s[6:7], 0
.LBB160_1153:
	s_andn2_b64 vcc, exec, s[6:7]
	s_cbranch_vccnz .LBB160_1158
; %bb.1154:
	v_mov_b32_e32 v2, 0
	v_cmp_gt_i16_sdwa s[8:9], v41, v2 src0_sel:BYTE_0 src1_sel:DWORD
	s_mov_b64 s[6:7], -1
	s_and_b64 vcc, exec, s[8:9]
	s_cbranch_vccz .LBB160_1156
; %bb.1155:
	v_cvt_i32_f64_e32 v2, v[0:1]
	s_mov_b64 s[6:7], 0
	global_store_byte v[4:5], v2, off
.LBB160_1156:
	s_andn2_b64 vcc, exec, s[6:7]
	s_cbranch_vccnz .LBB160_1158
; %bb.1157:
	v_trunc_f64_e32 v[0:1], v[0:1]
	s_movk_i32 s6, 0xffe0
	v_ldexp_f64 v[2:3], v[0:1], s6
	v_floor_f64_e32 v[2:3], v[2:3]
	v_fmac_f64_e32 v[0:1], 0xc1f00000, v[2:3]
	v_cvt_u32_f64_e32 v0, v[0:1]
	global_store_byte v[4:5], v0, off
.LBB160_1158:
	s_mov_b64 s[6:7], -1
.LBB160_1159:
	s_andn2_b64 vcc, exec, s[6:7]
	s_cbranch_vccnz .LBB160_1161
; %bb.1160:
	v_add_u32_e32 v62, 0x80, v62
	s_mov_b64 s[10:11], -1
	s_branch .LBB160_1163
.LBB160_1161:
	s_mov_b64 s[10:11], 0
.LBB160_1162:
                                        ; implicit-def: $vgpr62
.LBB160_1163:
	v_readlane_b32 s12, v64, 4
	v_readlane_b32 s13, v64, 5
.LBB160_1164:
	s_andn2_b64 s[6:7], s[42:43], exec
	s_and_b64 s[4:5], s[4:5], exec
	s_or_b64 s[8:9], s[6:7], s[4:5]
	s_and_b64 s[6:7], s[12:13], exec
	v_readlane_b32 s12, v64, 2
	s_andn2_b64 s[4:5], s[74:75], exec
	v_readlane_b32 s13, v64, 3
	s_or_b64 s[6:7], s[4:5], s[6:7]
	s_andn2_b64 s[4:5], s[98:99], exec
	s_and_b64 s[12:13], s[12:13], exec
	s_or_b64 s[4:5], s[4:5], s[12:13]
	s_orn2_b64 s[18:19], s[10:11], exec
.LBB160_1165:
	v_readlane_b32 s10, v64, 0
	v_readlane_b32 s11, v64, 1
	s_or_b64 exec, exec, s[10:11]
	s_mov_b64 s[12:13], 0
	s_mov_b64 s[14:15], 0
	;; [unrolled: 1-line block ×3, first 2 shown]
                                        ; implicit-def: $vgpr2
                                        ; implicit-def: $vgpr0_vgpr1
                                        ; implicit-def: $vgpr4_vgpr5
	s_and_saveexec_b64 s[10:11], s[18:19]
	s_cbranch_execz .LBB160_1248
; %bb.1166:
	v_cmp_gt_i32_e32 vcc, s33, v62
	s_mov_b64 s[18:19], 0
	s_mov_b64 s[20:21], s[4:5]
	;; [unrolled: 1-line block ×4, first 2 shown]
                                        ; implicit-def: $vgpr2
                                        ; implicit-def: $vgpr0_vgpr1
                                        ; implicit-def: $vgpr4_vgpr5
	s_and_saveexec_b64 s[12:13], vcc
	s_cbranch_execz .LBB160_1247
; %bb.1167:
	s_waitcnt vmcnt(0)
	v_mul_lo_u32 v0, v62, s29
	v_ashrrev_i32_e32 v1, 31, v0
	v_mov_b32_e32 v2, s79
	v_add_co_u32_e32 v0, vcc, s78, v0
	v_addc_co_u32_e32 v1, vcc, v2, v1, vcc
	v_and_b32_e32 v2, 0xff, v60
	v_cmp_gt_i16_e32 vcc, 11, v2
	s_cbranch_vccnz .LBB160_1174
; %bb.1168:
	v_cmp_lt_i16_e32 vcc, 25, v2
	s_cbranch_vccz .LBB160_1175
; %bb.1169:
	v_cmp_lt_i16_e32 vcc, 28, v2
	s_cbranch_vccz .LBB160_1176
	;; [unrolled: 3-line block ×4, first 2 shown]
; %bb.1172:
	v_cmp_eq_u16_e32 vcc, 46, v2
	s_mov_b64 s[20:21], 0
	s_cbranch_vccz .LBB160_1181
; %bb.1173:
	global_load_dword v3, v[0:1], off
	s_mov_b64 s[18:19], -1
	s_waitcnt vmcnt(0)
	v_lshlrev_b32_e32 v3, 16, v3
	v_cvt_f64_f32_e32 v[4:5], v3
	s_branch .LBB160_1183
.LBB160_1174:
	s_mov_b64 s[20:21], -1
                                        ; implicit-def: $vgpr4_vgpr5
	s_mov_b64 s[14:15], s[4:5]
	s_branch .LBB160_1246
.LBB160_1175:
	s_mov_b64 s[20:21], -1
	s_mov_b64 s[14:15], s[4:5]
                                        ; implicit-def: $vgpr4_vgpr5
	s_branch .LBB160_1212
.LBB160_1176:
	s_mov_b64 s[20:21], -1
	s_mov_b64 s[14:15], s[4:5]
                                        ; implicit-def: $vgpr4_vgpr5
	s_branch .LBB160_1193
.LBB160_1177:
	s_mov_b64 s[20:21], -1
	s_mov_b64 s[14:15], s[4:5]
                                        ; implicit-def: $vgpr4_vgpr5
	s_branch .LBB160_1188
.LBB160_1178:
	s_mov_b64 s[20:21], -1
	s_mov_b64 s[14:15], s[4:5]
	s_branch .LBB160_1182
.LBB160_1179:
	s_or_saveexec_b64 s[10:11], s[10:11]
                                        ; implicit-def: $sgpr12
	s_xor_b64 exec, exec, s[10:11]
	s_cbranch_execz .LBB160_1072
.LBB160_1180:
	s_mov_b32 s12, 0x46000000
	v_add_f32_e64 v3, |v2|, s12
	v_and_b32_e32 v3, 0xff, v3
	v_cmp_ne_u32_e32 vcc, 0, v3
	s_andn2_b64 s[8:9], s[8:9], exec
	s_and_b64 s[14:15], vcc, exec
	s_mov_b32 s12, 0
	s_or_b64 s[8:9], s[8:9], s[14:15]
	s_or_b64 exec, exec, s[10:11]
	v_mov_b32_e32 v6, s12
	s_and_saveexec_b64 s[10:11], s[8:9]
	s_cbranch_execnz .LBB160_1073
	s_branch .LBB160_1074
.LBB160_1181:
	s_mov_b64 s[14:15], -1
.LBB160_1182:
                                        ; implicit-def: $vgpr4_vgpr5
.LBB160_1183:
	s_and_b64 vcc, exec, s[20:21]
	s_cbranch_vccz .LBB160_1187
; %bb.1184:
	v_cmp_eq_u16_e32 vcc, 44, v2
	s_cbranch_vccz .LBB160_1186
; %bb.1185:
	global_load_ubyte v3, v[0:1], off
	s_movk_i32 s18, 0xff
	v_bfrev_b32_e32 v6, 4
	v_mov_b32_e32 v7, 0x7ff80000
	v_bfrev_b32_e32 v8, 28
	s_mov_b64 s[14:15], 0
	s_waitcnt vmcnt(0)
	v_lshlrev_b32_e32 v4, 23, v3
	v_cvt_f64_f32_e32 v[4:5], v4
	v_cmp_ne_u32_e32 vcc, s18, v3
	v_cndmask_b32_e32 v4, v6, v4, vcc
	v_cndmask_b32_e32 v5, v7, v5, vcc
	v_cmp_ne_u32_e32 vcc, 0, v3
	v_cndmask_b32_e32 v5, v8, v5, vcc
	v_cndmask_b32_e32 v4, 0, v4, vcc
	s_mov_b64 s[18:19], -1
	s_branch .LBB160_1187
.LBB160_1186:
	s_mov_b64 s[14:15], -1
                                        ; implicit-def: $vgpr4_vgpr5
.LBB160_1187:
	s_mov_b64 s[20:21], 0
.LBB160_1188:
	s_and_b64 vcc, exec, s[20:21]
	s_cbranch_vccz .LBB160_1192
; %bb.1189:
	v_cmp_eq_u16_e32 vcc, 29, v2
	s_cbranch_vccz .LBB160_1191
; %bb.1190:
	global_load_dwordx2 v[4:5], v[0:1], off
	s_mov_b64 s[14:15], 0
	s_mov_b64 s[18:19], -1
	s_mov_b64 s[20:21], 0
	s_waitcnt vmcnt(0)
	v_cvt_f64_u32_e32 v[6:7], v5
	v_cvt_f64_u32_e32 v[4:5], v4
	v_ldexp_f64 v[6:7], v[6:7], 32
	v_add_f64 v[4:5], v[6:7], v[4:5]
	s_branch .LBB160_1193
.LBB160_1191:
	s_mov_b64 s[14:15], -1
                                        ; implicit-def: $vgpr4_vgpr5
.LBB160_1192:
	s_mov_b64 s[20:21], 0
.LBB160_1193:
	s_and_b64 vcc, exec, s[20:21]
	s_cbranch_vccz .LBB160_1211
; %bb.1194:
	v_cmp_gt_i16_e32 vcc, 27, v2
	s_cbranch_vccnz .LBB160_1197
; %bb.1195:
	v_cmp_lt_i16_e32 vcc, 27, v2
	s_cbranch_vccz .LBB160_1198
; %bb.1196:
	global_load_dword v3, v[0:1], off
	s_mov_b64 s[18:19], 0
	s_waitcnt vmcnt(0)
	v_cvt_f64_u32_e32 v[4:5], v3
	s_branch .LBB160_1199
.LBB160_1197:
	s_mov_b64 s[18:19], -1
                                        ; implicit-def: $vgpr4_vgpr5
	s_branch .LBB160_1202
.LBB160_1198:
	s_mov_b64 s[18:19], -1
                                        ; implicit-def: $vgpr4_vgpr5
.LBB160_1199:
	s_andn2_b64 vcc, exec, s[18:19]
	s_cbranch_vccnz .LBB160_1201
; %bb.1200:
	global_load_ushort v3, v[0:1], off
	s_waitcnt vmcnt(0)
	v_cvt_f64_u32_e32 v[4:5], v3
.LBB160_1201:
	s_mov_b64 s[18:19], 0
.LBB160_1202:
	s_andn2_b64 vcc, exec, s[18:19]
	s_cbranch_vccnz .LBB160_1210
; %bb.1203:
	global_load_ubyte v3, v[0:1], off
	s_movk_i32 s18, 0x7f
                                        ; implicit-def: $sgpr20_sgpr21
	s_waitcnt vmcnt(0)
	v_cmp_lt_i16_e32 vcc, s18, v3
	s_mov_b64 s[18:19], 0
	s_and_saveexec_b64 s[22:23], vcc
	s_xor_b64 s[22:23], exec, s[22:23]
	s_cbranch_execz .LBB160_1224
; %bb.1204:
	s_movk_i32 s18, 0x80
	v_cmp_eq_u16_e32 vcc, s18, v3
	s_mov_b64 s[24:25], -1
                                        ; implicit-def: $sgpr20_sgpr21
	s_and_saveexec_b64 s[18:19], vcc
; %bb.1205:
	s_mov_b32 s21, 0x7ff80000
	s_brev_b32 s20, 4
	s_xor_b64 s[24:25], exec, -1
; %bb.1206:
	s_or_b64 exec, exec, s[18:19]
	s_and_b64 s[18:19], s[24:25], exec
	s_or_saveexec_b64 s[22:23], s[22:23]
	v_pk_mov_b32 v[4:5], s[20:21], s[20:21] op_sel:[0,1]
	s_xor_b64 exec, exec, s[22:23]
	s_cbranch_execnz .LBB160_1225
.LBB160_1207:
	s_or_b64 exec, exec, s[22:23]
	s_and_saveexec_b64 s[20:21], s[18:19]
	s_cbranch_execz .LBB160_1209
.LBB160_1208:
	v_lshlrev_b32_e32 v4, 24, v3
	v_and_b32_e32 v3, 0xffff, v3
	v_and_b32_e32 v5, 7, v3
	v_ffbh_u32_e32 v7, v5
	v_min_u32_e32 v7, 32, v7
	v_subrev_u32_e32 v8, 28, v7
	v_bfe_u32 v6, v3, 3, 4
	v_lshlrev_b32_e32 v3, v8, v3
	v_sub_u32_e32 v7, 29, v7
	v_and_b32_e32 v3, 7, v3
	v_cmp_eq_u32_e32 vcc, 0, v6
	v_cndmask_b32_e32 v6, v6, v7, vcc
	v_cndmask_b32_e32 v3, v5, v3, vcc
	v_mov_b32_e32 v5, 0x3b800000
	v_lshlrev_b32_e32 v3, 20, v3
	v_and_b32_e32 v4, 0x80000000, v4
	v_lshl_add_u32 v5, v6, 23, v5
	v_or3_b32 v3, v4, v5, v3
	v_cvt_f64_f32_e32 v[4:5], v3
.LBB160_1209:
	s_or_b64 exec, exec, s[20:21]
.LBB160_1210:
	s_mov_b64 s[18:19], -1
.LBB160_1211:
	s_mov_b64 s[20:21], 0
.LBB160_1212:
	s_and_b64 vcc, exec, s[20:21]
	s_cbranch_vccz .LBB160_1245
; %bb.1213:
	v_cmp_lt_i16_e32 vcc, 22, v2
	s_cbranch_vccz .LBB160_1223
; %bb.1214:
	v_cmp_gt_i16_e32 vcc, 24, v2
	s_cbranch_vccnz .LBB160_1226
; %bb.1215:
	v_cmp_lt_i16_e32 vcc, 24, v2
	s_cbranch_vccz .LBB160_1227
; %bb.1216:
	global_load_ubyte v3, v[0:1], off
	s_movk_i32 s16, 0x7f
                                        ; implicit-def: $sgpr18_sgpr19
	s_waitcnt vmcnt(0)
	v_cmp_lt_i16_e32 vcc, s16, v3
	s_mov_b64 s[16:17], 0
	s_and_saveexec_b64 s[20:21], vcc
	s_xor_b64 s[20:21], exec, s[20:21]
	s_cbranch_execz .LBB160_1239
; %bb.1217:
	s_movk_i32 s16, 0x80
	v_cmp_eq_u16_e32 vcc, s16, v3
	s_mov_b64 s[22:23], -1
                                        ; implicit-def: $sgpr18_sgpr19
	s_and_saveexec_b64 s[16:17], vcc
; %bb.1218:
	s_mov_b32 s19, 0x7ff80000
	s_brev_b32 s18, 4
	s_xor_b64 s[22:23], exec, -1
; %bb.1219:
	s_or_b64 exec, exec, s[16:17]
	s_and_b64 s[16:17], s[22:23], exec
	s_or_saveexec_b64 s[20:21], s[20:21]
	v_pk_mov_b32 v[4:5], s[18:19], s[18:19] op_sel:[0,1]
	s_xor_b64 exec, exec, s[20:21]
	s_cbranch_execnz .LBB160_1240
.LBB160_1220:
	s_or_b64 exec, exec, s[20:21]
	s_and_saveexec_b64 s[18:19], s[16:17]
	s_cbranch_execz .LBB160_1222
.LBB160_1221:
	v_lshlrev_b32_e32 v4, 24, v3
	v_and_b32_e32 v3, 0xffff, v3
	v_and_b32_e32 v5, 3, v3
	v_ffbh_u32_e32 v7, v5
	v_min_u32_e32 v7, 32, v7
	v_subrev_u32_e32 v8, 29, v7
	v_bfe_u32 v6, v3, 2, 5
	v_lshlrev_b32_e32 v3, v8, v3
	v_sub_u32_e32 v7, 30, v7
	v_and_b32_e32 v3, 3, v3
	v_cmp_eq_u32_e32 vcc, 0, v6
	v_cndmask_b32_e32 v6, v6, v7, vcc
	v_cndmask_b32_e32 v3, v5, v3, vcc
	v_mov_b32_e32 v5, 0x37800000
	v_lshlrev_b32_e32 v3, 21, v3
	v_and_b32_e32 v4, 0x80000000, v4
	v_lshl_add_u32 v5, v6, 23, v5
	v_or3_b32 v3, v4, v5, v3
	v_cvt_f64_f32_e32 v[4:5], v3
.LBB160_1222:
	s_or_b64 exec, exec, s[18:19]
	s_mov_b64 s[16:17], 0
	s_branch .LBB160_1228
.LBB160_1223:
	s_mov_b64 s[16:17], -1
                                        ; implicit-def: $vgpr4_vgpr5
	s_branch .LBB160_1234
.LBB160_1224:
	s_or_saveexec_b64 s[22:23], s[22:23]
	v_pk_mov_b32 v[4:5], s[20:21], s[20:21] op_sel:[0,1]
	s_xor_b64 exec, exec, s[22:23]
	s_cbranch_execz .LBB160_1207
.LBB160_1225:
	v_cmp_ne_u16_e32 vcc, 0, v3
	s_andn2_b64 s[18:19], s[18:19], exec
	s_and_b64 s[20:21], vcc, exec
	v_pk_mov_b32 v[4:5], 0, 0
	s_or_b64 s[18:19], s[18:19], s[20:21]
	s_or_b64 exec, exec, s[22:23]
	s_and_saveexec_b64 s[20:21], s[18:19]
	s_cbranch_execnz .LBB160_1208
	s_branch .LBB160_1209
.LBB160_1226:
	s_mov_b64 s[16:17], -1
                                        ; implicit-def: $vgpr4_vgpr5
	s_branch .LBB160_1231
.LBB160_1227:
	s_mov_b64 s[16:17], -1
                                        ; implicit-def: $vgpr4_vgpr5
.LBB160_1228:
	s_and_b64 vcc, exec, s[16:17]
	s_cbranch_vccz .LBB160_1230
; %bb.1229:
	global_load_ubyte v3, v[0:1], off
	s_mov_b32 s16, 0x7f800000
	s_waitcnt vmcnt(0)
	v_lshlrev_b32_e32 v3, 24, v3
	v_and_b32_e32 v4, 0x7f000000, v3
	v_ffbh_u32_e32 v5, v4
	v_min_u32_e32 v5, 32, v5
	v_sub_u32_e64 v5, v5, 4 clamp
	v_lshlrev_b32_e32 v7, v5, v4
	v_lshlrev_b32_e32 v5, 23, v5
	v_lshrrev_b32_e32 v7, 4, v7
	v_add_u32_e32 v6, 0x1000000, v4
	v_sub_u32_e32 v5, v7, v5
	v_ashrrev_i32_e32 v6, 8, v6
	v_add_u32_e32 v5, 0x3c000000, v5
	v_and_or_b32 v5, v6, s16, v5
	v_cmp_ne_u32_e32 vcc, 0, v4
	v_cndmask_b32_e32 v4, 0, v5, vcc
	s_brev_b32 s16, 1
	v_and_or_b32 v3, v3, s16, v4
	v_cvt_f64_f32_e32 v[4:5], v3
.LBB160_1230:
	s_mov_b64 s[16:17], 0
.LBB160_1231:
	s_andn2_b64 vcc, exec, s[16:17]
	s_cbranch_vccnz .LBB160_1233
; %bb.1232:
	global_load_ubyte v3, v[0:1], off
	s_movk_i32 s16, 0x7f00
	s_brev_b32 s17, 16
	s_waitcnt vmcnt(0)
	v_lshlrev_b16_e32 v4, 8, v3
	v_lshlrev_b32_e32 v3, 25, v3
	v_lshrrev_b32_e32 v5, 4, v3
	v_and_or_b32 v6, v4, s16, 0.5
	v_or_b32_e32 v5, 0x70000000, v5
	v_add_f32_e32 v6, -0.5, v6
	v_mul_f32_e32 v5, 0x7800000, v5
	v_cmp_gt_u32_e32 vcc, s17, v3
	v_bfe_i32 v4, v4, 0, 16
	v_cndmask_b32_e32 v3, v5, v6, vcc
	s_brev_b32 s16, 1
	v_and_or_b32 v3, v4, s16, v3
	v_cvt_f64_f32_e32 v[4:5], v3
.LBB160_1233:
	s_mov_b64 s[16:17], 0
	s_mov_b64 s[18:19], -1
.LBB160_1234:
	s_andn2_b64 vcc, exec, s[16:17]
	s_mov_b64 s[16:17], 0
	s_cbranch_vccnz .LBB160_1245
; %bb.1235:
	v_cmp_lt_i16_e32 vcc, 14, v2
	s_cbranch_vccz .LBB160_1238
; %bb.1236:
	v_cmp_eq_u16_e32 vcc, 15, v2
	s_cbranch_vccz .LBB160_1241
; %bb.1237:
	global_load_ushort v3, v[0:1], off
	s_mov_b64 s[14:15], 0
	s_mov_b64 s[18:19], -1
	s_waitcnt vmcnt(0)
	v_lshlrev_b32_e32 v3, 16, v3
	v_cvt_f64_f32_e32 v[4:5], v3
	s_branch .LBB160_1242
.LBB160_1238:
	s_mov_b64 s[20:21], -1
                                        ; implicit-def: $vgpr4_vgpr5
	s_branch .LBB160_1243
.LBB160_1239:
	s_or_saveexec_b64 s[20:21], s[20:21]
	v_pk_mov_b32 v[4:5], s[18:19], s[18:19] op_sel:[0,1]
	s_xor_b64 exec, exec, s[20:21]
	s_cbranch_execz .LBB160_1220
.LBB160_1240:
	v_cmp_ne_u16_e32 vcc, 0, v3
	s_andn2_b64 s[16:17], s[16:17], exec
	s_and_b64 s[18:19], vcc, exec
	v_pk_mov_b32 v[4:5], 0, 0
	s_or_b64 s[16:17], s[16:17], s[18:19]
	s_or_b64 exec, exec, s[20:21]
	s_and_saveexec_b64 s[18:19], s[16:17]
	s_cbranch_execnz .LBB160_1221
	s_branch .LBB160_1222
.LBB160_1241:
	s_mov_b64 s[14:15], -1
                                        ; implicit-def: $vgpr4_vgpr5
.LBB160_1242:
	s_mov_b64 s[20:21], 0
.LBB160_1243:
	s_and_b64 vcc, exec, s[20:21]
	s_cbranch_vccz .LBB160_1245
; %bb.1244:
	v_cmp_ne_u16_e32 vcc, 11, v2
	s_andn2_b64 s[14:15], s[14:15], exec
	s_and_b64 s[20:21], vcc, exec
	s_mov_b64 s[16:17], -1
	s_or_b64 s[14:15], s[14:15], s[20:21]
                                        ; implicit-def: $vgpr4_vgpr5
.LBB160_1245:
	s_mov_b64 s[20:21], 0
.LBB160_1246:
	s_and_b64 s[24:25], s[18:19], exec
	s_and_b64 s[18:19], s[16:17], exec
	s_andn2_b64 s[16:17], s[4:5], exec
	s_and_b64 s[14:15], s[14:15], exec
	s_and_b64 s[22:23], s[20:21], exec
	s_or_b64 s[20:21], s[16:17], s[14:15]
.LBB160_1247:
	s_or_b64 exec, exec, s[12:13]
	s_and_b64 s[12:13], s[18:19], exec
	s_andn2_b64 s[4:5], s[4:5], exec
	s_and_b64 s[18:19], s[20:21], exec
	s_and_b64 s[16:17], s[24:25], exec
	;; [unrolled: 1-line block ×3, first 2 shown]
	s_or_b64 s[4:5], s[4:5], s[18:19]
.LBB160_1248:
	s_or_b64 exec, exec, s[10:11]
	s_andn2_b64 s[10:11], s[42:43], exec
	s_and_b64 s[8:9], s[8:9], exec
	s_or_b64 s[42:43], s[10:11], s[8:9]
	s_andn2_b64 s[8:9], s[74:75], exec
	s_and_b64 s[6:7], s[6:7], exec
	s_and_b64 s[10:11], s[12:13], exec
	s_andn2_b64 s[12:13], s[98:99], exec
	s_and_b64 s[4:5], s[4:5], exec
	s_or_b64 s[74:75], s[8:9], s[6:7]
	s_and_b64 s[6:7], s[16:17], exec
	s_and_b64 s[8:9], s[14:15], exec
	s_or_b64 s[98:99], s[12:13], s[4:5]
.LBB160_1249:
	s_or_b64 exec, exec, s[36:37]
	s_andn2_b64 s[4:5], s[88:89], exec
	s_and_b64 s[12:13], s[42:43], exec
	s_or_b64 s[88:89], s[4:5], s[12:13]
	s_andn2_b64 s[4:5], s[90:91], exec
	s_and_b64 s[12:13], s[74:75], exec
	s_or_b64 s[90:91], s[4:5], s[12:13]
	s_and_b64 s[74:75], s[10:11], exec
	s_andn2_b64 s[4:5], s[92:93], exec
	s_and_b64 s[10:11], s[98:99], exec
	s_and_b64 s[6:7], s[6:7], exec
	;; [unrolled: 1-line block ×3, first 2 shown]
	s_or_b64 s[92:93], s[4:5], s[10:11]
	s_or_b64 exec, exec, s[94:95]
	s_mov_b64 s[80:81], 0
	s_and_saveexec_b64 s[4:5], s[92:93]
	s_cbranch_execz .LBB160_391
.LBB160_1250:
	s_mov_b64 s[80:81], exec
	s_andn2_b64 s[74:75], s[74:75], exec
	s_trap 2
                                        ; implicit-def: $vgpr4_vgpr5
	s_or_b64 exec, exec, s[4:5]
	s_and_saveexec_b64 s[4:5], s[74:75]
	s_xor_b64 s[4:5], exec, s[4:5]
	s_cbranch_execnz .LBB160_392
.LBB160_1251:
	s_or_b64 exec, exec, s[4:5]
	s_and_saveexec_b64 s[4:5], s[8:9]
	s_cbranch_execz .LBB160_1297
.LBB160_1252:
	s_waitcnt vmcnt(0)
	v_cmp_gt_i16_e32 vcc, 5, v2
	s_cbranch_vccnz .LBB160_1257
; %bb.1253:
	v_cmp_gt_i16_e32 vcc, 8, v2
	s_cbranch_vccnz .LBB160_1258
; %bb.1254:
	;; [unrolled: 3-line block ×3, first 2 shown]
	v_cmp_lt_i16_e32 vcc, 9, v2
	s_cbranch_vccz .LBB160_1260
; %bb.1256:
	global_load_dwordx2 v[4:5], v[0:1], off
	s_mov_b64 s[8:9], 0
	s_branch .LBB160_1261
.LBB160_1257:
                                        ; implicit-def: $vgpr4_vgpr5
	s_branch .LBB160_1278
.LBB160_1258:
                                        ; implicit-def: $vgpr4_vgpr5
	s_branch .LBB160_1267
.LBB160_1259:
	s_mov_b64 s[8:9], -1
                                        ; implicit-def: $vgpr4_vgpr5
	s_branch .LBB160_1264
.LBB160_1260:
	s_mov_b64 s[8:9], -1
                                        ; implicit-def: $vgpr4_vgpr5
.LBB160_1261:
	s_andn2_b64 vcc, exec, s[8:9]
	s_cbranch_vccnz .LBB160_1263
; %bb.1262:
	global_load_dword v3, v[0:1], off
	s_waitcnt vmcnt(0)
	v_cvt_f64_f32_e32 v[4:5], v3
.LBB160_1263:
	s_mov_b64 s[8:9], 0
.LBB160_1264:
	s_andn2_b64 vcc, exec, s[8:9]
	s_cbranch_vccnz .LBB160_1266
; %bb.1265:
	global_load_dword v3, v[0:1], off
	s_waitcnt vmcnt(0)
	v_cvt_f32_f16_e32 v3, v3
	v_cvt_f64_f32_e32 v[4:5], v3
.LBB160_1266:
	s_cbranch_execnz .LBB160_1277
.LBB160_1267:
	v_cmp_gt_i16_e32 vcc, 6, v2
	s_cbranch_vccnz .LBB160_1270
; %bb.1268:
	v_cmp_lt_i16_e32 vcc, 6, v2
	s_cbranch_vccz .LBB160_1271
; %bb.1269:
	global_load_dwordx2 v[4:5], v[0:1], off
	s_mov_b64 s[8:9], 0
	s_branch .LBB160_1272
.LBB160_1270:
	s_mov_b64 s[8:9], -1
                                        ; implicit-def: $vgpr4_vgpr5
	s_branch .LBB160_1275
.LBB160_1271:
	s_mov_b64 s[8:9], -1
                                        ; implicit-def: $vgpr4_vgpr5
.LBB160_1272:
	s_andn2_b64 vcc, exec, s[8:9]
	s_cbranch_vccnz .LBB160_1274
; %bb.1273:
	global_load_dword v3, v[0:1], off
	s_waitcnt vmcnt(0)
	v_cvt_f64_f32_e32 v[4:5], v3
.LBB160_1274:
	s_mov_b64 s[8:9], 0
.LBB160_1275:
	s_andn2_b64 vcc, exec, s[8:9]
	s_cbranch_vccnz .LBB160_1277
; %bb.1276:
	global_load_ushort v3, v[0:1], off
	s_waitcnt vmcnt(0)
	v_cvt_f32_f16_e32 v3, v3
	v_cvt_f64_f32_e32 v[4:5], v3
.LBB160_1277:
	s_cbranch_execnz .LBB160_1296
.LBB160_1278:
	v_cmp_gt_i16_e32 vcc, 2, v2
	s_cbranch_vccnz .LBB160_1282
; %bb.1279:
	v_cmp_gt_i16_e32 vcc, 3, v2
	s_cbranch_vccnz .LBB160_1283
; %bb.1280:
	v_cmp_lt_i16_e32 vcc, 3, v2
	s_cbranch_vccz .LBB160_1284
; %bb.1281:
	global_load_dwordx2 v[4:5], v[0:1], off
	s_mov_b64 s[8:9], 0
	s_waitcnt vmcnt(0)
	v_cvt_f64_i32_e32 v[6:7], v5
	v_cvt_f64_u32_e32 v[4:5], v4
	v_ldexp_f64 v[6:7], v[6:7], 32
	v_add_f64 v[4:5], v[6:7], v[4:5]
	s_branch .LBB160_1285
.LBB160_1282:
                                        ; implicit-def: $vgpr4_vgpr5
	s_branch .LBB160_1291
.LBB160_1283:
	s_mov_b64 s[8:9], -1
                                        ; implicit-def: $vgpr4_vgpr5
	s_branch .LBB160_1288
.LBB160_1284:
	s_mov_b64 s[8:9], -1
                                        ; implicit-def: $vgpr4_vgpr5
.LBB160_1285:
	s_andn2_b64 vcc, exec, s[8:9]
	s_cbranch_vccnz .LBB160_1287
; %bb.1286:
	global_load_dword v3, v[0:1], off
	s_waitcnt vmcnt(0)
	v_cvt_f64_i32_e32 v[4:5], v3
.LBB160_1287:
	s_mov_b64 s[8:9], 0
.LBB160_1288:
	s_andn2_b64 vcc, exec, s[8:9]
	s_cbranch_vccnz .LBB160_1290
; %bb.1289:
	global_load_sshort v3, v[0:1], off
	s_waitcnt vmcnt(0)
	v_cvt_f64_i32_e32 v[4:5], v3
.LBB160_1290:
	s_cbranch_execnz .LBB160_1296
.LBB160_1291:
	v_cmp_lt_i16_e32 vcc, 0, v2
	s_cbranch_vccz .LBB160_1293
; %bb.1292:
	global_load_sbyte v2, v[0:1], off
	s_mov_b64 s[8:9], 0
	s_waitcnt vmcnt(0)
	v_cvt_f64_i32_e32 v[4:5], v2
	s_branch .LBB160_1294
.LBB160_1293:
	s_mov_b64 s[8:9], -1
                                        ; implicit-def: $vgpr4_vgpr5
.LBB160_1294:
	s_andn2_b64 vcc, exec, s[8:9]
	s_cbranch_vccnz .LBB160_1296
; %bb.1295:
	global_load_ubyte v0, v[0:1], off
	s_waitcnt vmcnt(0)
	v_cvt_f64_u32_e32 v[4:5], v0
.LBB160_1296:
	s_or_b64 s[6:7], s[6:7], exec
.LBB160_1297:
	s_or_b64 exec, exec, s[4:5]
	s_mov_b64 s[8:9], 0
	s_mov_b64 s[12:13], 0
	;; [unrolled: 1-line block ×3, first 2 shown]
                                        ; implicit-def: $vgpr6
                                        ; implicit-def: $vgpr0_vgpr1
                                        ; implicit-def: $vgpr2_vgpr3
	s_and_saveexec_b64 s[4:5], s[6:7]
	s_cbranch_execz .LBB160_1305
; %bb.1298:
	s_waitcnt vmcnt(0)
	v_mul_lo_u32 v0, v62, s30
	v_ashrrev_i32_e32 v1, 31, v0
	v_mov_b32_e32 v2, s35
	v_add_co_u32_e32 v0, vcc, s34, v0
	v_addc_co_u32_e32 v1, vcc, v2, v1, vcc
	v_and_b32_e32 v6, 0xff, v63
	v_cmp_gt_i16_e32 vcc, 11, v6
	s_cbranch_vccnz .LBB160_1308
; %bb.1299:
	v_cmp_lt_i16_e32 vcc, 25, v6
	s_cbranch_vccz .LBB160_1309
; %bb.1300:
	v_cmp_lt_i16_e32 vcc, 28, v6
	s_cbranch_vccz .LBB160_1310
	;; [unrolled: 3-line block ×4, first 2 shown]
; %bb.1303:
	v_cmp_eq_u16_e32 vcc, 46, v6
	s_cbranch_vccz .LBB160_1313
; %bb.1304:
	global_load_dword v2, v[0:1], off
	s_mov_b64 s[6:7], 0
	s_mov_b64 s[10:11], -1
	s_waitcnt vmcnt(0)
	v_lshlrev_b32_e32 v2, 16, v2
	v_cvt_f64_f32_e32 v[2:3], v2
	s_branch .LBB160_1315
.LBB160_1305:
	s_or_b64 exec, exec, s[4:5]
	s_and_saveexec_b64 s[4:5], s[90:91]
	s_cbranch_execnz .LBB160_1378
.LBB160_1306:
	s_or_b64 exec, exec, s[4:5]
	s_and_saveexec_b64 s[4:5], s[8:9]
	s_xor_b64 s[4:5], exec, s[4:5]
	s_cbranch_execz .LBB160_1379
.LBB160_1307:
	s_waitcnt vmcnt(0)
	global_load_ubyte v3, v[0:1], off
	v_mov_b32_e32 v7, 0x3ff00000
	v_mov_b32_e32 v2, 0
	s_or_b64 s[10:11], s[10:11], exec
	s_waitcnt vmcnt(0)
	v_cmp_ne_u16_e32 vcc, 0, v3
	v_cndmask_b32_e32 v3, 0, v7, vcc
	s_or_b64 exec, exec, s[4:5]
	s_and_saveexec_b64 s[4:5], s[12:13]
	s_cbranch_execz .LBB160_1425
	s_branch .LBB160_1380
.LBB160_1308:
	s_mov_b64 s[12:13], -1
                                        ; implicit-def: $vgpr2_vgpr3
	s_mov_b64 s[6:7], s[90:91]
	s_branch .LBB160_1377
.LBB160_1309:
	s_mov_b64 s[6:7], s[90:91]
                                        ; implicit-def: $vgpr2_vgpr3
	s_cbranch_execnz .LBB160_1344
	s_branch .LBB160_1376
.LBB160_1310:
	s_mov_b64 s[12:13], -1
	s_mov_b64 s[6:7], s[90:91]
                                        ; implicit-def: $vgpr2_vgpr3
	s_branch .LBB160_1325
.LBB160_1311:
	s_mov_b64 s[12:13], -1
	s_mov_b64 s[6:7], s[90:91]
                                        ; implicit-def: $vgpr2_vgpr3
	s_branch .LBB160_1320
.LBB160_1312:
	s_mov_b64 s[12:13], -1
	s_mov_b64 s[6:7], s[90:91]
	s_branch .LBB160_1314
.LBB160_1313:
	s_mov_b64 s[6:7], -1
.LBB160_1314:
                                        ; implicit-def: $vgpr2_vgpr3
.LBB160_1315:
	s_and_b64 vcc, exec, s[12:13]
	s_cbranch_vccz .LBB160_1319
; %bb.1316:
	v_cmp_eq_u16_e32 vcc, 44, v6
	s_cbranch_vccz .LBB160_1318
; %bb.1317:
	global_load_ubyte v7, v[0:1], off
	s_movk_i32 s10, 0xff
	v_bfrev_b32_e32 v8, 4
	v_mov_b32_e32 v9, 0x7ff80000
	v_bfrev_b32_e32 v10, 28
	s_mov_b64 s[6:7], 0
	s_waitcnt vmcnt(0)
	v_lshlrev_b32_e32 v2, 23, v7
	v_cvt_f64_f32_e32 v[2:3], v2
	v_cmp_ne_u32_e32 vcc, s10, v7
	v_cndmask_b32_e32 v2, v8, v2, vcc
	v_cndmask_b32_e32 v3, v9, v3, vcc
	v_cmp_ne_u32_e32 vcc, 0, v7
	v_cndmask_b32_e32 v3, v10, v3, vcc
	v_cndmask_b32_e32 v2, 0, v2, vcc
	s_mov_b64 s[10:11], -1
	s_branch .LBB160_1319
.LBB160_1318:
	s_mov_b64 s[6:7], -1
                                        ; implicit-def: $vgpr2_vgpr3
.LBB160_1319:
	s_mov_b64 s[12:13], 0
.LBB160_1320:
	s_and_b64 vcc, exec, s[12:13]
	s_cbranch_vccz .LBB160_1324
; %bb.1321:
	v_cmp_eq_u16_e32 vcc, 29, v6
	s_cbranch_vccz .LBB160_1323
; %bb.1322:
	global_load_dwordx2 v[2:3], v[0:1], off
	s_mov_b64 s[6:7], 0
	s_mov_b64 s[10:11], -1
	s_mov_b64 s[12:13], 0
	s_waitcnt vmcnt(0)
	v_cvt_f64_u32_e32 v[8:9], v3
	v_cvt_f64_u32_e32 v[2:3], v2
	v_ldexp_f64 v[8:9], v[8:9], 32
	v_add_f64 v[2:3], v[8:9], v[2:3]
	s_branch .LBB160_1325
.LBB160_1323:
	s_mov_b64 s[6:7], -1
                                        ; implicit-def: $vgpr2_vgpr3
.LBB160_1324:
	s_mov_b64 s[12:13], 0
.LBB160_1325:
	s_and_b64 vcc, exec, s[12:13]
	s_cbranch_vccz .LBB160_1343
; %bb.1326:
	v_cmp_gt_i16_e32 vcc, 27, v6
	s_cbranch_vccnz .LBB160_1329
; %bb.1327:
	v_cmp_lt_i16_e32 vcc, 27, v6
	s_cbranch_vccz .LBB160_1330
; %bb.1328:
	global_load_dword v2, v[0:1], off
	s_mov_b64 s[10:11], 0
	s_waitcnt vmcnt(0)
	v_cvt_f64_u32_e32 v[2:3], v2
	s_branch .LBB160_1331
.LBB160_1329:
	s_mov_b64 s[10:11], -1
                                        ; implicit-def: $vgpr2_vgpr3
	s_branch .LBB160_1334
.LBB160_1330:
	s_mov_b64 s[10:11], -1
                                        ; implicit-def: $vgpr2_vgpr3
.LBB160_1331:
	s_andn2_b64 vcc, exec, s[10:11]
	s_cbranch_vccnz .LBB160_1333
; %bb.1332:
	global_load_ushort v2, v[0:1], off
	s_waitcnt vmcnt(0)
	v_cvt_f64_u32_e32 v[2:3], v2
.LBB160_1333:
	s_mov_b64 s[10:11], 0
.LBB160_1334:
	s_andn2_b64 vcc, exec, s[10:11]
	s_cbranch_vccnz .LBB160_1342
; %bb.1335:
	global_load_ubyte v7, v[0:1], off
	s_movk_i32 s10, 0x7f
                                        ; implicit-def: $sgpr12_sgpr13
	s_waitcnt vmcnt(0)
	v_cmp_lt_i16_e32 vcc, s10, v7
	s_mov_b64 s[10:11], 0
	s_and_saveexec_b64 s[14:15], vcc
	s_xor_b64 s[14:15], exec, s[14:15]
	s_cbranch_execz .LBB160_1355
; %bb.1336:
	s_movk_i32 s10, 0x80
	v_cmp_eq_u16_e32 vcc, s10, v7
	s_mov_b64 s[16:17], -1
                                        ; implicit-def: $sgpr12_sgpr13
	s_and_saveexec_b64 s[10:11], vcc
; %bb.1337:
	s_mov_b32 s13, 0x7ff80000
	s_brev_b32 s12, 4
	s_xor_b64 s[16:17], exec, -1
; %bb.1338:
	s_or_b64 exec, exec, s[10:11]
	s_and_b64 s[10:11], s[16:17], exec
	s_or_saveexec_b64 s[14:15], s[14:15]
	v_pk_mov_b32 v[2:3], s[12:13], s[12:13] op_sel:[0,1]
	s_xor_b64 exec, exec, s[14:15]
	s_cbranch_execnz .LBB160_1356
.LBB160_1339:
	s_or_b64 exec, exec, s[14:15]
	s_and_saveexec_b64 s[12:13], s[10:11]
	s_cbranch_execz .LBB160_1341
.LBB160_1340:
	v_and_b32_e32 v3, 0xffff, v7
	v_lshlrev_b32_e32 v2, 24, v7
	v_and_b32_e32 v7, 7, v3
	v_ffbh_u32_e32 v9, v7
	v_min_u32_e32 v9, 32, v9
	v_subrev_u32_e32 v10, 28, v9
	v_bfe_u32 v8, v3, 3, 4
	v_lshlrev_b32_e32 v3, v10, v3
	v_sub_u32_e32 v9, 29, v9
	v_and_b32_e32 v3, 7, v3
	v_cmp_eq_u32_e32 vcc, 0, v8
	v_cndmask_b32_e32 v8, v8, v9, vcc
	v_cndmask_b32_e32 v3, v7, v3, vcc
	v_mov_b32_e32 v7, 0x3b800000
	v_lshlrev_b32_e32 v3, 20, v3
	v_and_b32_e32 v2, 0x80000000, v2
	v_lshl_add_u32 v7, v8, 23, v7
	v_or3_b32 v2, v2, v7, v3
	v_cvt_f64_f32_e32 v[2:3], v2
.LBB160_1341:
	s_or_b64 exec, exec, s[12:13]
.LBB160_1342:
	s_mov_b64 s[10:11], -1
.LBB160_1343:
	s_branch .LBB160_1376
.LBB160_1344:
	v_cmp_lt_i16_e32 vcc, 22, v6
	s_cbranch_vccz .LBB160_1354
; %bb.1345:
	v_cmp_gt_i16_e32 vcc, 24, v6
	s_cbranch_vccnz .LBB160_1357
; %bb.1346:
	v_cmp_lt_i16_e32 vcc, 24, v6
	s_cbranch_vccz .LBB160_1358
; %bb.1347:
	global_load_ubyte v7, v[0:1], off
	s_movk_i32 s8, 0x7f
                                        ; implicit-def: $sgpr10_sgpr11
	s_waitcnt vmcnt(0)
	v_cmp_lt_i16_e32 vcc, s8, v7
	s_mov_b64 s[8:9], 0
	s_and_saveexec_b64 s[12:13], vcc
	s_xor_b64 s[12:13], exec, s[12:13]
	s_cbranch_execz .LBB160_1370
; %bb.1348:
	s_movk_i32 s8, 0x80
	v_cmp_eq_u16_e32 vcc, s8, v7
	s_mov_b64 s[14:15], -1
                                        ; implicit-def: $sgpr10_sgpr11
	s_and_saveexec_b64 s[8:9], vcc
; %bb.1349:
	s_mov_b32 s11, 0x7ff80000
	s_brev_b32 s10, 4
	s_xor_b64 s[14:15], exec, -1
; %bb.1350:
	s_or_b64 exec, exec, s[8:9]
	s_and_b64 s[8:9], s[14:15], exec
	s_or_saveexec_b64 s[12:13], s[12:13]
	v_pk_mov_b32 v[2:3], s[10:11], s[10:11] op_sel:[0,1]
	s_xor_b64 exec, exec, s[12:13]
	s_cbranch_execnz .LBB160_1371
.LBB160_1351:
	s_or_b64 exec, exec, s[12:13]
	s_and_saveexec_b64 s[10:11], s[8:9]
	s_cbranch_execz .LBB160_1353
.LBB160_1352:
	v_and_b32_e32 v3, 0xffff, v7
	v_lshlrev_b32_e32 v2, 24, v7
	v_and_b32_e32 v7, 3, v3
	v_ffbh_u32_e32 v9, v7
	v_min_u32_e32 v9, 32, v9
	v_subrev_u32_e32 v10, 29, v9
	v_bfe_u32 v8, v3, 2, 5
	v_lshlrev_b32_e32 v3, v10, v3
	v_sub_u32_e32 v9, 30, v9
	v_and_b32_e32 v3, 3, v3
	v_cmp_eq_u32_e32 vcc, 0, v8
	v_cndmask_b32_e32 v8, v8, v9, vcc
	v_cndmask_b32_e32 v3, v7, v3, vcc
	v_mov_b32_e32 v7, 0x37800000
	v_lshlrev_b32_e32 v3, 21, v3
	v_and_b32_e32 v2, 0x80000000, v2
	v_lshl_add_u32 v7, v8, 23, v7
	v_or3_b32 v2, v2, v7, v3
	v_cvt_f64_f32_e32 v[2:3], v2
.LBB160_1353:
	s_or_b64 exec, exec, s[10:11]
	s_mov_b64 s[8:9], 0
	s_branch .LBB160_1359
.LBB160_1354:
	s_mov_b64 s[8:9], -1
                                        ; implicit-def: $vgpr2_vgpr3
	s_branch .LBB160_1365
.LBB160_1355:
	s_or_saveexec_b64 s[14:15], s[14:15]
	v_pk_mov_b32 v[2:3], s[12:13], s[12:13] op_sel:[0,1]
	s_xor_b64 exec, exec, s[14:15]
	s_cbranch_execz .LBB160_1339
.LBB160_1356:
	v_cmp_ne_u16_e32 vcc, 0, v7
	s_andn2_b64 s[10:11], s[10:11], exec
	s_and_b64 s[12:13], vcc, exec
	v_pk_mov_b32 v[2:3], 0, 0
	s_or_b64 s[10:11], s[10:11], s[12:13]
	s_or_b64 exec, exec, s[14:15]
	s_and_saveexec_b64 s[12:13], s[10:11]
	s_cbranch_execnz .LBB160_1340
	s_branch .LBB160_1341
.LBB160_1357:
	s_mov_b64 s[8:9], -1
                                        ; implicit-def: $vgpr2_vgpr3
	s_branch .LBB160_1362
.LBB160_1358:
	s_mov_b64 s[8:9], -1
                                        ; implicit-def: $vgpr2_vgpr3
.LBB160_1359:
	s_and_b64 vcc, exec, s[8:9]
	s_cbranch_vccz .LBB160_1361
; %bb.1360:
	global_load_ubyte v2, v[0:1], off
	s_mov_b32 s8, 0x7f800000
	s_waitcnt vmcnt(0)
	v_lshlrev_b32_e32 v2, 24, v2
	v_and_b32_e32 v3, 0x7f000000, v2
	v_ffbh_u32_e32 v7, v3
	v_min_u32_e32 v7, 32, v7
	v_sub_u32_e64 v7, v7, 4 clamp
	v_lshlrev_b32_e32 v9, v7, v3
	v_lshlrev_b32_e32 v7, 23, v7
	v_lshrrev_b32_e32 v9, 4, v9
	v_add_u32_e32 v8, 0x1000000, v3
	v_sub_u32_e32 v7, v9, v7
	v_ashrrev_i32_e32 v8, 8, v8
	v_add_u32_e32 v7, 0x3c000000, v7
	v_and_or_b32 v7, v8, s8, v7
	v_cmp_ne_u32_e32 vcc, 0, v3
	v_cndmask_b32_e32 v3, 0, v7, vcc
	s_brev_b32 s8, 1
	v_and_or_b32 v2, v2, s8, v3
	v_cvt_f64_f32_e32 v[2:3], v2
.LBB160_1361:
	s_mov_b64 s[8:9], 0
.LBB160_1362:
	s_andn2_b64 vcc, exec, s[8:9]
	s_cbranch_vccnz .LBB160_1364
; %bb.1363:
	global_load_ubyte v2, v[0:1], off
	s_movk_i32 s8, 0x7f00
	s_brev_b32 s9, 16
	s_waitcnt vmcnt(0)
	v_lshlrev_b16_e32 v3, 8, v2
	v_lshlrev_b32_e32 v2, 25, v2
	v_lshrrev_b32_e32 v7, 4, v2
	v_and_or_b32 v8, v3, s8, 0.5
	v_or_b32_e32 v7, 0x70000000, v7
	v_add_f32_e32 v8, -0.5, v8
	v_mul_f32_e32 v7, 0x7800000, v7
	v_cmp_gt_u32_e32 vcc, s9, v2
	v_bfe_i32 v3, v3, 0, 16
	v_cndmask_b32_e32 v2, v7, v8, vcc
	s_brev_b32 s8, 1
	v_and_or_b32 v2, v3, s8, v2
	v_cvt_f64_f32_e32 v[2:3], v2
.LBB160_1364:
	s_mov_b64 s[8:9], 0
	s_mov_b64 s[10:11], -1
.LBB160_1365:
	s_andn2_b64 vcc, exec, s[8:9]
	s_mov_b64 s[8:9], 0
	s_cbranch_vccnz .LBB160_1376
; %bb.1366:
	v_cmp_lt_i16_e32 vcc, 14, v6
	s_cbranch_vccz .LBB160_1369
; %bb.1367:
	v_cmp_eq_u16_e32 vcc, 15, v6
	s_cbranch_vccz .LBB160_1372
; %bb.1368:
	global_load_ushort v2, v[0:1], off
	s_mov_b64 s[6:7], 0
	s_mov_b64 s[10:11], -1
	s_waitcnt vmcnt(0)
	v_lshlrev_b32_e32 v2, 16, v2
	v_cvt_f64_f32_e32 v[2:3], v2
	s_branch .LBB160_1373
.LBB160_1369:
	s_mov_b64 s[12:13], -1
                                        ; implicit-def: $vgpr2_vgpr3
	s_branch .LBB160_1374
.LBB160_1370:
	s_or_saveexec_b64 s[12:13], s[12:13]
	v_pk_mov_b32 v[2:3], s[10:11], s[10:11] op_sel:[0,1]
	s_xor_b64 exec, exec, s[12:13]
	s_cbranch_execz .LBB160_1351
.LBB160_1371:
	v_cmp_ne_u16_e32 vcc, 0, v7
	s_andn2_b64 s[8:9], s[8:9], exec
	s_and_b64 s[10:11], vcc, exec
	v_pk_mov_b32 v[2:3], 0, 0
	s_or_b64 s[8:9], s[8:9], s[10:11]
	s_or_b64 exec, exec, s[12:13]
	s_and_saveexec_b64 s[10:11], s[8:9]
	s_cbranch_execnz .LBB160_1352
	s_branch .LBB160_1353
.LBB160_1372:
	s_mov_b64 s[6:7], -1
                                        ; implicit-def: $vgpr2_vgpr3
.LBB160_1373:
	s_mov_b64 s[12:13], 0
.LBB160_1374:
	s_and_b64 vcc, exec, s[12:13]
	s_cbranch_vccz .LBB160_1376
; %bb.1375:
	v_cmp_ne_u16_e32 vcc, 11, v6
	s_andn2_b64 s[6:7], s[6:7], exec
	s_and_b64 s[12:13], vcc, exec
	s_mov_b64 s[8:9], -1
	s_or_b64 s[6:7], s[6:7], s[12:13]
                                        ; implicit-def: $vgpr2_vgpr3
.LBB160_1376:
	s_mov_b64 s[12:13], 0
.LBB160_1377:
	s_andn2_b64 s[14:15], s[90:91], exec
	s_and_b64 s[6:7], s[6:7], exec
	s_and_b64 s[10:11], s[10:11], exec
	;; [unrolled: 1-line block ×4, first 2 shown]
	s_or_b64 s[90:91], s[14:15], s[6:7]
	s_or_b64 exec, exec, s[4:5]
	s_and_saveexec_b64 s[4:5], s[90:91]
	s_cbranch_execz .LBB160_1306
.LBB160_1378:
	s_or_b64 s[80:81], s[80:81], exec
	s_andn2_b64 s[8:9], s[8:9], exec
	s_trap 2
                                        ; implicit-def: $vgpr2_vgpr3
	s_or_b64 exec, exec, s[4:5]
	s_and_saveexec_b64 s[4:5], s[8:9]
	s_xor_b64 s[4:5], exec, s[4:5]
	s_cbranch_execnz .LBB160_1307
.LBB160_1379:
	s_or_b64 exec, exec, s[4:5]
	s_and_saveexec_b64 s[4:5], s[12:13]
	s_cbranch_execz .LBB160_1425
.LBB160_1380:
	v_cmp_gt_i16_e32 vcc, 5, v6
	s_cbranch_vccnz .LBB160_1385
; %bb.1381:
	v_cmp_gt_i16_e32 vcc, 8, v6
	s_cbranch_vccnz .LBB160_1386
; %bb.1382:
	;; [unrolled: 3-line block ×3, first 2 shown]
	v_cmp_lt_i16_e32 vcc, 9, v6
	s_cbranch_vccz .LBB160_1388
; %bb.1384:
	s_waitcnt vmcnt(0)
	global_load_dwordx2 v[2:3], v[0:1], off
	s_mov_b64 s[6:7], 0
	s_branch .LBB160_1389
.LBB160_1385:
                                        ; implicit-def: $vgpr2_vgpr3
	s_branch .LBB160_1406
.LBB160_1386:
                                        ; implicit-def: $vgpr2_vgpr3
	s_branch .LBB160_1395
.LBB160_1387:
	s_mov_b64 s[6:7], -1
                                        ; implicit-def: $vgpr2_vgpr3
	s_branch .LBB160_1392
.LBB160_1388:
	s_mov_b64 s[6:7], -1
                                        ; implicit-def: $vgpr2_vgpr3
.LBB160_1389:
	s_andn2_b64 vcc, exec, s[6:7]
	s_cbranch_vccnz .LBB160_1391
; %bb.1390:
	s_waitcnt vmcnt(0)
	global_load_dword v2, v[0:1], off
	s_waitcnt vmcnt(0)
	v_cvt_f64_f32_e32 v[2:3], v2
.LBB160_1391:
	s_mov_b64 s[6:7], 0
.LBB160_1392:
	s_andn2_b64 vcc, exec, s[6:7]
	s_cbranch_vccnz .LBB160_1394
; %bb.1393:
	s_waitcnt vmcnt(0)
	global_load_dword v2, v[0:1], off
	s_waitcnt vmcnt(0)
	v_cvt_f32_f16_e32 v2, v2
	v_cvt_f64_f32_e32 v[2:3], v2
.LBB160_1394:
	s_cbranch_execnz .LBB160_1405
.LBB160_1395:
	v_cmp_gt_i16_e32 vcc, 6, v6
	s_cbranch_vccnz .LBB160_1398
; %bb.1396:
	v_cmp_lt_i16_e32 vcc, 6, v6
	s_cbranch_vccz .LBB160_1399
; %bb.1397:
	s_waitcnt vmcnt(0)
	global_load_dwordx2 v[2:3], v[0:1], off
	s_mov_b64 s[6:7], 0
	s_branch .LBB160_1400
.LBB160_1398:
	s_mov_b64 s[6:7], -1
                                        ; implicit-def: $vgpr2_vgpr3
	s_branch .LBB160_1403
.LBB160_1399:
	s_mov_b64 s[6:7], -1
                                        ; implicit-def: $vgpr2_vgpr3
.LBB160_1400:
	s_andn2_b64 vcc, exec, s[6:7]
	s_cbranch_vccnz .LBB160_1402
; %bb.1401:
	s_waitcnt vmcnt(0)
	global_load_dword v2, v[0:1], off
	s_waitcnt vmcnt(0)
	v_cvt_f64_f32_e32 v[2:3], v2
.LBB160_1402:
	s_mov_b64 s[6:7], 0
.LBB160_1403:
	s_andn2_b64 vcc, exec, s[6:7]
	s_cbranch_vccnz .LBB160_1405
; %bb.1404:
	s_waitcnt vmcnt(0)
	global_load_ushort v2, v[0:1], off
	s_waitcnt vmcnt(0)
	v_cvt_f32_f16_e32 v2, v2
	v_cvt_f64_f32_e32 v[2:3], v2
.LBB160_1405:
	s_cbranch_execnz .LBB160_1424
.LBB160_1406:
	v_cmp_gt_i16_e32 vcc, 2, v6
	s_cbranch_vccnz .LBB160_1410
; %bb.1407:
	v_cmp_gt_i16_e32 vcc, 3, v6
	s_cbranch_vccnz .LBB160_1411
; %bb.1408:
	v_cmp_lt_i16_e32 vcc, 3, v6
	s_cbranch_vccz .LBB160_1412
; %bb.1409:
	s_waitcnt vmcnt(0)
	global_load_dwordx2 v[2:3], v[0:1], off
	s_mov_b64 s[6:7], 0
	s_waitcnt vmcnt(0)
	v_cvt_f64_i32_e32 v[8:9], v3
	v_cvt_f64_u32_e32 v[2:3], v2
	v_ldexp_f64 v[8:9], v[8:9], 32
	v_add_f64 v[2:3], v[8:9], v[2:3]
	s_branch .LBB160_1413
.LBB160_1410:
                                        ; implicit-def: $vgpr2_vgpr3
	s_branch .LBB160_1419
.LBB160_1411:
	s_mov_b64 s[6:7], -1
                                        ; implicit-def: $vgpr2_vgpr3
	s_branch .LBB160_1416
.LBB160_1412:
	s_mov_b64 s[6:7], -1
                                        ; implicit-def: $vgpr2_vgpr3
.LBB160_1413:
	s_andn2_b64 vcc, exec, s[6:7]
	s_cbranch_vccnz .LBB160_1415
; %bb.1414:
	s_waitcnt vmcnt(0)
	global_load_dword v2, v[0:1], off
	s_waitcnt vmcnt(0)
	v_cvt_f64_i32_e32 v[2:3], v2
.LBB160_1415:
	s_mov_b64 s[6:7], 0
.LBB160_1416:
	s_andn2_b64 vcc, exec, s[6:7]
	s_cbranch_vccnz .LBB160_1418
; %bb.1417:
	s_waitcnt vmcnt(0)
	global_load_sshort v2, v[0:1], off
	s_waitcnt vmcnt(0)
	v_cvt_f64_i32_e32 v[2:3], v2
.LBB160_1418:
	s_cbranch_execnz .LBB160_1424
.LBB160_1419:
	v_cmp_lt_i16_e32 vcc, 0, v6
	s_cbranch_vccz .LBB160_1421
; %bb.1420:
	s_waitcnt vmcnt(0)
	global_load_sbyte v2, v[0:1], off
	s_mov_b64 s[6:7], 0
	s_waitcnt vmcnt(0)
	v_cvt_f64_i32_e32 v[2:3], v2
	s_branch .LBB160_1422
.LBB160_1421:
	s_mov_b64 s[6:7], -1
                                        ; implicit-def: $vgpr2_vgpr3
.LBB160_1422:
	s_andn2_b64 vcc, exec, s[6:7]
	s_cbranch_vccnz .LBB160_1424
; %bb.1423:
	s_waitcnt vmcnt(0)
	global_load_ubyte v0, v[0:1], off
	s_waitcnt vmcnt(0)
	v_cvt_f64_u32_e32 v[2:3], v0
.LBB160_1424:
	s_or_b64 s[10:11], s[10:11], exec
.LBB160_1425:
	s_or_b64 exec, exec, s[4:5]
	s_mov_b64 s[8:9], 0
	s_mov_b64 s[6:7], 0
                                        ; implicit-def: $vgpr8
                                        ; implicit-def: $vgpr6_vgpr7
                                        ; implicit-def: $vgpr0_vgpr1
	s_and_saveexec_b64 s[74:75], s[10:11]
	s_cbranch_execz .LBB160_1500
; %bb.1426:
	s_mov_b32 s94, s30
	s_waitcnt vmcnt(0)
	v_mov_b32_e32 v0, v4
	v_mov_b32_e32 v1, v5
	s_mov_b64 s[82:83], s[34:35]
	s_mov_b64 s[92:93], s[28:29]
	s_getpc_b64 s[4:5]
	s_add_u32 s4, s4, _ZZZZN2at6native33launch_standard_gamma_grad_kernelERNS_18TensorIteratorBaseEENKUlvE_clEvENKUlvE_clEvENKUlddE_clEdd@rel32@lo+4
	s_addc_u32 s5, s5, _ZZZZN2at6native33launch_standard_gamma_grad_kernelERNS_18TensorIteratorBaseEENKUlvE_clEvENKUlvE_clEvENKUlddE_clEdd@rel32@hi+12
	s_swappc_b64 s[30:31], s[4:5]
	s_mov_b64 s[28:29], s[92:93]
	v_mul_lo_u32 v2, v62, s28
	v_ashrrev_i32_e32 v3, 31, v2
	v_mov_b32_e32 v4, s77
	v_add_co_u32_e32 v6, vcc, s76, v2
	v_addc_co_u32_e32 v7, vcc, v4, v3, vcc
	v_and_b32_e32 v8, 0xff, v41
	v_cmp_gt_i16_e32 vcc, 11, v8
	s_mov_b32 s30, s94
	s_cbranch_vccnz .LBB160_1503
; %bb.1427:
	v_cmp_lt_i16_e32 vcc, 25, v8
	s_mov_b64 s[8:9], -1
	s_mov_b64 s[4:5], s[88:89]
	s_mov_b64 s[34:35], s[82:83]
	s_cbranch_vccz .LBB160_1460
; %bb.1428:
	v_cmp_lt_i16_e32 vcc, 28, v8
	s_mov_b64 s[6:7], -1
	s_mov_b64 s[4:5], s[88:89]
	s_cbranch_vccz .LBB160_1444
; %bb.1429:
	v_cmp_lt_i16_e32 vcc, 43, v8
	s_mov_b64 s[4:5], s[88:89]
	s_cbranch_vccz .LBB160_1440
; %bb.1430:
	v_cmp_lt_i16_e32 vcc, 45, v8
	s_mov_b64 s[4:5], s[88:89]
	s_cbranch_vccz .LBB160_1434
; %bb.1431:
	v_cmp_eq_u16_e32 vcc, 46, v8
	s_mov_b64 s[4:5], -1
	s_cbranch_vccz .LBB160_1433
; %bb.1432:
	v_cvt_f32_f64_e32 v2, v[0:1]
	v_bfe_u32 v3, v2, 16, 1
	s_movk_i32 s4, 0x7fff
	v_add3_u32 v3, v2, v3, s4
	v_lshrrev_b32_e32 v3, 16, v3
	v_mov_b32_e32 v4, 0x7fc0
	v_cmp_o_f32_e32 vcc, v2, v2
	v_cndmask_b32_e32 v2, v4, v3, vcc
	global_store_dword v[6:7], v2, off
	s_mov_b64 s[4:5], 0
.LBB160_1433:
	s_mov_b64 s[6:7], 0
.LBB160_1434:
	s_and_b64 vcc, exec, s[6:7]
	s_cbranch_vccz .LBB160_1439
; %bb.1435:
	v_cmp_eq_u16_e32 vcc, 44, v8
	s_mov_b64 s[4:5], -1
	s_cbranch_vccz .LBB160_1439
; %bb.1436:
	v_cvt_f32_f64_e32 v2, v[0:1]
	v_bfe_u32 v3, v2, 23, 8
	s_movk_i32 s4, 0xff
	v_cmp_ne_u32_e32 vcc, s4, v3
	v_mov_b32_e32 v4, 0xff
	s_and_saveexec_b64 s[6:7], vcc
; %bb.1437:
	s_mov_b32 s4, 0x3fffff
	v_lshrrev_b32_e32 v4, 23, v2
	v_and_b32_e32 v5, 0x400000, v2
	v_and_or_b32 v2, v2, s4, v3
	v_cmp_ne_u32_e32 vcc, 0, v5
	v_cmp_ne_u32_e64 s[4:5], 0, v2
	s_and_b64 s[4:5], vcc, s[4:5]
	v_cndmask_b32_e64 v2, 0, 1, s[4:5]
	v_add_u32_e32 v4, v4, v2
; %bb.1438:
	s_or_b64 exec, exec, s[6:7]
	s_mov_b64 s[4:5], 0
	global_store_byte v[6:7], v4, off
.LBB160_1439:
	s_mov_b64 s[6:7], 0
.LBB160_1440:
	s_and_b64 vcc, exec, s[6:7]
	s_cbranch_vccz .LBB160_1443
; %bb.1441:
	v_cmp_eq_u16_e32 vcc, 29, v8
	s_mov_b64 s[4:5], -1
	s_cbranch_vccz .LBB160_1443
; %bb.1442:
	v_trunc_f64_e32 v[2:3], v[0:1]
	s_movk_i32 s4, 0xffe0
	v_ldexp_f64 v[4:5], v[2:3], s4
	v_floor_f64_e32 v[4:5], v[4:5]
	v_fmac_f64_e32 v[2:3], 0xc1f00000, v[4:5]
	v_cvt_u32_f64_e32 v11, v[4:5]
	v_cvt_u32_f64_e32 v10, v[2:3]
	global_store_dwordx2 v[6:7], v[10:11], off
	s_mov_b64 s[4:5], 0
.LBB160_1443:
	s_mov_b64 s[6:7], 0
.LBB160_1444:
	s_and_b64 vcc, exec, s[6:7]
	s_cbranch_vccz .LBB160_1459
; %bb.1445:
	v_cmp_gt_i16_e32 vcc, 27, v8
	s_mov_b64 s[6:7], -1
	s_cbranch_vccnz .LBB160_1451
; %bb.1446:
	v_cmp_lt_i16_e32 vcc, 27, v8
	v_cvt_u32_f64_e32 v2, v[0:1]
	s_cbranch_vccz .LBB160_1448
; %bb.1447:
	s_mov_b64 s[6:7], 0
	global_store_dword v[6:7], v2, off
.LBB160_1448:
	s_andn2_b64 vcc, exec, s[6:7]
	s_cbranch_vccnz .LBB160_1450
; %bb.1449:
	global_store_short v[6:7], v2, off
.LBB160_1450:
	s_mov_b64 s[6:7], 0
.LBB160_1451:
	s_andn2_b64 vcc, exec, s[6:7]
	s_cbranch_vccnz .LBB160_1459
; %bb.1452:
	v_cvt_f32_f64_e32 v2, v[0:1]
	v_and_b32_e32 v3, 0x7fffffff, v2
	s_mov_b32 s6, 0x43800000
	v_cmp_gt_u32_e32 vcc, s6, v3
	v_mov_b32_e32 v4, 0x80
	s_and_saveexec_b64 s[6:7], vcc
	s_cbranch_execz .LBB160_1458
; %bb.1453:
	s_mov_b32 s8, 0x3bffffff
	v_cmp_lt_u32_e32 vcc, s8, v3
	s_mov_b64 s[8:9], 0
                                        ; implicit-def: $vgpr3
	s_and_saveexec_b64 s[10:11], vcc
	s_xor_b64 s[10:11], exec, s[10:11]
	s_cbranch_execz .LBB160_1560
; %bb.1454:
	v_bfe_u32 v3, v2, 20, 1
	s_mov_b32 s12, 0x487ffff
	v_add3_u32 v3, v2, v3, s12
	s_mov_b64 s[8:9], exec
	v_lshrrev_b32_e32 v3, 20, v3
	s_or_saveexec_b64 s[10:11], s[10:11]
                                        ; implicit-def: $sgpr12
	s_xor_b64 exec, exec, s[10:11]
	s_cbranch_execnz .LBB160_1561
.LBB160_1455:
	s_or_b64 exec, exec, s[10:11]
	v_mov_b32_e32 v4, s12
	s_and_saveexec_b64 s[10:11], s[8:9]
.LBB160_1456:
	v_lshrrev_b32_e32 v2, 24, v2
	s_movk_i32 s8, 0x80
	v_and_or_b32 v4, v2, s8, v3
.LBB160_1457:
	s_or_b64 exec, exec, s[10:11]
.LBB160_1458:
	s_or_b64 exec, exec, s[6:7]
	global_store_byte v[6:7], v4, off
.LBB160_1459:
	s_mov_b64 s[8:9], 0
.LBB160_1460:
	s_mov_b64 s[6:7], 0
	s_and_b64 vcc, exec, s[8:9]
	s_cbranch_vccz .LBB160_1504
; %bb.1461:
	v_cmp_lt_i16_e32 vcc, 22, v8
	s_mov_b64 s[8:9], -1
	s_cbranch_vccz .LBB160_1493
; %bb.1462:
	v_cmp_gt_i16_e32 vcc, 24, v8
	s_cbranch_vccnz .LBB160_1482
; %bb.1463:
	v_cmp_lt_i16_e32 vcc, 24, v8
	s_cbranch_vccz .LBB160_1471
; %bb.1464:
	v_cvt_f32_f64_e32 v2, v[0:1]
	v_and_b32_e32 v3, 0x7fffffff, v2
	s_mov_b32 s8, 0x47800000
	v_cmp_gt_u32_e32 vcc, s8, v3
	v_mov_b32_e32 v4, 0x80
	s_and_saveexec_b64 s[8:9], vcc
	s_cbranch_execz .LBB160_1470
; %bb.1465:
	s_mov_b32 s10, 0x37ffffff
	v_cmp_lt_u32_e32 vcc, s10, v3
	s_mov_b64 s[10:11], 0
                                        ; implicit-def: $vgpr3
	s_and_saveexec_b64 s[12:13], vcc
	s_xor_b64 s[12:13], exec, s[12:13]
	s_cbranch_execz .LBB160_1685
; %bb.1466:
	v_bfe_u32 v3, v2, 21, 1
	s_mov_b32 s14, 0x88fffff
	v_add3_u32 v3, v2, v3, s14
	s_mov_b64 s[10:11], exec
	v_lshrrev_b32_e32 v3, 21, v3
	s_or_saveexec_b64 s[12:13], s[12:13]
                                        ; implicit-def: $sgpr14
	s_xor_b64 exec, exec, s[12:13]
	s_cbranch_execnz .LBB160_1686
.LBB160_1467:
	s_or_b64 exec, exec, s[12:13]
	v_mov_b32_e32 v4, s14
	s_and_saveexec_b64 s[12:13], s[10:11]
.LBB160_1468:
	v_lshrrev_b32_e32 v2, 24, v2
	s_movk_i32 s10, 0x80
	v_and_or_b32 v4, v2, s10, v3
.LBB160_1469:
	s_or_b64 exec, exec, s[12:13]
.LBB160_1470:
	s_or_b64 exec, exec, s[8:9]
	s_mov_b64 s[8:9], 0
	global_store_byte v[6:7], v4, off
.LBB160_1471:
	s_and_b64 vcc, exec, s[8:9]
	s_cbranch_vccz .LBB160_1481
; %bb.1472:
	v_cvt_f32_f64_e32 v2, v[0:1]
	v_and_b32_e32 v4, 0x7fffffff, v2
	s_mov_b32 s8, 0x43f00000
	v_cmp_gt_u32_e32 vcc, s8, v4
                                        ; implicit-def: $vgpr3
	s_and_saveexec_b64 s[8:9], vcc
	s_xor_b64 s[8:9], exec, s[8:9]
	s_cbranch_execz .LBB160_1478
; %bb.1473:
	s_mov_b32 s10, 0x3c7fffff
	v_cmp_lt_u32_e32 vcc, s10, v4
                                        ; implicit-def: $vgpr3
	s_and_saveexec_b64 s[10:11], vcc
	s_xor_b64 s[10:11], exec, s[10:11]
; %bb.1474:
	v_bfe_u32 v3, v2, 20, 1
	s_mov_b32 s12, 0x407ffff
	v_add3_u32 v3, v2, v3, s12
	v_lshrrev_b32_e32 v4, 20, v3
	v_and_b32_e32 v3, 0xff00000, v3
	s_mov_b32 s12, 0x7f00000
	v_mov_b32_e32 v5, 0x7e
	v_cmp_ne_u32_e32 vcc, s12, v3
	v_cndmask_b32_e32 v3, v5, v4, vcc
; %bb.1475:
	s_andn2_saveexec_b64 s[10:11], s[10:11]
; %bb.1476:
	s_mov_b32 s12, 0x46800000
	v_add_f32_e64 v3, |v2|, s12
; %bb.1477:
	s_or_b64 exec, exec, s[10:11]
                                        ; implicit-def: $vgpr4
.LBB160_1478:
	s_andn2_saveexec_b64 s[8:9], s[8:9]
; %bb.1479:
	s_mov_b32 s10, 0x7f800000
	v_mov_b32_e32 v3, 0x7e
	v_mov_b32_e32 v5, 0x7f
	v_cmp_lt_u32_e32 vcc, s10, v4
	v_cndmask_b32_e32 v3, v3, v5, vcc
; %bb.1480:
	s_or_b64 exec, exec, s[8:9]
	v_lshrrev_b32_e32 v2, 24, v2
	s_movk_i32 s8, 0x80
	v_and_or_b32 v2, v2, s8, v3
	global_store_byte v[6:7], v2, off
.LBB160_1481:
	s_mov_b64 s[8:9], 0
.LBB160_1482:
	s_andn2_b64 vcc, exec, s[8:9]
	s_cbranch_vccnz .LBB160_1492
; %bb.1483:
	v_cvt_f32_f64_e32 v2, v[0:1]
	v_and_b32_e32 v4, 0x7fffffff, v2
	s_mov_b32 s8, 0x47800000
	v_cmp_gt_u32_e32 vcc, s8, v4
                                        ; implicit-def: $vgpr3
	s_and_saveexec_b64 s[8:9], vcc
	s_xor_b64 s[8:9], exec, s[8:9]
	s_cbranch_execz .LBB160_1489
; %bb.1484:
	s_mov_b32 s10, 0x387fffff
	v_cmp_lt_u32_e32 vcc, s10, v4
                                        ; implicit-def: $vgpr3
	s_and_saveexec_b64 s[10:11], vcc
	s_xor_b64 s[10:11], exec, s[10:11]
; %bb.1485:
	v_bfe_u32 v3, v2, 21, 1
	s_mov_b32 s12, 0x80fffff
	v_add3_u32 v3, v2, v3, s12
	v_lshrrev_b32_e32 v3, 21, v3
; %bb.1486:
	s_andn2_saveexec_b64 s[10:11], s[10:11]
; %bb.1487:
	s_mov_b32 s12, 0x43000000
	v_add_f32_e64 v3, |v2|, s12
; %bb.1488:
	s_or_b64 exec, exec, s[10:11]
                                        ; implicit-def: $vgpr4
.LBB160_1489:
	s_andn2_saveexec_b64 s[8:9], s[8:9]
; %bb.1490:
	s_mov_b32 s10, 0x7f800000
	v_mov_b32_e32 v3, 0x7c
	v_mov_b32_e32 v5, 0x7f
	v_cmp_lt_u32_e32 vcc, s10, v4
	v_cndmask_b32_e32 v3, v3, v5, vcc
; %bb.1491:
	s_or_b64 exec, exec, s[8:9]
	v_lshrrev_b32_e32 v2, 24, v2
	s_movk_i32 s8, 0x80
	v_and_or_b32 v2, v2, s8, v3
	global_store_byte v[6:7], v2, off
.LBB160_1492:
	s_mov_b64 s[8:9], 0
.LBB160_1493:
	s_andn2_b64 vcc, exec, s[8:9]
	s_mov_b64 s[8:9], 0
	s_cbranch_vccnz .LBB160_1505
; %bb.1494:
	v_cmp_lt_i16_e32 vcc, 14, v8
	s_mov_b64 s[10:11], -1
	s_cbranch_vccz .LBB160_1498
; %bb.1495:
	v_cmp_eq_u16_e32 vcc, 15, v8
	s_mov_b64 s[4:5], -1
	s_cbranch_vccz .LBB160_1497
; %bb.1496:
	v_cvt_f32_f64_e32 v2, v[0:1]
	v_bfe_u32 v3, v2, 16, 1
	s_movk_i32 s4, 0x7fff
	v_add3_u32 v3, v2, v3, s4
	v_lshrrev_b32_e32 v3, 16, v3
	v_mov_b32_e32 v4, 0x7fc0
	v_cmp_o_f32_e32 vcc, v2, v2
	v_cndmask_b32_e32 v2, v4, v3, vcc
	global_store_short v[6:7], v2, off
	s_mov_b64 s[4:5], 0
.LBB160_1497:
	s_mov_b64 s[10:11], 0
.LBB160_1498:
	s_and_b64 vcc, exec, s[10:11]
	s_cbranch_vccz .LBB160_1505
; %bb.1499:
	v_cmp_ne_u16_e32 vcc, 11, v8
	s_andn2_b64 s[4:5], s[4:5], exec
	s_and_b64 s[10:11], vcc, exec
	s_mov_b64 s[8:9], -1
	s_or_b64 s[4:5], s[4:5], s[10:11]
	s_branch .LBB160_1505
.LBB160_1500:
	s_or_b64 exec, exec, s[74:75]
	s_and_saveexec_b64 s[4:5], s[88:89]
	s_cbranch_execnz .LBB160_1506
.LBB160_1501:
	s_or_b64 exec, exec, s[4:5]
	s_and_saveexec_b64 s[4:5], s[8:9]
	s_xor_b64 s[4:5], exec, s[4:5]
	s_cbranch_execz .LBB160_1507
.LBB160_1502:
	s_waitcnt vmcnt(0)
	v_cmp_neq_f64_e32 vcc, 0, v[0:1]
	v_cndmask_b32_e64 v2, 0, 1, vcc
	global_store_byte v[6:7], v2, off
	s_or_b64 exec, exec, s[4:5]
	s_and_saveexec_b64 s[4:5], s[6:7]
	s_xor_b64 s[4:5], exec, s[4:5]
	s_cbranch_execz .LBB160_1545
	s_branch .LBB160_1508
.LBB160_1503:
	s_mov_b64 s[8:9], 0
	s_mov_b64 s[6:7], -1
	s_mov_b64 s[4:5], s[88:89]
	s_mov_b64 s[34:35], s[82:83]
	s_branch .LBB160_1505
.LBB160_1504:
	s_mov_b64 s[8:9], 0
.LBB160_1505:
	s_andn2_b64 s[10:11], s[88:89], exec
	s_and_b64 s[4:5], s[4:5], exec
	s_and_b64 s[6:7], s[6:7], exec
	;; [unrolled: 1-line block ×3, first 2 shown]
	s_or_b64 s[88:89], s[10:11], s[4:5]
	s_or_b64 exec, exec, s[74:75]
	s_and_saveexec_b64 s[4:5], s[88:89]
	s_cbranch_execz .LBB160_1501
.LBB160_1506:
	s_or_b64 s[80:81], s[80:81], exec
	s_andn2_b64 s[8:9], s[8:9], exec
	s_trap 2
	s_or_b64 exec, exec, s[4:5]
	s_and_saveexec_b64 s[4:5], s[8:9]
	s_xor_b64 s[4:5], exec, s[4:5]
	s_cbranch_execnz .LBB160_1502
.LBB160_1507:
	s_or_b64 exec, exec, s[4:5]
	s_and_saveexec_b64 s[4:5], s[6:7]
	s_xor_b64 s[4:5], exec, s[4:5]
	s_cbranch_execz .LBB160_1545
.LBB160_1508:
	v_cmp_gt_i16_e32 vcc, 5, v8
	s_mov_b64 s[6:7], -1
	s_cbranch_vccnz .LBB160_1529
; %bb.1509:
	v_cmp_gt_i16_e32 vcc, 8, v8
	s_cbranch_vccnz .LBB160_1519
; %bb.1510:
	v_cmp_gt_i16_e32 vcc, 9, v8
	s_cbranch_vccnz .LBB160_1516
; %bb.1511:
	v_cmp_lt_i16_e32 vcc, 9, v8
	s_cbranch_vccz .LBB160_1513
; %bb.1512:
	s_waitcnt vmcnt(0)
	v_mov_b32_e32 v2, 0
	v_mov_b32_e32 v3, v2
	s_mov_b64 s[6:7], 0
	global_store_dwordx4 v[6:7], v[0:3], off
.LBB160_1513:
	s_andn2_b64 vcc, exec, s[6:7]
	s_cbranch_vccnz .LBB160_1515
; %bb.1514:
	s_waitcnt vmcnt(0)
	v_cvt_f32_f64_e32 v2, v[0:1]
	v_mov_b32_e32 v3, 0
	global_store_dwordx2 v[6:7], v[2:3], off
.LBB160_1515:
	s_mov_b64 s[6:7], 0
.LBB160_1516:
	s_andn2_b64 vcc, exec, s[6:7]
	s_cbranch_vccnz .LBB160_1518
; %bb.1517:
	s_waitcnt vmcnt(0)
	v_cvt_f32_f64_e32 v2, v[0:1]
	v_cvt_f16_f32_e32 v2, v2
	global_store_dword v[6:7], v2, off
.LBB160_1518:
	s_mov_b64 s[6:7], 0
.LBB160_1519:
	s_andn2_b64 vcc, exec, s[6:7]
	s_cbranch_vccnz .LBB160_1528
; %bb.1520:
	v_cmp_gt_i16_e32 vcc, 6, v8
	s_mov_b64 s[6:7], -1
	s_cbranch_vccnz .LBB160_1526
; %bb.1521:
	v_cmp_lt_i16_e32 vcc, 6, v8
	s_cbranch_vccz .LBB160_1523
; %bb.1522:
	s_mov_b64 s[6:7], 0
	s_waitcnt vmcnt(0)
	global_store_dwordx2 v[6:7], v[0:1], off
.LBB160_1523:
	s_andn2_b64 vcc, exec, s[6:7]
	s_cbranch_vccnz .LBB160_1525
; %bb.1524:
	s_waitcnt vmcnt(0)
	v_cvt_f32_f64_e32 v2, v[0:1]
	global_store_dword v[6:7], v2, off
.LBB160_1525:
	s_mov_b64 s[6:7], 0
.LBB160_1526:
	s_andn2_b64 vcc, exec, s[6:7]
	s_cbranch_vccnz .LBB160_1528
; %bb.1527:
	s_waitcnt vmcnt(0)
	v_cvt_f32_f64_e32 v2, v[0:1]
	v_cvt_f16_f32_e32 v2, v2
	global_store_short v[6:7], v2, off
.LBB160_1528:
	s_mov_b64 s[6:7], 0
.LBB160_1529:
	s_andn2_b64 vcc, exec, s[6:7]
	s_cbranch_vccnz .LBB160_1545
; %bb.1530:
	v_cmp_gt_i16_e32 vcc, 2, v8
	s_mov_b64 s[6:7], -1
	s_cbranch_vccnz .LBB160_1540
; %bb.1531:
	v_cmp_gt_i16_e32 vcc, 3, v8
	s_cbranch_vccnz .LBB160_1537
; %bb.1532:
	v_cmp_lt_i16_e32 vcc, 3, v8
	s_cbranch_vccz .LBB160_1534
; %bb.1533:
	s_waitcnt vmcnt(0)
	v_trunc_f64_e32 v[2:3], v[0:1]
	s_movk_i32 s6, 0xffe0
	v_ldexp_f64 v[4:5], v[2:3], s6
	v_floor_f64_e32 v[4:5], v[4:5]
	v_fmac_f64_e32 v[2:3], 0xc1f00000, v[4:5]
	v_cvt_i32_f64_e32 v11, v[4:5]
	v_cvt_u32_f64_e32 v10, v[2:3]
	s_mov_b64 s[6:7], 0
	global_store_dwordx2 v[6:7], v[10:11], off
.LBB160_1534:
	s_andn2_b64 vcc, exec, s[6:7]
	s_cbranch_vccnz .LBB160_1536
; %bb.1535:
	s_waitcnt vmcnt(0)
	v_cvt_i32_f64_e32 v2, v[0:1]
	global_store_dword v[6:7], v2, off
.LBB160_1536:
	s_mov_b64 s[6:7], 0
.LBB160_1537:
	s_andn2_b64 vcc, exec, s[6:7]
	s_cbranch_vccnz .LBB160_1539
; %bb.1538:
	s_waitcnt vmcnt(0)
	v_cvt_i32_f64_e32 v2, v[0:1]
	global_store_short v[6:7], v2, off
.LBB160_1539:
	s_mov_b64 s[6:7], 0
.LBB160_1540:
	s_andn2_b64 vcc, exec, s[6:7]
	s_cbranch_vccnz .LBB160_1545
; %bb.1541:
	v_cmp_lt_i16_e32 vcc, 0, v8
	s_mov_b64 s[6:7], -1
	s_cbranch_vccz .LBB160_1543
; %bb.1542:
	s_waitcnt vmcnt(0)
	v_cvt_i32_f64_e32 v2, v[0:1]
	s_mov_b64 s[6:7], 0
	global_store_byte v[6:7], v2, off
.LBB160_1543:
	s_andn2_b64 vcc, exec, s[6:7]
	s_cbranch_vccnz .LBB160_1545
; %bb.1544:
	s_waitcnt vmcnt(0)
	v_trunc_f64_e32 v[0:1], v[0:1]
	s_movk_i32 s6, 0xffe0
	v_ldexp_f64 v[2:3], v[0:1], s6
	v_floor_f64_e32 v[2:3], v[2:3]
	v_fmac_f64_e32 v[0:1], 0xc1f00000, v[2:3]
	v_cvt_u32_f64_e32 v0, v[0:1]
	global_store_byte v[6:7], v0, off
.LBB160_1545:
	s_or_b64 exec, exec, s[4:5]
	s_and_b64 s[88:89], s[80:81], exec
                                        ; implicit-def: $vgpr62
                                        ; implicit-def: $vgpr60
                                        ; implicit-def: $vgpr63
                                        ; implicit-def: $vgpr41
.LBB160_1546:
	s_or_saveexec_b64 s[86:87], s[86:87]
	s_mov_b64 s[4:5], 0
                                        ; implicit-def: $vgpr6
                                        ; implicit-def: $vgpr4_vgpr5
                                        ; implicit-def: $vgpr0_vgpr1
	s_xor_b64 exec, exec, s[86:87]
	s_cbranch_execz .LBB160_3039
; %bb.1547:
	v_mul_lo_u32 v7, s29, v62
	s_waitcnt vmcnt(0)
	v_ashrrev_i32_e32 v0, 31, v7
	v_mov_b32_e32 v1, s79
	v_add_co_u32_e32 v2, vcc, s78, v7
	v_addc_co_u32_e32 v3, vcc, v1, v0, vcc
	v_mov_b32_e32 v0, 11
	v_cmp_lt_i16_sdwa s[4:5], v60, v0 src0_sel:BYTE_0 src1_sel:DWORD
	s_and_b64 vcc, exec, s[4:5]
	s_cbranch_vccnz .LBB160_1554
; %bb.1548:
	v_mov_b32_e32 v0, 25
	v_cmp_gt_i16_sdwa s[4:5], v60, v0 src0_sel:BYTE_0 src1_sel:DWORD
	s_mov_b64 s[6:7], 0
	s_and_b64 vcc, exec, s[4:5]
	s_cbranch_vccz .LBB160_1556
; %bb.1549:
	v_mov_b32_e32 v0, 28
	v_cmp_gt_i16_sdwa s[4:5], v60, v0 src0_sel:BYTE_0 src1_sel:DWORD
	s_and_b64 vcc, exec, s[4:5]
	s_cbranch_vccz .LBB160_1557
; %bb.1550:
	v_mov_b32_e32 v0, 43
	v_cmp_gt_i16_sdwa s[4:5], v60, v0 src0_sel:BYTE_0 src1_sel:DWORD
	;; [unrolled: 5-line block ×3, first 2 shown]
	s_and_b64 vcc, exec, s[4:5]
	s_cbranch_vccz .LBB160_1559
; %bb.1552:
	v_mov_b32_e32 v0, 46
	v_cmp_eq_u16_sdwa s[4:5], v60, v0 src0_sel:BYTE_0 src1_sel:DWORD
	s_mov_b64 s[10:11], 0
	s_and_b64 vcc, exec, s[4:5]
	s_cbranch_vccz .LBB160_1562
; %bb.1553:
	global_load_dword v0, v[2:3], off
	s_mov_b64 s[4:5], 0
	s_mov_b64 s[8:9], -1
	s_waitcnt vmcnt(0)
	v_lshlrev_b32_e32 v0, 16, v0
	v_cvt_f64_f32_e32 v[0:1], v0
	s_branch .LBB160_1563
.LBB160_1554:
	s_mov_b64 s[8:9], 0
                                        ; implicit-def: $vgpr0_vgpr1
	s_mov_b64 s[90:91], s[88:89]
	s_cbranch_execnz .LBB160_1626
.LBB160_1555:
	s_andn2_b64 vcc, exec, s[8:9]
                                        ; implicit-def: $vgpr2_vgpr3
	s_cbranch_vccz .LBB160_1671
	s_branch .LBB160_3037
.LBB160_1556:
	s_mov_b64 s[8:9], 0
	s_mov_b64 s[4:5], 0
                                        ; implicit-def: $vgpr0_vgpr1
	s_cbranch_execnz .LBB160_1591
	s_branch .LBB160_1622
.LBB160_1557:
	s_mov_b64 s[10:11], -1
	s_mov_b64 s[8:9], 0
	s_mov_b64 s[4:5], 0
                                        ; implicit-def: $vgpr0_vgpr1
	s_branch .LBB160_1572
.LBB160_1558:
	s_mov_b64 s[8:9], 0
	s_mov_b64 s[4:5], 0
                                        ; implicit-def: $vgpr0_vgpr1
	s_cbranch_execnz .LBB160_1568
	s_branch .LBB160_1571
.LBB160_1559:
	s_mov_b64 s[10:11], -1
	s_mov_b64 s[8:9], 0
	s_mov_b64 s[4:5], 0
                                        ; implicit-def: $vgpr0_vgpr1
	s_branch .LBB160_1563
.LBB160_1560:
	s_or_saveexec_b64 s[10:11], s[10:11]
                                        ; implicit-def: $sgpr12
	s_xor_b64 exec, exec, s[10:11]
	s_cbranch_execz .LBB160_1455
.LBB160_1561:
	s_mov_b32 s12, 0x46000000
	v_add_f32_e64 v3, |v2|, s12
	v_and_b32_e32 v3, 0xff, v3
	v_cmp_ne_u32_e32 vcc, 0, v3
	s_andn2_b64 s[8:9], s[8:9], exec
	s_and_b64 s[14:15], vcc, exec
	s_mov_b32 s12, 0
	s_or_b64 s[8:9], s[8:9], s[14:15]
	s_or_b64 exec, exec, s[10:11]
	v_mov_b32_e32 v4, s12
	s_and_saveexec_b64 s[10:11], s[8:9]
	s_cbranch_execnz .LBB160_1456
	s_branch .LBB160_1457
.LBB160_1562:
	s_mov_b64 s[4:5], -1
                                        ; implicit-def: $vgpr0_vgpr1
	s_mov_b64 s[8:9], 0
.LBB160_1563:
	s_and_b64 vcc, exec, s[10:11]
	s_cbranch_vccz .LBB160_1566
; %bb.1564:
	v_mov_b32_e32 v0, 44
	v_cmp_eq_u16_sdwa s[4:5], v60, v0 src0_sel:BYTE_0 src1_sel:DWORD
	s_and_b64 vcc, exec, s[4:5]
	s_cbranch_vccz .LBB160_1567
; %bb.1565:
	global_load_ubyte v4, v[2:3], off
	s_movk_i32 s8, 0xff
	v_bfrev_b32_e32 v5, 4
	v_mov_b32_e32 v6, 0x7ff80000
	v_bfrev_b32_e32 v8, 28
	s_mov_b64 s[4:5], 0
	s_waitcnt vmcnt(0)
	v_lshlrev_b32_e32 v0, 23, v4
	v_cvt_f64_f32_e32 v[0:1], v0
	v_cmp_ne_u32_e32 vcc, s8, v4
	v_cndmask_b32_e32 v0, v5, v0, vcc
	v_cndmask_b32_e32 v1, v6, v1, vcc
	v_cmp_ne_u32_e32 vcc, 0, v4
	v_cndmask_b32_e32 v1, v8, v1, vcc
	v_cndmask_b32_e32 v0, 0, v0, vcc
	s_mov_b64 s[8:9], -1
.LBB160_1566:
	s_branch .LBB160_1571
.LBB160_1567:
	s_mov_b64 s[4:5], -1
                                        ; implicit-def: $vgpr0_vgpr1
	s_branch .LBB160_1571
.LBB160_1568:
	v_mov_b32_e32 v0, 29
	v_cmp_eq_u16_sdwa s[4:5], v60, v0 src0_sel:BYTE_0 src1_sel:DWORD
	s_and_b64 vcc, exec, s[4:5]
	s_cbranch_vccz .LBB160_1570
; %bb.1569:
	global_load_dwordx2 v[0:1], v[2:3], off
	s_mov_b64 s[4:5], 0
	s_mov_b64 s[8:9], -1
	s_mov_b64 s[10:11], 0
	s_waitcnt vmcnt(0)
	v_cvt_f64_u32_e32 v[4:5], v1
	v_cvt_f64_u32_e32 v[0:1], v0
	v_ldexp_f64 v[4:5], v[4:5], 32
	v_add_f64 v[0:1], v[4:5], v[0:1]
	s_branch .LBB160_1572
.LBB160_1570:
	s_mov_b64 s[4:5], -1
                                        ; implicit-def: $vgpr0_vgpr1
.LBB160_1571:
	s_mov_b64 s[10:11], 0
.LBB160_1572:
	s_and_b64 vcc, exec, s[10:11]
	s_cbranch_vccz .LBB160_1590
; %bb.1573:
	v_mov_b32_e32 v0, 27
	v_cmp_lt_i16_sdwa s[8:9], v60, v0 src0_sel:BYTE_0 src1_sel:DWORD
	s_and_b64 vcc, exec, s[8:9]
	s_cbranch_vccnz .LBB160_1576
; %bb.1574:
	v_cmp_gt_i16_sdwa s[8:9], v60, v0 src0_sel:BYTE_0 src1_sel:DWORD
	s_and_b64 vcc, exec, s[8:9]
	s_cbranch_vccz .LBB160_1577
; %bb.1575:
	global_load_dword v0, v[2:3], off
	s_mov_b64 s[8:9], 0
	s_waitcnt vmcnt(0)
	v_cvt_f64_u32_e32 v[0:1], v0
	s_branch .LBB160_1578
.LBB160_1576:
	s_mov_b64 s[8:9], -1
                                        ; implicit-def: $vgpr0_vgpr1
	s_branch .LBB160_1581
.LBB160_1577:
	s_mov_b64 s[8:9], -1
                                        ; implicit-def: $vgpr0_vgpr1
.LBB160_1578:
	s_andn2_b64 vcc, exec, s[8:9]
	s_cbranch_vccnz .LBB160_1580
; %bb.1579:
	global_load_ushort v0, v[2:3], off
	s_waitcnt vmcnt(0)
	v_cvt_f64_u32_e32 v[0:1], v0
.LBB160_1580:
	s_mov_b64 s[8:9], 0
.LBB160_1581:
	s_andn2_b64 vcc, exec, s[8:9]
	s_cbranch_vccnz .LBB160_1589
; %bb.1582:
	global_load_ubyte v4, v[2:3], off
	s_movk_i32 s8, 0x7f
                                        ; implicit-def: $sgpr10_sgpr11
	s_waitcnt vmcnt(0)
	v_cmp_lt_i16_e32 vcc, s8, v4
	s_mov_b64 s[8:9], 0
	s_and_saveexec_b64 s[12:13], vcc
	s_xor_b64 s[12:13], exec, s[12:13]
	s_cbranch_execz .LBB160_1602
; %bb.1583:
	s_movk_i32 s8, 0x80
	v_cmp_eq_u16_e32 vcc, s8, v4
	s_mov_b64 s[14:15], -1
                                        ; implicit-def: $sgpr10_sgpr11
	s_and_saveexec_b64 s[8:9], vcc
; %bb.1584:
	s_mov_b32 s11, 0x7ff80000
	s_brev_b32 s10, 4
	s_xor_b64 s[14:15], exec, -1
; %bb.1585:
	s_or_b64 exec, exec, s[8:9]
	s_and_b64 s[8:9], s[14:15], exec
	s_or_saveexec_b64 s[12:13], s[12:13]
	v_pk_mov_b32 v[0:1], s[10:11], s[10:11] op_sel:[0,1]
	s_xor_b64 exec, exec, s[12:13]
	s_cbranch_execnz .LBB160_1603
.LBB160_1586:
	s_or_b64 exec, exec, s[12:13]
	s_and_saveexec_b64 s[10:11], s[8:9]
	s_cbranch_execz .LBB160_1588
.LBB160_1587:
	v_and_b32_e32 v1, 0xffff, v4
	v_lshlrev_b32_e32 v0, 24, v4
	v_and_b32_e32 v4, 7, v1
	v_ffbh_u32_e32 v6, v4
	v_min_u32_e32 v6, 32, v6
	v_subrev_u32_e32 v8, 28, v6
	v_bfe_u32 v5, v1, 3, 4
	v_lshlrev_b32_e32 v1, v8, v1
	v_sub_u32_e32 v6, 29, v6
	v_and_b32_e32 v1, 7, v1
	v_cmp_eq_u32_e32 vcc, 0, v5
	v_cndmask_b32_e32 v5, v5, v6, vcc
	v_cndmask_b32_e32 v1, v4, v1, vcc
	v_mov_b32_e32 v4, 0x3b800000
	v_lshlrev_b32_e32 v1, 20, v1
	v_and_b32_e32 v0, 0x80000000, v0
	v_lshl_add_u32 v4, v5, 23, v4
	v_or3_b32 v0, v0, v4, v1
	v_cvt_f64_f32_e32 v[0:1], v0
.LBB160_1588:
	s_or_b64 exec, exec, s[10:11]
.LBB160_1589:
	s_mov_b64 s[8:9], -1
.LBB160_1590:
	s_branch .LBB160_1622
.LBB160_1591:
	v_mov_b32_e32 v0, 22
	v_cmp_gt_i16_sdwa s[6:7], v60, v0 src0_sel:BYTE_0 src1_sel:DWORD
	s_and_b64 vcc, exec, s[6:7]
	s_cbranch_vccz .LBB160_1601
; %bb.1592:
	v_mov_b32_e32 v0, 24
	v_cmp_lt_i16_sdwa s[6:7], v60, v0 src0_sel:BYTE_0 src1_sel:DWORD
	s_and_b64 vcc, exec, s[6:7]
	s_cbranch_vccnz .LBB160_1604
; %bb.1593:
	v_cmp_gt_i16_sdwa s[6:7], v60, v0 src0_sel:BYTE_0 src1_sel:DWORD
	s_and_b64 vcc, exec, s[6:7]
	s_cbranch_vccz .LBB160_1605
; %bb.1594:
	global_load_ubyte v4, v[2:3], off
	s_movk_i32 s6, 0x7f
                                        ; implicit-def: $sgpr8_sgpr9
	s_waitcnt vmcnt(0)
	v_cmp_lt_i16_e32 vcc, s6, v4
	s_mov_b64 s[6:7], 0
	s_and_saveexec_b64 s[10:11], vcc
	s_xor_b64 s[10:11], exec, s[10:11]
	s_cbranch_execz .LBB160_1616
; %bb.1595:
	s_movk_i32 s6, 0x80
	v_cmp_eq_u16_e32 vcc, s6, v4
	s_mov_b64 s[12:13], -1
                                        ; implicit-def: $sgpr8_sgpr9
	s_and_saveexec_b64 s[6:7], vcc
; %bb.1596:
	s_mov_b32 s9, 0x7ff80000
	s_brev_b32 s8, 4
	s_xor_b64 s[12:13], exec, -1
; %bb.1597:
	s_or_b64 exec, exec, s[6:7]
	s_and_b64 s[6:7], s[12:13], exec
	s_or_saveexec_b64 s[10:11], s[10:11]
	v_pk_mov_b32 v[0:1], s[8:9], s[8:9] op_sel:[0,1]
	s_xor_b64 exec, exec, s[10:11]
	s_cbranch_execnz .LBB160_1617
.LBB160_1598:
	s_or_b64 exec, exec, s[10:11]
	s_and_saveexec_b64 s[8:9], s[6:7]
	s_cbranch_execz .LBB160_1600
.LBB160_1599:
	v_and_b32_e32 v1, 0xffff, v4
	v_lshlrev_b32_e32 v0, 24, v4
	v_and_b32_e32 v4, 3, v1
	v_ffbh_u32_e32 v6, v4
	v_min_u32_e32 v6, 32, v6
	v_subrev_u32_e32 v8, 29, v6
	v_bfe_u32 v5, v1, 2, 5
	v_lshlrev_b32_e32 v1, v8, v1
	v_sub_u32_e32 v6, 30, v6
	v_and_b32_e32 v1, 3, v1
	v_cmp_eq_u32_e32 vcc, 0, v5
	v_cndmask_b32_e32 v5, v5, v6, vcc
	v_cndmask_b32_e32 v1, v4, v1, vcc
	v_mov_b32_e32 v4, 0x37800000
	v_lshlrev_b32_e32 v1, 21, v1
	v_and_b32_e32 v0, 0x80000000, v0
	v_lshl_add_u32 v4, v5, 23, v4
	v_or3_b32 v0, v0, v4, v1
	v_cvt_f64_f32_e32 v[0:1], v0
.LBB160_1600:
	s_or_b64 exec, exec, s[8:9]
	s_mov_b64 s[6:7], 0
	s_branch .LBB160_1606
.LBB160_1601:
                                        ; implicit-def: $vgpr0_vgpr1
	s_mov_b64 s[6:7], 0
	s_branch .LBB160_1612
.LBB160_1602:
	s_or_saveexec_b64 s[12:13], s[12:13]
	v_pk_mov_b32 v[0:1], s[10:11], s[10:11] op_sel:[0,1]
	s_xor_b64 exec, exec, s[12:13]
	s_cbranch_execz .LBB160_1586
.LBB160_1603:
	v_cmp_ne_u16_e32 vcc, 0, v4
	s_andn2_b64 s[8:9], s[8:9], exec
	s_and_b64 s[10:11], vcc, exec
	v_pk_mov_b32 v[0:1], 0, 0
	s_or_b64 s[8:9], s[8:9], s[10:11]
	s_or_b64 exec, exec, s[12:13]
	s_and_saveexec_b64 s[10:11], s[8:9]
	s_cbranch_execnz .LBB160_1587
	s_branch .LBB160_1588
.LBB160_1604:
	s_mov_b64 s[6:7], -1
                                        ; implicit-def: $vgpr0_vgpr1
	s_branch .LBB160_1609
.LBB160_1605:
	s_mov_b64 s[6:7], -1
                                        ; implicit-def: $vgpr0_vgpr1
.LBB160_1606:
	s_and_b64 vcc, exec, s[6:7]
	s_cbranch_vccz .LBB160_1608
; %bb.1607:
	global_load_ubyte v0, v[2:3], off
	s_mov_b32 s6, 0x7f800000
	s_waitcnt vmcnt(0)
	v_lshlrev_b32_e32 v0, 24, v0
	v_and_b32_e32 v1, 0x7f000000, v0
	v_ffbh_u32_e32 v4, v1
	v_min_u32_e32 v4, 32, v4
	v_sub_u32_e64 v4, v4, 4 clamp
	v_lshlrev_b32_e32 v6, v4, v1
	v_lshlrev_b32_e32 v4, 23, v4
	v_lshrrev_b32_e32 v6, 4, v6
	v_add_u32_e32 v5, 0x1000000, v1
	v_sub_u32_e32 v4, v6, v4
	v_ashrrev_i32_e32 v5, 8, v5
	v_add_u32_e32 v4, 0x3c000000, v4
	v_and_or_b32 v4, v5, s6, v4
	v_cmp_ne_u32_e32 vcc, 0, v1
	v_cndmask_b32_e32 v1, 0, v4, vcc
	s_brev_b32 s6, 1
	v_and_or_b32 v0, v0, s6, v1
	v_cvt_f64_f32_e32 v[0:1], v0
.LBB160_1608:
	s_mov_b64 s[6:7], 0
.LBB160_1609:
	s_andn2_b64 vcc, exec, s[6:7]
	s_cbranch_vccnz .LBB160_1611
; %bb.1610:
	global_load_ubyte v0, v[2:3], off
	s_movk_i32 s6, 0x7f00
	s_brev_b32 s7, 16
	s_waitcnt vmcnt(0)
	v_lshlrev_b16_e32 v1, 8, v0
	v_lshlrev_b32_e32 v0, 25, v0
	v_lshrrev_b32_e32 v4, 4, v0
	v_and_or_b32 v5, v1, s6, 0.5
	v_or_b32_e32 v4, 0x70000000, v4
	v_add_f32_e32 v5, -0.5, v5
	v_mul_f32_e32 v4, 0x7800000, v4
	v_cmp_gt_u32_e32 vcc, s7, v0
	v_bfe_i32 v1, v1, 0, 16
	v_cndmask_b32_e32 v0, v4, v5, vcc
	s_brev_b32 s6, 1
	v_and_or_b32 v0, v1, s6, v0
	v_cvt_f64_f32_e32 v[0:1], v0
.LBB160_1611:
	s_mov_b64 s[8:9], -1
	s_mov_b64 s[6:7], 0
	s_cbranch_execnz .LBB160_1622
.LBB160_1612:
	v_mov_b32_e32 v0, 14
	v_cmp_gt_i16_sdwa s[6:7], v60, v0 src0_sel:BYTE_0 src1_sel:DWORD
	s_and_b64 vcc, exec, s[6:7]
	s_cbranch_vccz .LBB160_1615
; %bb.1613:
	v_mov_b32_e32 v0, 15
	v_cmp_eq_u16_sdwa s[4:5], v60, v0 src0_sel:BYTE_0 src1_sel:DWORD
	s_and_b64 vcc, exec, s[4:5]
	s_cbranch_vccz .LBB160_1618
; %bb.1614:
	global_load_ushort v0, v[2:3], off
	s_mov_b64 s[4:5], 0
	s_mov_b64 s[8:9], -1
	s_waitcnt vmcnt(0)
	v_lshlrev_b32_e32 v0, 16, v0
	v_cvt_f64_f32_e32 v[0:1], v0
	s_branch .LBB160_1619
.LBB160_1615:
	s_mov_b64 s[10:11], -1
                                        ; implicit-def: $vgpr0_vgpr1
	s_branch .LBB160_1620
.LBB160_1616:
	s_or_saveexec_b64 s[10:11], s[10:11]
	v_pk_mov_b32 v[0:1], s[8:9], s[8:9] op_sel:[0,1]
	s_xor_b64 exec, exec, s[10:11]
	s_cbranch_execz .LBB160_1598
.LBB160_1617:
	v_cmp_ne_u16_e32 vcc, 0, v4
	s_andn2_b64 s[6:7], s[6:7], exec
	s_and_b64 s[8:9], vcc, exec
	v_pk_mov_b32 v[0:1], 0, 0
	s_or_b64 s[6:7], s[6:7], s[8:9]
	s_or_b64 exec, exec, s[10:11]
	s_and_saveexec_b64 s[8:9], s[6:7]
	s_cbranch_execnz .LBB160_1599
	s_branch .LBB160_1600
.LBB160_1618:
	s_mov_b64 s[4:5], -1
                                        ; implicit-def: $vgpr0_vgpr1
.LBB160_1619:
	s_mov_b64 s[10:11], 0
.LBB160_1620:
	s_mov_b64 s[6:7], 0
	s_and_b64 vcc, exec, s[10:11]
	s_cbranch_vccz .LBB160_1622
; %bb.1621:
	v_mov_b32_e32 v0, 11
	v_cmp_ne_u16_sdwa s[4:5], v60, v0 src0_sel:BYTE_0 src1_sel:DWORD
	s_mov_b64 s[6:7], -1
                                        ; implicit-def: $vgpr0_vgpr1
.LBB160_1622:
	s_and_b64 vcc, exec, s[4:5]
	s_mov_b64 s[90:91], s[88:89]
	s_cbranch_vccnz .LBB160_1683
; %bb.1623:
	s_andn2_b64 vcc, exec, s[6:7]
	s_cbranch_vccnz .LBB160_1625
.LBB160_1624:
	global_load_ubyte v1, v[2:3], off
	v_mov_b32_e32 v4, 0x3ff00000
	v_mov_b32_e32 v0, 0
	s_mov_b64 s[8:9], -1
	s_waitcnt vmcnt(0)
	v_cmp_ne_u16_e32 vcc, 0, v1
	v_cndmask_b32_e32 v1, 0, v4, vcc
.LBB160_1625:
	s_branch .LBB160_1555
.LBB160_1626:
	v_mov_b32_e32 v0, 5
	v_cmp_lt_i16_sdwa s[4:5], v60, v0 src0_sel:BYTE_0 src1_sel:DWORD
	s_and_b64 vcc, exec, s[4:5]
	s_cbranch_vccnz .LBB160_1631
; %bb.1627:
	v_mov_b32_e32 v0, 8
	v_cmp_lt_i16_sdwa s[4:5], v60, v0 src0_sel:BYTE_0 src1_sel:DWORD
	s_and_b64 vcc, exec, s[4:5]
	s_cbranch_vccnz .LBB160_1632
; %bb.1628:
	;; [unrolled: 5-line block ×3, first 2 shown]
	v_cmp_gt_i16_sdwa s[4:5], v60, v0 src0_sel:BYTE_0 src1_sel:DWORD
	s_and_b64 vcc, exec, s[4:5]
	s_cbranch_vccz .LBB160_1634
; %bb.1630:
	global_load_dwordx2 v[0:1], v[2:3], off
	s_mov_b64 s[4:5], 0
	s_branch .LBB160_1635
.LBB160_1631:
                                        ; implicit-def: $vgpr0_vgpr1
	s_branch .LBB160_1652
.LBB160_1632:
                                        ; implicit-def: $vgpr0_vgpr1
	s_branch .LBB160_1641
.LBB160_1633:
	s_mov_b64 s[4:5], -1
                                        ; implicit-def: $vgpr0_vgpr1
	s_branch .LBB160_1638
.LBB160_1634:
	s_mov_b64 s[4:5], -1
                                        ; implicit-def: $vgpr0_vgpr1
.LBB160_1635:
	s_andn2_b64 vcc, exec, s[4:5]
	s_cbranch_vccnz .LBB160_1637
; %bb.1636:
	global_load_dword v0, v[2:3], off
	s_waitcnt vmcnt(0)
	v_cvt_f64_f32_e32 v[0:1], v0
.LBB160_1637:
	s_mov_b64 s[4:5], 0
.LBB160_1638:
	s_andn2_b64 vcc, exec, s[4:5]
	s_cbranch_vccnz .LBB160_1640
; %bb.1639:
	global_load_dword v0, v[2:3], off
	s_waitcnt vmcnt(0)
	v_cvt_f32_f16_e32 v0, v0
	v_cvt_f64_f32_e32 v[0:1], v0
.LBB160_1640:
	s_cbranch_execnz .LBB160_1651
.LBB160_1641:
	s_waitcnt vmcnt(0)
	v_mov_b32_e32 v0, 6
	v_cmp_lt_i16_sdwa s[4:5], v60, v0 src0_sel:BYTE_0 src1_sel:DWORD
	s_and_b64 vcc, exec, s[4:5]
	s_cbranch_vccnz .LBB160_1644
; %bb.1642:
	v_cmp_gt_i16_sdwa s[4:5], v60, v0 src0_sel:BYTE_0 src1_sel:DWORD
	s_and_b64 vcc, exec, s[4:5]
	s_cbranch_vccz .LBB160_1645
; %bb.1643:
	global_load_dwordx2 v[0:1], v[2:3], off
	s_mov_b64 s[4:5], 0
	s_branch .LBB160_1646
.LBB160_1644:
	s_mov_b64 s[4:5], -1
                                        ; implicit-def: $vgpr0_vgpr1
	s_branch .LBB160_1649
.LBB160_1645:
	s_mov_b64 s[4:5], -1
                                        ; implicit-def: $vgpr0_vgpr1
.LBB160_1646:
	s_andn2_b64 vcc, exec, s[4:5]
	s_cbranch_vccnz .LBB160_1648
; %bb.1647:
	global_load_dword v0, v[2:3], off
	s_waitcnt vmcnt(0)
	v_cvt_f64_f32_e32 v[0:1], v0
.LBB160_1648:
	s_mov_b64 s[4:5], 0
.LBB160_1649:
	s_andn2_b64 vcc, exec, s[4:5]
	s_cbranch_vccnz .LBB160_1651
; %bb.1650:
	global_load_ushort v0, v[2:3], off
	s_waitcnt vmcnt(0)
	v_cvt_f32_f16_e32 v0, v0
	v_cvt_f64_f32_e32 v[0:1], v0
.LBB160_1651:
	s_cbranch_execnz .LBB160_1670
.LBB160_1652:
	s_waitcnt vmcnt(0)
	v_mov_b32_e32 v0, 2
	v_cmp_lt_i16_sdwa s[4:5], v60, v0 src0_sel:BYTE_0 src1_sel:DWORD
	s_and_b64 vcc, exec, s[4:5]
	s_cbranch_vccnz .LBB160_1656
; %bb.1653:
	v_mov_b32_e32 v0, 3
	v_cmp_lt_i16_sdwa s[4:5], v60, v0 src0_sel:BYTE_0 src1_sel:DWORD
	s_and_b64 vcc, exec, s[4:5]
	s_cbranch_vccnz .LBB160_1657
; %bb.1654:
	v_cmp_gt_i16_sdwa s[4:5], v60, v0 src0_sel:BYTE_0 src1_sel:DWORD
	s_and_b64 vcc, exec, s[4:5]
	s_cbranch_vccz .LBB160_1658
; %bb.1655:
	global_load_dwordx2 v[0:1], v[2:3], off
	s_mov_b64 s[4:5], 0
	s_waitcnt vmcnt(0)
	v_cvt_f64_i32_e32 v[4:5], v1
	v_cvt_f64_u32_e32 v[0:1], v0
	v_ldexp_f64 v[4:5], v[4:5], 32
	v_add_f64 v[0:1], v[4:5], v[0:1]
	s_branch .LBB160_1659
.LBB160_1656:
                                        ; implicit-def: $vgpr0_vgpr1
	s_branch .LBB160_1665
.LBB160_1657:
	s_mov_b64 s[4:5], -1
                                        ; implicit-def: $vgpr0_vgpr1
	s_branch .LBB160_1662
.LBB160_1658:
	s_mov_b64 s[4:5], -1
                                        ; implicit-def: $vgpr0_vgpr1
.LBB160_1659:
	s_andn2_b64 vcc, exec, s[4:5]
	s_cbranch_vccnz .LBB160_1661
; %bb.1660:
	global_load_dword v0, v[2:3], off
	s_waitcnt vmcnt(0)
	v_cvt_f64_i32_e32 v[0:1], v0
.LBB160_1661:
	s_mov_b64 s[4:5], 0
.LBB160_1662:
	s_andn2_b64 vcc, exec, s[4:5]
	s_cbranch_vccnz .LBB160_1664
; %bb.1663:
	global_load_sshort v0, v[2:3], off
	s_waitcnt vmcnt(0)
	v_cvt_f64_i32_e32 v[0:1], v0
.LBB160_1664:
	s_cbranch_execnz .LBB160_1670
.LBB160_1665:
	v_mov_b32_e32 v0, 0
	v_cmp_gt_i16_sdwa s[4:5], v60, v0 src0_sel:BYTE_0 src1_sel:DWORD
	s_and_b64 vcc, exec, s[4:5]
	s_cbranch_vccz .LBB160_1667
; %bb.1666:
	global_load_sbyte v0, v[2:3], off
	s_mov_b64 s[4:5], 0
	s_waitcnt vmcnt(0)
	v_cvt_f64_i32_e32 v[0:1], v0
	s_branch .LBB160_1668
.LBB160_1667:
	s_mov_b64 s[4:5], -1
                                        ; implicit-def: $vgpr0_vgpr1
.LBB160_1668:
	s_andn2_b64 vcc, exec, s[4:5]
	s_cbranch_vccnz .LBB160_1670
; %bb.1669:
	global_load_ubyte v0, v[2:3], off
	s_waitcnt vmcnt(0)
	v_cvt_f64_u32_e32 v[0:1], v0
.LBB160_1670:
                                        ; implicit-def: $vgpr2_vgpr3
.LBB160_1671:
	v_mul_lo_u32 v6, s30, v62
	v_ashrrev_i32_e32 v2, 31, v6
	v_mov_b32_e32 v3, s35
	v_add_co_u32_e32 v4, vcc, s34, v6
	v_addc_co_u32_e32 v5, vcc, v3, v2, vcc
	v_mov_b32_e32 v2, 11
	v_cmp_lt_i16_sdwa s[4:5], v63, v2 src0_sel:BYTE_0 src1_sel:DWORD
	s_and_b64 vcc, exec, s[4:5]
	s_cbranch_vccnz .LBB160_1678
; %bb.1672:
	v_mov_b32_e32 v2, 25
	v_cmp_gt_i16_sdwa s[4:5], v63, v2 src0_sel:BYTE_0 src1_sel:DWORD
	s_mov_b64 s[6:7], 0
	s_and_b64 vcc, exec, s[4:5]
	s_cbranch_vccz .LBB160_1680
; %bb.1673:
	v_mov_b32_e32 v2, 28
	v_cmp_gt_i16_sdwa s[4:5], v63, v2 src0_sel:BYTE_0 src1_sel:DWORD
	s_and_b64 vcc, exec, s[4:5]
	s_cbranch_vccz .LBB160_1681
; %bb.1674:
	v_mov_b32_e32 v2, 43
	v_cmp_gt_i16_sdwa s[4:5], v63, v2 src0_sel:BYTE_0 src1_sel:DWORD
	;; [unrolled: 5-line block ×3, first 2 shown]
	s_and_b64 vcc, exec, s[4:5]
	s_cbranch_vccz .LBB160_1684
; %bb.1676:
	v_mov_b32_e32 v2, 46
	v_cmp_eq_u16_sdwa s[4:5], v63, v2 src0_sel:BYTE_0 src1_sel:DWORD
	s_mov_b64 s[10:11], 0
	s_and_b64 vcc, exec, s[4:5]
	s_cbranch_vccz .LBB160_1687
; %bb.1677:
	global_load_dword v2, v[4:5], off
	s_mov_b64 s[4:5], 0
	s_mov_b64 s[8:9], -1
	s_waitcnt vmcnt(0)
	v_lshlrev_b32_e32 v2, 16, v2
	v_cvt_f64_f32_e32 v[2:3], v2
	s_branch .LBB160_1688
.LBB160_1678:
	s_mov_b64 s[8:9], 0
                                        ; implicit-def: $vgpr2_vgpr3
	s_cbranch_execnz .LBB160_1753
.LBB160_1679:
	s_andn2_b64 vcc, exec, s[8:9]
	s_cbranch_vccnz .LBB160_3037
	s_branch .LBB160_1800
.LBB160_1680:
	s_mov_b64 s[8:9], 0
	s_mov_b64 s[4:5], 0
                                        ; implicit-def: $vgpr2_vgpr3
	s_cbranch_execnz .LBB160_1717
	s_branch .LBB160_1749
.LBB160_1681:
	s_mov_b64 s[10:11], -1
	s_mov_b64 s[8:9], 0
	s_mov_b64 s[4:5], 0
                                        ; implicit-def: $vgpr2_vgpr3
	s_branch .LBB160_1698
.LBB160_1682:
	s_mov_b64 s[10:11], -1
	s_mov_b64 s[8:9], 0
	s_mov_b64 s[4:5], 0
                                        ; implicit-def: $vgpr2_vgpr3
	s_branch .LBB160_1693
.LBB160_1683:
	s_or_b64 s[90:91], s[88:89], exec
	s_trap 2
                                        ; implicit-def: $vgpr0_vgpr1
	s_cbranch_execz .LBB160_1624
	s_branch .LBB160_1625
.LBB160_1684:
	s_mov_b64 s[10:11], -1
	s_mov_b64 s[8:9], 0
	s_mov_b64 s[4:5], 0
                                        ; implicit-def: $vgpr2_vgpr3
	s_branch .LBB160_1688
.LBB160_1685:
	s_or_saveexec_b64 s[12:13], s[12:13]
                                        ; implicit-def: $sgpr14
	s_xor_b64 exec, exec, s[12:13]
	s_cbranch_execz .LBB160_1467
.LBB160_1686:
	s_mov_b32 s14, 0x42800000
	v_add_f32_e64 v3, |v2|, s14
	v_and_b32_e32 v3, 0xff, v3
	v_cmp_ne_u32_e32 vcc, 0, v3
	s_andn2_b64 s[10:11], s[10:11], exec
	s_and_b64 s[16:17], vcc, exec
	s_mov_b32 s14, 0
	s_or_b64 s[10:11], s[10:11], s[16:17]
	s_or_b64 exec, exec, s[12:13]
	v_mov_b32_e32 v4, s14
	s_and_saveexec_b64 s[12:13], s[10:11]
	s_cbranch_execnz .LBB160_1468
	s_branch .LBB160_1469
.LBB160_1687:
	s_mov_b64 s[4:5], -1
                                        ; implicit-def: $vgpr2_vgpr3
	s_mov_b64 s[8:9], 0
.LBB160_1688:
	s_and_b64 vcc, exec, s[10:11]
	s_cbranch_vccz .LBB160_1692
; %bb.1689:
	v_mov_b32_e32 v2, 44
	v_cmp_eq_u16_sdwa s[4:5], v63, v2 src0_sel:BYTE_0 src1_sel:DWORD
	s_and_b64 vcc, exec, s[4:5]
	s_cbranch_vccz .LBB160_1691
; %bb.1690:
	global_load_ubyte v8, v[4:5], off
	s_movk_i32 s8, 0xff
	v_bfrev_b32_e32 v9, 4
	v_mov_b32_e32 v10, 0x7ff80000
	v_bfrev_b32_e32 v11, 28
	s_mov_b64 s[4:5], 0
	s_waitcnt vmcnt(0)
	v_lshlrev_b32_e32 v2, 23, v8
	v_cvt_f64_f32_e32 v[2:3], v2
	v_cmp_ne_u32_e32 vcc, s8, v8
	v_cndmask_b32_e32 v2, v9, v2, vcc
	v_cndmask_b32_e32 v3, v10, v3, vcc
	v_cmp_ne_u32_e32 vcc, 0, v8
	v_cndmask_b32_e32 v3, v11, v3, vcc
	v_cndmask_b32_e32 v2, 0, v2, vcc
	s_mov_b64 s[8:9], -1
	s_branch .LBB160_1692
.LBB160_1691:
	s_mov_b64 s[4:5], -1
                                        ; implicit-def: $vgpr2_vgpr3
.LBB160_1692:
	s_mov_b64 s[10:11], 0
.LBB160_1693:
	s_and_b64 vcc, exec, s[10:11]
	s_cbranch_vccz .LBB160_1697
; %bb.1694:
	v_mov_b32_e32 v2, 29
	v_cmp_eq_u16_sdwa s[4:5], v63, v2 src0_sel:BYTE_0 src1_sel:DWORD
	s_and_b64 vcc, exec, s[4:5]
	s_cbranch_vccz .LBB160_1696
; %bb.1695:
	global_load_dwordx2 v[2:3], v[4:5], off
	s_mov_b64 s[4:5], 0
	s_mov_b64 s[8:9], -1
	s_mov_b64 s[10:11], 0
	s_waitcnt vmcnt(0)
	v_cvt_f64_u32_e32 v[8:9], v3
	v_cvt_f64_u32_e32 v[2:3], v2
	v_ldexp_f64 v[8:9], v[8:9], 32
	v_add_f64 v[2:3], v[8:9], v[2:3]
	s_branch .LBB160_1698
.LBB160_1696:
	s_mov_b64 s[4:5], -1
                                        ; implicit-def: $vgpr2_vgpr3
.LBB160_1697:
	s_mov_b64 s[10:11], 0
.LBB160_1698:
	s_and_b64 vcc, exec, s[10:11]
	s_cbranch_vccz .LBB160_1716
; %bb.1699:
	v_mov_b32_e32 v2, 27
	v_cmp_lt_i16_sdwa s[8:9], v63, v2 src0_sel:BYTE_0 src1_sel:DWORD
	s_and_b64 vcc, exec, s[8:9]
	s_cbranch_vccnz .LBB160_1702
; %bb.1700:
	v_cmp_gt_i16_sdwa s[8:9], v63, v2 src0_sel:BYTE_0 src1_sel:DWORD
	s_and_b64 vcc, exec, s[8:9]
	s_cbranch_vccz .LBB160_1703
; %bb.1701:
	global_load_dword v2, v[4:5], off
	s_mov_b64 s[8:9], 0
	s_waitcnt vmcnt(0)
	v_cvt_f64_u32_e32 v[2:3], v2
	s_branch .LBB160_1704
.LBB160_1702:
	s_mov_b64 s[8:9], -1
                                        ; implicit-def: $vgpr2_vgpr3
	s_branch .LBB160_1707
.LBB160_1703:
	s_mov_b64 s[8:9], -1
                                        ; implicit-def: $vgpr2_vgpr3
.LBB160_1704:
	s_andn2_b64 vcc, exec, s[8:9]
	s_cbranch_vccnz .LBB160_1706
; %bb.1705:
	global_load_ushort v2, v[4:5], off
	s_waitcnt vmcnt(0)
	v_cvt_f64_u32_e32 v[2:3], v2
.LBB160_1706:
	s_mov_b64 s[8:9], 0
.LBB160_1707:
	s_andn2_b64 vcc, exec, s[8:9]
	s_cbranch_vccnz .LBB160_1715
; %bb.1708:
	global_load_ubyte v8, v[4:5], off
	s_movk_i32 s8, 0x7f
                                        ; implicit-def: $sgpr10_sgpr11
	s_waitcnt vmcnt(0)
	v_cmp_lt_i16_e32 vcc, s8, v8
	s_mov_b64 s[8:9], 0
	s_and_saveexec_b64 s[12:13], vcc
	s_xor_b64 s[12:13], exec, s[12:13]
	s_cbranch_execz .LBB160_1728
; %bb.1709:
	s_movk_i32 s8, 0x80
	v_cmp_eq_u16_e32 vcc, s8, v8
	s_mov_b64 s[14:15], -1
                                        ; implicit-def: $sgpr10_sgpr11
	s_and_saveexec_b64 s[8:9], vcc
; %bb.1710:
	s_mov_b32 s11, 0x7ff80000
	s_brev_b32 s10, 4
	s_xor_b64 s[14:15], exec, -1
; %bb.1711:
	s_or_b64 exec, exec, s[8:9]
	s_and_b64 s[8:9], s[14:15], exec
	s_or_saveexec_b64 s[12:13], s[12:13]
	v_pk_mov_b32 v[2:3], s[10:11], s[10:11] op_sel:[0,1]
	s_xor_b64 exec, exec, s[12:13]
	s_cbranch_execnz .LBB160_1729
.LBB160_1712:
	s_or_b64 exec, exec, s[12:13]
	s_and_saveexec_b64 s[10:11], s[8:9]
	s_cbranch_execz .LBB160_1714
.LBB160_1713:
	v_and_b32_e32 v3, 0xffff, v8
	v_lshlrev_b32_e32 v2, 24, v8
	v_and_b32_e32 v8, 7, v3
	v_ffbh_u32_e32 v10, v8
	v_min_u32_e32 v10, 32, v10
	v_subrev_u32_e32 v11, 28, v10
	v_bfe_u32 v9, v3, 3, 4
	v_lshlrev_b32_e32 v3, v11, v3
	v_sub_u32_e32 v10, 29, v10
	v_and_b32_e32 v3, 7, v3
	v_cmp_eq_u32_e32 vcc, 0, v9
	v_cndmask_b32_e32 v9, v9, v10, vcc
	v_cndmask_b32_e32 v3, v8, v3, vcc
	v_mov_b32_e32 v8, 0x3b800000
	v_lshlrev_b32_e32 v3, 20, v3
	v_and_b32_e32 v2, 0x80000000, v2
	v_lshl_add_u32 v8, v9, 23, v8
	v_or3_b32 v2, v2, v8, v3
	v_cvt_f64_f32_e32 v[2:3], v2
.LBB160_1714:
	s_or_b64 exec, exec, s[10:11]
.LBB160_1715:
	s_mov_b64 s[8:9], -1
.LBB160_1716:
	s_branch .LBB160_1749
.LBB160_1717:
	v_mov_b32_e32 v2, 22
	v_cmp_gt_i16_sdwa s[6:7], v63, v2 src0_sel:BYTE_0 src1_sel:DWORD
	s_and_b64 vcc, exec, s[6:7]
	s_cbranch_vccz .LBB160_1727
; %bb.1718:
	v_mov_b32_e32 v2, 24
	v_cmp_lt_i16_sdwa s[6:7], v63, v2 src0_sel:BYTE_0 src1_sel:DWORD
	s_and_b64 vcc, exec, s[6:7]
	s_cbranch_vccnz .LBB160_1730
; %bb.1719:
	v_cmp_gt_i16_sdwa s[6:7], v63, v2 src0_sel:BYTE_0 src1_sel:DWORD
	s_and_b64 vcc, exec, s[6:7]
	s_cbranch_vccz .LBB160_1731
; %bb.1720:
	global_load_ubyte v8, v[4:5], off
	s_movk_i32 s6, 0x7f
                                        ; implicit-def: $sgpr8_sgpr9
	s_waitcnt vmcnt(0)
	v_cmp_lt_i16_e32 vcc, s6, v8
	s_mov_b64 s[6:7], 0
	s_and_saveexec_b64 s[10:11], vcc
	s_xor_b64 s[10:11], exec, s[10:11]
	s_cbranch_execz .LBB160_1743
; %bb.1721:
	s_movk_i32 s6, 0x80
	v_cmp_eq_u16_e32 vcc, s6, v8
	s_mov_b64 s[12:13], -1
                                        ; implicit-def: $sgpr8_sgpr9
	s_and_saveexec_b64 s[6:7], vcc
; %bb.1722:
	s_mov_b32 s9, 0x7ff80000
	s_brev_b32 s8, 4
	s_xor_b64 s[12:13], exec, -1
; %bb.1723:
	s_or_b64 exec, exec, s[6:7]
	s_and_b64 s[6:7], s[12:13], exec
	s_or_saveexec_b64 s[10:11], s[10:11]
	v_pk_mov_b32 v[2:3], s[8:9], s[8:9] op_sel:[0,1]
	s_xor_b64 exec, exec, s[10:11]
	s_cbranch_execnz .LBB160_1744
.LBB160_1724:
	s_or_b64 exec, exec, s[10:11]
	s_and_saveexec_b64 s[8:9], s[6:7]
	s_cbranch_execz .LBB160_1726
.LBB160_1725:
	v_and_b32_e32 v3, 0xffff, v8
	v_lshlrev_b32_e32 v2, 24, v8
	v_and_b32_e32 v8, 3, v3
	v_ffbh_u32_e32 v10, v8
	v_min_u32_e32 v10, 32, v10
	v_subrev_u32_e32 v11, 29, v10
	v_bfe_u32 v9, v3, 2, 5
	v_lshlrev_b32_e32 v3, v11, v3
	v_sub_u32_e32 v10, 30, v10
	v_and_b32_e32 v3, 3, v3
	v_cmp_eq_u32_e32 vcc, 0, v9
	v_cndmask_b32_e32 v9, v9, v10, vcc
	v_cndmask_b32_e32 v3, v8, v3, vcc
	v_mov_b32_e32 v8, 0x37800000
	v_lshlrev_b32_e32 v3, 21, v3
	v_and_b32_e32 v2, 0x80000000, v2
	v_lshl_add_u32 v8, v9, 23, v8
	v_or3_b32 v2, v2, v8, v3
	v_cvt_f64_f32_e32 v[2:3], v2
.LBB160_1726:
	s_or_b64 exec, exec, s[8:9]
	s_mov_b64 s[6:7], 0
	s_branch .LBB160_1732
.LBB160_1727:
	s_mov_b64 s[6:7], -1
                                        ; implicit-def: $vgpr2_vgpr3
	s_branch .LBB160_1738
.LBB160_1728:
	s_or_saveexec_b64 s[12:13], s[12:13]
	v_pk_mov_b32 v[2:3], s[10:11], s[10:11] op_sel:[0,1]
	s_xor_b64 exec, exec, s[12:13]
	s_cbranch_execz .LBB160_1712
.LBB160_1729:
	v_cmp_ne_u16_e32 vcc, 0, v8
	s_andn2_b64 s[8:9], s[8:9], exec
	s_and_b64 s[10:11], vcc, exec
	v_pk_mov_b32 v[2:3], 0, 0
	s_or_b64 s[8:9], s[8:9], s[10:11]
	s_or_b64 exec, exec, s[12:13]
	s_and_saveexec_b64 s[10:11], s[8:9]
	s_cbranch_execnz .LBB160_1713
	s_branch .LBB160_1714
.LBB160_1730:
	s_mov_b64 s[6:7], -1
                                        ; implicit-def: $vgpr2_vgpr3
	s_branch .LBB160_1735
.LBB160_1731:
	s_mov_b64 s[6:7], -1
                                        ; implicit-def: $vgpr2_vgpr3
.LBB160_1732:
	s_and_b64 vcc, exec, s[6:7]
	s_cbranch_vccz .LBB160_1734
; %bb.1733:
	global_load_ubyte v2, v[4:5], off
	s_mov_b32 s6, 0x7f800000
	s_waitcnt vmcnt(0)
	v_lshlrev_b32_e32 v2, 24, v2
	v_and_b32_e32 v3, 0x7f000000, v2
	v_ffbh_u32_e32 v8, v3
	v_min_u32_e32 v8, 32, v8
	v_sub_u32_e64 v8, v8, 4 clamp
	v_lshlrev_b32_e32 v10, v8, v3
	v_lshlrev_b32_e32 v8, 23, v8
	v_lshrrev_b32_e32 v10, 4, v10
	v_add_u32_e32 v9, 0x1000000, v3
	v_sub_u32_e32 v8, v10, v8
	v_ashrrev_i32_e32 v9, 8, v9
	v_add_u32_e32 v8, 0x3c000000, v8
	v_and_or_b32 v8, v9, s6, v8
	v_cmp_ne_u32_e32 vcc, 0, v3
	v_cndmask_b32_e32 v3, 0, v8, vcc
	s_brev_b32 s6, 1
	v_and_or_b32 v2, v2, s6, v3
	v_cvt_f64_f32_e32 v[2:3], v2
.LBB160_1734:
	s_mov_b64 s[6:7], 0
.LBB160_1735:
	s_andn2_b64 vcc, exec, s[6:7]
	s_cbranch_vccnz .LBB160_1737
; %bb.1736:
	global_load_ubyte v2, v[4:5], off
	s_movk_i32 s6, 0x7f00
	s_brev_b32 s7, 16
	s_waitcnt vmcnt(0)
	v_lshlrev_b16_e32 v3, 8, v2
	v_lshlrev_b32_e32 v2, 25, v2
	v_lshrrev_b32_e32 v8, 4, v2
	v_and_or_b32 v9, v3, s6, 0.5
	v_or_b32_e32 v8, 0x70000000, v8
	v_add_f32_e32 v9, -0.5, v9
	v_mul_f32_e32 v8, 0x7800000, v8
	v_cmp_gt_u32_e32 vcc, s7, v2
	v_bfe_i32 v3, v3, 0, 16
	v_cndmask_b32_e32 v2, v8, v9, vcc
	s_brev_b32 s6, 1
	v_and_or_b32 v2, v3, s6, v2
	v_cvt_f64_f32_e32 v[2:3], v2
.LBB160_1737:
	s_mov_b64 s[6:7], 0
	s_mov_b64 s[8:9], -1
.LBB160_1738:
	s_andn2_b64 vcc, exec, s[6:7]
	s_mov_b64 s[6:7], 0
	s_cbranch_vccnz .LBB160_1749
; %bb.1739:
	v_mov_b32_e32 v2, 14
	v_cmp_gt_i16_sdwa s[6:7], v63, v2 src0_sel:BYTE_0 src1_sel:DWORD
	s_and_b64 vcc, exec, s[6:7]
	s_cbranch_vccz .LBB160_1742
; %bb.1740:
	v_mov_b32_e32 v2, 15
	v_cmp_eq_u16_sdwa s[4:5], v63, v2 src0_sel:BYTE_0 src1_sel:DWORD
	s_and_b64 vcc, exec, s[4:5]
	s_cbranch_vccz .LBB160_1745
; %bb.1741:
	global_load_ushort v2, v[4:5], off
	s_mov_b64 s[4:5], 0
	s_mov_b64 s[8:9], -1
	s_waitcnt vmcnt(0)
	v_lshlrev_b32_e32 v2, 16, v2
	v_cvt_f64_f32_e32 v[2:3], v2
	s_branch .LBB160_1746
.LBB160_1742:
	s_mov_b64 s[10:11], -1
                                        ; implicit-def: $vgpr2_vgpr3
	s_branch .LBB160_1747
.LBB160_1743:
	s_or_saveexec_b64 s[10:11], s[10:11]
	v_pk_mov_b32 v[2:3], s[8:9], s[8:9] op_sel:[0,1]
	s_xor_b64 exec, exec, s[10:11]
	s_cbranch_execz .LBB160_1724
.LBB160_1744:
	v_cmp_ne_u16_e32 vcc, 0, v8
	s_andn2_b64 s[6:7], s[6:7], exec
	s_and_b64 s[8:9], vcc, exec
	v_pk_mov_b32 v[2:3], 0, 0
	s_or_b64 s[6:7], s[6:7], s[8:9]
	s_or_b64 exec, exec, s[10:11]
	s_and_saveexec_b64 s[8:9], s[6:7]
	s_cbranch_execnz .LBB160_1725
	s_branch .LBB160_1726
.LBB160_1745:
	s_mov_b64 s[4:5], -1
                                        ; implicit-def: $vgpr2_vgpr3
.LBB160_1746:
	s_mov_b64 s[10:11], 0
.LBB160_1747:
	s_mov_b64 s[6:7], 0
	s_and_b64 vcc, exec, s[10:11]
	s_cbranch_vccz .LBB160_1749
; %bb.1748:
	v_mov_b32_e32 v2, 11
	v_cmp_ne_u16_sdwa s[4:5], v63, v2 src0_sel:BYTE_0 src1_sel:DWORD
	s_mov_b64 s[6:7], -1
                                        ; implicit-def: $vgpr2_vgpr3
.LBB160_1749:
	s_and_b64 vcc, exec, s[4:5]
	s_cbranch_vccnz .LBB160_1812
; %bb.1750:
	s_andn2_b64 vcc, exec, s[6:7]
	s_cbranch_vccnz .LBB160_1752
.LBB160_1751:
	global_load_ubyte v3, v[4:5], off
	v_mov_b32_e32 v8, 0x3ff00000
	v_mov_b32_e32 v2, 0
	s_mov_b64 s[8:9], -1
	s_waitcnt vmcnt(0)
	v_cmp_ne_u16_e32 vcc, 0, v3
	v_cndmask_b32_e32 v3, 0, v8, vcc
.LBB160_1752:
	s_branch .LBB160_1679
.LBB160_1753:
	v_mov_b32_e32 v2, 5
	v_cmp_lt_i16_sdwa s[4:5], v63, v2 src0_sel:BYTE_0 src1_sel:DWORD
	s_and_b64 vcc, exec, s[4:5]
	s_cbranch_vccnz .LBB160_1758
; %bb.1754:
	v_mov_b32_e32 v2, 8
	v_cmp_lt_i16_sdwa s[4:5], v63, v2 src0_sel:BYTE_0 src1_sel:DWORD
	s_and_b64 vcc, exec, s[4:5]
	s_cbranch_vccnz .LBB160_1759
; %bb.1755:
	;; [unrolled: 5-line block ×3, first 2 shown]
	v_cmp_gt_i16_sdwa s[4:5], v63, v2 src0_sel:BYTE_0 src1_sel:DWORD
	s_and_b64 vcc, exec, s[4:5]
	s_cbranch_vccz .LBB160_1761
; %bb.1757:
	global_load_dwordx2 v[2:3], v[4:5], off
	s_mov_b64 s[4:5], 0
	s_branch .LBB160_1762
.LBB160_1758:
                                        ; implicit-def: $vgpr2_vgpr3
	s_branch .LBB160_1780
.LBB160_1759:
	s_mov_b64 s[4:5], -1
                                        ; implicit-def: $vgpr2_vgpr3
	s_branch .LBB160_1768
.LBB160_1760:
	s_mov_b64 s[4:5], -1
                                        ; implicit-def: $vgpr2_vgpr3
	s_branch .LBB160_1765
.LBB160_1761:
	s_mov_b64 s[4:5], -1
                                        ; implicit-def: $vgpr2_vgpr3
.LBB160_1762:
	s_andn2_b64 vcc, exec, s[4:5]
	s_cbranch_vccnz .LBB160_1764
; %bb.1763:
	global_load_dword v2, v[4:5], off
	s_waitcnt vmcnt(0)
	v_cvt_f64_f32_e32 v[2:3], v2
.LBB160_1764:
	s_mov_b64 s[4:5], 0
.LBB160_1765:
	s_andn2_b64 vcc, exec, s[4:5]
	s_cbranch_vccnz .LBB160_1767
; %bb.1766:
	global_load_dword v2, v[4:5], off
	s_waitcnt vmcnt(0)
	v_cvt_f32_f16_e32 v2, v2
	v_cvt_f64_f32_e32 v[2:3], v2
.LBB160_1767:
	s_mov_b64 s[4:5], 0
.LBB160_1768:
	s_andn2_b64 vcc, exec, s[4:5]
	s_cbranch_vccnz .LBB160_1779
; %bb.1769:
	s_waitcnt vmcnt(0)
	v_mov_b32_e32 v2, 6
	v_cmp_lt_i16_sdwa s[4:5], v63, v2 src0_sel:BYTE_0 src1_sel:DWORD
	s_and_b64 vcc, exec, s[4:5]
	s_cbranch_vccnz .LBB160_1772
; %bb.1770:
	v_cmp_gt_i16_sdwa s[4:5], v63, v2 src0_sel:BYTE_0 src1_sel:DWORD
	s_and_b64 vcc, exec, s[4:5]
	s_cbranch_vccz .LBB160_1773
; %bb.1771:
	global_load_dwordx2 v[2:3], v[4:5], off
	s_mov_b64 s[4:5], 0
	s_branch .LBB160_1774
.LBB160_1772:
	s_mov_b64 s[4:5], -1
                                        ; implicit-def: $vgpr2_vgpr3
	s_branch .LBB160_1777
.LBB160_1773:
	s_mov_b64 s[4:5], -1
                                        ; implicit-def: $vgpr2_vgpr3
.LBB160_1774:
	s_andn2_b64 vcc, exec, s[4:5]
	s_cbranch_vccnz .LBB160_1776
; %bb.1775:
	global_load_dword v2, v[4:5], off
	s_waitcnt vmcnt(0)
	v_cvt_f64_f32_e32 v[2:3], v2
.LBB160_1776:
	s_mov_b64 s[4:5], 0
.LBB160_1777:
	s_andn2_b64 vcc, exec, s[4:5]
	s_cbranch_vccnz .LBB160_1779
; %bb.1778:
	global_load_ushort v2, v[4:5], off
	s_waitcnt vmcnt(0)
	v_cvt_f32_f16_e32 v2, v2
	v_cvt_f64_f32_e32 v[2:3], v2
.LBB160_1779:
	s_cbranch_execnz .LBB160_1799
.LBB160_1780:
	s_waitcnt vmcnt(0)
	v_mov_b32_e32 v2, 2
	v_cmp_lt_i16_sdwa s[4:5], v63, v2 src0_sel:BYTE_0 src1_sel:DWORD
	s_and_b64 vcc, exec, s[4:5]
	s_cbranch_vccnz .LBB160_1784
; %bb.1781:
	v_mov_b32_e32 v2, 3
	v_cmp_lt_i16_sdwa s[4:5], v63, v2 src0_sel:BYTE_0 src1_sel:DWORD
	s_and_b64 vcc, exec, s[4:5]
	s_cbranch_vccnz .LBB160_1785
; %bb.1782:
	v_cmp_gt_i16_sdwa s[4:5], v63, v2 src0_sel:BYTE_0 src1_sel:DWORD
	s_and_b64 vcc, exec, s[4:5]
	s_cbranch_vccz .LBB160_1786
; %bb.1783:
	global_load_dwordx2 v[2:3], v[4:5], off
	s_mov_b64 s[4:5], 0
	s_waitcnt vmcnt(0)
	v_cvt_f64_i32_e32 v[8:9], v3
	v_cvt_f64_u32_e32 v[2:3], v2
	v_ldexp_f64 v[8:9], v[8:9], 32
	v_add_f64 v[2:3], v[8:9], v[2:3]
	s_branch .LBB160_1787
.LBB160_1784:
	s_mov_b64 s[4:5], -1
                                        ; implicit-def: $vgpr2_vgpr3
	s_branch .LBB160_1793
.LBB160_1785:
	s_mov_b64 s[4:5], -1
                                        ; implicit-def: $vgpr2_vgpr3
	s_branch .LBB160_1790
.LBB160_1786:
	s_mov_b64 s[4:5], -1
                                        ; implicit-def: $vgpr2_vgpr3
.LBB160_1787:
	s_andn2_b64 vcc, exec, s[4:5]
	s_cbranch_vccnz .LBB160_1789
; %bb.1788:
	global_load_dword v2, v[4:5], off
	s_waitcnt vmcnt(0)
	v_cvt_f64_i32_e32 v[2:3], v2
.LBB160_1789:
	s_mov_b64 s[4:5], 0
.LBB160_1790:
	s_andn2_b64 vcc, exec, s[4:5]
	s_cbranch_vccnz .LBB160_1792
; %bb.1791:
	global_load_sshort v2, v[4:5], off
	s_waitcnt vmcnt(0)
	v_cvt_f64_i32_e32 v[2:3], v2
.LBB160_1792:
	s_mov_b64 s[4:5], 0
.LBB160_1793:
	s_andn2_b64 vcc, exec, s[4:5]
	s_cbranch_vccnz .LBB160_1799
; %bb.1794:
	v_mov_b32_e32 v2, 0
	v_cmp_gt_i16_sdwa s[4:5], v63, v2 src0_sel:BYTE_0 src1_sel:DWORD
	s_and_b64 vcc, exec, s[4:5]
	s_cbranch_vccz .LBB160_1796
; %bb.1795:
	global_load_sbyte v2, v[4:5], off
	s_mov_b64 s[4:5], 0
	s_waitcnt vmcnt(0)
	v_cvt_f64_i32_e32 v[2:3], v2
	s_branch .LBB160_1797
.LBB160_1796:
	s_mov_b64 s[4:5], -1
                                        ; implicit-def: $vgpr2_vgpr3
.LBB160_1797:
	s_andn2_b64 vcc, exec, s[4:5]
	s_cbranch_vccnz .LBB160_1799
; %bb.1798:
	global_load_ubyte v2, v[4:5], off
	s_waitcnt vmcnt(0)
	v_cvt_f64_u32_e32 v[2:3], v2
.LBB160_1799:
.LBB160_1800:
	s_lshl_b32 s16, s29, 7
	v_add_u32_e32 v7, s16, v7
	v_ashrrev_i32_e32 v5, 31, v7
	v_mov_b32_e32 v8, s79
	v_add_co_u32_e32 v4, vcc, s78, v7
	v_addc_co_u32_e32 v5, vcc, v8, v5, vcc
	v_mov_b32_e32 v8, 11
	v_cmp_lt_i16_sdwa s[4:5], v60, v8 src0_sel:BYTE_0 src1_sel:DWORD
	s_and_b64 vcc, exec, s[4:5]
	s_cbranch_vccnz .LBB160_1807
; %bb.1801:
	v_mov_b32_e32 v8, 25
	v_cmp_gt_i16_sdwa s[4:5], v60, v8 src0_sel:BYTE_0 src1_sel:DWORD
	s_mov_b64 s[6:7], 0
	s_and_b64 vcc, exec, s[4:5]
	s_cbranch_vccz .LBB160_1809
; %bb.1802:
	v_mov_b32_e32 v8, 28
	v_cmp_gt_i16_sdwa s[4:5], v60, v8 src0_sel:BYTE_0 src1_sel:DWORD
	s_and_b64 vcc, exec, s[4:5]
	s_cbranch_vccz .LBB160_1810
; %bb.1803:
	v_mov_b32_e32 v8, 43
	v_cmp_gt_i16_sdwa s[4:5], v60, v8 src0_sel:BYTE_0 src1_sel:DWORD
	;; [unrolled: 5-line block ×3, first 2 shown]
	s_and_b64 vcc, exec, s[4:5]
	s_cbranch_vccz .LBB160_1813
; %bb.1805:
	v_mov_b32_e32 v8, 46
	v_cmp_eq_u16_sdwa s[4:5], v60, v8 src0_sel:BYTE_0 src1_sel:DWORD
	s_mov_b64 s[10:11], 0
	s_and_b64 vcc, exec, s[4:5]
	s_cbranch_vccz .LBB160_1814
; %bb.1806:
	global_load_dword v8, v[4:5], off
	s_mov_b64 s[4:5], 0
	s_mov_b64 s[8:9], -1
	s_waitcnt vmcnt(0)
	v_lshlrev_b32_e32 v8, 16, v8
	v_cvt_f64_f32_e32 v[42:43], v8
	s_branch .LBB160_1815
.LBB160_1807:
	s_mov_b64 s[8:9], 0
                                        ; implicit-def: $vgpr42_vgpr43
	s_cbranch_execnz .LBB160_1881
.LBB160_1808:
	s_andn2_b64 vcc, exec, s[8:9]
	s_cbranch_vccnz .LBB160_3037
	s_branch .LBB160_1929
.LBB160_1809:
	s_mov_b64 s[10:11], -1
	s_mov_b64 s[8:9], 0
	s_mov_b64 s[4:5], 0
                                        ; implicit-def: $vgpr42_vgpr43
	s_branch .LBB160_1844
.LBB160_1810:
	s_mov_b64 s[10:11], -1
	s_mov_b64 s[8:9], 0
	s_mov_b64 s[4:5], 0
                                        ; implicit-def: $vgpr42_vgpr43
	s_branch .LBB160_1825
.LBB160_1811:
	s_mov_b64 s[10:11], -1
	s_mov_b64 s[8:9], 0
	s_mov_b64 s[4:5], 0
                                        ; implicit-def: $vgpr42_vgpr43
	s_branch .LBB160_1820
.LBB160_1812:
	s_trap 2
	s_or_b64 s[90:91], s[90:91], exec
                                        ; implicit-def: $vgpr2_vgpr3
	s_cbranch_execz .LBB160_1751
	s_branch .LBB160_1752
.LBB160_1813:
	s_mov_b64 s[10:11], -1
	s_mov_b64 s[8:9], 0
	s_mov_b64 s[4:5], 0
                                        ; implicit-def: $vgpr42_vgpr43
	s_branch .LBB160_1815
.LBB160_1814:
	s_mov_b64 s[4:5], -1
                                        ; implicit-def: $vgpr42_vgpr43
	s_mov_b64 s[8:9], 0
.LBB160_1815:
	s_and_b64 vcc, exec, s[10:11]
	s_cbranch_vccz .LBB160_1819
; %bb.1816:
	v_mov_b32_e32 v8, 44
	v_cmp_eq_u16_sdwa s[4:5], v60, v8 src0_sel:BYTE_0 src1_sel:DWORD
	s_and_b64 vcc, exec, s[4:5]
	s_cbranch_vccz .LBB160_1818
; %bb.1817:
	global_load_ubyte v10, v[4:5], off
	s_movk_i32 s8, 0xff
	v_bfrev_b32_e32 v11, 4
	v_mov_b32_e32 v12, 0x7ff80000
	v_bfrev_b32_e32 v13, 28
	s_mov_b64 s[4:5], 0
	s_waitcnt vmcnt(0)
	v_lshlrev_b32_e32 v8, 23, v10
	v_cvt_f64_f32_e32 v[8:9], v8
	v_cmp_ne_u32_e32 vcc, s8, v10
	v_cndmask_b32_e32 v8, v11, v8, vcc
	v_cndmask_b32_e32 v9, v12, v9, vcc
	v_cmp_ne_u32_e32 vcc, 0, v10
	v_cndmask_b32_e32 v43, v13, v9, vcc
	v_cndmask_b32_e32 v42, 0, v8, vcc
	s_mov_b64 s[8:9], -1
	s_branch .LBB160_1819
.LBB160_1818:
	s_mov_b64 s[4:5], -1
                                        ; implicit-def: $vgpr42_vgpr43
.LBB160_1819:
	s_mov_b64 s[10:11], 0
.LBB160_1820:
	s_and_b64 vcc, exec, s[10:11]
	s_cbranch_vccz .LBB160_1824
; %bb.1821:
	v_mov_b32_e32 v8, 29
	v_cmp_eq_u16_sdwa s[4:5], v60, v8 src0_sel:BYTE_0 src1_sel:DWORD
	s_and_b64 vcc, exec, s[4:5]
	s_cbranch_vccz .LBB160_1823
; %bb.1822:
	global_load_dwordx2 v[8:9], v[4:5], off
	s_mov_b64 s[4:5], 0
	s_mov_b64 s[8:9], -1
	s_mov_b64 s[10:11], 0
	s_waitcnt vmcnt(0)
	v_cvt_f64_u32_e32 v[10:11], v9
	v_cvt_f64_u32_e32 v[8:9], v8
	v_ldexp_f64 v[10:11], v[10:11], 32
	v_add_f64 v[42:43], v[10:11], v[8:9]
	s_branch .LBB160_1825
.LBB160_1823:
	s_mov_b64 s[4:5], -1
                                        ; implicit-def: $vgpr42_vgpr43
.LBB160_1824:
	s_mov_b64 s[10:11], 0
.LBB160_1825:
	s_and_b64 vcc, exec, s[10:11]
	s_cbranch_vccz .LBB160_1843
; %bb.1826:
	v_mov_b32_e32 v8, 27
	v_cmp_lt_i16_sdwa s[8:9], v60, v8 src0_sel:BYTE_0 src1_sel:DWORD
	s_and_b64 vcc, exec, s[8:9]
	s_cbranch_vccnz .LBB160_1829
; %bb.1827:
	v_cmp_gt_i16_sdwa s[8:9], v60, v8 src0_sel:BYTE_0 src1_sel:DWORD
	s_and_b64 vcc, exec, s[8:9]
	s_cbranch_vccz .LBB160_1830
; %bb.1828:
	global_load_dword v8, v[4:5], off
	s_mov_b64 s[8:9], 0
	s_waitcnt vmcnt(0)
	v_cvt_f64_u32_e32 v[42:43], v8
	s_branch .LBB160_1831
.LBB160_1829:
	s_mov_b64 s[8:9], -1
                                        ; implicit-def: $vgpr42_vgpr43
	s_branch .LBB160_1834
.LBB160_1830:
	s_mov_b64 s[8:9], -1
                                        ; implicit-def: $vgpr42_vgpr43
.LBB160_1831:
	s_andn2_b64 vcc, exec, s[8:9]
	s_cbranch_vccnz .LBB160_1833
; %bb.1832:
	global_load_ushort v8, v[4:5], off
	s_waitcnt vmcnt(0)
	v_cvt_f64_u32_e32 v[42:43], v8
.LBB160_1833:
	s_mov_b64 s[8:9], 0
.LBB160_1834:
	s_andn2_b64 vcc, exec, s[8:9]
	s_cbranch_vccnz .LBB160_1842
; %bb.1835:
	global_load_ubyte v8, v[4:5], off
	s_movk_i32 s8, 0x7f
                                        ; implicit-def: $sgpr10_sgpr11
	s_waitcnt vmcnt(0)
	v_cmp_lt_i16_e32 vcc, s8, v8
	s_mov_b64 s[8:9], 0
	s_and_saveexec_b64 s[12:13], vcc
	s_xor_b64 s[12:13], exec, s[12:13]
	s_cbranch_execz .LBB160_1856
; %bb.1836:
	s_movk_i32 s8, 0x80
	v_cmp_eq_u16_e32 vcc, s8, v8
	s_mov_b64 s[14:15], -1
                                        ; implicit-def: $sgpr10_sgpr11
	s_and_saveexec_b64 s[8:9], vcc
; %bb.1837:
	s_mov_b32 s11, 0x7ff80000
	s_brev_b32 s10, 4
	s_xor_b64 s[14:15], exec, -1
; %bb.1838:
	s_or_b64 exec, exec, s[8:9]
	s_and_b64 s[8:9], s[14:15], exec
	s_or_saveexec_b64 s[12:13], s[12:13]
	v_pk_mov_b32 v[42:43], s[10:11], s[10:11] op_sel:[0,1]
	s_xor_b64 exec, exec, s[12:13]
	s_cbranch_execnz .LBB160_1857
.LBB160_1839:
	s_or_b64 exec, exec, s[12:13]
	s_and_saveexec_b64 s[10:11], s[8:9]
	s_cbranch_execz .LBB160_1841
.LBB160_1840:
	v_lshlrev_b32_e32 v9, 24, v8
	v_and_b32_e32 v8, 0xffff, v8
	v_and_b32_e32 v10, 7, v8
	v_ffbh_u32_e32 v12, v10
	v_min_u32_e32 v12, 32, v12
	v_subrev_u32_e32 v13, 28, v12
	v_bfe_u32 v11, v8, 3, 4
	v_lshlrev_b32_e32 v8, v13, v8
	v_sub_u32_e32 v12, 29, v12
	v_and_b32_e32 v8, 7, v8
	v_cmp_eq_u32_e32 vcc, 0, v11
	v_cndmask_b32_e32 v11, v11, v12, vcc
	v_cndmask_b32_e32 v8, v10, v8, vcc
	v_mov_b32_e32 v10, 0x3b800000
	v_lshlrev_b32_e32 v8, 20, v8
	v_and_b32_e32 v9, 0x80000000, v9
	v_lshl_add_u32 v10, v11, 23, v10
	v_or3_b32 v8, v9, v10, v8
	v_cvt_f64_f32_e32 v[42:43], v8
.LBB160_1841:
	s_or_b64 exec, exec, s[10:11]
.LBB160_1842:
	s_mov_b64 s[8:9], -1
.LBB160_1843:
	s_mov_b64 s[10:11], 0
.LBB160_1844:
	s_and_b64 vcc, exec, s[10:11]
	s_cbranch_vccz .LBB160_1877
; %bb.1845:
	v_mov_b32_e32 v8, 22
	v_cmp_gt_i16_sdwa s[6:7], v60, v8 src0_sel:BYTE_0 src1_sel:DWORD
	s_and_b64 vcc, exec, s[6:7]
	s_cbranch_vccz .LBB160_1855
; %bb.1846:
	v_mov_b32_e32 v8, 24
	v_cmp_lt_i16_sdwa s[6:7], v60, v8 src0_sel:BYTE_0 src1_sel:DWORD
	s_and_b64 vcc, exec, s[6:7]
	s_cbranch_vccnz .LBB160_1858
; %bb.1847:
	v_cmp_gt_i16_sdwa s[6:7], v60, v8 src0_sel:BYTE_0 src1_sel:DWORD
	s_and_b64 vcc, exec, s[6:7]
	s_cbranch_vccz .LBB160_1859
; %bb.1848:
	global_load_ubyte v8, v[4:5], off
	s_movk_i32 s6, 0x7f
                                        ; implicit-def: $sgpr8_sgpr9
	s_waitcnt vmcnt(0)
	v_cmp_lt_i16_e32 vcc, s6, v8
	s_mov_b64 s[6:7], 0
	s_and_saveexec_b64 s[10:11], vcc
	s_xor_b64 s[10:11], exec, s[10:11]
	s_cbranch_execz .LBB160_1871
; %bb.1849:
	s_movk_i32 s6, 0x80
	v_cmp_eq_u16_e32 vcc, s6, v8
	s_mov_b64 s[12:13], -1
                                        ; implicit-def: $sgpr8_sgpr9
	s_and_saveexec_b64 s[6:7], vcc
; %bb.1850:
	s_mov_b32 s9, 0x7ff80000
	s_brev_b32 s8, 4
	s_xor_b64 s[12:13], exec, -1
; %bb.1851:
	s_or_b64 exec, exec, s[6:7]
	s_and_b64 s[6:7], s[12:13], exec
	s_or_saveexec_b64 s[10:11], s[10:11]
	v_pk_mov_b32 v[42:43], s[8:9], s[8:9] op_sel:[0,1]
	s_xor_b64 exec, exec, s[10:11]
	s_cbranch_execnz .LBB160_1872
.LBB160_1852:
	s_or_b64 exec, exec, s[10:11]
	s_and_saveexec_b64 s[8:9], s[6:7]
	s_cbranch_execz .LBB160_1854
.LBB160_1853:
	v_lshlrev_b32_e32 v9, 24, v8
	v_and_b32_e32 v8, 0xffff, v8
	v_and_b32_e32 v10, 3, v8
	v_ffbh_u32_e32 v12, v10
	v_min_u32_e32 v12, 32, v12
	v_subrev_u32_e32 v13, 29, v12
	v_bfe_u32 v11, v8, 2, 5
	v_lshlrev_b32_e32 v8, v13, v8
	v_sub_u32_e32 v12, 30, v12
	v_and_b32_e32 v8, 3, v8
	v_cmp_eq_u32_e32 vcc, 0, v11
	v_cndmask_b32_e32 v11, v11, v12, vcc
	v_cndmask_b32_e32 v8, v10, v8, vcc
	v_mov_b32_e32 v10, 0x37800000
	v_lshlrev_b32_e32 v8, 21, v8
	v_and_b32_e32 v9, 0x80000000, v9
	v_lshl_add_u32 v10, v11, 23, v10
	v_or3_b32 v8, v9, v10, v8
	v_cvt_f64_f32_e32 v[42:43], v8
.LBB160_1854:
	s_or_b64 exec, exec, s[8:9]
	s_mov_b64 s[6:7], 0
	s_branch .LBB160_1860
.LBB160_1855:
	s_mov_b64 s[6:7], -1
                                        ; implicit-def: $vgpr42_vgpr43
	s_branch .LBB160_1866
.LBB160_1856:
	s_or_saveexec_b64 s[12:13], s[12:13]
	v_pk_mov_b32 v[42:43], s[10:11], s[10:11] op_sel:[0,1]
	s_xor_b64 exec, exec, s[12:13]
	s_cbranch_execz .LBB160_1839
.LBB160_1857:
	v_cmp_ne_u16_e32 vcc, 0, v8
	s_andn2_b64 s[8:9], s[8:9], exec
	s_and_b64 s[10:11], vcc, exec
	v_pk_mov_b32 v[42:43], 0, 0
	s_or_b64 s[8:9], s[8:9], s[10:11]
	s_or_b64 exec, exec, s[12:13]
	s_and_saveexec_b64 s[10:11], s[8:9]
	s_cbranch_execnz .LBB160_1840
	s_branch .LBB160_1841
.LBB160_1858:
	s_mov_b64 s[6:7], -1
                                        ; implicit-def: $vgpr42_vgpr43
	s_branch .LBB160_1863
.LBB160_1859:
	s_mov_b64 s[6:7], -1
                                        ; implicit-def: $vgpr42_vgpr43
.LBB160_1860:
	s_and_b64 vcc, exec, s[6:7]
	s_cbranch_vccz .LBB160_1862
; %bb.1861:
	global_load_ubyte v8, v[4:5], off
	s_mov_b32 s6, 0x7f800000
	s_waitcnt vmcnt(0)
	v_lshlrev_b32_e32 v8, 24, v8
	v_and_b32_e32 v9, 0x7f000000, v8
	v_ffbh_u32_e32 v10, v9
	v_min_u32_e32 v10, 32, v10
	v_sub_u32_e64 v10, v10, 4 clamp
	v_lshlrev_b32_e32 v12, v10, v9
	v_lshlrev_b32_e32 v10, 23, v10
	v_lshrrev_b32_e32 v12, 4, v12
	v_add_u32_e32 v11, 0x1000000, v9
	v_sub_u32_e32 v10, v12, v10
	v_ashrrev_i32_e32 v11, 8, v11
	v_add_u32_e32 v10, 0x3c000000, v10
	v_and_or_b32 v10, v11, s6, v10
	v_cmp_ne_u32_e32 vcc, 0, v9
	v_cndmask_b32_e32 v9, 0, v10, vcc
	s_brev_b32 s6, 1
	v_and_or_b32 v8, v8, s6, v9
	v_cvt_f64_f32_e32 v[42:43], v8
.LBB160_1862:
	s_mov_b64 s[6:7], 0
.LBB160_1863:
	s_andn2_b64 vcc, exec, s[6:7]
	s_cbranch_vccnz .LBB160_1865
; %bb.1864:
	global_load_ubyte v8, v[4:5], off
	s_movk_i32 s6, 0x7f00
	s_brev_b32 s7, 16
	s_waitcnt vmcnt(0)
	v_lshlrev_b16_e32 v9, 8, v8
	v_lshlrev_b32_e32 v8, 25, v8
	v_lshrrev_b32_e32 v10, 4, v8
	v_and_or_b32 v11, v9, s6, 0.5
	v_or_b32_e32 v10, 0x70000000, v10
	v_add_f32_e32 v11, -0.5, v11
	v_mul_f32_e32 v10, 0x7800000, v10
	v_cmp_gt_u32_e32 vcc, s7, v8
	v_bfe_i32 v9, v9, 0, 16
	v_cndmask_b32_e32 v8, v10, v11, vcc
	s_brev_b32 s6, 1
	v_and_or_b32 v8, v9, s6, v8
	v_cvt_f64_f32_e32 v[42:43], v8
.LBB160_1865:
	s_mov_b64 s[6:7], 0
	s_mov_b64 s[8:9], -1
.LBB160_1866:
	s_andn2_b64 vcc, exec, s[6:7]
	s_mov_b64 s[6:7], 0
	s_cbranch_vccnz .LBB160_1877
; %bb.1867:
	v_mov_b32_e32 v8, 14
	v_cmp_gt_i16_sdwa s[6:7], v60, v8 src0_sel:BYTE_0 src1_sel:DWORD
	s_and_b64 vcc, exec, s[6:7]
	s_cbranch_vccz .LBB160_1870
; %bb.1868:
	v_mov_b32_e32 v8, 15
	v_cmp_eq_u16_sdwa s[4:5], v60, v8 src0_sel:BYTE_0 src1_sel:DWORD
	s_and_b64 vcc, exec, s[4:5]
	s_cbranch_vccz .LBB160_1873
; %bb.1869:
	global_load_ushort v8, v[4:5], off
	s_mov_b64 s[4:5], 0
	s_mov_b64 s[8:9], -1
	s_waitcnt vmcnt(0)
	v_lshlrev_b32_e32 v8, 16, v8
	v_cvt_f64_f32_e32 v[42:43], v8
	s_branch .LBB160_1874
.LBB160_1870:
	s_mov_b64 s[10:11], -1
                                        ; implicit-def: $vgpr42_vgpr43
	s_branch .LBB160_1875
.LBB160_1871:
	s_or_saveexec_b64 s[10:11], s[10:11]
	v_pk_mov_b32 v[42:43], s[8:9], s[8:9] op_sel:[0,1]
	s_xor_b64 exec, exec, s[10:11]
	s_cbranch_execz .LBB160_1852
.LBB160_1872:
	v_cmp_ne_u16_e32 vcc, 0, v8
	s_andn2_b64 s[6:7], s[6:7], exec
	s_and_b64 s[8:9], vcc, exec
	v_pk_mov_b32 v[42:43], 0, 0
	s_or_b64 s[6:7], s[6:7], s[8:9]
	s_or_b64 exec, exec, s[10:11]
	s_and_saveexec_b64 s[8:9], s[6:7]
	s_cbranch_execnz .LBB160_1853
	s_branch .LBB160_1854
.LBB160_1873:
	s_mov_b64 s[4:5], -1
                                        ; implicit-def: $vgpr42_vgpr43
.LBB160_1874:
	s_mov_b64 s[10:11], 0
.LBB160_1875:
	s_mov_b64 s[6:7], 0
	s_and_b64 vcc, exec, s[10:11]
	s_cbranch_vccz .LBB160_1877
; %bb.1876:
	v_mov_b32_e32 v8, 11
	v_cmp_ne_u16_sdwa s[4:5], v60, v8 src0_sel:BYTE_0 src1_sel:DWORD
	s_mov_b64 s[6:7], -1
                                        ; implicit-def: $vgpr42_vgpr43
.LBB160_1877:
	s_and_b64 vcc, exec, s[4:5]
	s_cbranch_vccnz .LBB160_1940
; %bb.1878:
	s_andn2_b64 vcc, exec, s[6:7]
	s_cbranch_vccnz .LBB160_1880
.LBB160_1879:
	global_load_ubyte v8, v[4:5], off
	v_mov_b32_e32 v9, 0x3ff00000
	v_mov_b32_e32 v42, 0
	s_mov_b64 s[8:9], -1
	s_waitcnt vmcnt(0)
	v_cmp_ne_u16_e32 vcc, 0, v8
	v_cndmask_b32_e32 v43, 0, v9, vcc
.LBB160_1880:
	s_branch .LBB160_1808
.LBB160_1881:
	v_mov_b32_e32 v8, 5
	v_cmp_lt_i16_sdwa s[4:5], v60, v8 src0_sel:BYTE_0 src1_sel:DWORD
	s_and_b64 vcc, exec, s[4:5]
	s_cbranch_vccnz .LBB160_1886
; %bb.1882:
	v_mov_b32_e32 v8, 8
	v_cmp_lt_i16_sdwa s[4:5], v60, v8 src0_sel:BYTE_0 src1_sel:DWORD
	s_and_b64 vcc, exec, s[4:5]
	s_cbranch_vccnz .LBB160_1887
; %bb.1883:
	;; [unrolled: 5-line block ×3, first 2 shown]
	v_cmp_gt_i16_sdwa s[4:5], v60, v8 src0_sel:BYTE_0 src1_sel:DWORD
	s_and_b64 vcc, exec, s[4:5]
	s_cbranch_vccz .LBB160_1889
; %bb.1885:
	global_load_dwordx2 v[42:43], v[4:5], off
	s_mov_b64 s[4:5], 0
	s_branch .LBB160_1890
.LBB160_1886:
	s_mov_b64 s[4:5], -1
                                        ; implicit-def: $vgpr42_vgpr43
	s_branch .LBB160_1908
.LBB160_1887:
	s_mov_b64 s[4:5], -1
                                        ; implicit-def: $vgpr42_vgpr43
	s_branch .LBB160_1896
.LBB160_1888:
	s_mov_b64 s[4:5], -1
                                        ; implicit-def: $vgpr42_vgpr43
	s_branch .LBB160_1893
.LBB160_1889:
	s_mov_b64 s[4:5], -1
                                        ; implicit-def: $vgpr42_vgpr43
.LBB160_1890:
	s_andn2_b64 vcc, exec, s[4:5]
	s_cbranch_vccnz .LBB160_1892
; %bb.1891:
	global_load_dword v8, v[4:5], off
	s_waitcnt vmcnt(0)
	v_cvt_f64_f32_e32 v[42:43], v8
.LBB160_1892:
	s_mov_b64 s[4:5], 0
.LBB160_1893:
	s_andn2_b64 vcc, exec, s[4:5]
	s_cbranch_vccnz .LBB160_1895
; %bb.1894:
	global_load_dword v8, v[4:5], off
	s_waitcnt vmcnt(0)
	v_cvt_f32_f16_e32 v8, v8
	v_cvt_f64_f32_e32 v[42:43], v8
.LBB160_1895:
	s_mov_b64 s[4:5], 0
.LBB160_1896:
	s_andn2_b64 vcc, exec, s[4:5]
	s_cbranch_vccnz .LBB160_1907
; %bb.1897:
	v_mov_b32_e32 v8, 6
	v_cmp_lt_i16_sdwa s[4:5], v60, v8 src0_sel:BYTE_0 src1_sel:DWORD
	s_and_b64 vcc, exec, s[4:5]
	s_cbranch_vccnz .LBB160_1900
; %bb.1898:
	v_cmp_gt_i16_sdwa s[4:5], v60, v8 src0_sel:BYTE_0 src1_sel:DWORD
	s_and_b64 vcc, exec, s[4:5]
	s_cbranch_vccz .LBB160_1901
; %bb.1899:
	global_load_dwordx2 v[42:43], v[4:5], off
	s_mov_b64 s[4:5], 0
	s_branch .LBB160_1902
.LBB160_1900:
	s_mov_b64 s[4:5], -1
                                        ; implicit-def: $vgpr42_vgpr43
	s_branch .LBB160_1905
.LBB160_1901:
	s_mov_b64 s[4:5], -1
                                        ; implicit-def: $vgpr42_vgpr43
.LBB160_1902:
	s_andn2_b64 vcc, exec, s[4:5]
	s_cbranch_vccnz .LBB160_1904
; %bb.1903:
	global_load_dword v8, v[4:5], off
	s_waitcnt vmcnt(0)
	v_cvt_f64_f32_e32 v[42:43], v8
.LBB160_1904:
	s_mov_b64 s[4:5], 0
.LBB160_1905:
	s_andn2_b64 vcc, exec, s[4:5]
	s_cbranch_vccnz .LBB160_1907
; %bb.1906:
	global_load_ushort v8, v[4:5], off
	s_waitcnt vmcnt(0)
	v_cvt_f32_f16_e32 v8, v8
	v_cvt_f64_f32_e32 v[42:43], v8
.LBB160_1907:
	s_mov_b64 s[4:5], 0
.LBB160_1908:
	s_andn2_b64 vcc, exec, s[4:5]
	s_cbranch_vccnz .LBB160_1928
; %bb.1909:
	v_mov_b32_e32 v8, 2
	v_cmp_lt_i16_sdwa s[4:5], v60, v8 src0_sel:BYTE_0 src1_sel:DWORD
	s_and_b64 vcc, exec, s[4:5]
	s_cbranch_vccnz .LBB160_1913
; %bb.1910:
	v_mov_b32_e32 v8, 3
	v_cmp_lt_i16_sdwa s[4:5], v60, v8 src0_sel:BYTE_0 src1_sel:DWORD
	s_and_b64 vcc, exec, s[4:5]
	s_cbranch_vccnz .LBB160_1914
; %bb.1911:
	v_cmp_gt_i16_sdwa s[4:5], v60, v8 src0_sel:BYTE_0 src1_sel:DWORD
	s_and_b64 vcc, exec, s[4:5]
	s_cbranch_vccz .LBB160_1915
; %bb.1912:
	global_load_dwordx2 v[8:9], v[4:5], off
	s_mov_b64 s[4:5], 0
	s_waitcnt vmcnt(0)
	v_cvt_f64_i32_e32 v[10:11], v9
	v_cvt_f64_u32_e32 v[8:9], v8
	v_ldexp_f64 v[10:11], v[10:11], 32
	v_add_f64 v[42:43], v[10:11], v[8:9]
	s_branch .LBB160_1916
.LBB160_1913:
	s_mov_b64 s[4:5], -1
                                        ; implicit-def: $vgpr42_vgpr43
	s_branch .LBB160_1922
.LBB160_1914:
	s_mov_b64 s[4:5], -1
                                        ; implicit-def: $vgpr42_vgpr43
	s_branch .LBB160_1919
.LBB160_1915:
	s_mov_b64 s[4:5], -1
                                        ; implicit-def: $vgpr42_vgpr43
.LBB160_1916:
	s_andn2_b64 vcc, exec, s[4:5]
	s_cbranch_vccnz .LBB160_1918
; %bb.1917:
	global_load_dword v8, v[4:5], off
	s_waitcnt vmcnt(0)
	v_cvt_f64_i32_e32 v[42:43], v8
.LBB160_1918:
	s_mov_b64 s[4:5], 0
.LBB160_1919:
	s_andn2_b64 vcc, exec, s[4:5]
	s_cbranch_vccnz .LBB160_1921
; %bb.1920:
	global_load_sshort v8, v[4:5], off
	s_waitcnt vmcnt(0)
	v_cvt_f64_i32_e32 v[42:43], v8
.LBB160_1921:
	s_mov_b64 s[4:5], 0
.LBB160_1922:
	s_andn2_b64 vcc, exec, s[4:5]
	s_cbranch_vccnz .LBB160_1928
; %bb.1923:
	v_mov_b32_e32 v8, 0
	v_cmp_gt_i16_sdwa s[4:5], v60, v8 src0_sel:BYTE_0 src1_sel:DWORD
	s_and_b64 vcc, exec, s[4:5]
	s_cbranch_vccz .LBB160_1925
; %bb.1924:
	global_load_sbyte v8, v[4:5], off
	s_mov_b64 s[4:5], 0
	s_waitcnt vmcnt(0)
	v_cvt_f64_i32_e32 v[42:43], v8
	s_branch .LBB160_1926
.LBB160_1925:
	s_mov_b64 s[4:5], -1
                                        ; implicit-def: $vgpr42_vgpr43
.LBB160_1926:
	s_andn2_b64 vcc, exec, s[4:5]
	s_cbranch_vccnz .LBB160_1928
; %bb.1927:
	global_load_ubyte v4, v[4:5], off
	s_waitcnt vmcnt(0)
	v_cvt_f64_u32_e32 v[42:43], v4
.LBB160_1928:
.LBB160_1929:
	s_lshl_b32 s17, s30, 7
	v_add_u32_e32 v6, s17, v6
	v_ashrrev_i32_e32 v5, 31, v6
	v_mov_b32_e32 v8, s35
	v_add_co_u32_e32 v4, vcc, s34, v6
	v_addc_co_u32_e32 v5, vcc, v8, v5, vcc
	v_mov_b32_e32 v8, 11
	v_cmp_lt_i16_sdwa s[4:5], v63, v8 src0_sel:BYTE_0 src1_sel:DWORD
	s_and_b64 vcc, exec, s[4:5]
	s_cbranch_vccnz .LBB160_1936
; %bb.1930:
	v_mov_b32_e32 v8, 25
	v_cmp_gt_i16_sdwa s[4:5], v63, v8 src0_sel:BYTE_0 src1_sel:DWORD
	s_mov_b64 s[6:7], 0
	s_and_b64 vcc, exec, s[4:5]
	s_cbranch_vccz .LBB160_1937
; %bb.1931:
	v_mov_b32_e32 v8, 28
	v_cmp_gt_i16_sdwa s[4:5], v63, v8 src0_sel:BYTE_0 src1_sel:DWORD
	s_and_b64 vcc, exec, s[4:5]
	s_cbranch_vccz .LBB160_1938
; %bb.1932:
	v_mov_b32_e32 v8, 43
	v_cmp_gt_i16_sdwa s[4:5], v63, v8 src0_sel:BYTE_0 src1_sel:DWORD
	;; [unrolled: 5-line block ×3, first 2 shown]
	s_and_b64 vcc, exec, s[4:5]
	s_cbranch_vccz .LBB160_1941
; %bb.1934:
	v_mov_b32_e32 v8, 46
	v_cmp_eq_u16_sdwa s[4:5], v63, v8 src0_sel:BYTE_0 src1_sel:DWORD
	s_mov_b64 s[10:11], 0
	s_and_b64 vcc, exec, s[4:5]
	s_cbranch_vccz .LBB160_1942
; %bb.1935:
	global_load_dword v8, v[4:5], off
	s_mov_b64 s[4:5], 0
	s_mov_b64 s[8:9], -1
	s_waitcnt vmcnt(0)
	v_lshlrev_b32_e32 v8, 16, v8
	v_cvt_f64_f32_e32 v[44:45], v8
	s_branch .LBB160_1943
.LBB160_1936:
	s_mov_b64 s[4:5], -1
	s_mov_b64 s[8:9], 0
                                        ; implicit-def: $vgpr44_vgpr45
	s_branch .LBB160_2009
.LBB160_1937:
	s_mov_b64 s[10:11], -1
	s_mov_b64 s[8:9], 0
	s_mov_b64 s[4:5], 0
                                        ; implicit-def: $vgpr44_vgpr45
	s_branch .LBB160_1972
.LBB160_1938:
	s_mov_b64 s[10:11], -1
	s_mov_b64 s[8:9], 0
	s_mov_b64 s[4:5], 0
                                        ; implicit-def: $vgpr44_vgpr45
	s_branch .LBB160_1953
.LBB160_1939:
	s_mov_b64 s[10:11], -1
	s_mov_b64 s[8:9], 0
	s_mov_b64 s[4:5], 0
                                        ; implicit-def: $vgpr44_vgpr45
	s_branch .LBB160_1948
.LBB160_1940:
	s_trap 2
	s_or_b64 s[90:91], s[90:91], exec
                                        ; implicit-def: $vgpr42_vgpr43
	s_cbranch_execz .LBB160_1879
	s_branch .LBB160_1880
.LBB160_1941:
	s_mov_b64 s[10:11], -1
	s_mov_b64 s[8:9], 0
	s_mov_b64 s[4:5], 0
                                        ; implicit-def: $vgpr44_vgpr45
	s_branch .LBB160_1943
.LBB160_1942:
	s_mov_b64 s[4:5], -1
                                        ; implicit-def: $vgpr44_vgpr45
	s_mov_b64 s[8:9], 0
.LBB160_1943:
	s_and_b64 vcc, exec, s[10:11]
	s_cbranch_vccz .LBB160_1947
; %bb.1944:
	v_mov_b32_e32 v8, 44
	v_cmp_eq_u16_sdwa s[4:5], v63, v8 src0_sel:BYTE_0 src1_sel:DWORD
	s_and_b64 vcc, exec, s[4:5]
	s_cbranch_vccz .LBB160_1946
; %bb.1945:
	global_load_ubyte v10, v[4:5], off
	s_movk_i32 s8, 0xff
	v_bfrev_b32_e32 v11, 4
	v_mov_b32_e32 v12, 0x7ff80000
	v_bfrev_b32_e32 v13, 28
	s_mov_b64 s[4:5], 0
	s_waitcnt vmcnt(0)
	v_lshlrev_b32_e32 v8, 23, v10
	v_cvt_f64_f32_e32 v[8:9], v8
	v_cmp_ne_u32_e32 vcc, s8, v10
	v_cndmask_b32_e32 v8, v11, v8, vcc
	v_cndmask_b32_e32 v9, v12, v9, vcc
	v_cmp_ne_u32_e32 vcc, 0, v10
	v_cndmask_b32_e32 v45, v13, v9, vcc
	v_cndmask_b32_e32 v44, 0, v8, vcc
	s_mov_b64 s[8:9], -1
	s_branch .LBB160_1947
.LBB160_1946:
	s_mov_b64 s[4:5], -1
                                        ; implicit-def: $vgpr44_vgpr45
.LBB160_1947:
	s_mov_b64 s[10:11], 0
.LBB160_1948:
	s_and_b64 vcc, exec, s[10:11]
	s_cbranch_vccz .LBB160_1952
; %bb.1949:
	v_mov_b32_e32 v8, 29
	v_cmp_eq_u16_sdwa s[4:5], v63, v8 src0_sel:BYTE_0 src1_sel:DWORD
	s_and_b64 vcc, exec, s[4:5]
	s_cbranch_vccz .LBB160_1951
; %bb.1950:
	global_load_dwordx2 v[8:9], v[4:5], off
	s_mov_b64 s[4:5], 0
	s_mov_b64 s[8:9], -1
	s_mov_b64 s[10:11], 0
	s_waitcnt vmcnt(0)
	v_cvt_f64_u32_e32 v[10:11], v9
	v_cvt_f64_u32_e32 v[8:9], v8
	v_ldexp_f64 v[10:11], v[10:11], 32
	v_add_f64 v[44:45], v[10:11], v[8:9]
	s_branch .LBB160_1953
.LBB160_1951:
	s_mov_b64 s[4:5], -1
                                        ; implicit-def: $vgpr44_vgpr45
.LBB160_1952:
	s_mov_b64 s[10:11], 0
.LBB160_1953:
	s_and_b64 vcc, exec, s[10:11]
	s_cbranch_vccz .LBB160_1971
; %bb.1954:
	v_mov_b32_e32 v8, 27
	v_cmp_lt_i16_sdwa s[8:9], v63, v8 src0_sel:BYTE_0 src1_sel:DWORD
	s_and_b64 vcc, exec, s[8:9]
	s_cbranch_vccnz .LBB160_1957
; %bb.1955:
	v_cmp_gt_i16_sdwa s[8:9], v63, v8 src0_sel:BYTE_0 src1_sel:DWORD
	s_and_b64 vcc, exec, s[8:9]
	s_cbranch_vccz .LBB160_1958
; %bb.1956:
	global_load_dword v8, v[4:5], off
	s_mov_b64 s[8:9], 0
	s_waitcnt vmcnt(0)
	v_cvt_f64_u32_e32 v[44:45], v8
	s_branch .LBB160_1959
.LBB160_1957:
	s_mov_b64 s[8:9], -1
                                        ; implicit-def: $vgpr44_vgpr45
	s_branch .LBB160_1962
.LBB160_1958:
	s_mov_b64 s[8:9], -1
                                        ; implicit-def: $vgpr44_vgpr45
.LBB160_1959:
	s_andn2_b64 vcc, exec, s[8:9]
	s_cbranch_vccnz .LBB160_1961
; %bb.1960:
	global_load_ushort v8, v[4:5], off
	s_waitcnt vmcnt(0)
	v_cvt_f64_u32_e32 v[44:45], v8
.LBB160_1961:
	s_mov_b64 s[8:9], 0
.LBB160_1962:
	s_andn2_b64 vcc, exec, s[8:9]
	s_cbranch_vccnz .LBB160_1970
; %bb.1963:
	global_load_ubyte v8, v[4:5], off
	s_movk_i32 s8, 0x7f
                                        ; implicit-def: $sgpr10_sgpr11
	s_waitcnt vmcnt(0)
	v_cmp_lt_i16_e32 vcc, s8, v8
	s_mov_b64 s[8:9], 0
	s_and_saveexec_b64 s[12:13], vcc
	s_xor_b64 s[12:13], exec, s[12:13]
	s_cbranch_execz .LBB160_1984
; %bb.1964:
	s_movk_i32 s8, 0x80
	v_cmp_eq_u16_e32 vcc, s8, v8
	s_mov_b64 s[14:15], -1
                                        ; implicit-def: $sgpr10_sgpr11
	s_and_saveexec_b64 s[8:9], vcc
; %bb.1965:
	s_mov_b32 s11, 0x7ff80000
	s_brev_b32 s10, 4
	s_xor_b64 s[14:15], exec, -1
; %bb.1966:
	s_or_b64 exec, exec, s[8:9]
	s_and_b64 s[8:9], s[14:15], exec
	s_or_saveexec_b64 s[12:13], s[12:13]
	v_pk_mov_b32 v[44:45], s[10:11], s[10:11] op_sel:[0,1]
	s_xor_b64 exec, exec, s[12:13]
	s_cbranch_execnz .LBB160_1985
.LBB160_1967:
	s_or_b64 exec, exec, s[12:13]
	s_and_saveexec_b64 s[10:11], s[8:9]
	s_cbranch_execz .LBB160_1969
.LBB160_1968:
	v_lshlrev_b32_e32 v9, 24, v8
	v_and_b32_e32 v8, 0xffff, v8
	v_and_b32_e32 v10, 7, v8
	v_ffbh_u32_e32 v12, v10
	v_min_u32_e32 v12, 32, v12
	v_subrev_u32_e32 v13, 28, v12
	v_bfe_u32 v11, v8, 3, 4
	v_lshlrev_b32_e32 v8, v13, v8
	v_sub_u32_e32 v12, 29, v12
	v_and_b32_e32 v8, 7, v8
	v_cmp_eq_u32_e32 vcc, 0, v11
	v_cndmask_b32_e32 v11, v11, v12, vcc
	v_cndmask_b32_e32 v8, v10, v8, vcc
	v_mov_b32_e32 v10, 0x3b800000
	v_lshlrev_b32_e32 v8, 20, v8
	v_and_b32_e32 v9, 0x80000000, v9
	v_lshl_add_u32 v10, v11, 23, v10
	v_or3_b32 v8, v9, v10, v8
	v_cvt_f64_f32_e32 v[44:45], v8
.LBB160_1969:
	s_or_b64 exec, exec, s[10:11]
.LBB160_1970:
	s_mov_b64 s[8:9], -1
.LBB160_1971:
	s_mov_b64 s[10:11], 0
.LBB160_1972:
	s_and_b64 vcc, exec, s[10:11]
	s_cbranch_vccz .LBB160_2005
; %bb.1973:
	v_mov_b32_e32 v8, 22
	v_cmp_gt_i16_sdwa s[6:7], v63, v8 src0_sel:BYTE_0 src1_sel:DWORD
	s_and_b64 vcc, exec, s[6:7]
	s_cbranch_vccz .LBB160_1983
; %bb.1974:
	v_mov_b32_e32 v8, 24
	v_cmp_lt_i16_sdwa s[6:7], v63, v8 src0_sel:BYTE_0 src1_sel:DWORD
	s_and_b64 vcc, exec, s[6:7]
	s_cbranch_vccnz .LBB160_1986
; %bb.1975:
	v_cmp_gt_i16_sdwa s[6:7], v63, v8 src0_sel:BYTE_0 src1_sel:DWORD
	s_and_b64 vcc, exec, s[6:7]
	s_cbranch_vccz .LBB160_1987
; %bb.1976:
	global_load_ubyte v8, v[4:5], off
	s_movk_i32 s6, 0x7f
                                        ; implicit-def: $sgpr8_sgpr9
	s_waitcnt vmcnt(0)
	v_cmp_lt_i16_e32 vcc, s6, v8
	s_mov_b64 s[6:7], 0
	s_and_saveexec_b64 s[10:11], vcc
	s_xor_b64 s[10:11], exec, s[10:11]
	s_cbranch_execz .LBB160_1999
; %bb.1977:
	s_movk_i32 s6, 0x80
	v_cmp_eq_u16_e32 vcc, s6, v8
	s_mov_b64 s[12:13], -1
                                        ; implicit-def: $sgpr8_sgpr9
	s_and_saveexec_b64 s[6:7], vcc
; %bb.1978:
	s_mov_b32 s9, 0x7ff80000
	s_brev_b32 s8, 4
	s_xor_b64 s[12:13], exec, -1
; %bb.1979:
	s_or_b64 exec, exec, s[6:7]
	s_and_b64 s[6:7], s[12:13], exec
	s_or_saveexec_b64 s[10:11], s[10:11]
	v_pk_mov_b32 v[44:45], s[8:9], s[8:9] op_sel:[0,1]
	s_xor_b64 exec, exec, s[10:11]
	s_cbranch_execnz .LBB160_2000
.LBB160_1980:
	s_or_b64 exec, exec, s[10:11]
	s_and_saveexec_b64 s[8:9], s[6:7]
	s_cbranch_execz .LBB160_1982
.LBB160_1981:
	v_lshlrev_b32_e32 v9, 24, v8
	v_and_b32_e32 v8, 0xffff, v8
	v_and_b32_e32 v10, 3, v8
	v_ffbh_u32_e32 v12, v10
	v_min_u32_e32 v12, 32, v12
	v_subrev_u32_e32 v13, 29, v12
	v_bfe_u32 v11, v8, 2, 5
	v_lshlrev_b32_e32 v8, v13, v8
	v_sub_u32_e32 v12, 30, v12
	v_and_b32_e32 v8, 3, v8
	v_cmp_eq_u32_e32 vcc, 0, v11
	v_cndmask_b32_e32 v11, v11, v12, vcc
	v_cndmask_b32_e32 v8, v10, v8, vcc
	v_mov_b32_e32 v10, 0x37800000
	v_lshlrev_b32_e32 v8, 21, v8
	v_and_b32_e32 v9, 0x80000000, v9
	v_lshl_add_u32 v10, v11, 23, v10
	v_or3_b32 v8, v9, v10, v8
	v_cvt_f64_f32_e32 v[44:45], v8
.LBB160_1982:
	s_or_b64 exec, exec, s[8:9]
	s_mov_b64 s[6:7], 0
	s_branch .LBB160_1988
.LBB160_1983:
	s_mov_b64 s[6:7], -1
                                        ; implicit-def: $vgpr44_vgpr45
	s_branch .LBB160_1994
.LBB160_1984:
	s_or_saveexec_b64 s[12:13], s[12:13]
	v_pk_mov_b32 v[44:45], s[10:11], s[10:11] op_sel:[0,1]
	s_xor_b64 exec, exec, s[12:13]
	s_cbranch_execz .LBB160_1967
.LBB160_1985:
	v_cmp_ne_u16_e32 vcc, 0, v8
	s_andn2_b64 s[8:9], s[8:9], exec
	s_and_b64 s[10:11], vcc, exec
	v_pk_mov_b32 v[44:45], 0, 0
	s_or_b64 s[8:9], s[8:9], s[10:11]
	s_or_b64 exec, exec, s[12:13]
	s_and_saveexec_b64 s[10:11], s[8:9]
	s_cbranch_execnz .LBB160_1968
	s_branch .LBB160_1969
.LBB160_1986:
	s_mov_b64 s[6:7], -1
                                        ; implicit-def: $vgpr44_vgpr45
	s_branch .LBB160_1991
.LBB160_1987:
	s_mov_b64 s[6:7], -1
                                        ; implicit-def: $vgpr44_vgpr45
.LBB160_1988:
	s_and_b64 vcc, exec, s[6:7]
	s_cbranch_vccz .LBB160_1990
; %bb.1989:
	global_load_ubyte v8, v[4:5], off
	s_mov_b32 s6, 0x7f800000
	s_waitcnt vmcnt(0)
	v_lshlrev_b32_e32 v8, 24, v8
	v_and_b32_e32 v9, 0x7f000000, v8
	v_ffbh_u32_e32 v10, v9
	v_min_u32_e32 v10, 32, v10
	v_sub_u32_e64 v10, v10, 4 clamp
	v_lshlrev_b32_e32 v12, v10, v9
	v_lshlrev_b32_e32 v10, 23, v10
	v_lshrrev_b32_e32 v12, 4, v12
	v_add_u32_e32 v11, 0x1000000, v9
	v_sub_u32_e32 v10, v12, v10
	v_ashrrev_i32_e32 v11, 8, v11
	v_add_u32_e32 v10, 0x3c000000, v10
	v_and_or_b32 v10, v11, s6, v10
	v_cmp_ne_u32_e32 vcc, 0, v9
	v_cndmask_b32_e32 v9, 0, v10, vcc
	s_brev_b32 s6, 1
	v_and_or_b32 v8, v8, s6, v9
	v_cvt_f64_f32_e32 v[44:45], v8
.LBB160_1990:
	s_mov_b64 s[6:7], 0
.LBB160_1991:
	s_andn2_b64 vcc, exec, s[6:7]
	s_cbranch_vccnz .LBB160_1993
; %bb.1992:
	global_load_ubyte v8, v[4:5], off
	s_movk_i32 s6, 0x7f00
	s_brev_b32 s7, 16
	s_waitcnt vmcnt(0)
	v_lshlrev_b16_e32 v9, 8, v8
	v_lshlrev_b32_e32 v8, 25, v8
	v_lshrrev_b32_e32 v10, 4, v8
	v_and_or_b32 v11, v9, s6, 0.5
	v_or_b32_e32 v10, 0x70000000, v10
	v_add_f32_e32 v11, -0.5, v11
	v_mul_f32_e32 v10, 0x7800000, v10
	v_cmp_gt_u32_e32 vcc, s7, v8
	v_bfe_i32 v9, v9, 0, 16
	v_cndmask_b32_e32 v8, v10, v11, vcc
	s_brev_b32 s6, 1
	v_and_or_b32 v8, v9, s6, v8
	v_cvt_f64_f32_e32 v[44:45], v8
.LBB160_1993:
	s_mov_b64 s[6:7], 0
	s_mov_b64 s[8:9], -1
.LBB160_1994:
	s_andn2_b64 vcc, exec, s[6:7]
	s_mov_b64 s[6:7], 0
	s_cbranch_vccnz .LBB160_2005
; %bb.1995:
	v_mov_b32_e32 v8, 14
	v_cmp_gt_i16_sdwa s[6:7], v63, v8 src0_sel:BYTE_0 src1_sel:DWORD
	s_and_b64 vcc, exec, s[6:7]
	s_cbranch_vccz .LBB160_1998
; %bb.1996:
	v_mov_b32_e32 v8, 15
	v_cmp_eq_u16_sdwa s[4:5], v63, v8 src0_sel:BYTE_0 src1_sel:DWORD
	s_and_b64 vcc, exec, s[4:5]
	s_cbranch_vccz .LBB160_2001
; %bb.1997:
	global_load_ushort v8, v[4:5], off
	s_mov_b64 s[4:5], 0
	s_mov_b64 s[8:9], -1
	s_waitcnt vmcnt(0)
	v_lshlrev_b32_e32 v8, 16, v8
	v_cvt_f64_f32_e32 v[44:45], v8
	s_branch .LBB160_2002
.LBB160_1998:
	s_mov_b64 s[10:11], -1
                                        ; implicit-def: $vgpr44_vgpr45
	s_branch .LBB160_2003
.LBB160_1999:
	s_or_saveexec_b64 s[10:11], s[10:11]
	v_pk_mov_b32 v[44:45], s[8:9], s[8:9] op_sel:[0,1]
	s_xor_b64 exec, exec, s[10:11]
	s_cbranch_execz .LBB160_1980
.LBB160_2000:
	v_cmp_ne_u16_e32 vcc, 0, v8
	s_andn2_b64 s[6:7], s[6:7], exec
	s_and_b64 s[8:9], vcc, exec
	v_pk_mov_b32 v[44:45], 0, 0
	s_or_b64 s[6:7], s[6:7], s[8:9]
	s_or_b64 exec, exec, s[10:11]
	s_and_saveexec_b64 s[8:9], s[6:7]
	s_cbranch_execnz .LBB160_1981
	s_branch .LBB160_1982
.LBB160_2001:
	s_mov_b64 s[4:5], -1
                                        ; implicit-def: $vgpr44_vgpr45
.LBB160_2002:
	s_mov_b64 s[10:11], 0
.LBB160_2003:
	s_mov_b64 s[6:7], 0
	s_and_b64 vcc, exec, s[10:11]
	s_cbranch_vccz .LBB160_2005
; %bb.2004:
	v_mov_b32_e32 v8, 11
	v_cmp_ne_u16_sdwa s[4:5], v63, v8 src0_sel:BYTE_0 src1_sel:DWORD
	s_mov_b64 s[6:7], -1
                                        ; implicit-def: $vgpr44_vgpr45
.LBB160_2005:
	s_and_b64 vcc, exec, s[4:5]
	s_cbranch_vccnz .LBB160_2070
; %bb.2006:
	s_andn2_b64 vcc, exec, s[6:7]
	s_cbranch_vccnz .LBB160_2008
.LBB160_2007:
	global_load_ubyte v8, v[4:5], off
	v_mov_b32_e32 v9, 0x3ff00000
	v_mov_b32_e32 v44, 0
	s_mov_b64 s[8:9], -1
	s_waitcnt vmcnt(0)
	v_cmp_ne_u16_e32 vcc, 0, v8
	v_cndmask_b32_e32 v45, 0, v9, vcc
.LBB160_2008:
	s_mov_b64 s[4:5], 0
.LBB160_2009:
	s_and_b64 vcc, exec, s[4:5]
	s_cbranch_vccz .LBB160_2058
; %bb.2010:
	v_mov_b32_e32 v8, 5
	v_cmp_lt_i16_sdwa s[4:5], v63, v8 src0_sel:BYTE_0 src1_sel:DWORD
	s_and_b64 vcc, exec, s[4:5]
	s_cbranch_vccnz .LBB160_2015
; %bb.2011:
	v_mov_b32_e32 v8, 8
	v_cmp_lt_i16_sdwa s[4:5], v63, v8 src0_sel:BYTE_0 src1_sel:DWORD
	s_and_b64 vcc, exec, s[4:5]
	s_cbranch_vccnz .LBB160_2016
	;; [unrolled: 5-line block ×3, first 2 shown]
; %bb.2013:
	v_cmp_gt_i16_sdwa s[4:5], v63, v8 src0_sel:BYTE_0 src1_sel:DWORD
	s_and_b64 vcc, exec, s[4:5]
	s_cbranch_vccz .LBB160_2018
; %bb.2014:
	global_load_dwordx2 v[44:45], v[4:5], off
	s_mov_b64 s[4:5], 0
	s_branch .LBB160_2019
.LBB160_2015:
	s_mov_b64 s[4:5], -1
                                        ; implicit-def: $vgpr44_vgpr45
	s_branch .LBB160_2037
.LBB160_2016:
	s_mov_b64 s[4:5], -1
                                        ; implicit-def: $vgpr44_vgpr45
	s_branch .LBB160_2025
.LBB160_2017:
	s_mov_b64 s[4:5], -1
                                        ; implicit-def: $vgpr44_vgpr45
	s_branch .LBB160_2022
.LBB160_2018:
	s_mov_b64 s[4:5], -1
                                        ; implicit-def: $vgpr44_vgpr45
.LBB160_2019:
	s_andn2_b64 vcc, exec, s[4:5]
	s_cbranch_vccnz .LBB160_2021
; %bb.2020:
	global_load_dword v8, v[4:5], off
	s_waitcnt vmcnt(0)
	v_cvt_f64_f32_e32 v[44:45], v8
.LBB160_2021:
	s_mov_b64 s[4:5], 0
.LBB160_2022:
	s_andn2_b64 vcc, exec, s[4:5]
	s_cbranch_vccnz .LBB160_2024
; %bb.2023:
	global_load_dword v8, v[4:5], off
	s_waitcnt vmcnt(0)
	v_cvt_f32_f16_e32 v8, v8
	v_cvt_f64_f32_e32 v[44:45], v8
.LBB160_2024:
	s_mov_b64 s[4:5], 0
.LBB160_2025:
	s_andn2_b64 vcc, exec, s[4:5]
	s_cbranch_vccnz .LBB160_2036
; %bb.2026:
	v_mov_b32_e32 v8, 6
	v_cmp_lt_i16_sdwa s[4:5], v63, v8 src0_sel:BYTE_0 src1_sel:DWORD
	s_and_b64 vcc, exec, s[4:5]
	s_cbranch_vccnz .LBB160_2029
; %bb.2027:
	v_cmp_gt_i16_sdwa s[4:5], v63, v8 src0_sel:BYTE_0 src1_sel:DWORD
	s_and_b64 vcc, exec, s[4:5]
	s_cbranch_vccz .LBB160_2030
; %bb.2028:
	global_load_dwordx2 v[44:45], v[4:5], off
	s_mov_b64 s[4:5], 0
	s_branch .LBB160_2031
.LBB160_2029:
	s_mov_b64 s[4:5], -1
                                        ; implicit-def: $vgpr44_vgpr45
	s_branch .LBB160_2034
.LBB160_2030:
	s_mov_b64 s[4:5], -1
                                        ; implicit-def: $vgpr44_vgpr45
.LBB160_2031:
	s_andn2_b64 vcc, exec, s[4:5]
	s_cbranch_vccnz .LBB160_2033
; %bb.2032:
	global_load_dword v8, v[4:5], off
	s_waitcnt vmcnt(0)
	v_cvt_f64_f32_e32 v[44:45], v8
.LBB160_2033:
	s_mov_b64 s[4:5], 0
.LBB160_2034:
	s_andn2_b64 vcc, exec, s[4:5]
	s_cbranch_vccnz .LBB160_2036
; %bb.2035:
	global_load_ushort v8, v[4:5], off
	s_waitcnt vmcnt(0)
	v_cvt_f32_f16_e32 v8, v8
	v_cvt_f64_f32_e32 v[44:45], v8
.LBB160_2036:
	s_mov_b64 s[4:5], 0
.LBB160_2037:
	s_andn2_b64 vcc, exec, s[4:5]
	s_cbranch_vccnz .LBB160_2057
; %bb.2038:
	v_mov_b32_e32 v8, 2
	v_cmp_lt_i16_sdwa s[4:5], v63, v8 src0_sel:BYTE_0 src1_sel:DWORD
	s_and_b64 vcc, exec, s[4:5]
	s_cbranch_vccnz .LBB160_2042
; %bb.2039:
	v_mov_b32_e32 v8, 3
	v_cmp_lt_i16_sdwa s[4:5], v63, v8 src0_sel:BYTE_0 src1_sel:DWORD
	s_and_b64 vcc, exec, s[4:5]
	s_cbranch_vccnz .LBB160_2043
; %bb.2040:
	v_cmp_gt_i16_sdwa s[4:5], v63, v8 src0_sel:BYTE_0 src1_sel:DWORD
	s_and_b64 vcc, exec, s[4:5]
	s_cbranch_vccz .LBB160_2044
; %bb.2041:
	global_load_dwordx2 v[8:9], v[4:5], off
	s_mov_b64 s[4:5], 0
	s_waitcnt vmcnt(0)
	v_cvt_f64_i32_e32 v[10:11], v9
	v_cvt_f64_u32_e32 v[8:9], v8
	v_ldexp_f64 v[10:11], v[10:11], 32
	v_add_f64 v[44:45], v[10:11], v[8:9]
	s_branch .LBB160_2045
.LBB160_2042:
	s_mov_b64 s[4:5], -1
                                        ; implicit-def: $vgpr44_vgpr45
	s_branch .LBB160_2051
.LBB160_2043:
	s_mov_b64 s[4:5], -1
                                        ; implicit-def: $vgpr44_vgpr45
	s_branch .LBB160_2048
.LBB160_2044:
	s_mov_b64 s[4:5], -1
                                        ; implicit-def: $vgpr44_vgpr45
.LBB160_2045:
	s_andn2_b64 vcc, exec, s[4:5]
	s_cbranch_vccnz .LBB160_2047
; %bb.2046:
	global_load_dword v8, v[4:5], off
	s_waitcnt vmcnt(0)
	v_cvt_f64_i32_e32 v[44:45], v8
.LBB160_2047:
	s_mov_b64 s[4:5], 0
.LBB160_2048:
	s_andn2_b64 vcc, exec, s[4:5]
	s_cbranch_vccnz .LBB160_2050
; %bb.2049:
	global_load_sshort v8, v[4:5], off
	s_waitcnt vmcnt(0)
	v_cvt_f64_i32_e32 v[44:45], v8
.LBB160_2050:
	s_mov_b64 s[4:5], 0
.LBB160_2051:
	s_andn2_b64 vcc, exec, s[4:5]
	s_cbranch_vccnz .LBB160_2057
; %bb.2052:
	v_mov_b32_e32 v8, 0
	v_cmp_gt_i16_sdwa s[4:5], v63, v8 src0_sel:BYTE_0 src1_sel:DWORD
	s_and_b64 vcc, exec, s[4:5]
	s_cbranch_vccz .LBB160_2054
; %bb.2053:
	global_load_sbyte v8, v[4:5], off
	s_mov_b64 s[4:5], 0
	s_waitcnt vmcnt(0)
	v_cvt_f64_i32_e32 v[44:45], v8
	s_branch .LBB160_2055
.LBB160_2054:
	s_mov_b64 s[4:5], -1
                                        ; implicit-def: $vgpr44_vgpr45
.LBB160_2055:
	s_andn2_b64 vcc, exec, s[4:5]
	s_cbranch_vccnz .LBB160_2057
; %bb.2056:
	global_load_ubyte v4, v[4:5], off
	s_waitcnt vmcnt(0)
	v_cvt_f64_u32_e32 v[44:45], v4
.LBB160_2057:
	s_mov_b64 s[8:9], -1
.LBB160_2058:
	s_andn2_b64 vcc, exec, s[8:9]
	s_cbranch_vccnz .LBB160_3037
; %bb.2059:
	v_add_u32_e32 v7, s16, v7
	v_ashrrev_i32_e32 v5, 31, v7
	v_mov_b32_e32 v8, s79
	v_add_co_u32_e32 v4, vcc, s78, v7
	v_addc_co_u32_e32 v5, vcc, v8, v5, vcc
	v_mov_b32_e32 v8, 11
	v_cmp_lt_i16_sdwa s[4:5], v60, v8 src0_sel:BYTE_0 src1_sel:DWORD
	s_and_b64 vcc, exec, s[4:5]
	s_cbranch_vccnz .LBB160_2066
; %bb.2060:
	v_mov_b32_e32 v8, 25
	v_cmp_gt_i16_sdwa s[4:5], v60, v8 src0_sel:BYTE_0 src1_sel:DWORD
	s_mov_b64 s[6:7], 0
	s_and_b64 vcc, exec, s[4:5]
	s_cbranch_vccz .LBB160_2067
; %bb.2061:
	v_mov_b32_e32 v8, 28
	v_cmp_gt_i16_sdwa s[4:5], v60, v8 src0_sel:BYTE_0 src1_sel:DWORD
	s_and_b64 vcc, exec, s[4:5]
	s_cbranch_vccz .LBB160_2068
; %bb.2062:
	v_mov_b32_e32 v8, 43
	v_cmp_gt_i16_sdwa s[4:5], v60, v8 src0_sel:BYTE_0 src1_sel:DWORD
	;; [unrolled: 5-line block ×3, first 2 shown]
	s_and_b64 vcc, exec, s[4:5]
	s_cbranch_vccz .LBB160_2071
; %bb.2064:
	v_mov_b32_e32 v8, 46
	v_cmp_eq_u16_sdwa s[4:5], v60, v8 src0_sel:BYTE_0 src1_sel:DWORD
	s_mov_b64 s[10:11], 0
	s_and_b64 vcc, exec, s[4:5]
	s_cbranch_vccz .LBB160_2072
; %bb.2065:
	global_load_dword v8, v[4:5], off
	s_mov_b64 s[4:5], 0
	s_mov_b64 s[8:9], -1
	s_waitcnt vmcnt(0)
	v_lshlrev_b32_e32 v8, 16, v8
	v_cvt_f64_f32_e32 v[46:47], v8
	s_branch .LBB160_2073
.LBB160_2066:
	s_mov_b64 s[4:5], -1
	s_mov_b64 s[8:9], 0
                                        ; implicit-def: $vgpr46_vgpr47
	s_branch .LBB160_2139
.LBB160_2067:
	s_mov_b64 s[10:11], -1
	s_mov_b64 s[8:9], 0
	s_mov_b64 s[4:5], 0
                                        ; implicit-def: $vgpr46_vgpr47
	s_branch .LBB160_2102
.LBB160_2068:
	s_mov_b64 s[10:11], -1
	s_mov_b64 s[8:9], 0
	s_mov_b64 s[4:5], 0
                                        ; implicit-def: $vgpr46_vgpr47
	s_branch .LBB160_2083
.LBB160_2069:
	s_mov_b64 s[10:11], -1
	s_mov_b64 s[8:9], 0
	s_mov_b64 s[4:5], 0
                                        ; implicit-def: $vgpr46_vgpr47
	s_branch .LBB160_2078
.LBB160_2070:
	s_trap 2
	s_or_b64 s[90:91], s[90:91], exec
                                        ; implicit-def: $vgpr44_vgpr45
	s_cbranch_execz .LBB160_2007
	s_branch .LBB160_2008
.LBB160_2071:
	s_mov_b64 s[10:11], -1
	s_mov_b64 s[8:9], 0
	s_mov_b64 s[4:5], 0
                                        ; implicit-def: $vgpr46_vgpr47
	s_branch .LBB160_2073
.LBB160_2072:
	s_mov_b64 s[4:5], -1
                                        ; implicit-def: $vgpr46_vgpr47
	s_mov_b64 s[8:9], 0
.LBB160_2073:
	s_and_b64 vcc, exec, s[10:11]
	s_cbranch_vccz .LBB160_2077
; %bb.2074:
	v_mov_b32_e32 v8, 44
	v_cmp_eq_u16_sdwa s[4:5], v60, v8 src0_sel:BYTE_0 src1_sel:DWORD
	s_and_b64 vcc, exec, s[4:5]
	s_cbranch_vccz .LBB160_2076
; %bb.2075:
	global_load_ubyte v10, v[4:5], off
	s_movk_i32 s8, 0xff
	v_bfrev_b32_e32 v11, 4
	v_mov_b32_e32 v12, 0x7ff80000
	v_bfrev_b32_e32 v13, 28
	s_mov_b64 s[4:5], 0
	s_waitcnt vmcnt(0)
	v_lshlrev_b32_e32 v8, 23, v10
	v_cvt_f64_f32_e32 v[8:9], v8
	v_cmp_ne_u32_e32 vcc, s8, v10
	v_cndmask_b32_e32 v8, v11, v8, vcc
	v_cndmask_b32_e32 v9, v12, v9, vcc
	v_cmp_ne_u32_e32 vcc, 0, v10
	v_cndmask_b32_e32 v47, v13, v9, vcc
	v_cndmask_b32_e32 v46, 0, v8, vcc
	s_mov_b64 s[8:9], -1
	s_branch .LBB160_2077
.LBB160_2076:
	s_mov_b64 s[4:5], -1
                                        ; implicit-def: $vgpr46_vgpr47
.LBB160_2077:
	s_mov_b64 s[10:11], 0
.LBB160_2078:
	s_and_b64 vcc, exec, s[10:11]
	s_cbranch_vccz .LBB160_2082
; %bb.2079:
	v_mov_b32_e32 v8, 29
	v_cmp_eq_u16_sdwa s[4:5], v60, v8 src0_sel:BYTE_0 src1_sel:DWORD
	s_and_b64 vcc, exec, s[4:5]
	s_cbranch_vccz .LBB160_2081
; %bb.2080:
	global_load_dwordx2 v[8:9], v[4:5], off
	s_mov_b64 s[4:5], 0
	s_mov_b64 s[8:9], -1
	s_mov_b64 s[10:11], 0
	s_waitcnt vmcnt(0)
	v_cvt_f64_u32_e32 v[10:11], v9
	v_cvt_f64_u32_e32 v[8:9], v8
	v_ldexp_f64 v[10:11], v[10:11], 32
	v_add_f64 v[46:47], v[10:11], v[8:9]
	s_branch .LBB160_2083
.LBB160_2081:
	s_mov_b64 s[4:5], -1
                                        ; implicit-def: $vgpr46_vgpr47
.LBB160_2082:
	s_mov_b64 s[10:11], 0
.LBB160_2083:
	s_and_b64 vcc, exec, s[10:11]
	s_cbranch_vccz .LBB160_2101
; %bb.2084:
	v_mov_b32_e32 v8, 27
	v_cmp_lt_i16_sdwa s[8:9], v60, v8 src0_sel:BYTE_0 src1_sel:DWORD
	s_and_b64 vcc, exec, s[8:9]
	s_cbranch_vccnz .LBB160_2087
; %bb.2085:
	v_cmp_gt_i16_sdwa s[8:9], v60, v8 src0_sel:BYTE_0 src1_sel:DWORD
	s_and_b64 vcc, exec, s[8:9]
	s_cbranch_vccz .LBB160_2088
; %bb.2086:
	global_load_dword v8, v[4:5], off
	s_mov_b64 s[8:9], 0
	s_waitcnt vmcnt(0)
	v_cvt_f64_u32_e32 v[46:47], v8
	s_branch .LBB160_2089
.LBB160_2087:
	s_mov_b64 s[8:9], -1
                                        ; implicit-def: $vgpr46_vgpr47
	s_branch .LBB160_2092
.LBB160_2088:
	s_mov_b64 s[8:9], -1
                                        ; implicit-def: $vgpr46_vgpr47
.LBB160_2089:
	s_andn2_b64 vcc, exec, s[8:9]
	s_cbranch_vccnz .LBB160_2091
; %bb.2090:
	global_load_ushort v8, v[4:5], off
	s_waitcnt vmcnt(0)
	v_cvt_f64_u32_e32 v[46:47], v8
.LBB160_2091:
	s_mov_b64 s[8:9], 0
.LBB160_2092:
	s_andn2_b64 vcc, exec, s[8:9]
	s_cbranch_vccnz .LBB160_2100
; %bb.2093:
	global_load_ubyte v8, v[4:5], off
	s_movk_i32 s8, 0x7f
                                        ; implicit-def: $sgpr10_sgpr11
	s_waitcnt vmcnt(0)
	v_cmp_lt_i16_e32 vcc, s8, v8
	s_mov_b64 s[8:9], 0
	s_and_saveexec_b64 s[12:13], vcc
	s_xor_b64 s[12:13], exec, s[12:13]
	s_cbranch_execz .LBB160_2114
; %bb.2094:
	s_movk_i32 s8, 0x80
	v_cmp_eq_u16_e32 vcc, s8, v8
	s_mov_b64 s[14:15], -1
                                        ; implicit-def: $sgpr10_sgpr11
	s_and_saveexec_b64 s[8:9], vcc
; %bb.2095:
	s_mov_b32 s11, 0x7ff80000
	s_brev_b32 s10, 4
	s_xor_b64 s[14:15], exec, -1
; %bb.2096:
	s_or_b64 exec, exec, s[8:9]
	s_and_b64 s[8:9], s[14:15], exec
	s_or_saveexec_b64 s[12:13], s[12:13]
	v_pk_mov_b32 v[46:47], s[10:11], s[10:11] op_sel:[0,1]
	s_xor_b64 exec, exec, s[12:13]
	s_cbranch_execnz .LBB160_2115
.LBB160_2097:
	s_or_b64 exec, exec, s[12:13]
	s_and_saveexec_b64 s[10:11], s[8:9]
	s_cbranch_execz .LBB160_2099
.LBB160_2098:
	v_lshlrev_b32_e32 v9, 24, v8
	v_and_b32_e32 v8, 0xffff, v8
	v_and_b32_e32 v10, 7, v8
	v_ffbh_u32_e32 v12, v10
	v_min_u32_e32 v12, 32, v12
	v_subrev_u32_e32 v13, 28, v12
	v_bfe_u32 v11, v8, 3, 4
	v_lshlrev_b32_e32 v8, v13, v8
	v_sub_u32_e32 v12, 29, v12
	v_and_b32_e32 v8, 7, v8
	v_cmp_eq_u32_e32 vcc, 0, v11
	v_cndmask_b32_e32 v11, v11, v12, vcc
	v_cndmask_b32_e32 v8, v10, v8, vcc
	v_mov_b32_e32 v10, 0x3b800000
	v_lshlrev_b32_e32 v8, 20, v8
	v_and_b32_e32 v9, 0x80000000, v9
	v_lshl_add_u32 v10, v11, 23, v10
	v_or3_b32 v8, v9, v10, v8
	v_cvt_f64_f32_e32 v[46:47], v8
.LBB160_2099:
	s_or_b64 exec, exec, s[10:11]
.LBB160_2100:
	s_mov_b64 s[8:9], -1
.LBB160_2101:
	s_mov_b64 s[10:11], 0
.LBB160_2102:
	s_and_b64 vcc, exec, s[10:11]
	s_cbranch_vccz .LBB160_2135
; %bb.2103:
	v_mov_b32_e32 v8, 22
	v_cmp_gt_i16_sdwa s[6:7], v60, v8 src0_sel:BYTE_0 src1_sel:DWORD
	s_and_b64 vcc, exec, s[6:7]
	s_cbranch_vccz .LBB160_2113
; %bb.2104:
	v_mov_b32_e32 v8, 24
	v_cmp_lt_i16_sdwa s[6:7], v60, v8 src0_sel:BYTE_0 src1_sel:DWORD
	s_and_b64 vcc, exec, s[6:7]
	s_cbranch_vccnz .LBB160_2116
; %bb.2105:
	v_cmp_gt_i16_sdwa s[6:7], v60, v8 src0_sel:BYTE_0 src1_sel:DWORD
	s_and_b64 vcc, exec, s[6:7]
	s_cbranch_vccz .LBB160_2117
; %bb.2106:
	global_load_ubyte v8, v[4:5], off
	s_movk_i32 s6, 0x7f
                                        ; implicit-def: $sgpr8_sgpr9
	s_waitcnt vmcnt(0)
	v_cmp_lt_i16_e32 vcc, s6, v8
	s_mov_b64 s[6:7], 0
	s_and_saveexec_b64 s[10:11], vcc
	s_xor_b64 s[10:11], exec, s[10:11]
	s_cbranch_execz .LBB160_2129
; %bb.2107:
	s_movk_i32 s6, 0x80
	v_cmp_eq_u16_e32 vcc, s6, v8
	s_mov_b64 s[12:13], -1
                                        ; implicit-def: $sgpr8_sgpr9
	s_and_saveexec_b64 s[6:7], vcc
; %bb.2108:
	s_mov_b32 s9, 0x7ff80000
	s_brev_b32 s8, 4
	s_xor_b64 s[12:13], exec, -1
; %bb.2109:
	s_or_b64 exec, exec, s[6:7]
	s_and_b64 s[6:7], s[12:13], exec
	s_or_saveexec_b64 s[10:11], s[10:11]
	v_pk_mov_b32 v[46:47], s[8:9], s[8:9] op_sel:[0,1]
	s_xor_b64 exec, exec, s[10:11]
	s_cbranch_execnz .LBB160_2130
.LBB160_2110:
	s_or_b64 exec, exec, s[10:11]
	s_and_saveexec_b64 s[8:9], s[6:7]
	s_cbranch_execz .LBB160_2112
.LBB160_2111:
	v_lshlrev_b32_e32 v9, 24, v8
	v_and_b32_e32 v8, 0xffff, v8
	v_and_b32_e32 v10, 3, v8
	v_ffbh_u32_e32 v12, v10
	v_min_u32_e32 v12, 32, v12
	v_subrev_u32_e32 v13, 29, v12
	v_bfe_u32 v11, v8, 2, 5
	v_lshlrev_b32_e32 v8, v13, v8
	v_sub_u32_e32 v12, 30, v12
	v_and_b32_e32 v8, 3, v8
	v_cmp_eq_u32_e32 vcc, 0, v11
	v_cndmask_b32_e32 v11, v11, v12, vcc
	v_cndmask_b32_e32 v8, v10, v8, vcc
	v_mov_b32_e32 v10, 0x37800000
	v_lshlrev_b32_e32 v8, 21, v8
	v_and_b32_e32 v9, 0x80000000, v9
	v_lshl_add_u32 v10, v11, 23, v10
	v_or3_b32 v8, v9, v10, v8
	v_cvt_f64_f32_e32 v[46:47], v8
.LBB160_2112:
	s_or_b64 exec, exec, s[8:9]
	s_mov_b64 s[6:7], 0
	s_branch .LBB160_2118
.LBB160_2113:
	s_mov_b64 s[6:7], -1
                                        ; implicit-def: $vgpr46_vgpr47
	s_branch .LBB160_2124
.LBB160_2114:
	s_or_saveexec_b64 s[12:13], s[12:13]
	v_pk_mov_b32 v[46:47], s[10:11], s[10:11] op_sel:[0,1]
	s_xor_b64 exec, exec, s[12:13]
	s_cbranch_execz .LBB160_2097
.LBB160_2115:
	v_cmp_ne_u16_e32 vcc, 0, v8
	s_andn2_b64 s[8:9], s[8:9], exec
	s_and_b64 s[10:11], vcc, exec
	v_pk_mov_b32 v[46:47], 0, 0
	s_or_b64 s[8:9], s[8:9], s[10:11]
	s_or_b64 exec, exec, s[12:13]
	s_and_saveexec_b64 s[10:11], s[8:9]
	s_cbranch_execnz .LBB160_2098
	s_branch .LBB160_2099
.LBB160_2116:
	s_mov_b64 s[6:7], -1
                                        ; implicit-def: $vgpr46_vgpr47
	s_branch .LBB160_2121
.LBB160_2117:
	s_mov_b64 s[6:7], -1
                                        ; implicit-def: $vgpr46_vgpr47
.LBB160_2118:
	s_and_b64 vcc, exec, s[6:7]
	s_cbranch_vccz .LBB160_2120
; %bb.2119:
	global_load_ubyte v8, v[4:5], off
	s_mov_b32 s6, 0x7f800000
	s_waitcnt vmcnt(0)
	v_lshlrev_b32_e32 v8, 24, v8
	v_and_b32_e32 v9, 0x7f000000, v8
	v_ffbh_u32_e32 v10, v9
	v_min_u32_e32 v10, 32, v10
	v_sub_u32_e64 v10, v10, 4 clamp
	v_lshlrev_b32_e32 v12, v10, v9
	v_lshlrev_b32_e32 v10, 23, v10
	v_lshrrev_b32_e32 v12, 4, v12
	v_add_u32_e32 v11, 0x1000000, v9
	v_sub_u32_e32 v10, v12, v10
	v_ashrrev_i32_e32 v11, 8, v11
	v_add_u32_e32 v10, 0x3c000000, v10
	v_and_or_b32 v10, v11, s6, v10
	v_cmp_ne_u32_e32 vcc, 0, v9
	v_cndmask_b32_e32 v9, 0, v10, vcc
	s_brev_b32 s6, 1
	v_and_or_b32 v8, v8, s6, v9
	v_cvt_f64_f32_e32 v[46:47], v8
.LBB160_2120:
	s_mov_b64 s[6:7], 0
.LBB160_2121:
	s_andn2_b64 vcc, exec, s[6:7]
	s_cbranch_vccnz .LBB160_2123
; %bb.2122:
	global_load_ubyte v8, v[4:5], off
	s_movk_i32 s6, 0x7f00
	s_brev_b32 s7, 16
	s_waitcnt vmcnt(0)
	v_lshlrev_b16_e32 v9, 8, v8
	v_lshlrev_b32_e32 v8, 25, v8
	v_lshrrev_b32_e32 v10, 4, v8
	v_and_or_b32 v11, v9, s6, 0.5
	v_or_b32_e32 v10, 0x70000000, v10
	v_add_f32_e32 v11, -0.5, v11
	v_mul_f32_e32 v10, 0x7800000, v10
	v_cmp_gt_u32_e32 vcc, s7, v8
	v_bfe_i32 v9, v9, 0, 16
	v_cndmask_b32_e32 v8, v10, v11, vcc
	s_brev_b32 s6, 1
	v_and_or_b32 v8, v9, s6, v8
	v_cvt_f64_f32_e32 v[46:47], v8
.LBB160_2123:
	s_mov_b64 s[6:7], 0
	s_mov_b64 s[8:9], -1
.LBB160_2124:
	s_andn2_b64 vcc, exec, s[6:7]
	s_mov_b64 s[6:7], 0
	s_cbranch_vccnz .LBB160_2135
; %bb.2125:
	v_mov_b32_e32 v8, 14
	v_cmp_gt_i16_sdwa s[6:7], v60, v8 src0_sel:BYTE_0 src1_sel:DWORD
	s_and_b64 vcc, exec, s[6:7]
	s_cbranch_vccz .LBB160_2128
; %bb.2126:
	v_mov_b32_e32 v8, 15
	v_cmp_eq_u16_sdwa s[4:5], v60, v8 src0_sel:BYTE_0 src1_sel:DWORD
	s_and_b64 vcc, exec, s[4:5]
	s_cbranch_vccz .LBB160_2131
; %bb.2127:
	global_load_ushort v8, v[4:5], off
	s_mov_b64 s[4:5], 0
	s_mov_b64 s[8:9], -1
	s_waitcnt vmcnt(0)
	v_lshlrev_b32_e32 v8, 16, v8
	v_cvt_f64_f32_e32 v[46:47], v8
	s_branch .LBB160_2132
.LBB160_2128:
	s_mov_b64 s[10:11], -1
                                        ; implicit-def: $vgpr46_vgpr47
	s_branch .LBB160_2133
.LBB160_2129:
	s_or_saveexec_b64 s[10:11], s[10:11]
	v_pk_mov_b32 v[46:47], s[8:9], s[8:9] op_sel:[0,1]
	s_xor_b64 exec, exec, s[10:11]
	s_cbranch_execz .LBB160_2110
.LBB160_2130:
	v_cmp_ne_u16_e32 vcc, 0, v8
	s_andn2_b64 s[6:7], s[6:7], exec
	s_and_b64 s[8:9], vcc, exec
	v_pk_mov_b32 v[46:47], 0, 0
	s_or_b64 s[6:7], s[6:7], s[8:9]
	s_or_b64 exec, exec, s[10:11]
	s_and_saveexec_b64 s[8:9], s[6:7]
	s_cbranch_execnz .LBB160_2111
	s_branch .LBB160_2112
.LBB160_2131:
	s_mov_b64 s[4:5], -1
                                        ; implicit-def: $vgpr46_vgpr47
.LBB160_2132:
	s_mov_b64 s[10:11], 0
.LBB160_2133:
	s_mov_b64 s[6:7], 0
	s_and_b64 vcc, exec, s[10:11]
	s_cbranch_vccz .LBB160_2135
; %bb.2134:
	v_mov_b32_e32 v8, 11
	v_cmp_ne_u16_sdwa s[4:5], v60, v8 src0_sel:BYTE_0 src1_sel:DWORD
	s_mov_b64 s[6:7], -1
                                        ; implicit-def: $vgpr46_vgpr47
.LBB160_2135:
	s_and_b64 vcc, exec, s[4:5]
	s_cbranch_vccnz .LBB160_2200
; %bb.2136:
	s_andn2_b64 vcc, exec, s[6:7]
	s_cbranch_vccnz .LBB160_2138
.LBB160_2137:
	global_load_ubyte v8, v[4:5], off
	v_mov_b32_e32 v9, 0x3ff00000
	v_mov_b32_e32 v46, 0
	s_mov_b64 s[8:9], -1
	s_waitcnt vmcnt(0)
	v_cmp_ne_u16_e32 vcc, 0, v8
	v_cndmask_b32_e32 v47, 0, v9, vcc
.LBB160_2138:
	s_mov_b64 s[4:5], 0
.LBB160_2139:
	s_and_b64 vcc, exec, s[4:5]
	s_cbranch_vccz .LBB160_2188
; %bb.2140:
	v_mov_b32_e32 v8, 5
	v_cmp_lt_i16_sdwa s[4:5], v60, v8 src0_sel:BYTE_0 src1_sel:DWORD
	s_and_b64 vcc, exec, s[4:5]
	s_cbranch_vccnz .LBB160_2145
; %bb.2141:
	v_mov_b32_e32 v8, 8
	v_cmp_lt_i16_sdwa s[4:5], v60, v8 src0_sel:BYTE_0 src1_sel:DWORD
	s_and_b64 vcc, exec, s[4:5]
	s_cbranch_vccnz .LBB160_2146
	;; [unrolled: 5-line block ×3, first 2 shown]
; %bb.2143:
	v_cmp_gt_i16_sdwa s[4:5], v60, v8 src0_sel:BYTE_0 src1_sel:DWORD
	s_and_b64 vcc, exec, s[4:5]
	s_cbranch_vccz .LBB160_2148
; %bb.2144:
	global_load_dwordx2 v[46:47], v[4:5], off
	s_mov_b64 s[4:5], 0
	s_branch .LBB160_2149
.LBB160_2145:
	s_mov_b64 s[4:5], -1
                                        ; implicit-def: $vgpr46_vgpr47
	s_branch .LBB160_2167
.LBB160_2146:
	s_mov_b64 s[4:5], -1
                                        ; implicit-def: $vgpr46_vgpr47
	s_branch .LBB160_2155
.LBB160_2147:
	s_mov_b64 s[4:5], -1
                                        ; implicit-def: $vgpr46_vgpr47
	s_branch .LBB160_2152
.LBB160_2148:
	s_mov_b64 s[4:5], -1
                                        ; implicit-def: $vgpr46_vgpr47
.LBB160_2149:
	s_andn2_b64 vcc, exec, s[4:5]
	s_cbranch_vccnz .LBB160_2151
; %bb.2150:
	global_load_dword v8, v[4:5], off
	s_waitcnt vmcnt(0)
	v_cvt_f64_f32_e32 v[46:47], v8
.LBB160_2151:
	s_mov_b64 s[4:5], 0
.LBB160_2152:
	s_andn2_b64 vcc, exec, s[4:5]
	s_cbranch_vccnz .LBB160_2154
; %bb.2153:
	global_load_dword v8, v[4:5], off
	s_waitcnt vmcnt(0)
	v_cvt_f32_f16_e32 v8, v8
	v_cvt_f64_f32_e32 v[46:47], v8
.LBB160_2154:
	s_mov_b64 s[4:5], 0
.LBB160_2155:
	s_andn2_b64 vcc, exec, s[4:5]
	s_cbranch_vccnz .LBB160_2166
; %bb.2156:
	v_mov_b32_e32 v8, 6
	v_cmp_lt_i16_sdwa s[4:5], v60, v8 src0_sel:BYTE_0 src1_sel:DWORD
	s_and_b64 vcc, exec, s[4:5]
	s_cbranch_vccnz .LBB160_2159
; %bb.2157:
	v_cmp_gt_i16_sdwa s[4:5], v60, v8 src0_sel:BYTE_0 src1_sel:DWORD
	s_and_b64 vcc, exec, s[4:5]
	s_cbranch_vccz .LBB160_2160
; %bb.2158:
	global_load_dwordx2 v[46:47], v[4:5], off
	s_mov_b64 s[4:5], 0
	s_branch .LBB160_2161
.LBB160_2159:
	s_mov_b64 s[4:5], -1
                                        ; implicit-def: $vgpr46_vgpr47
	s_branch .LBB160_2164
.LBB160_2160:
	s_mov_b64 s[4:5], -1
                                        ; implicit-def: $vgpr46_vgpr47
.LBB160_2161:
	s_andn2_b64 vcc, exec, s[4:5]
	s_cbranch_vccnz .LBB160_2163
; %bb.2162:
	global_load_dword v8, v[4:5], off
	s_waitcnt vmcnt(0)
	v_cvt_f64_f32_e32 v[46:47], v8
.LBB160_2163:
	s_mov_b64 s[4:5], 0
.LBB160_2164:
	s_andn2_b64 vcc, exec, s[4:5]
	s_cbranch_vccnz .LBB160_2166
; %bb.2165:
	global_load_ushort v8, v[4:5], off
	s_waitcnt vmcnt(0)
	v_cvt_f32_f16_e32 v8, v8
	v_cvt_f64_f32_e32 v[46:47], v8
.LBB160_2166:
	s_mov_b64 s[4:5], 0
.LBB160_2167:
	s_andn2_b64 vcc, exec, s[4:5]
	s_cbranch_vccnz .LBB160_2187
; %bb.2168:
	v_mov_b32_e32 v8, 2
	v_cmp_lt_i16_sdwa s[4:5], v60, v8 src0_sel:BYTE_0 src1_sel:DWORD
	s_and_b64 vcc, exec, s[4:5]
	s_cbranch_vccnz .LBB160_2172
; %bb.2169:
	v_mov_b32_e32 v8, 3
	v_cmp_lt_i16_sdwa s[4:5], v60, v8 src0_sel:BYTE_0 src1_sel:DWORD
	s_and_b64 vcc, exec, s[4:5]
	s_cbranch_vccnz .LBB160_2173
; %bb.2170:
	v_cmp_gt_i16_sdwa s[4:5], v60, v8 src0_sel:BYTE_0 src1_sel:DWORD
	s_and_b64 vcc, exec, s[4:5]
	s_cbranch_vccz .LBB160_2174
; %bb.2171:
	global_load_dwordx2 v[8:9], v[4:5], off
	s_mov_b64 s[4:5], 0
	s_waitcnt vmcnt(0)
	v_cvt_f64_i32_e32 v[10:11], v9
	v_cvt_f64_u32_e32 v[8:9], v8
	v_ldexp_f64 v[10:11], v[10:11], 32
	v_add_f64 v[46:47], v[10:11], v[8:9]
	s_branch .LBB160_2175
.LBB160_2172:
	s_mov_b64 s[4:5], -1
                                        ; implicit-def: $vgpr46_vgpr47
	s_branch .LBB160_2181
.LBB160_2173:
	s_mov_b64 s[4:5], -1
                                        ; implicit-def: $vgpr46_vgpr47
	s_branch .LBB160_2178
.LBB160_2174:
	s_mov_b64 s[4:5], -1
                                        ; implicit-def: $vgpr46_vgpr47
.LBB160_2175:
	s_andn2_b64 vcc, exec, s[4:5]
	s_cbranch_vccnz .LBB160_2177
; %bb.2176:
	global_load_dword v8, v[4:5], off
	s_waitcnt vmcnt(0)
	v_cvt_f64_i32_e32 v[46:47], v8
.LBB160_2177:
	s_mov_b64 s[4:5], 0
.LBB160_2178:
	s_andn2_b64 vcc, exec, s[4:5]
	s_cbranch_vccnz .LBB160_2180
; %bb.2179:
	global_load_sshort v8, v[4:5], off
	s_waitcnt vmcnt(0)
	v_cvt_f64_i32_e32 v[46:47], v8
.LBB160_2180:
	s_mov_b64 s[4:5], 0
.LBB160_2181:
	s_andn2_b64 vcc, exec, s[4:5]
	s_cbranch_vccnz .LBB160_2187
; %bb.2182:
	v_mov_b32_e32 v8, 0
	v_cmp_gt_i16_sdwa s[4:5], v60, v8 src0_sel:BYTE_0 src1_sel:DWORD
	s_and_b64 vcc, exec, s[4:5]
	s_cbranch_vccz .LBB160_2184
; %bb.2183:
	global_load_sbyte v8, v[4:5], off
	s_mov_b64 s[4:5], 0
	s_waitcnt vmcnt(0)
	v_cvt_f64_i32_e32 v[46:47], v8
	s_branch .LBB160_2185
.LBB160_2184:
	s_mov_b64 s[4:5], -1
                                        ; implicit-def: $vgpr46_vgpr47
.LBB160_2185:
	s_andn2_b64 vcc, exec, s[4:5]
	s_cbranch_vccnz .LBB160_2187
; %bb.2186:
	global_load_ubyte v4, v[4:5], off
	s_waitcnt vmcnt(0)
	v_cvt_f64_u32_e32 v[46:47], v4
.LBB160_2187:
	s_mov_b64 s[8:9], -1
.LBB160_2188:
	s_andn2_b64 vcc, exec, s[8:9]
	s_cbranch_vccnz .LBB160_3037
; %bb.2189:
	v_add_u32_e32 v6, s17, v6
	v_ashrrev_i32_e32 v5, 31, v6
	v_mov_b32_e32 v8, s35
	v_add_co_u32_e32 v4, vcc, s34, v6
	v_addc_co_u32_e32 v5, vcc, v8, v5, vcc
	v_mov_b32_e32 v8, 11
	v_cmp_lt_i16_sdwa s[4:5], v63, v8 src0_sel:BYTE_0 src1_sel:DWORD
	s_and_b64 vcc, exec, s[4:5]
	s_cbranch_vccnz .LBB160_2196
; %bb.2190:
	v_mov_b32_e32 v8, 25
	v_cmp_gt_i16_sdwa s[4:5], v63, v8 src0_sel:BYTE_0 src1_sel:DWORD
	s_mov_b64 s[6:7], 0
	s_and_b64 vcc, exec, s[4:5]
	s_cbranch_vccz .LBB160_2197
; %bb.2191:
	v_mov_b32_e32 v8, 28
	v_cmp_gt_i16_sdwa s[4:5], v63, v8 src0_sel:BYTE_0 src1_sel:DWORD
	s_and_b64 vcc, exec, s[4:5]
	s_cbranch_vccz .LBB160_2198
; %bb.2192:
	v_mov_b32_e32 v8, 43
	v_cmp_gt_i16_sdwa s[4:5], v63, v8 src0_sel:BYTE_0 src1_sel:DWORD
	;; [unrolled: 5-line block ×3, first 2 shown]
	s_and_b64 vcc, exec, s[4:5]
	s_cbranch_vccz .LBB160_2201
; %bb.2194:
	v_mov_b32_e32 v8, 46
	v_cmp_eq_u16_sdwa s[4:5], v63, v8 src0_sel:BYTE_0 src1_sel:DWORD
	s_mov_b64 s[10:11], 0
	s_and_b64 vcc, exec, s[4:5]
	s_cbranch_vccz .LBB160_2204
; %bb.2195:
	global_load_dword v8, v[4:5], off
	s_mov_b64 s[4:5], 0
	s_mov_b64 s[8:9], -1
	s_waitcnt vmcnt(0)
	v_lshlrev_b32_e32 v8, 16, v8
	v_cvt_f64_f32_e32 v[56:57], v8
	s_branch .LBB160_2205
.LBB160_2196:
	s_mov_b64 s[4:5], -1
	s_mov_b64 s[8:9], 0
                                        ; implicit-def: $vgpr56_vgpr57
	s_branch .LBB160_2271
.LBB160_2197:
	s_mov_b64 s[10:11], -1
	s_mov_b64 s[8:9], 0
	s_mov_b64 s[4:5], 0
                                        ; implicit-def: $vgpr56_vgpr57
	s_branch .LBB160_2234
.LBB160_2198:
	s_mov_b64 s[10:11], -1
	s_mov_b64 s[8:9], 0
	s_mov_b64 s[4:5], 0
                                        ; implicit-def: $vgpr56_vgpr57
	s_branch .LBB160_2215
.LBB160_2199:
	s_mov_b64 s[10:11], -1
	s_mov_b64 s[8:9], 0
	s_mov_b64 s[4:5], 0
                                        ; implicit-def: $vgpr56_vgpr57
	s_branch .LBB160_2210
.LBB160_2200:
	s_trap 2
	s_or_b64 s[90:91], s[90:91], exec
                                        ; implicit-def: $vgpr46_vgpr47
	s_cbranch_execz .LBB160_2137
	s_branch .LBB160_2138
.LBB160_2201:
	s_mov_b64 s[10:11], -1
	s_mov_b64 s[8:9], 0
	s_mov_b64 s[4:5], 0
                                        ; implicit-def: $vgpr56_vgpr57
	s_branch .LBB160_2205
.LBB160_2202:
	s_or_saveexec_b64 s[10:11], s[10:11]
                                        ; implicit-def: $sgpr12
	s_xor_b64 exec, exec, s[10:11]
	s_cbranch_execz .LBB160_1085
.LBB160_2203:
	s_mov_b32 s12, 0x42800000
	v_add_f32_e64 v3, |v2|, s12
	v_and_b32_e32 v3, 0xff, v3
	v_cmp_ne_u32_e32 vcc, 0, v3
	s_andn2_b64 s[8:9], s[8:9], exec
	s_and_b64 s[14:15], vcc, exec
	s_mov_b32 s12, 0
	s_or_b64 s[8:9], s[8:9], s[14:15]
	s_or_b64 exec, exec, s[10:11]
	v_mov_b32_e32 v6, s12
	s_and_saveexec_b64 s[10:11], s[8:9]
	s_cbranch_execnz .LBB160_1086
	s_branch .LBB160_1087
.LBB160_2204:
	s_mov_b64 s[4:5], -1
                                        ; implicit-def: $vgpr56_vgpr57
	s_mov_b64 s[8:9], 0
.LBB160_2205:
	s_and_b64 vcc, exec, s[10:11]
	s_cbranch_vccz .LBB160_2209
; %bb.2206:
	v_mov_b32_e32 v8, 44
	v_cmp_eq_u16_sdwa s[4:5], v63, v8 src0_sel:BYTE_0 src1_sel:DWORD
	s_and_b64 vcc, exec, s[4:5]
	s_cbranch_vccz .LBB160_2208
; %bb.2207:
	global_load_ubyte v10, v[4:5], off
	s_movk_i32 s8, 0xff
	v_bfrev_b32_e32 v11, 4
	v_mov_b32_e32 v12, 0x7ff80000
	v_bfrev_b32_e32 v13, 28
	s_mov_b64 s[4:5], 0
	s_waitcnt vmcnt(0)
	v_lshlrev_b32_e32 v8, 23, v10
	v_cvt_f64_f32_e32 v[8:9], v8
	v_cmp_ne_u32_e32 vcc, s8, v10
	v_cndmask_b32_e32 v8, v11, v8, vcc
	v_cndmask_b32_e32 v9, v12, v9, vcc
	v_cmp_ne_u32_e32 vcc, 0, v10
	v_cndmask_b32_e32 v57, v13, v9, vcc
	v_cndmask_b32_e32 v56, 0, v8, vcc
	s_mov_b64 s[8:9], -1
	s_branch .LBB160_2209
.LBB160_2208:
	s_mov_b64 s[4:5], -1
                                        ; implicit-def: $vgpr56_vgpr57
.LBB160_2209:
	s_mov_b64 s[10:11], 0
.LBB160_2210:
	s_and_b64 vcc, exec, s[10:11]
	s_cbranch_vccz .LBB160_2214
; %bb.2211:
	v_mov_b32_e32 v8, 29
	v_cmp_eq_u16_sdwa s[4:5], v63, v8 src0_sel:BYTE_0 src1_sel:DWORD
	s_and_b64 vcc, exec, s[4:5]
	s_cbranch_vccz .LBB160_2213
; %bb.2212:
	global_load_dwordx2 v[8:9], v[4:5], off
	s_mov_b64 s[4:5], 0
	s_mov_b64 s[8:9], -1
	s_mov_b64 s[10:11], 0
	s_waitcnt vmcnt(0)
	v_cvt_f64_u32_e32 v[10:11], v9
	v_cvt_f64_u32_e32 v[8:9], v8
	v_ldexp_f64 v[10:11], v[10:11], 32
	v_add_f64 v[56:57], v[10:11], v[8:9]
	s_branch .LBB160_2215
.LBB160_2213:
	s_mov_b64 s[4:5], -1
                                        ; implicit-def: $vgpr56_vgpr57
.LBB160_2214:
	s_mov_b64 s[10:11], 0
.LBB160_2215:
	s_and_b64 vcc, exec, s[10:11]
	s_cbranch_vccz .LBB160_2233
; %bb.2216:
	v_mov_b32_e32 v8, 27
	v_cmp_lt_i16_sdwa s[8:9], v63, v8 src0_sel:BYTE_0 src1_sel:DWORD
	s_and_b64 vcc, exec, s[8:9]
	s_cbranch_vccnz .LBB160_2219
; %bb.2217:
	v_cmp_gt_i16_sdwa s[8:9], v63, v8 src0_sel:BYTE_0 src1_sel:DWORD
	s_and_b64 vcc, exec, s[8:9]
	s_cbranch_vccz .LBB160_2220
; %bb.2218:
	global_load_dword v8, v[4:5], off
	s_mov_b64 s[8:9], 0
	s_waitcnt vmcnt(0)
	v_cvt_f64_u32_e32 v[56:57], v8
	s_branch .LBB160_2221
.LBB160_2219:
	s_mov_b64 s[8:9], -1
                                        ; implicit-def: $vgpr56_vgpr57
	s_branch .LBB160_2224
.LBB160_2220:
	s_mov_b64 s[8:9], -1
                                        ; implicit-def: $vgpr56_vgpr57
.LBB160_2221:
	s_andn2_b64 vcc, exec, s[8:9]
	s_cbranch_vccnz .LBB160_2223
; %bb.2222:
	global_load_ushort v8, v[4:5], off
	s_waitcnt vmcnt(0)
	v_cvt_f64_u32_e32 v[56:57], v8
.LBB160_2223:
	s_mov_b64 s[8:9], 0
.LBB160_2224:
	s_andn2_b64 vcc, exec, s[8:9]
	s_cbranch_vccnz .LBB160_2232
; %bb.2225:
	global_load_ubyte v8, v[4:5], off
	s_movk_i32 s8, 0x7f
                                        ; implicit-def: $sgpr10_sgpr11
	s_waitcnt vmcnt(0)
	v_cmp_lt_i16_e32 vcc, s8, v8
	s_mov_b64 s[8:9], 0
	s_and_saveexec_b64 s[12:13], vcc
	s_xor_b64 s[12:13], exec, s[12:13]
	s_cbranch_execz .LBB160_2246
; %bb.2226:
	s_movk_i32 s8, 0x80
	v_cmp_eq_u16_e32 vcc, s8, v8
	s_mov_b64 s[14:15], -1
                                        ; implicit-def: $sgpr10_sgpr11
	s_and_saveexec_b64 s[8:9], vcc
; %bb.2227:
	s_mov_b32 s11, 0x7ff80000
	s_brev_b32 s10, 4
	s_xor_b64 s[14:15], exec, -1
; %bb.2228:
	s_or_b64 exec, exec, s[8:9]
	s_and_b64 s[8:9], s[14:15], exec
	s_or_saveexec_b64 s[12:13], s[12:13]
	v_pk_mov_b32 v[56:57], s[10:11], s[10:11] op_sel:[0,1]
	s_xor_b64 exec, exec, s[12:13]
	s_cbranch_execnz .LBB160_2247
.LBB160_2229:
	s_or_b64 exec, exec, s[12:13]
	s_and_saveexec_b64 s[10:11], s[8:9]
	s_cbranch_execz .LBB160_2231
.LBB160_2230:
	v_lshlrev_b32_e32 v9, 24, v8
	v_and_b32_e32 v8, 0xffff, v8
	v_and_b32_e32 v10, 7, v8
	v_ffbh_u32_e32 v12, v10
	v_min_u32_e32 v12, 32, v12
	v_subrev_u32_e32 v13, 28, v12
	v_bfe_u32 v11, v8, 3, 4
	v_lshlrev_b32_e32 v8, v13, v8
	v_sub_u32_e32 v12, 29, v12
	v_and_b32_e32 v8, 7, v8
	v_cmp_eq_u32_e32 vcc, 0, v11
	v_cndmask_b32_e32 v11, v11, v12, vcc
	v_cndmask_b32_e32 v8, v10, v8, vcc
	v_mov_b32_e32 v10, 0x3b800000
	v_lshlrev_b32_e32 v8, 20, v8
	v_and_b32_e32 v9, 0x80000000, v9
	v_lshl_add_u32 v10, v11, 23, v10
	v_or3_b32 v8, v9, v10, v8
	v_cvt_f64_f32_e32 v[56:57], v8
.LBB160_2231:
	s_or_b64 exec, exec, s[10:11]
.LBB160_2232:
	s_mov_b64 s[8:9], -1
.LBB160_2233:
	s_mov_b64 s[10:11], 0
.LBB160_2234:
	s_and_b64 vcc, exec, s[10:11]
	s_cbranch_vccz .LBB160_2267
; %bb.2235:
	v_mov_b32_e32 v8, 22
	v_cmp_gt_i16_sdwa s[6:7], v63, v8 src0_sel:BYTE_0 src1_sel:DWORD
	s_and_b64 vcc, exec, s[6:7]
	s_cbranch_vccz .LBB160_2245
; %bb.2236:
	v_mov_b32_e32 v8, 24
	v_cmp_lt_i16_sdwa s[6:7], v63, v8 src0_sel:BYTE_0 src1_sel:DWORD
	s_and_b64 vcc, exec, s[6:7]
	s_cbranch_vccnz .LBB160_2248
; %bb.2237:
	v_cmp_gt_i16_sdwa s[6:7], v63, v8 src0_sel:BYTE_0 src1_sel:DWORD
	s_and_b64 vcc, exec, s[6:7]
	s_cbranch_vccz .LBB160_2249
; %bb.2238:
	global_load_ubyte v8, v[4:5], off
	s_movk_i32 s6, 0x7f
                                        ; implicit-def: $sgpr8_sgpr9
	s_waitcnt vmcnt(0)
	v_cmp_lt_i16_e32 vcc, s6, v8
	s_mov_b64 s[6:7], 0
	s_and_saveexec_b64 s[10:11], vcc
	s_xor_b64 s[10:11], exec, s[10:11]
	s_cbranch_execz .LBB160_2261
; %bb.2239:
	s_movk_i32 s6, 0x80
	v_cmp_eq_u16_e32 vcc, s6, v8
	s_mov_b64 s[12:13], -1
                                        ; implicit-def: $sgpr8_sgpr9
	s_and_saveexec_b64 s[6:7], vcc
; %bb.2240:
	s_mov_b32 s9, 0x7ff80000
	s_brev_b32 s8, 4
	s_xor_b64 s[12:13], exec, -1
; %bb.2241:
	s_or_b64 exec, exec, s[6:7]
	s_and_b64 s[6:7], s[12:13], exec
	s_or_saveexec_b64 s[10:11], s[10:11]
	v_pk_mov_b32 v[56:57], s[8:9], s[8:9] op_sel:[0,1]
	s_xor_b64 exec, exec, s[10:11]
	s_cbranch_execnz .LBB160_2262
.LBB160_2242:
	s_or_b64 exec, exec, s[10:11]
	s_and_saveexec_b64 s[8:9], s[6:7]
	s_cbranch_execz .LBB160_2244
.LBB160_2243:
	v_lshlrev_b32_e32 v9, 24, v8
	v_and_b32_e32 v8, 0xffff, v8
	v_and_b32_e32 v10, 3, v8
	v_ffbh_u32_e32 v12, v10
	v_min_u32_e32 v12, 32, v12
	v_subrev_u32_e32 v13, 29, v12
	v_bfe_u32 v11, v8, 2, 5
	v_lshlrev_b32_e32 v8, v13, v8
	v_sub_u32_e32 v12, 30, v12
	v_and_b32_e32 v8, 3, v8
	v_cmp_eq_u32_e32 vcc, 0, v11
	v_cndmask_b32_e32 v11, v11, v12, vcc
	v_cndmask_b32_e32 v8, v10, v8, vcc
	v_mov_b32_e32 v10, 0x37800000
	v_lshlrev_b32_e32 v8, 21, v8
	v_and_b32_e32 v9, 0x80000000, v9
	v_lshl_add_u32 v10, v11, 23, v10
	v_or3_b32 v8, v9, v10, v8
	v_cvt_f64_f32_e32 v[56:57], v8
.LBB160_2244:
	s_or_b64 exec, exec, s[8:9]
	s_mov_b64 s[6:7], 0
	s_branch .LBB160_2250
.LBB160_2245:
	s_mov_b64 s[6:7], -1
                                        ; implicit-def: $vgpr56_vgpr57
	s_branch .LBB160_2256
.LBB160_2246:
	s_or_saveexec_b64 s[12:13], s[12:13]
	v_pk_mov_b32 v[56:57], s[10:11], s[10:11] op_sel:[0,1]
	s_xor_b64 exec, exec, s[12:13]
	s_cbranch_execz .LBB160_2229
.LBB160_2247:
	v_cmp_ne_u16_e32 vcc, 0, v8
	s_andn2_b64 s[8:9], s[8:9], exec
	s_and_b64 s[10:11], vcc, exec
	v_pk_mov_b32 v[56:57], 0, 0
	s_or_b64 s[8:9], s[8:9], s[10:11]
	s_or_b64 exec, exec, s[12:13]
	s_and_saveexec_b64 s[10:11], s[8:9]
	s_cbranch_execnz .LBB160_2230
	s_branch .LBB160_2231
.LBB160_2248:
	s_mov_b64 s[6:7], -1
                                        ; implicit-def: $vgpr56_vgpr57
	s_branch .LBB160_2253
.LBB160_2249:
	s_mov_b64 s[6:7], -1
                                        ; implicit-def: $vgpr56_vgpr57
.LBB160_2250:
	s_and_b64 vcc, exec, s[6:7]
	s_cbranch_vccz .LBB160_2252
; %bb.2251:
	global_load_ubyte v8, v[4:5], off
	s_mov_b32 s6, 0x7f800000
	s_waitcnt vmcnt(0)
	v_lshlrev_b32_e32 v8, 24, v8
	v_and_b32_e32 v9, 0x7f000000, v8
	v_ffbh_u32_e32 v10, v9
	v_min_u32_e32 v10, 32, v10
	v_sub_u32_e64 v10, v10, 4 clamp
	v_lshlrev_b32_e32 v12, v10, v9
	v_lshlrev_b32_e32 v10, 23, v10
	v_lshrrev_b32_e32 v12, 4, v12
	v_add_u32_e32 v11, 0x1000000, v9
	v_sub_u32_e32 v10, v12, v10
	v_ashrrev_i32_e32 v11, 8, v11
	v_add_u32_e32 v10, 0x3c000000, v10
	v_and_or_b32 v10, v11, s6, v10
	v_cmp_ne_u32_e32 vcc, 0, v9
	v_cndmask_b32_e32 v9, 0, v10, vcc
	s_brev_b32 s6, 1
	v_and_or_b32 v8, v8, s6, v9
	v_cvt_f64_f32_e32 v[56:57], v8
.LBB160_2252:
	s_mov_b64 s[6:7], 0
.LBB160_2253:
	s_andn2_b64 vcc, exec, s[6:7]
	s_cbranch_vccnz .LBB160_2255
; %bb.2254:
	global_load_ubyte v8, v[4:5], off
	s_movk_i32 s6, 0x7f00
	s_brev_b32 s7, 16
	s_waitcnt vmcnt(0)
	v_lshlrev_b16_e32 v9, 8, v8
	v_lshlrev_b32_e32 v8, 25, v8
	v_lshrrev_b32_e32 v10, 4, v8
	v_and_or_b32 v11, v9, s6, 0.5
	v_or_b32_e32 v10, 0x70000000, v10
	v_add_f32_e32 v11, -0.5, v11
	v_mul_f32_e32 v10, 0x7800000, v10
	v_cmp_gt_u32_e32 vcc, s7, v8
	v_bfe_i32 v9, v9, 0, 16
	v_cndmask_b32_e32 v8, v10, v11, vcc
	s_brev_b32 s6, 1
	v_and_or_b32 v8, v9, s6, v8
	v_cvt_f64_f32_e32 v[56:57], v8
.LBB160_2255:
	s_mov_b64 s[6:7], 0
	s_mov_b64 s[8:9], -1
.LBB160_2256:
	s_andn2_b64 vcc, exec, s[6:7]
	s_mov_b64 s[6:7], 0
	s_cbranch_vccnz .LBB160_2267
; %bb.2257:
	v_mov_b32_e32 v8, 14
	v_cmp_gt_i16_sdwa s[6:7], v63, v8 src0_sel:BYTE_0 src1_sel:DWORD
	s_and_b64 vcc, exec, s[6:7]
	s_cbranch_vccz .LBB160_2260
; %bb.2258:
	v_mov_b32_e32 v8, 15
	v_cmp_eq_u16_sdwa s[4:5], v63, v8 src0_sel:BYTE_0 src1_sel:DWORD
	s_and_b64 vcc, exec, s[4:5]
	s_cbranch_vccz .LBB160_2263
; %bb.2259:
	global_load_ushort v8, v[4:5], off
	s_mov_b64 s[4:5], 0
	s_mov_b64 s[8:9], -1
	s_waitcnt vmcnt(0)
	v_lshlrev_b32_e32 v8, 16, v8
	v_cvt_f64_f32_e32 v[56:57], v8
	s_branch .LBB160_2264
.LBB160_2260:
	s_mov_b64 s[10:11], -1
                                        ; implicit-def: $vgpr56_vgpr57
	s_branch .LBB160_2265
.LBB160_2261:
	s_or_saveexec_b64 s[10:11], s[10:11]
	v_pk_mov_b32 v[56:57], s[8:9], s[8:9] op_sel:[0,1]
	s_xor_b64 exec, exec, s[10:11]
	s_cbranch_execz .LBB160_2242
.LBB160_2262:
	v_cmp_ne_u16_e32 vcc, 0, v8
	s_andn2_b64 s[6:7], s[6:7], exec
	s_and_b64 s[8:9], vcc, exec
	v_pk_mov_b32 v[56:57], 0, 0
	s_or_b64 s[6:7], s[6:7], s[8:9]
	s_or_b64 exec, exec, s[10:11]
	s_and_saveexec_b64 s[8:9], s[6:7]
	s_cbranch_execnz .LBB160_2243
	s_branch .LBB160_2244
.LBB160_2263:
	s_mov_b64 s[4:5], -1
                                        ; implicit-def: $vgpr56_vgpr57
.LBB160_2264:
	s_mov_b64 s[10:11], 0
.LBB160_2265:
	s_mov_b64 s[6:7], 0
	s_and_b64 vcc, exec, s[10:11]
	s_cbranch_vccz .LBB160_2267
; %bb.2266:
	v_mov_b32_e32 v8, 11
	v_cmp_ne_u16_sdwa s[4:5], v63, v8 src0_sel:BYTE_0 src1_sel:DWORD
	s_mov_b64 s[6:7], -1
                                        ; implicit-def: $vgpr56_vgpr57
.LBB160_2267:
	s_and_b64 vcc, exec, s[4:5]
	s_cbranch_vccnz .LBB160_2332
; %bb.2268:
	s_andn2_b64 vcc, exec, s[6:7]
	s_cbranch_vccnz .LBB160_2270
.LBB160_2269:
	global_load_ubyte v8, v[4:5], off
	v_mov_b32_e32 v9, 0x3ff00000
	v_mov_b32_e32 v56, 0
	s_mov_b64 s[8:9], -1
	s_waitcnt vmcnt(0)
	v_cmp_ne_u16_e32 vcc, 0, v8
	v_cndmask_b32_e32 v57, 0, v9, vcc
.LBB160_2270:
	s_mov_b64 s[4:5], 0
.LBB160_2271:
	s_and_b64 vcc, exec, s[4:5]
	s_cbranch_vccz .LBB160_2320
; %bb.2272:
	v_mov_b32_e32 v8, 5
	v_cmp_lt_i16_sdwa s[4:5], v63, v8 src0_sel:BYTE_0 src1_sel:DWORD
	s_and_b64 vcc, exec, s[4:5]
	s_cbranch_vccnz .LBB160_2277
; %bb.2273:
	v_mov_b32_e32 v8, 8
	v_cmp_lt_i16_sdwa s[4:5], v63, v8 src0_sel:BYTE_0 src1_sel:DWORD
	s_and_b64 vcc, exec, s[4:5]
	s_cbranch_vccnz .LBB160_2278
; %bb.2274:
	v_mov_b32_e32 v8, 9
	v_cmp_lt_i16_sdwa s[4:5], v63, v8 src0_sel:BYTE_0 src1_sel:DWORD
	s_and_b64 vcc, exec, s[4:5]
	s_cbranch_vccnz .LBB160_2279
; %bb.2275:
	v_cmp_gt_i16_sdwa s[4:5], v63, v8 src0_sel:BYTE_0 src1_sel:DWORD
	s_and_b64 vcc, exec, s[4:5]
	s_cbranch_vccz .LBB160_2280
; %bb.2276:
	global_load_dwordx2 v[56:57], v[4:5], off
	s_mov_b64 s[4:5], 0
	s_branch .LBB160_2281
.LBB160_2277:
	s_mov_b64 s[4:5], -1
                                        ; implicit-def: $vgpr56_vgpr57
	s_branch .LBB160_2299
.LBB160_2278:
	s_mov_b64 s[4:5], -1
                                        ; implicit-def: $vgpr56_vgpr57
	s_branch .LBB160_2287
.LBB160_2279:
	s_mov_b64 s[4:5], -1
                                        ; implicit-def: $vgpr56_vgpr57
	s_branch .LBB160_2284
.LBB160_2280:
	s_mov_b64 s[4:5], -1
                                        ; implicit-def: $vgpr56_vgpr57
.LBB160_2281:
	s_andn2_b64 vcc, exec, s[4:5]
	s_cbranch_vccnz .LBB160_2283
; %bb.2282:
	global_load_dword v8, v[4:5], off
	s_waitcnt vmcnt(0)
	v_cvt_f64_f32_e32 v[56:57], v8
.LBB160_2283:
	s_mov_b64 s[4:5], 0
.LBB160_2284:
	s_andn2_b64 vcc, exec, s[4:5]
	s_cbranch_vccnz .LBB160_2286
; %bb.2285:
	global_load_dword v8, v[4:5], off
	s_waitcnt vmcnt(0)
	v_cvt_f32_f16_e32 v8, v8
	v_cvt_f64_f32_e32 v[56:57], v8
.LBB160_2286:
	s_mov_b64 s[4:5], 0
.LBB160_2287:
	s_andn2_b64 vcc, exec, s[4:5]
	s_cbranch_vccnz .LBB160_2298
; %bb.2288:
	v_mov_b32_e32 v8, 6
	v_cmp_lt_i16_sdwa s[4:5], v63, v8 src0_sel:BYTE_0 src1_sel:DWORD
	s_and_b64 vcc, exec, s[4:5]
	s_cbranch_vccnz .LBB160_2291
; %bb.2289:
	v_cmp_gt_i16_sdwa s[4:5], v63, v8 src0_sel:BYTE_0 src1_sel:DWORD
	s_and_b64 vcc, exec, s[4:5]
	s_cbranch_vccz .LBB160_2292
; %bb.2290:
	global_load_dwordx2 v[56:57], v[4:5], off
	s_mov_b64 s[4:5], 0
	s_branch .LBB160_2293
.LBB160_2291:
	s_mov_b64 s[4:5], -1
                                        ; implicit-def: $vgpr56_vgpr57
	s_branch .LBB160_2296
.LBB160_2292:
	s_mov_b64 s[4:5], -1
                                        ; implicit-def: $vgpr56_vgpr57
.LBB160_2293:
	s_andn2_b64 vcc, exec, s[4:5]
	s_cbranch_vccnz .LBB160_2295
; %bb.2294:
	global_load_dword v8, v[4:5], off
	s_waitcnt vmcnt(0)
	v_cvt_f64_f32_e32 v[56:57], v8
.LBB160_2295:
	s_mov_b64 s[4:5], 0
.LBB160_2296:
	s_andn2_b64 vcc, exec, s[4:5]
	s_cbranch_vccnz .LBB160_2298
; %bb.2297:
	global_load_ushort v8, v[4:5], off
	s_waitcnt vmcnt(0)
	v_cvt_f32_f16_e32 v8, v8
	v_cvt_f64_f32_e32 v[56:57], v8
.LBB160_2298:
	s_mov_b64 s[4:5], 0
.LBB160_2299:
	s_andn2_b64 vcc, exec, s[4:5]
	s_cbranch_vccnz .LBB160_2319
; %bb.2300:
	v_mov_b32_e32 v8, 2
	v_cmp_lt_i16_sdwa s[4:5], v63, v8 src0_sel:BYTE_0 src1_sel:DWORD
	s_and_b64 vcc, exec, s[4:5]
	s_cbranch_vccnz .LBB160_2304
; %bb.2301:
	v_mov_b32_e32 v8, 3
	v_cmp_lt_i16_sdwa s[4:5], v63, v8 src0_sel:BYTE_0 src1_sel:DWORD
	s_and_b64 vcc, exec, s[4:5]
	s_cbranch_vccnz .LBB160_2305
; %bb.2302:
	v_cmp_gt_i16_sdwa s[4:5], v63, v8 src0_sel:BYTE_0 src1_sel:DWORD
	s_and_b64 vcc, exec, s[4:5]
	s_cbranch_vccz .LBB160_2306
; %bb.2303:
	global_load_dwordx2 v[8:9], v[4:5], off
	s_mov_b64 s[4:5], 0
	s_waitcnt vmcnt(0)
	v_cvt_f64_i32_e32 v[10:11], v9
	v_cvt_f64_u32_e32 v[8:9], v8
	v_ldexp_f64 v[10:11], v[10:11], 32
	v_add_f64 v[56:57], v[10:11], v[8:9]
	s_branch .LBB160_2307
.LBB160_2304:
	s_mov_b64 s[4:5], -1
                                        ; implicit-def: $vgpr56_vgpr57
	s_branch .LBB160_2313
.LBB160_2305:
	s_mov_b64 s[4:5], -1
                                        ; implicit-def: $vgpr56_vgpr57
	s_branch .LBB160_2310
.LBB160_2306:
	s_mov_b64 s[4:5], -1
                                        ; implicit-def: $vgpr56_vgpr57
.LBB160_2307:
	s_andn2_b64 vcc, exec, s[4:5]
	s_cbranch_vccnz .LBB160_2309
; %bb.2308:
	global_load_dword v8, v[4:5], off
	s_waitcnt vmcnt(0)
	v_cvt_f64_i32_e32 v[56:57], v8
.LBB160_2309:
	s_mov_b64 s[4:5], 0
.LBB160_2310:
	s_andn2_b64 vcc, exec, s[4:5]
	s_cbranch_vccnz .LBB160_2312
; %bb.2311:
	global_load_sshort v8, v[4:5], off
	s_waitcnt vmcnt(0)
	v_cvt_f64_i32_e32 v[56:57], v8
.LBB160_2312:
	s_mov_b64 s[4:5], 0
.LBB160_2313:
	s_andn2_b64 vcc, exec, s[4:5]
	s_cbranch_vccnz .LBB160_2319
; %bb.2314:
	v_mov_b32_e32 v8, 0
	v_cmp_gt_i16_sdwa s[4:5], v63, v8 src0_sel:BYTE_0 src1_sel:DWORD
	s_and_b64 vcc, exec, s[4:5]
	s_cbranch_vccz .LBB160_2316
; %bb.2315:
	global_load_sbyte v8, v[4:5], off
	s_mov_b64 s[4:5], 0
	s_waitcnt vmcnt(0)
	v_cvt_f64_i32_e32 v[56:57], v8
	s_branch .LBB160_2317
.LBB160_2316:
	s_mov_b64 s[4:5], -1
                                        ; implicit-def: $vgpr56_vgpr57
.LBB160_2317:
	s_andn2_b64 vcc, exec, s[4:5]
	s_cbranch_vccnz .LBB160_2319
; %bb.2318:
	global_load_ubyte v4, v[4:5], off
	s_waitcnt vmcnt(0)
	v_cvt_f64_u32_e32 v[56:57], v4
.LBB160_2319:
	s_mov_b64 s[8:9], -1
.LBB160_2320:
	s_andn2_b64 vcc, exec, s[8:9]
	s_cbranch_vccnz .LBB160_3037
; %bb.2321:
	v_add_u32_e32 v4, s16, v7
	v_ashrrev_i32_e32 v5, 31, v4
	v_mov_b32_e32 v7, s79
	v_add_co_u32_e32 v4, vcc, s78, v4
	v_addc_co_u32_e32 v5, vcc, v7, v5, vcc
	v_mov_b32_e32 v7, 11
	v_cmp_lt_i16_sdwa s[4:5], v60, v7 src0_sel:BYTE_0 src1_sel:DWORD
	s_and_b64 vcc, exec, s[4:5]
	s_cbranch_vccnz .LBB160_2328
; %bb.2322:
	v_mov_b32_e32 v7, 25
	v_cmp_gt_i16_sdwa s[4:5], v60, v7 src0_sel:BYTE_0 src1_sel:DWORD
	s_mov_b64 s[6:7], 0
	s_and_b64 vcc, exec, s[4:5]
	s_cbranch_vccz .LBB160_2329
; %bb.2323:
	v_mov_b32_e32 v7, 28
	v_cmp_gt_i16_sdwa s[4:5], v60, v7 src0_sel:BYTE_0 src1_sel:DWORD
	s_and_b64 vcc, exec, s[4:5]
	s_cbranch_vccz .LBB160_2330
; %bb.2324:
	v_mov_b32_e32 v7, 43
	v_cmp_gt_i16_sdwa s[4:5], v60, v7 src0_sel:BYTE_0 src1_sel:DWORD
	;; [unrolled: 5-line block ×3, first 2 shown]
	s_and_b64 vcc, exec, s[4:5]
	s_cbranch_vccz .LBB160_2333
; %bb.2326:
	v_mov_b32_e32 v7, 46
	v_cmp_eq_u16_sdwa s[4:5], v60, v7 src0_sel:BYTE_0 src1_sel:DWORD
	s_mov_b64 s[10:11], 0
	s_and_b64 vcc, exec, s[4:5]
	s_cbranch_vccz .LBB160_2334
; %bb.2327:
	global_load_dword v7, v[4:5], off
	s_mov_b64 s[4:5], 0
	s_mov_b64 s[8:9], -1
	s_waitcnt vmcnt(0)
	v_lshlrev_b32_e32 v7, 16, v7
	v_cvt_f64_f32_e32 v[58:59], v7
	s_branch .LBB160_2335
.LBB160_2328:
	s_mov_b64 s[4:5], -1
	s_mov_b64 s[8:9], 0
                                        ; implicit-def: $vgpr58_vgpr59
	s_branch .LBB160_2401
.LBB160_2329:
	s_mov_b64 s[10:11], -1
	s_mov_b64 s[8:9], 0
	s_mov_b64 s[4:5], 0
                                        ; implicit-def: $vgpr58_vgpr59
	s_branch .LBB160_2364
.LBB160_2330:
	s_mov_b64 s[10:11], -1
	s_mov_b64 s[8:9], 0
	s_mov_b64 s[4:5], 0
                                        ; implicit-def: $vgpr58_vgpr59
	s_branch .LBB160_2345
.LBB160_2331:
	s_mov_b64 s[10:11], -1
	s_mov_b64 s[8:9], 0
	s_mov_b64 s[4:5], 0
                                        ; implicit-def: $vgpr58_vgpr59
	s_branch .LBB160_2340
.LBB160_2332:
	s_trap 2
	s_or_b64 s[90:91], s[90:91], exec
                                        ; implicit-def: $vgpr56_vgpr57
	s_cbranch_execz .LBB160_2269
	s_branch .LBB160_2270
.LBB160_2333:
	s_mov_b64 s[10:11], -1
	s_mov_b64 s[8:9], 0
	s_mov_b64 s[4:5], 0
                                        ; implicit-def: $vgpr58_vgpr59
	s_branch .LBB160_2335
.LBB160_2334:
	s_mov_b64 s[4:5], -1
                                        ; implicit-def: $vgpr58_vgpr59
	s_mov_b64 s[8:9], 0
.LBB160_2335:
	s_and_b64 vcc, exec, s[10:11]
	s_cbranch_vccz .LBB160_2339
; %bb.2336:
	v_mov_b32_e32 v7, 44
	v_cmp_eq_u16_sdwa s[4:5], v60, v7 src0_sel:BYTE_0 src1_sel:DWORD
	s_and_b64 vcc, exec, s[4:5]
	s_cbranch_vccz .LBB160_2338
; %bb.2337:
	global_load_ubyte v7, v[4:5], off
	s_movk_i32 s8, 0xff
	v_bfrev_b32_e32 v10, 4
	v_mov_b32_e32 v11, 0x7ff80000
	v_bfrev_b32_e32 v12, 28
	s_mov_b64 s[4:5], 0
	s_waitcnt vmcnt(0)
	v_lshlrev_b32_e32 v8, 23, v7
	v_cvt_f64_f32_e32 v[8:9], v8
	v_cmp_ne_u32_e32 vcc, s8, v7
	v_cndmask_b32_e32 v8, v10, v8, vcc
	v_cndmask_b32_e32 v9, v11, v9, vcc
	v_cmp_ne_u32_e32 vcc, 0, v7
	v_cndmask_b32_e32 v59, v12, v9, vcc
	v_cndmask_b32_e32 v58, 0, v8, vcc
	s_mov_b64 s[8:9], -1
	s_branch .LBB160_2339
.LBB160_2338:
	s_mov_b64 s[4:5], -1
                                        ; implicit-def: $vgpr58_vgpr59
.LBB160_2339:
	s_mov_b64 s[10:11], 0
.LBB160_2340:
	s_and_b64 vcc, exec, s[10:11]
	s_cbranch_vccz .LBB160_2344
; %bb.2341:
	v_mov_b32_e32 v7, 29
	v_cmp_eq_u16_sdwa s[4:5], v60, v7 src0_sel:BYTE_0 src1_sel:DWORD
	s_and_b64 vcc, exec, s[4:5]
	s_cbranch_vccz .LBB160_2343
; %bb.2342:
	global_load_dwordx2 v[8:9], v[4:5], off
	s_mov_b64 s[4:5], 0
	s_mov_b64 s[8:9], -1
	s_mov_b64 s[10:11], 0
	s_waitcnt vmcnt(0)
	v_cvt_f64_u32_e32 v[10:11], v9
	v_cvt_f64_u32_e32 v[8:9], v8
	v_ldexp_f64 v[10:11], v[10:11], 32
	v_add_f64 v[58:59], v[10:11], v[8:9]
	s_branch .LBB160_2345
.LBB160_2343:
	s_mov_b64 s[4:5], -1
                                        ; implicit-def: $vgpr58_vgpr59
.LBB160_2344:
	s_mov_b64 s[10:11], 0
.LBB160_2345:
	s_and_b64 vcc, exec, s[10:11]
	s_cbranch_vccz .LBB160_2363
; %bb.2346:
	v_mov_b32_e32 v7, 27
	v_cmp_lt_i16_sdwa s[8:9], v60, v7 src0_sel:BYTE_0 src1_sel:DWORD
	s_and_b64 vcc, exec, s[8:9]
	s_cbranch_vccnz .LBB160_2349
; %bb.2347:
	v_cmp_gt_i16_sdwa s[8:9], v60, v7 src0_sel:BYTE_0 src1_sel:DWORD
	s_and_b64 vcc, exec, s[8:9]
	s_cbranch_vccz .LBB160_2350
; %bb.2348:
	global_load_dword v7, v[4:5], off
	s_mov_b64 s[8:9], 0
	s_waitcnt vmcnt(0)
	v_cvt_f64_u32_e32 v[58:59], v7
	s_branch .LBB160_2351
.LBB160_2349:
	s_mov_b64 s[8:9], -1
                                        ; implicit-def: $vgpr58_vgpr59
	s_branch .LBB160_2354
.LBB160_2350:
	s_mov_b64 s[8:9], -1
                                        ; implicit-def: $vgpr58_vgpr59
.LBB160_2351:
	s_andn2_b64 vcc, exec, s[8:9]
	s_cbranch_vccnz .LBB160_2353
; %bb.2352:
	global_load_ushort v7, v[4:5], off
	s_waitcnt vmcnt(0)
	v_cvt_f64_u32_e32 v[58:59], v7
.LBB160_2353:
	s_mov_b64 s[8:9], 0
.LBB160_2354:
	s_andn2_b64 vcc, exec, s[8:9]
	s_cbranch_vccnz .LBB160_2362
; %bb.2355:
	global_load_ubyte v7, v[4:5], off
	s_movk_i32 s8, 0x7f
                                        ; implicit-def: $sgpr10_sgpr11
	s_waitcnt vmcnt(0)
	v_cmp_lt_i16_e32 vcc, s8, v7
	s_mov_b64 s[8:9], 0
	s_and_saveexec_b64 s[12:13], vcc
	s_xor_b64 s[12:13], exec, s[12:13]
	s_cbranch_execz .LBB160_2376
; %bb.2356:
	s_movk_i32 s8, 0x80
	v_cmp_eq_u16_e32 vcc, s8, v7
	s_mov_b64 s[14:15], -1
                                        ; implicit-def: $sgpr10_sgpr11
	s_and_saveexec_b64 s[8:9], vcc
; %bb.2357:
	s_mov_b32 s11, 0x7ff80000
	s_brev_b32 s10, 4
	s_xor_b64 s[14:15], exec, -1
; %bb.2358:
	s_or_b64 exec, exec, s[8:9]
	s_and_b64 s[8:9], s[14:15], exec
	s_or_saveexec_b64 s[12:13], s[12:13]
	v_pk_mov_b32 v[58:59], s[10:11], s[10:11] op_sel:[0,1]
	s_xor_b64 exec, exec, s[12:13]
	s_cbranch_execnz .LBB160_2377
.LBB160_2359:
	s_or_b64 exec, exec, s[12:13]
	s_and_saveexec_b64 s[10:11], s[8:9]
	s_cbranch_execz .LBB160_2361
.LBB160_2360:
	v_lshlrev_b32_e32 v8, 24, v7
	v_and_b32_e32 v7, 0xffff, v7
	v_and_b32_e32 v9, 7, v7
	v_ffbh_u32_e32 v11, v9
	v_min_u32_e32 v11, 32, v11
	v_subrev_u32_e32 v12, 28, v11
	v_bfe_u32 v10, v7, 3, 4
	v_lshlrev_b32_e32 v7, v12, v7
	v_sub_u32_e32 v11, 29, v11
	v_and_b32_e32 v7, 7, v7
	v_cmp_eq_u32_e32 vcc, 0, v10
	v_cndmask_b32_e32 v10, v10, v11, vcc
	v_cndmask_b32_e32 v7, v9, v7, vcc
	v_mov_b32_e32 v9, 0x3b800000
	v_lshlrev_b32_e32 v7, 20, v7
	v_and_b32_e32 v8, 0x80000000, v8
	v_lshl_add_u32 v9, v10, 23, v9
	v_or3_b32 v7, v8, v9, v7
	v_cvt_f64_f32_e32 v[58:59], v7
.LBB160_2361:
	s_or_b64 exec, exec, s[10:11]
.LBB160_2362:
	s_mov_b64 s[8:9], -1
.LBB160_2363:
	s_mov_b64 s[10:11], 0
.LBB160_2364:
	s_and_b64 vcc, exec, s[10:11]
	s_cbranch_vccz .LBB160_2397
; %bb.2365:
	v_mov_b32_e32 v7, 22
	v_cmp_gt_i16_sdwa s[6:7], v60, v7 src0_sel:BYTE_0 src1_sel:DWORD
	s_and_b64 vcc, exec, s[6:7]
	s_cbranch_vccz .LBB160_2375
; %bb.2366:
	v_mov_b32_e32 v7, 24
	v_cmp_lt_i16_sdwa s[6:7], v60, v7 src0_sel:BYTE_0 src1_sel:DWORD
	s_and_b64 vcc, exec, s[6:7]
	s_cbranch_vccnz .LBB160_2378
; %bb.2367:
	v_cmp_gt_i16_sdwa s[6:7], v60, v7 src0_sel:BYTE_0 src1_sel:DWORD
	s_and_b64 vcc, exec, s[6:7]
	s_cbranch_vccz .LBB160_2379
; %bb.2368:
	global_load_ubyte v7, v[4:5], off
	s_movk_i32 s6, 0x7f
                                        ; implicit-def: $sgpr8_sgpr9
	s_waitcnt vmcnt(0)
	v_cmp_lt_i16_e32 vcc, s6, v7
	s_mov_b64 s[6:7], 0
	s_and_saveexec_b64 s[10:11], vcc
	s_xor_b64 s[10:11], exec, s[10:11]
	s_cbranch_execz .LBB160_2391
; %bb.2369:
	s_movk_i32 s6, 0x80
	v_cmp_eq_u16_e32 vcc, s6, v7
	s_mov_b64 s[12:13], -1
                                        ; implicit-def: $sgpr8_sgpr9
	s_and_saveexec_b64 s[6:7], vcc
; %bb.2370:
	s_mov_b32 s9, 0x7ff80000
	s_brev_b32 s8, 4
	s_xor_b64 s[12:13], exec, -1
; %bb.2371:
	s_or_b64 exec, exec, s[6:7]
	s_and_b64 s[6:7], s[12:13], exec
	s_or_saveexec_b64 s[10:11], s[10:11]
	v_pk_mov_b32 v[58:59], s[8:9], s[8:9] op_sel:[0,1]
	s_xor_b64 exec, exec, s[10:11]
	s_cbranch_execnz .LBB160_2392
.LBB160_2372:
	s_or_b64 exec, exec, s[10:11]
	s_and_saveexec_b64 s[8:9], s[6:7]
	s_cbranch_execz .LBB160_2374
.LBB160_2373:
	v_lshlrev_b32_e32 v8, 24, v7
	v_and_b32_e32 v7, 0xffff, v7
	v_and_b32_e32 v9, 3, v7
	v_ffbh_u32_e32 v11, v9
	v_min_u32_e32 v11, 32, v11
	v_subrev_u32_e32 v12, 29, v11
	v_bfe_u32 v10, v7, 2, 5
	v_lshlrev_b32_e32 v7, v12, v7
	v_sub_u32_e32 v11, 30, v11
	v_and_b32_e32 v7, 3, v7
	v_cmp_eq_u32_e32 vcc, 0, v10
	v_cndmask_b32_e32 v10, v10, v11, vcc
	v_cndmask_b32_e32 v7, v9, v7, vcc
	v_mov_b32_e32 v9, 0x37800000
	v_lshlrev_b32_e32 v7, 21, v7
	v_and_b32_e32 v8, 0x80000000, v8
	v_lshl_add_u32 v9, v10, 23, v9
	v_or3_b32 v7, v8, v9, v7
	v_cvt_f64_f32_e32 v[58:59], v7
.LBB160_2374:
	s_or_b64 exec, exec, s[8:9]
	s_mov_b64 s[6:7], 0
	s_branch .LBB160_2380
.LBB160_2375:
	s_mov_b64 s[6:7], -1
                                        ; implicit-def: $vgpr58_vgpr59
	s_branch .LBB160_2386
.LBB160_2376:
	s_or_saveexec_b64 s[12:13], s[12:13]
	v_pk_mov_b32 v[58:59], s[10:11], s[10:11] op_sel:[0,1]
	s_xor_b64 exec, exec, s[12:13]
	s_cbranch_execz .LBB160_2359
.LBB160_2377:
	v_cmp_ne_u16_e32 vcc, 0, v7
	s_andn2_b64 s[8:9], s[8:9], exec
	s_and_b64 s[10:11], vcc, exec
	v_pk_mov_b32 v[58:59], 0, 0
	s_or_b64 s[8:9], s[8:9], s[10:11]
	s_or_b64 exec, exec, s[12:13]
	s_and_saveexec_b64 s[10:11], s[8:9]
	s_cbranch_execnz .LBB160_2360
	s_branch .LBB160_2361
.LBB160_2378:
	s_mov_b64 s[6:7], -1
                                        ; implicit-def: $vgpr58_vgpr59
	s_branch .LBB160_2383
.LBB160_2379:
	s_mov_b64 s[6:7], -1
                                        ; implicit-def: $vgpr58_vgpr59
.LBB160_2380:
	s_and_b64 vcc, exec, s[6:7]
	s_cbranch_vccz .LBB160_2382
; %bb.2381:
	global_load_ubyte v7, v[4:5], off
	s_mov_b32 s6, 0x7f800000
	s_waitcnt vmcnt(0)
	v_lshlrev_b32_e32 v7, 24, v7
	v_and_b32_e32 v8, 0x7f000000, v7
	v_ffbh_u32_e32 v9, v8
	v_min_u32_e32 v9, 32, v9
	v_sub_u32_e64 v9, v9, 4 clamp
	v_lshlrev_b32_e32 v11, v9, v8
	v_lshlrev_b32_e32 v9, 23, v9
	v_lshrrev_b32_e32 v11, 4, v11
	v_add_u32_e32 v10, 0x1000000, v8
	v_sub_u32_e32 v9, v11, v9
	v_ashrrev_i32_e32 v10, 8, v10
	v_add_u32_e32 v9, 0x3c000000, v9
	v_and_or_b32 v9, v10, s6, v9
	v_cmp_ne_u32_e32 vcc, 0, v8
	v_cndmask_b32_e32 v8, 0, v9, vcc
	s_brev_b32 s6, 1
	v_and_or_b32 v7, v7, s6, v8
	v_cvt_f64_f32_e32 v[58:59], v7
.LBB160_2382:
	s_mov_b64 s[6:7], 0
.LBB160_2383:
	s_andn2_b64 vcc, exec, s[6:7]
	s_cbranch_vccnz .LBB160_2385
; %bb.2384:
	global_load_ubyte v7, v[4:5], off
	s_movk_i32 s6, 0x7f00
	s_brev_b32 s7, 16
	s_waitcnt vmcnt(0)
	v_lshlrev_b16_e32 v8, 8, v7
	v_lshlrev_b32_e32 v7, 25, v7
	v_lshrrev_b32_e32 v9, 4, v7
	v_and_or_b32 v10, v8, s6, 0.5
	v_or_b32_e32 v9, 0x70000000, v9
	v_add_f32_e32 v10, -0.5, v10
	v_mul_f32_e32 v9, 0x7800000, v9
	v_cmp_gt_u32_e32 vcc, s7, v7
	v_bfe_i32 v8, v8, 0, 16
	v_cndmask_b32_e32 v7, v9, v10, vcc
	s_brev_b32 s6, 1
	v_and_or_b32 v7, v8, s6, v7
	v_cvt_f64_f32_e32 v[58:59], v7
.LBB160_2385:
	s_mov_b64 s[6:7], 0
	s_mov_b64 s[8:9], -1
.LBB160_2386:
	s_andn2_b64 vcc, exec, s[6:7]
	s_mov_b64 s[6:7], 0
	s_cbranch_vccnz .LBB160_2397
; %bb.2387:
	v_mov_b32_e32 v7, 14
	v_cmp_gt_i16_sdwa s[6:7], v60, v7 src0_sel:BYTE_0 src1_sel:DWORD
	s_and_b64 vcc, exec, s[6:7]
	s_cbranch_vccz .LBB160_2390
; %bb.2388:
	v_mov_b32_e32 v7, 15
	v_cmp_eq_u16_sdwa s[4:5], v60, v7 src0_sel:BYTE_0 src1_sel:DWORD
	s_and_b64 vcc, exec, s[4:5]
	s_cbranch_vccz .LBB160_2393
; %bb.2389:
	global_load_ushort v7, v[4:5], off
	s_mov_b64 s[4:5], 0
	s_mov_b64 s[8:9], -1
	s_waitcnt vmcnt(0)
	v_lshlrev_b32_e32 v7, 16, v7
	v_cvt_f64_f32_e32 v[58:59], v7
	s_branch .LBB160_2394
.LBB160_2390:
	s_mov_b64 s[10:11], -1
                                        ; implicit-def: $vgpr58_vgpr59
	s_branch .LBB160_2395
.LBB160_2391:
	s_or_saveexec_b64 s[10:11], s[10:11]
	v_pk_mov_b32 v[58:59], s[8:9], s[8:9] op_sel:[0,1]
	s_xor_b64 exec, exec, s[10:11]
	s_cbranch_execz .LBB160_2372
.LBB160_2392:
	v_cmp_ne_u16_e32 vcc, 0, v7
	s_andn2_b64 s[6:7], s[6:7], exec
	s_and_b64 s[8:9], vcc, exec
	v_pk_mov_b32 v[58:59], 0, 0
	s_or_b64 s[6:7], s[6:7], s[8:9]
	s_or_b64 exec, exec, s[10:11]
	s_and_saveexec_b64 s[8:9], s[6:7]
	s_cbranch_execnz .LBB160_2373
	s_branch .LBB160_2374
.LBB160_2393:
	s_mov_b64 s[4:5], -1
                                        ; implicit-def: $vgpr58_vgpr59
.LBB160_2394:
	s_mov_b64 s[10:11], 0
.LBB160_2395:
	s_mov_b64 s[6:7], 0
	s_and_b64 vcc, exec, s[10:11]
	s_cbranch_vccz .LBB160_2397
; %bb.2396:
	v_mov_b32_e32 v7, 11
	v_cmp_ne_u16_sdwa s[4:5], v60, v7 src0_sel:BYTE_0 src1_sel:DWORD
	s_mov_b64 s[6:7], -1
                                        ; implicit-def: $vgpr58_vgpr59
.LBB160_2397:
	s_and_b64 vcc, exec, s[4:5]
	s_cbranch_vccnz .LBB160_2462
; %bb.2398:
	s_andn2_b64 vcc, exec, s[6:7]
	s_cbranch_vccnz .LBB160_2400
.LBB160_2399:
	global_load_ubyte v7, v[4:5], off
	v_mov_b32_e32 v8, 0x3ff00000
	v_mov_b32_e32 v58, 0
	s_mov_b64 s[8:9], -1
	s_waitcnt vmcnt(0)
	v_cmp_ne_u16_e32 vcc, 0, v7
	v_cndmask_b32_e32 v59, 0, v8, vcc
.LBB160_2400:
	s_mov_b64 s[4:5], 0
.LBB160_2401:
	s_and_b64 vcc, exec, s[4:5]
	s_cbranch_vccz .LBB160_2450
; %bb.2402:
	v_mov_b32_e32 v7, 5
	v_cmp_lt_i16_sdwa s[4:5], v60, v7 src0_sel:BYTE_0 src1_sel:DWORD
	s_and_b64 vcc, exec, s[4:5]
	s_cbranch_vccnz .LBB160_2407
; %bb.2403:
	v_mov_b32_e32 v7, 8
	v_cmp_lt_i16_sdwa s[4:5], v60, v7 src0_sel:BYTE_0 src1_sel:DWORD
	s_and_b64 vcc, exec, s[4:5]
	s_cbranch_vccnz .LBB160_2408
	;; [unrolled: 5-line block ×3, first 2 shown]
; %bb.2405:
	v_cmp_gt_i16_sdwa s[4:5], v60, v7 src0_sel:BYTE_0 src1_sel:DWORD
	s_and_b64 vcc, exec, s[4:5]
	s_cbranch_vccz .LBB160_2410
; %bb.2406:
	global_load_dwordx2 v[58:59], v[4:5], off
	s_mov_b64 s[4:5], 0
	s_branch .LBB160_2411
.LBB160_2407:
	s_mov_b64 s[4:5], -1
                                        ; implicit-def: $vgpr58_vgpr59
	s_branch .LBB160_2429
.LBB160_2408:
	s_mov_b64 s[4:5], -1
                                        ; implicit-def: $vgpr58_vgpr59
	s_branch .LBB160_2417
.LBB160_2409:
	s_mov_b64 s[4:5], -1
                                        ; implicit-def: $vgpr58_vgpr59
	s_branch .LBB160_2414
.LBB160_2410:
	s_mov_b64 s[4:5], -1
                                        ; implicit-def: $vgpr58_vgpr59
.LBB160_2411:
	s_andn2_b64 vcc, exec, s[4:5]
	s_cbranch_vccnz .LBB160_2413
; %bb.2412:
	global_load_dword v7, v[4:5], off
	s_waitcnt vmcnt(0)
	v_cvt_f64_f32_e32 v[58:59], v7
.LBB160_2413:
	s_mov_b64 s[4:5], 0
.LBB160_2414:
	s_andn2_b64 vcc, exec, s[4:5]
	s_cbranch_vccnz .LBB160_2416
; %bb.2415:
	global_load_dword v7, v[4:5], off
	s_waitcnt vmcnt(0)
	v_cvt_f32_f16_e32 v7, v7
	v_cvt_f64_f32_e32 v[58:59], v7
.LBB160_2416:
	s_mov_b64 s[4:5], 0
.LBB160_2417:
	s_andn2_b64 vcc, exec, s[4:5]
	s_cbranch_vccnz .LBB160_2428
; %bb.2418:
	v_mov_b32_e32 v7, 6
	v_cmp_lt_i16_sdwa s[4:5], v60, v7 src0_sel:BYTE_0 src1_sel:DWORD
	s_and_b64 vcc, exec, s[4:5]
	s_cbranch_vccnz .LBB160_2421
; %bb.2419:
	v_cmp_gt_i16_sdwa s[4:5], v60, v7 src0_sel:BYTE_0 src1_sel:DWORD
	s_and_b64 vcc, exec, s[4:5]
	s_cbranch_vccz .LBB160_2422
; %bb.2420:
	global_load_dwordx2 v[58:59], v[4:5], off
	s_mov_b64 s[4:5], 0
	s_branch .LBB160_2423
.LBB160_2421:
	s_mov_b64 s[4:5], -1
                                        ; implicit-def: $vgpr58_vgpr59
	s_branch .LBB160_2426
.LBB160_2422:
	s_mov_b64 s[4:5], -1
                                        ; implicit-def: $vgpr58_vgpr59
.LBB160_2423:
	s_andn2_b64 vcc, exec, s[4:5]
	s_cbranch_vccnz .LBB160_2425
; %bb.2424:
	global_load_dword v7, v[4:5], off
	s_waitcnt vmcnt(0)
	v_cvt_f64_f32_e32 v[58:59], v7
.LBB160_2425:
	s_mov_b64 s[4:5], 0
.LBB160_2426:
	s_andn2_b64 vcc, exec, s[4:5]
	s_cbranch_vccnz .LBB160_2428
; %bb.2427:
	global_load_ushort v7, v[4:5], off
	s_waitcnt vmcnt(0)
	v_cvt_f32_f16_e32 v7, v7
	v_cvt_f64_f32_e32 v[58:59], v7
.LBB160_2428:
	s_mov_b64 s[4:5], 0
.LBB160_2429:
	s_andn2_b64 vcc, exec, s[4:5]
	s_cbranch_vccnz .LBB160_2449
; %bb.2430:
	v_mov_b32_e32 v7, 2
	v_cmp_lt_i16_sdwa s[4:5], v60, v7 src0_sel:BYTE_0 src1_sel:DWORD
	s_and_b64 vcc, exec, s[4:5]
	s_cbranch_vccnz .LBB160_2434
; %bb.2431:
	v_mov_b32_e32 v7, 3
	v_cmp_lt_i16_sdwa s[4:5], v60, v7 src0_sel:BYTE_0 src1_sel:DWORD
	s_and_b64 vcc, exec, s[4:5]
	s_cbranch_vccnz .LBB160_2435
; %bb.2432:
	v_cmp_gt_i16_sdwa s[4:5], v60, v7 src0_sel:BYTE_0 src1_sel:DWORD
	s_and_b64 vcc, exec, s[4:5]
	s_cbranch_vccz .LBB160_2436
; %bb.2433:
	global_load_dwordx2 v[8:9], v[4:5], off
	s_mov_b64 s[4:5], 0
	s_waitcnt vmcnt(0)
	v_cvt_f64_i32_e32 v[10:11], v9
	v_cvt_f64_u32_e32 v[8:9], v8
	v_ldexp_f64 v[10:11], v[10:11], 32
	v_add_f64 v[58:59], v[10:11], v[8:9]
	s_branch .LBB160_2437
.LBB160_2434:
	s_mov_b64 s[4:5], -1
                                        ; implicit-def: $vgpr58_vgpr59
	s_branch .LBB160_2443
.LBB160_2435:
	s_mov_b64 s[4:5], -1
                                        ; implicit-def: $vgpr58_vgpr59
	s_branch .LBB160_2440
.LBB160_2436:
	s_mov_b64 s[4:5], -1
                                        ; implicit-def: $vgpr58_vgpr59
.LBB160_2437:
	s_andn2_b64 vcc, exec, s[4:5]
	s_cbranch_vccnz .LBB160_2439
; %bb.2438:
	global_load_dword v7, v[4:5], off
	s_waitcnt vmcnt(0)
	v_cvt_f64_i32_e32 v[58:59], v7
.LBB160_2439:
	s_mov_b64 s[4:5], 0
.LBB160_2440:
	s_andn2_b64 vcc, exec, s[4:5]
	s_cbranch_vccnz .LBB160_2442
; %bb.2441:
	global_load_sshort v7, v[4:5], off
	s_waitcnt vmcnt(0)
	v_cvt_f64_i32_e32 v[58:59], v7
.LBB160_2442:
	s_mov_b64 s[4:5], 0
.LBB160_2443:
	s_andn2_b64 vcc, exec, s[4:5]
	s_cbranch_vccnz .LBB160_2449
; %bb.2444:
	v_mov_b32_e32 v7, 0
	v_cmp_gt_i16_sdwa s[4:5], v60, v7 src0_sel:BYTE_0 src1_sel:DWORD
	s_and_b64 vcc, exec, s[4:5]
	s_cbranch_vccz .LBB160_2446
; %bb.2445:
	global_load_sbyte v7, v[4:5], off
	s_mov_b64 s[4:5], 0
	s_waitcnt vmcnt(0)
	v_cvt_f64_i32_e32 v[58:59], v7
	s_branch .LBB160_2447
.LBB160_2446:
	s_mov_b64 s[4:5], -1
                                        ; implicit-def: $vgpr58_vgpr59
.LBB160_2447:
	s_andn2_b64 vcc, exec, s[4:5]
	s_cbranch_vccnz .LBB160_2449
; %bb.2448:
	global_load_ubyte v4, v[4:5], off
	s_waitcnt vmcnt(0)
	v_cvt_f64_u32_e32 v[58:59], v4
.LBB160_2449:
	s_mov_b64 s[8:9], -1
.LBB160_2450:
	s_andn2_b64 vcc, exec, s[8:9]
	s_cbranch_vccnz .LBB160_3037
; %bb.2451:
	v_add_u32_e32 v4, s17, v6
	v_ashrrev_i32_e32 v5, 31, v4
	v_mov_b32_e32 v6, s35
	v_add_co_u32_e32 v4, vcc, s34, v4
	v_addc_co_u32_e32 v5, vcc, v6, v5, vcc
	v_mov_b32_e32 v6, 11
	v_cmp_lt_i16_sdwa s[4:5], v63, v6 src0_sel:BYTE_0 src1_sel:DWORD
	s_and_b64 vcc, exec, s[4:5]
	s_cbranch_vccnz .LBB160_2458
; %bb.2452:
	v_mov_b32_e32 v6, 25
	v_cmp_gt_i16_sdwa s[4:5], v63, v6 src0_sel:BYTE_0 src1_sel:DWORD
	s_mov_b64 s[6:7], 0
	s_and_b64 vcc, exec, s[4:5]
	s_cbranch_vccz .LBB160_2459
; %bb.2453:
	v_mov_b32_e32 v6, 28
	v_cmp_gt_i16_sdwa s[4:5], v63, v6 src0_sel:BYTE_0 src1_sel:DWORD
	s_and_b64 vcc, exec, s[4:5]
	s_cbranch_vccz .LBB160_2460
; %bb.2454:
	v_mov_b32_e32 v6, 43
	v_cmp_gt_i16_sdwa s[4:5], v63, v6 src0_sel:BYTE_0 src1_sel:DWORD
	;; [unrolled: 5-line block ×3, first 2 shown]
	s_and_b64 vcc, exec, s[4:5]
	s_cbranch_vccz .LBB160_2463
; %bb.2456:
	v_mov_b32_e32 v6, 46
	v_cmp_eq_u16_sdwa s[4:5], v63, v6 src0_sel:BYTE_0 src1_sel:DWORD
	s_mov_b64 s[10:11], 0
	s_and_b64 vcc, exec, s[4:5]
	s_cbranch_vccz .LBB160_2464
; %bb.2457:
	global_load_dword v6, v[4:5], off
	s_mov_b64 s[4:5], 0
	s_mov_b64 s[8:9], -1
	s_waitcnt vmcnt(0)
	v_lshlrev_b32_e32 v6, 16, v6
	v_cvt_f64_f32_e32 v[60:61], v6
	s_branch .LBB160_2465
.LBB160_2458:
	s_mov_b64 s[4:5], -1
	s_mov_b64 s[8:9], 0
                                        ; implicit-def: $vgpr60_vgpr61
	s_branch .LBB160_2531
.LBB160_2459:
	s_mov_b64 s[10:11], -1
	s_mov_b64 s[8:9], 0
	s_mov_b64 s[4:5], 0
                                        ; implicit-def: $vgpr60_vgpr61
	s_branch .LBB160_2494
.LBB160_2460:
	s_mov_b64 s[10:11], -1
	s_mov_b64 s[8:9], 0
	s_mov_b64 s[4:5], 0
                                        ; implicit-def: $vgpr60_vgpr61
	s_branch .LBB160_2475
.LBB160_2461:
	s_mov_b64 s[10:11], -1
	s_mov_b64 s[8:9], 0
	s_mov_b64 s[4:5], 0
                                        ; implicit-def: $vgpr60_vgpr61
	s_branch .LBB160_2470
.LBB160_2462:
	s_trap 2
	s_or_b64 s[90:91], s[90:91], exec
                                        ; implicit-def: $vgpr58_vgpr59
	s_cbranch_execz .LBB160_2399
	s_branch .LBB160_2400
.LBB160_2463:
	s_mov_b64 s[10:11], -1
	s_mov_b64 s[8:9], 0
	s_mov_b64 s[4:5], 0
                                        ; implicit-def: $vgpr60_vgpr61
	s_branch .LBB160_2465
.LBB160_2464:
	s_mov_b64 s[4:5], -1
                                        ; implicit-def: $vgpr60_vgpr61
	s_mov_b64 s[8:9], 0
.LBB160_2465:
	s_and_b64 vcc, exec, s[10:11]
	s_cbranch_vccz .LBB160_2469
; %bb.2466:
	v_mov_b32_e32 v6, 44
	v_cmp_eq_u16_sdwa s[4:5], v63, v6 src0_sel:BYTE_0 src1_sel:DWORD
	s_and_b64 vcc, exec, s[4:5]
	s_cbranch_vccz .LBB160_2468
; %bb.2467:
	global_load_ubyte v8, v[4:5], off
	s_movk_i32 s8, 0xff
	v_bfrev_b32_e32 v9, 4
	v_mov_b32_e32 v10, 0x7ff80000
	v_bfrev_b32_e32 v11, 28
	s_mov_b64 s[4:5], 0
	s_waitcnt vmcnt(0)
	v_lshlrev_b32_e32 v6, 23, v8
	v_cvt_f64_f32_e32 v[6:7], v6
	v_cmp_ne_u32_e32 vcc, s8, v8
	v_cndmask_b32_e32 v6, v9, v6, vcc
	v_cndmask_b32_e32 v7, v10, v7, vcc
	v_cmp_ne_u32_e32 vcc, 0, v8
	v_cndmask_b32_e32 v61, v11, v7, vcc
	v_cndmask_b32_e32 v60, 0, v6, vcc
	s_mov_b64 s[8:9], -1
	s_branch .LBB160_2469
.LBB160_2468:
	s_mov_b64 s[4:5], -1
                                        ; implicit-def: $vgpr60_vgpr61
.LBB160_2469:
	s_mov_b64 s[10:11], 0
.LBB160_2470:
	s_and_b64 vcc, exec, s[10:11]
	s_cbranch_vccz .LBB160_2474
; %bb.2471:
	v_mov_b32_e32 v6, 29
	v_cmp_eq_u16_sdwa s[4:5], v63, v6 src0_sel:BYTE_0 src1_sel:DWORD
	s_and_b64 vcc, exec, s[4:5]
	s_cbranch_vccz .LBB160_2473
; %bb.2472:
	global_load_dwordx2 v[6:7], v[4:5], off
	s_mov_b64 s[4:5], 0
	s_mov_b64 s[8:9], -1
	s_mov_b64 s[10:11], 0
	s_waitcnt vmcnt(0)
	v_cvt_f64_u32_e32 v[8:9], v7
	v_cvt_f64_u32_e32 v[6:7], v6
	v_ldexp_f64 v[8:9], v[8:9], 32
	v_add_f64 v[60:61], v[8:9], v[6:7]
	s_branch .LBB160_2475
.LBB160_2473:
	s_mov_b64 s[4:5], -1
                                        ; implicit-def: $vgpr60_vgpr61
.LBB160_2474:
	s_mov_b64 s[10:11], 0
.LBB160_2475:
	s_and_b64 vcc, exec, s[10:11]
	s_cbranch_vccz .LBB160_2493
; %bb.2476:
	v_mov_b32_e32 v6, 27
	v_cmp_lt_i16_sdwa s[8:9], v63, v6 src0_sel:BYTE_0 src1_sel:DWORD
	s_and_b64 vcc, exec, s[8:9]
	s_cbranch_vccnz .LBB160_2479
; %bb.2477:
	v_cmp_gt_i16_sdwa s[8:9], v63, v6 src0_sel:BYTE_0 src1_sel:DWORD
	s_and_b64 vcc, exec, s[8:9]
	s_cbranch_vccz .LBB160_2480
; %bb.2478:
	global_load_dword v6, v[4:5], off
	s_mov_b64 s[8:9], 0
	s_waitcnt vmcnt(0)
	v_cvt_f64_u32_e32 v[60:61], v6
	s_branch .LBB160_2481
.LBB160_2479:
	s_mov_b64 s[8:9], -1
                                        ; implicit-def: $vgpr60_vgpr61
	s_branch .LBB160_2484
.LBB160_2480:
	s_mov_b64 s[8:9], -1
                                        ; implicit-def: $vgpr60_vgpr61
.LBB160_2481:
	s_andn2_b64 vcc, exec, s[8:9]
	s_cbranch_vccnz .LBB160_2483
; %bb.2482:
	global_load_ushort v6, v[4:5], off
	s_waitcnt vmcnt(0)
	v_cvt_f64_u32_e32 v[60:61], v6
.LBB160_2483:
	s_mov_b64 s[8:9], 0
.LBB160_2484:
	s_andn2_b64 vcc, exec, s[8:9]
	s_cbranch_vccnz .LBB160_2492
; %bb.2485:
	global_load_ubyte v6, v[4:5], off
	s_movk_i32 s8, 0x7f
                                        ; implicit-def: $sgpr10_sgpr11
	s_waitcnt vmcnt(0)
	v_cmp_lt_i16_e32 vcc, s8, v6
	s_mov_b64 s[8:9], 0
	s_and_saveexec_b64 s[12:13], vcc
	s_xor_b64 s[12:13], exec, s[12:13]
	s_cbranch_execz .LBB160_2506
; %bb.2486:
	s_movk_i32 s8, 0x80
	v_cmp_eq_u16_e32 vcc, s8, v6
	s_mov_b64 s[14:15], -1
                                        ; implicit-def: $sgpr10_sgpr11
	s_and_saveexec_b64 s[8:9], vcc
; %bb.2487:
	s_mov_b32 s11, 0x7ff80000
	s_brev_b32 s10, 4
	s_xor_b64 s[14:15], exec, -1
; %bb.2488:
	s_or_b64 exec, exec, s[8:9]
	s_and_b64 s[8:9], s[14:15], exec
	s_or_saveexec_b64 s[12:13], s[12:13]
	v_pk_mov_b32 v[60:61], s[10:11], s[10:11] op_sel:[0,1]
	s_xor_b64 exec, exec, s[12:13]
	s_cbranch_execnz .LBB160_2507
.LBB160_2489:
	s_or_b64 exec, exec, s[12:13]
	s_and_saveexec_b64 s[10:11], s[8:9]
	s_cbranch_execz .LBB160_2491
.LBB160_2490:
	v_lshlrev_b32_e32 v7, 24, v6
	v_and_b32_e32 v6, 0xffff, v6
	v_and_b32_e32 v8, 7, v6
	v_ffbh_u32_e32 v10, v8
	v_min_u32_e32 v10, 32, v10
	v_subrev_u32_e32 v11, 28, v10
	v_bfe_u32 v9, v6, 3, 4
	v_lshlrev_b32_e32 v6, v11, v6
	v_sub_u32_e32 v10, 29, v10
	v_and_b32_e32 v6, 7, v6
	v_cmp_eq_u32_e32 vcc, 0, v9
	v_cndmask_b32_e32 v9, v9, v10, vcc
	v_cndmask_b32_e32 v6, v8, v6, vcc
	v_mov_b32_e32 v8, 0x3b800000
	v_lshlrev_b32_e32 v6, 20, v6
	v_and_b32_e32 v7, 0x80000000, v7
	v_lshl_add_u32 v8, v9, 23, v8
	v_or3_b32 v6, v7, v8, v6
	v_cvt_f64_f32_e32 v[60:61], v6
.LBB160_2491:
	s_or_b64 exec, exec, s[10:11]
.LBB160_2492:
	s_mov_b64 s[8:9], -1
.LBB160_2493:
	s_mov_b64 s[10:11], 0
.LBB160_2494:
	s_and_b64 vcc, exec, s[10:11]
	s_cbranch_vccz .LBB160_2527
; %bb.2495:
	v_mov_b32_e32 v6, 22
	v_cmp_gt_i16_sdwa s[6:7], v63, v6 src0_sel:BYTE_0 src1_sel:DWORD
	s_and_b64 vcc, exec, s[6:7]
	s_cbranch_vccz .LBB160_2505
; %bb.2496:
	v_mov_b32_e32 v6, 24
	v_cmp_lt_i16_sdwa s[6:7], v63, v6 src0_sel:BYTE_0 src1_sel:DWORD
	s_and_b64 vcc, exec, s[6:7]
	s_cbranch_vccnz .LBB160_2508
; %bb.2497:
	v_cmp_gt_i16_sdwa s[6:7], v63, v6 src0_sel:BYTE_0 src1_sel:DWORD
	s_and_b64 vcc, exec, s[6:7]
	s_cbranch_vccz .LBB160_2509
; %bb.2498:
	global_load_ubyte v6, v[4:5], off
	s_movk_i32 s6, 0x7f
                                        ; implicit-def: $sgpr8_sgpr9
	s_waitcnt vmcnt(0)
	v_cmp_lt_i16_e32 vcc, s6, v6
	s_mov_b64 s[6:7], 0
	s_and_saveexec_b64 s[10:11], vcc
	s_xor_b64 s[10:11], exec, s[10:11]
	s_cbranch_execz .LBB160_2521
; %bb.2499:
	s_movk_i32 s6, 0x80
	v_cmp_eq_u16_e32 vcc, s6, v6
	s_mov_b64 s[12:13], -1
                                        ; implicit-def: $sgpr8_sgpr9
	s_and_saveexec_b64 s[6:7], vcc
; %bb.2500:
	s_mov_b32 s9, 0x7ff80000
	s_brev_b32 s8, 4
	s_xor_b64 s[12:13], exec, -1
; %bb.2501:
	s_or_b64 exec, exec, s[6:7]
	s_and_b64 s[6:7], s[12:13], exec
	s_or_saveexec_b64 s[10:11], s[10:11]
	v_pk_mov_b32 v[60:61], s[8:9], s[8:9] op_sel:[0,1]
	s_xor_b64 exec, exec, s[10:11]
	s_cbranch_execnz .LBB160_2522
.LBB160_2502:
	s_or_b64 exec, exec, s[10:11]
	s_and_saveexec_b64 s[8:9], s[6:7]
	s_cbranch_execz .LBB160_2504
.LBB160_2503:
	v_lshlrev_b32_e32 v7, 24, v6
	v_and_b32_e32 v6, 0xffff, v6
	v_and_b32_e32 v8, 3, v6
	v_ffbh_u32_e32 v10, v8
	v_min_u32_e32 v10, 32, v10
	v_subrev_u32_e32 v11, 29, v10
	v_bfe_u32 v9, v6, 2, 5
	v_lshlrev_b32_e32 v6, v11, v6
	v_sub_u32_e32 v10, 30, v10
	v_and_b32_e32 v6, 3, v6
	v_cmp_eq_u32_e32 vcc, 0, v9
	v_cndmask_b32_e32 v9, v9, v10, vcc
	v_cndmask_b32_e32 v6, v8, v6, vcc
	v_mov_b32_e32 v8, 0x37800000
	v_lshlrev_b32_e32 v6, 21, v6
	v_and_b32_e32 v7, 0x80000000, v7
	v_lshl_add_u32 v8, v9, 23, v8
	v_or3_b32 v6, v7, v8, v6
	v_cvt_f64_f32_e32 v[60:61], v6
.LBB160_2504:
	s_or_b64 exec, exec, s[8:9]
	s_mov_b64 s[6:7], 0
	s_branch .LBB160_2510
.LBB160_2505:
	s_mov_b64 s[6:7], -1
                                        ; implicit-def: $vgpr60_vgpr61
	s_branch .LBB160_2516
.LBB160_2506:
	s_or_saveexec_b64 s[12:13], s[12:13]
	v_pk_mov_b32 v[60:61], s[10:11], s[10:11] op_sel:[0,1]
	s_xor_b64 exec, exec, s[12:13]
	s_cbranch_execz .LBB160_2489
.LBB160_2507:
	v_cmp_ne_u16_e32 vcc, 0, v6
	s_andn2_b64 s[8:9], s[8:9], exec
	s_and_b64 s[10:11], vcc, exec
	v_pk_mov_b32 v[60:61], 0, 0
	s_or_b64 s[8:9], s[8:9], s[10:11]
	s_or_b64 exec, exec, s[12:13]
	s_and_saveexec_b64 s[10:11], s[8:9]
	s_cbranch_execnz .LBB160_2490
	s_branch .LBB160_2491
.LBB160_2508:
	s_mov_b64 s[6:7], -1
                                        ; implicit-def: $vgpr60_vgpr61
	s_branch .LBB160_2513
.LBB160_2509:
	s_mov_b64 s[6:7], -1
                                        ; implicit-def: $vgpr60_vgpr61
.LBB160_2510:
	s_and_b64 vcc, exec, s[6:7]
	s_cbranch_vccz .LBB160_2512
; %bb.2511:
	global_load_ubyte v6, v[4:5], off
	s_mov_b32 s6, 0x7f800000
	s_waitcnt vmcnt(0)
	v_lshlrev_b32_e32 v6, 24, v6
	v_and_b32_e32 v7, 0x7f000000, v6
	v_ffbh_u32_e32 v8, v7
	v_min_u32_e32 v8, 32, v8
	v_sub_u32_e64 v8, v8, 4 clamp
	v_lshlrev_b32_e32 v10, v8, v7
	v_lshlrev_b32_e32 v8, 23, v8
	v_lshrrev_b32_e32 v10, 4, v10
	v_add_u32_e32 v9, 0x1000000, v7
	v_sub_u32_e32 v8, v10, v8
	v_ashrrev_i32_e32 v9, 8, v9
	v_add_u32_e32 v8, 0x3c000000, v8
	v_and_or_b32 v8, v9, s6, v8
	v_cmp_ne_u32_e32 vcc, 0, v7
	v_cndmask_b32_e32 v7, 0, v8, vcc
	s_brev_b32 s6, 1
	v_and_or_b32 v6, v6, s6, v7
	v_cvt_f64_f32_e32 v[60:61], v6
.LBB160_2512:
	s_mov_b64 s[6:7], 0
.LBB160_2513:
	s_andn2_b64 vcc, exec, s[6:7]
	s_cbranch_vccnz .LBB160_2515
; %bb.2514:
	global_load_ubyte v6, v[4:5], off
	s_movk_i32 s6, 0x7f00
	s_brev_b32 s7, 16
	s_waitcnt vmcnt(0)
	v_lshlrev_b16_e32 v7, 8, v6
	v_lshlrev_b32_e32 v6, 25, v6
	v_lshrrev_b32_e32 v8, 4, v6
	v_and_or_b32 v9, v7, s6, 0.5
	v_or_b32_e32 v8, 0x70000000, v8
	v_add_f32_e32 v9, -0.5, v9
	v_mul_f32_e32 v8, 0x7800000, v8
	v_cmp_gt_u32_e32 vcc, s7, v6
	v_bfe_i32 v7, v7, 0, 16
	v_cndmask_b32_e32 v6, v8, v9, vcc
	s_brev_b32 s6, 1
	v_and_or_b32 v6, v7, s6, v6
	v_cvt_f64_f32_e32 v[60:61], v6
.LBB160_2515:
	s_mov_b64 s[6:7], 0
	s_mov_b64 s[8:9], -1
.LBB160_2516:
	s_andn2_b64 vcc, exec, s[6:7]
	s_mov_b64 s[6:7], 0
	s_cbranch_vccnz .LBB160_2527
; %bb.2517:
	v_mov_b32_e32 v6, 14
	v_cmp_gt_i16_sdwa s[6:7], v63, v6 src0_sel:BYTE_0 src1_sel:DWORD
	s_and_b64 vcc, exec, s[6:7]
	s_cbranch_vccz .LBB160_2520
; %bb.2518:
	v_mov_b32_e32 v6, 15
	v_cmp_eq_u16_sdwa s[4:5], v63, v6 src0_sel:BYTE_0 src1_sel:DWORD
	s_and_b64 vcc, exec, s[4:5]
	s_cbranch_vccz .LBB160_2523
; %bb.2519:
	global_load_ushort v6, v[4:5], off
	s_mov_b64 s[4:5], 0
	s_mov_b64 s[8:9], -1
	s_waitcnt vmcnt(0)
	v_lshlrev_b32_e32 v6, 16, v6
	v_cvt_f64_f32_e32 v[60:61], v6
	s_branch .LBB160_2524
.LBB160_2520:
	s_mov_b64 s[10:11], -1
                                        ; implicit-def: $vgpr60_vgpr61
	s_branch .LBB160_2525
.LBB160_2521:
	s_or_saveexec_b64 s[10:11], s[10:11]
	v_pk_mov_b32 v[60:61], s[8:9], s[8:9] op_sel:[0,1]
	s_xor_b64 exec, exec, s[10:11]
	s_cbranch_execz .LBB160_2502
.LBB160_2522:
	v_cmp_ne_u16_e32 vcc, 0, v6
	s_andn2_b64 s[6:7], s[6:7], exec
	s_and_b64 s[8:9], vcc, exec
	v_pk_mov_b32 v[60:61], 0, 0
	s_or_b64 s[6:7], s[6:7], s[8:9]
	s_or_b64 exec, exec, s[10:11]
	s_and_saveexec_b64 s[8:9], s[6:7]
	s_cbranch_execnz .LBB160_2503
	s_branch .LBB160_2504
.LBB160_2523:
	s_mov_b64 s[4:5], -1
                                        ; implicit-def: $vgpr60_vgpr61
.LBB160_2524:
	s_mov_b64 s[10:11], 0
.LBB160_2525:
	s_mov_b64 s[6:7], 0
	s_and_b64 vcc, exec, s[10:11]
	s_cbranch_vccz .LBB160_2527
; %bb.2526:
	v_mov_b32_e32 v6, 11
	v_cmp_ne_u16_sdwa s[4:5], v63, v6 src0_sel:BYTE_0 src1_sel:DWORD
	s_mov_b64 s[6:7], -1
                                        ; implicit-def: $vgpr60_vgpr61
.LBB160_2527:
	s_and_b64 vcc, exec, s[4:5]
	s_cbranch_vccnz .LBB160_2591
; %bb.2528:
	s_andn2_b64 vcc, exec, s[6:7]
	s_cbranch_vccnz .LBB160_2530
.LBB160_2529:
	global_load_ubyte v6, v[4:5], off
	v_mov_b32_e32 v7, 0x3ff00000
	v_mov_b32_e32 v60, 0
	s_mov_b64 s[8:9], -1
	s_waitcnt vmcnt(0)
	v_cmp_ne_u16_e32 vcc, 0, v6
	v_cndmask_b32_e32 v61, 0, v7, vcc
.LBB160_2530:
	s_mov_b64 s[4:5], 0
.LBB160_2531:
	s_and_b64 vcc, exec, s[4:5]
	s_cbranch_vccz .LBB160_2580
; %bb.2532:
	v_mov_b32_e32 v6, 5
	v_cmp_lt_i16_sdwa s[4:5], v63, v6 src0_sel:BYTE_0 src1_sel:DWORD
	s_and_b64 vcc, exec, s[4:5]
	s_cbranch_vccnz .LBB160_2537
; %bb.2533:
	v_mov_b32_e32 v6, 8
	v_cmp_lt_i16_sdwa s[4:5], v63, v6 src0_sel:BYTE_0 src1_sel:DWORD
	s_and_b64 vcc, exec, s[4:5]
	s_cbranch_vccnz .LBB160_2538
	;; [unrolled: 5-line block ×3, first 2 shown]
; %bb.2535:
	v_cmp_gt_i16_sdwa s[4:5], v63, v6 src0_sel:BYTE_0 src1_sel:DWORD
	s_and_b64 vcc, exec, s[4:5]
	s_cbranch_vccz .LBB160_2540
; %bb.2536:
	global_load_dwordx2 v[60:61], v[4:5], off
	s_mov_b64 s[4:5], 0
	s_branch .LBB160_2541
.LBB160_2537:
	s_mov_b64 s[4:5], -1
                                        ; implicit-def: $vgpr60_vgpr61
	s_branch .LBB160_2559
.LBB160_2538:
	s_mov_b64 s[4:5], -1
                                        ; implicit-def: $vgpr60_vgpr61
	s_branch .LBB160_2547
.LBB160_2539:
	s_mov_b64 s[4:5], -1
                                        ; implicit-def: $vgpr60_vgpr61
	s_branch .LBB160_2544
.LBB160_2540:
	s_mov_b64 s[4:5], -1
                                        ; implicit-def: $vgpr60_vgpr61
.LBB160_2541:
	s_andn2_b64 vcc, exec, s[4:5]
	s_cbranch_vccnz .LBB160_2543
; %bb.2542:
	global_load_dword v6, v[4:5], off
	s_waitcnt vmcnt(0)
	v_cvt_f64_f32_e32 v[60:61], v6
.LBB160_2543:
	s_mov_b64 s[4:5], 0
.LBB160_2544:
	s_andn2_b64 vcc, exec, s[4:5]
	s_cbranch_vccnz .LBB160_2546
; %bb.2545:
	global_load_dword v6, v[4:5], off
	s_waitcnt vmcnt(0)
	v_cvt_f32_f16_e32 v6, v6
	v_cvt_f64_f32_e32 v[60:61], v6
.LBB160_2546:
	s_mov_b64 s[4:5], 0
.LBB160_2547:
	s_andn2_b64 vcc, exec, s[4:5]
	s_cbranch_vccnz .LBB160_2558
; %bb.2548:
	v_mov_b32_e32 v6, 6
	v_cmp_lt_i16_sdwa s[4:5], v63, v6 src0_sel:BYTE_0 src1_sel:DWORD
	s_and_b64 vcc, exec, s[4:5]
	s_cbranch_vccnz .LBB160_2551
; %bb.2549:
	v_cmp_gt_i16_sdwa s[4:5], v63, v6 src0_sel:BYTE_0 src1_sel:DWORD
	s_and_b64 vcc, exec, s[4:5]
	s_cbranch_vccz .LBB160_2552
; %bb.2550:
	global_load_dwordx2 v[60:61], v[4:5], off
	s_mov_b64 s[4:5], 0
	s_branch .LBB160_2553
.LBB160_2551:
	s_mov_b64 s[4:5], -1
                                        ; implicit-def: $vgpr60_vgpr61
	s_branch .LBB160_2556
.LBB160_2552:
	s_mov_b64 s[4:5], -1
                                        ; implicit-def: $vgpr60_vgpr61
.LBB160_2553:
	s_andn2_b64 vcc, exec, s[4:5]
	s_cbranch_vccnz .LBB160_2555
; %bb.2554:
	global_load_dword v6, v[4:5], off
	s_waitcnt vmcnt(0)
	v_cvt_f64_f32_e32 v[60:61], v6
.LBB160_2555:
	s_mov_b64 s[4:5], 0
.LBB160_2556:
	s_andn2_b64 vcc, exec, s[4:5]
	s_cbranch_vccnz .LBB160_2558
; %bb.2557:
	global_load_ushort v6, v[4:5], off
	s_waitcnt vmcnt(0)
	v_cvt_f32_f16_e32 v6, v6
	v_cvt_f64_f32_e32 v[60:61], v6
.LBB160_2558:
	s_mov_b64 s[4:5], 0
.LBB160_2559:
	s_andn2_b64 vcc, exec, s[4:5]
	s_cbranch_vccnz .LBB160_2579
; %bb.2560:
	v_mov_b32_e32 v6, 2
	v_cmp_lt_i16_sdwa s[4:5], v63, v6 src0_sel:BYTE_0 src1_sel:DWORD
	s_and_b64 vcc, exec, s[4:5]
	s_cbranch_vccnz .LBB160_2564
; %bb.2561:
	v_mov_b32_e32 v6, 3
	v_cmp_lt_i16_sdwa s[4:5], v63, v6 src0_sel:BYTE_0 src1_sel:DWORD
	s_and_b64 vcc, exec, s[4:5]
	s_cbranch_vccnz .LBB160_2565
; %bb.2562:
	v_cmp_gt_i16_sdwa s[4:5], v63, v6 src0_sel:BYTE_0 src1_sel:DWORD
	s_and_b64 vcc, exec, s[4:5]
	s_cbranch_vccz .LBB160_2566
; %bb.2563:
	global_load_dwordx2 v[6:7], v[4:5], off
	s_mov_b64 s[4:5], 0
	s_waitcnt vmcnt(0)
	v_cvt_f64_i32_e32 v[8:9], v7
	v_cvt_f64_u32_e32 v[6:7], v6
	v_ldexp_f64 v[8:9], v[8:9], 32
	v_add_f64 v[60:61], v[8:9], v[6:7]
	s_branch .LBB160_2567
.LBB160_2564:
	s_mov_b64 s[4:5], -1
                                        ; implicit-def: $vgpr60_vgpr61
	s_branch .LBB160_2573
.LBB160_2565:
	s_mov_b64 s[4:5], -1
                                        ; implicit-def: $vgpr60_vgpr61
	s_branch .LBB160_2570
.LBB160_2566:
	s_mov_b64 s[4:5], -1
                                        ; implicit-def: $vgpr60_vgpr61
.LBB160_2567:
	s_andn2_b64 vcc, exec, s[4:5]
	s_cbranch_vccnz .LBB160_2569
; %bb.2568:
	global_load_dword v6, v[4:5], off
	s_waitcnt vmcnt(0)
	v_cvt_f64_i32_e32 v[60:61], v6
.LBB160_2569:
	s_mov_b64 s[4:5], 0
.LBB160_2570:
	s_andn2_b64 vcc, exec, s[4:5]
	s_cbranch_vccnz .LBB160_2572
; %bb.2571:
	global_load_sshort v6, v[4:5], off
	s_waitcnt vmcnt(0)
	v_cvt_f64_i32_e32 v[60:61], v6
.LBB160_2572:
	s_mov_b64 s[4:5], 0
.LBB160_2573:
	s_andn2_b64 vcc, exec, s[4:5]
	s_cbranch_vccnz .LBB160_2579
; %bb.2574:
	v_mov_b32_e32 v6, 0
	v_cmp_gt_i16_sdwa s[4:5], v63, v6 src0_sel:BYTE_0 src1_sel:DWORD
	s_and_b64 vcc, exec, s[4:5]
	s_cbranch_vccz .LBB160_2576
; %bb.2575:
	global_load_sbyte v6, v[4:5], off
	s_mov_b64 s[4:5], 0
	s_waitcnt vmcnt(0)
	v_cvt_f64_i32_e32 v[60:61], v6
	s_branch .LBB160_2577
.LBB160_2576:
	s_mov_b64 s[4:5], -1
                                        ; implicit-def: $vgpr60_vgpr61
.LBB160_2577:
	s_andn2_b64 vcc, exec, s[4:5]
	s_cbranch_vccnz .LBB160_2579
; %bb.2578:
	global_load_ubyte v4, v[4:5], off
	s_waitcnt vmcnt(0)
	v_cvt_f64_u32_e32 v[60:61], v4
.LBB160_2579:
	s_mov_b64 s[8:9], -1
.LBB160_2580:
	s_andn2_b64 vcc, exec, s[8:9]
	s_cbranch_vccnz .LBB160_3037
; %bb.2581:
	s_getpc_b64 s[4:5]
	s_add_u32 s4, s4, _ZZZZN2at6native33launch_standard_gamma_grad_kernelERNS_18TensorIteratorBaseEENKUlvE_clEvENKUlvE_clEvENKUlddE_clEdd@rel32@lo+4
	s_addc_u32 s5, s5, _ZZZZN2at6native33launch_standard_gamma_grad_kernelERNS_18TensorIteratorBaseEENKUlvE_clEvENKUlvE_clEvENKUlddE_clEdd@rel32@hi+12
	s_mov_b32 s80, s28
	s_swappc_b64 s[30:31], s[4:5]
	s_mov_b32 s12, s80
	v_mul_lo_u32 v62, s12, v62
	v_ashrrev_i32_e32 v2, 31, v62
	v_mov_b32_e32 v3, s77
	v_add_co_u32_e32 v4, vcc, s76, v62
	v_addc_co_u32_e32 v5, vcc, v3, v2, vcc
	v_mov_b32_e32 v2, 11
	v_cmp_lt_i16_sdwa s[4:5], v41, v2 src0_sel:BYTE_0 src1_sel:DWORD
	s_and_b64 vcc, exec, s[4:5]
	s_cbranch_vccnz .LBB160_2588
; %bb.2582:
	v_mov_b32_e32 v2, 25
	v_cmp_gt_i16_sdwa s[4:5], v41, v2 src0_sel:BYTE_0 src1_sel:DWORD
	s_mov_b64 s[10:11], -1
	s_mov_b64 s[6:7], 0
	s_and_b64 vcc, exec, s[4:5]
	s_mov_b64 s[8:9], 0
	s_mov_b64 s[4:5], 0
	s_cbranch_vccz .LBB160_2620
; %bb.2583:
	v_mov_b32_e32 v2, 28
	v_cmp_gt_i16_sdwa s[4:5], v41, v2 src0_sel:BYTE_0 src1_sel:DWORD
	s_and_b64 vcc, exec, s[4:5]
	s_cbranch_vccz .LBB160_2589
; %bb.2584:
	v_mov_b32_e32 v2, 43
	v_cmp_gt_i16_sdwa s[4:5], v41, v2 src0_sel:BYTE_0 src1_sel:DWORD
	s_and_b64 vcc, exec, s[4:5]
	;; [unrolled: 5-line block ×3, first 2 shown]
	s_cbranch_vccz .LBB160_2592
; %bb.2586:
	v_mov_b32_e32 v2, 46
	v_cmp_eq_u16_sdwa s[8:9], v41, v2 src0_sel:BYTE_0 src1_sel:DWORD
	s_mov_b64 s[4:5], -1
	s_mov_b64 s[10:11], 0
	s_and_b64 vcc, exec, s[8:9]
	s_mov_b64 s[8:9], 0
	s_cbranch_vccz .LBB160_2593
; %bb.2587:
	v_cvt_f32_f64_e32 v2, v[0:1]
	v_bfe_u32 v3, v2, 16, 1
	s_movk_i32 s4, 0x7fff
	v_add3_u32 v3, v2, v3, s4
	v_lshrrev_b32_e32 v3, 16, v3
	v_mov_b32_e32 v6, 0x7fc0
	v_cmp_o_f32_e32 vcc, v2, v2
	v_cndmask_b32_e32 v2, v6, v3, vcc
	global_store_dword v[4:5], v2, off
	s_mov_b64 s[4:5], 0
	s_mov_b64 s[8:9], -1
	s_branch .LBB160_2593
.LBB160_2588:
	s_mov_b64 s[4:5], -1
	s_mov_b64 s[8:9], 0
	s_branch .LBB160_2664
.LBB160_2589:
	s_mov_b64 s[4:5], 0
	s_branch .LBB160_2603
.LBB160_2590:
	s_mov_b64 s[4:5], 0
	s_branch .LBB160_2599
.LBB160_2591:
	s_trap 2
	s_or_b64 s[90:91], s[90:91], exec
                                        ; implicit-def: $vgpr60_vgpr61
	s_cbranch_execz .LBB160_2529
	s_branch .LBB160_2530
.LBB160_2592:
	s_mov_b64 s[4:5], 0
.LBB160_2593:
	s_and_b64 vcc, exec, s[10:11]
	s_cbranch_vccz .LBB160_2598
; %bb.2594:
	v_mov_b32_e32 v2, 44
	v_cmp_eq_u16_sdwa s[10:11], v41, v2 src0_sel:BYTE_0 src1_sel:DWORD
	s_mov_b64 s[4:5], -1
	s_and_b64 vcc, exec, s[10:11]
                                        ; implicit-def: $sgpr13
                                        ; implicit-def: $sgpr14
	s_cbranch_vccz .LBB160_2598
; %bb.2595:
	v_cvt_f32_f64_e32 v2, v[0:1]
	v_bfe_u32 v3, v2, 23, 8
	s_movk_i32 s4, 0xff
	v_cmp_ne_u32_e32 vcc, s4, v3
	v_mov_b32_e32 v6, 0xff
	s_and_saveexec_b64 s[8:9], vcc
; %bb.2596:
	s_mov_b32 s4, 0x3fffff
	v_lshrrev_b32_e32 v6, 23, v2
	v_and_b32_e32 v7, 0x400000, v2
	v_and_or_b32 v2, v2, s4, v3
	v_cmp_ne_u32_e32 vcc, 0, v7
	v_cmp_ne_u32_e64 s[4:5], 0, v2
	s_and_b64 s[4:5], vcc, s[4:5]
	v_cndmask_b32_e64 v2, 0, 1, s[4:5]
	v_add_u32_e32 v6, v6, v2
; %bb.2597:
	s_or_b64 exec, exec, s[8:9]
	s_mov_b64 s[4:5], 0
	s_mov_b64 s[8:9], -1
	global_store_byte v[4:5], v6, off
                                        ; implicit-def: $sgpr13
                                        ; implicit-def: $sgpr14
.LBB160_2598:
	s_mov_b32 s12, s80
	s_mov_b64 s[10:11], 0
.LBB160_2599:
	s_and_b64 vcc, exec, s[10:11]
	s_cbranch_vccz .LBB160_2602
; %bb.2600:
	v_mov_b32_e32 v2, 29
	v_cmp_eq_u16_sdwa s[10:11], v41, v2 src0_sel:BYTE_0 src1_sel:DWORD
	s_mov_b64 s[4:5], -1
	s_and_b64 vcc, exec, s[10:11]
	s_cbranch_vccz .LBB160_2602
; %bb.2601:
	v_trunc_f64_e32 v[2:3], v[0:1]
	s_movk_i32 s4, 0xffe0
	v_ldexp_f64 v[6:7], v[2:3], s4
	v_floor_f64_e32 v[6:7], v[6:7]
	v_fmac_f64_e32 v[2:3], 0xc1f00000, v[6:7]
	v_cvt_u32_f64_e32 v9, v[6:7]
	v_cvt_u32_f64_e32 v8, v[2:3]
	global_store_dwordx2 v[4:5], v[8:9], off
	s_mov_b64 s[4:5], 0
	s_mov_b64 s[8:9], -1
.LBB160_2602:
	s_mov_b64 s[10:11], 0
.LBB160_2603:
	s_and_b64 vcc, exec, s[10:11]
	s_cbranch_vccz .LBB160_2619
; %bb.2604:
	v_mov_b32_e32 v2, 27
	v_cmp_lt_i16_sdwa s[10:11], v41, v2 src0_sel:BYTE_0 src1_sel:DWORD
	s_mov_b64 s[8:9], -1
	s_and_b64 vcc, exec, s[10:11]
	s_cbranch_vccnz .LBB160_2610
; %bb.2605:
	v_cmp_gt_i16_sdwa s[10:11], v41, v2 src0_sel:BYTE_0 src1_sel:DWORD
	s_and_b64 vcc, exec, s[10:11]
	v_cvt_u32_f64_e32 v2, v[0:1]
	s_cbranch_vccz .LBB160_2607
; %bb.2606:
	s_mov_b64 s[8:9], 0
	global_store_dword v[4:5], v2, off
.LBB160_2607:
	s_andn2_b64 vcc, exec, s[8:9]
	s_cbranch_vccnz .LBB160_2609
; %bb.2608:
	global_store_short v[4:5], v2, off
.LBB160_2609:
	s_mov_b64 s[8:9], 0
.LBB160_2610:
	s_andn2_b64 vcc, exec, s[8:9]
	s_cbranch_vccnz .LBB160_2618
; %bb.2611:
	v_cvt_f32_f64_e32 v2, v[0:1]
	v_and_b32_e32 v3, 0x7fffffff, v2
	s_mov_b32 s8, 0x43800000
	v_cmp_gt_u32_e32 vcc, s8, v3
	v_mov_b32_e32 v6, 0x80
	s_and_saveexec_b64 s[8:9], vcc
	s_cbranch_execz .LBB160_2617
; %bb.2612:
	s_mov_b32 s10, 0x3bffffff
	v_cmp_lt_u32_e32 vcc, s10, v3
	s_mov_b64 s[10:11], 0
                                        ; implicit-def: $vgpr3
	s_and_saveexec_b64 s[12:13], vcc
	s_xor_b64 s[12:13], exec, s[12:13]
	s_cbranch_execz .LBB160_2713
; %bb.2613:
	v_bfe_u32 v3, v2, 20, 1
	s_mov_b32 s14, 0x487ffff
	v_add3_u32 v3, v2, v3, s14
	s_mov_b64 s[10:11], exec
	v_lshrrev_b32_e32 v3, 20, v3
	s_or_saveexec_b64 s[12:13], s[12:13]
                                        ; implicit-def: $sgpr14
	s_xor_b64 exec, exec, s[12:13]
	s_cbranch_execnz .LBB160_2714
.LBB160_2614:
	s_or_b64 exec, exec, s[12:13]
	v_mov_b32_e32 v6, s14
	s_and_saveexec_b64 s[12:13], s[10:11]
.LBB160_2615:
	v_lshrrev_b32_e32 v2, 24, v2
	s_movk_i32 s10, 0x80
	v_and_or_b32 v6, v2, s10, v3
.LBB160_2616:
	s_or_b64 exec, exec, s[12:13]
	s_mov_b32 s12, s80
.LBB160_2617:
	s_or_b64 exec, exec, s[8:9]
	global_store_byte v[4:5], v6, off
.LBB160_2618:
	s_mov_b64 s[8:9], -1
.LBB160_2619:
	s_mov_b64 s[10:11], 0
.LBB160_2620:
	s_and_b64 vcc, exec, s[10:11]
	s_cbranch_vccz .LBB160_2660
; %bb.2621:
	v_mov_b32_e32 v2, 22
	v_cmp_gt_i16_sdwa s[10:11], v41, v2 src0_sel:BYTE_0 src1_sel:DWORD
	s_mov_b64 s[6:7], -1
	s_and_b64 vcc, exec, s[10:11]
	s_cbranch_vccz .LBB160_2653
; %bb.2622:
	v_mov_b32_e32 v2, 24
	v_cmp_lt_i16_sdwa s[8:9], v41, v2 src0_sel:BYTE_0 src1_sel:DWORD
	s_and_b64 vcc, exec, s[8:9]
	s_cbranch_vccnz .LBB160_2642
; %bb.2623:
	v_cmp_gt_i16_sdwa s[8:9], v41, v2 src0_sel:BYTE_0 src1_sel:DWORD
	s_and_b64 vcc, exec, s[8:9]
	s_cbranch_vccz .LBB160_2631
; %bb.2624:
	v_cvt_f32_f64_e32 v2, v[0:1]
	v_and_b32_e32 v3, 0x7fffffff, v2
	s_mov_b32 s6, 0x47800000
	v_cmp_gt_u32_e32 vcc, s6, v3
	v_mov_b32_e32 v6, 0x80
	s_and_saveexec_b64 s[6:7], vcc
	s_cbranch_execz .LBB160_2630
; %bb.2625:
	s_mov_b32 s8, 0x37ffffff
	v_cmp_lt_u32_e32 vcc, s8, v3
	s_mov_b64 s[8:9], 0
                                        ; implicit-def: $vgpr3
	s_and_saveexec_b64 s[10:11], vcc
	s_xor_b64 s[10:11], exec, s[10:11]
	s_cbranch_execz .LBB160_2717
; %bb.2626:
	v_bfe_u32 v3, v2, 21, 1
	s_mov_b32 s12, 0x88fffff
	v_add3_u32 v3, v2, v3, s12
	s_mov_b64 s[8:9], exec
	v_lshrrev_b32_e32 v3, 21, v3
	s_or_saveexec_b64 s[10:11], s[10:11]
                                        ; implicit-def: $sgpr12
	s_xor_b64 exec, exec, s[10:11]
	s_cbranch_execnz .LBB160_2718
.LBB160_2627:
	s_or_b64 exec, exec, s[10:11]
	v_mov_b32_e32 v6, s12
	s_and_saveexec_b64 s[10:11], s[8:9]
.LBB160_2628:
	v_lshrrev_b32_e32 v2, 24, v2
	s_movk_i32 s8, 0x80
	v_and_or_b32 v6, v2, s8, v3
.LBB160_2629:
	s_or_b64 exec, exec, s[10:11]
	s_mov_b32 s12, s80
.LBB160_2630:
	s_or_b64 exec, exec, s[6:7]
	s_mov_b64 s[6:7], 0
	global_store_byte v[4:5], v6, off
.LBB160_2631:
	s_and_b64 vcc, exec, s[6:7]
	s_cbranch_vccz .LBB160_2641
; %bb.2632:
	v_cvt_f32_f64_e32 v2, v[0:1]
	v_and_b32_e32 v6, 0x7fffffff, v2
	s_mov_b32 s6, 0x43f00000
	v_cmp_gt_u32_e32 vcc, s6, v6
                                        ; implicit-def: $vgpr3
	s_and_saveexec_b64 s[6:7], vcc
	s_xor_b64 s[6:7], exec, s[6:7]
	s_cbranch_execz .LBB160_2638
; %bb.2633:
	s_mov_b32 s8, 0x3c7fffff
	v_cmp_lt_u32_e32 vcc, s8, v6
                                        ; implicit-def: $vgpr3
	s_and_saveexec_b64 s[8:9], vcc
	s_xor_b64 s[8:9], exec, s[8:9]
; %bb.2634:
	v_bfe_u32 v3, v2, 20, 1
	s_mov_b32 s10, 0x407ffff
	v_add3_u32 v3, v2, v3, s10
	v_lshrrev_b32_e32 v6, 20, v3
	v_and_b32_e32 v3, 0xff00000, v3
	s_mov_b32 s10, 0x7f00000
	v_mov_b32_e32 v7, 0x7e
	v_cmp_ne_u32_e32 vcc, s10, v3
	v_cndmask_b32_e32 v3, v7, v6, vcc
; %bb.2635:
	s_andn2_saveexec_b64 s[8:9], s[8:9]
; %bb.2636:
	s_mov_b32 s10, 0x46800000
	v_add_f32_e64 v3, |v2|, s10
; %bb.2637:
	s_or_b64 exec, exec, s[8:9]
                                        ; implicit-def: $vgpr6
.LBB160_2638:
	s_andn2_saveexec_b64 s[6:7], s[6:7]
; %bb.2639:
	s_mov_b32 s8, 0x7f800000
	v_mov_b32_e32 v3, 0x7e
	v_mov_b32_e32 v7, 0x7f
	v_cmp_lt_u32_e32 vcc, s8, v6
	v_cndmask_b32_e32 v3, v3, v7, vcc
; %bb.2640:
	s_or_b64 exec, exec, s[6:7]
	v_lshrrev_b32_e32 v2, 24, v2
	s_movk_i32 s6, 0x80
	v_and_or_b32 v2, v2, s6, v3
	global_store_byte v[4:5], v2, off
	s_mov_b32 s12, s80
.LBB160_2641:
	s_mov_b64 s[6:7], 0
.LBB160_2642:
	s_andn2_b64 vcc, exec, s[6:7]
	s_cbranch_vccnz .LBB160_2652
; %bb.2643:
	v_cvt_f32_f64_e32 v2, v[0:1]
	v_and_b32_e32 v6, 0x7fffffff, v2
	s_mov_b32 s6, 0x47800000
	v_cmp_gt_u32_e32 vcc, s6, v6
                                        ; implicit-def: $vgpr3
	s_and_saveexec_b64 s[6:7], vcc
	s_xor_b64 s[6:7], exec, s[6:7]
	s_cbranch_execz .LBB160_2649
; %bb.2644:
	s_mov_b32 s8, 0x387fffff
	v_cmp_lt_u32_e32 vcc, s8, v6
                                        ; implicit-def: $vgpr3
	s_and_saveexec_b64 s[8:9], vcc
	s_xor_b64 s[8:9], exec, s[8:9]
; %bb.2645:
	v_bfe_u32 v3, v2, 21, 1
	s_mov_b32 s10, 0x80fffff
	v_add3_u32 v3, v2, v3, s10
	v_lshrrev_b32_e32 v3, 21, v3
; %bb.2646:
	s_andn2_saveexec_b64 s[8:9], s[8:9]
; %bb.2647:
	s_mov_b32 s10, 0x43000000
	v_add_f32_e64 v3, |v2|, s10
; %bb.2648:
	s_or_b64 exec, exec, s[8:9]
                                        ; implicit-def: $vgpr6
	s_mov_b32 s12, s80
.LBB160_2649:
	s_andn2_saveexec_b64 s[6:7], s[6:7]
; %bb.2650:
	s_mov_b32 s8, 0x7f800000
	v_mov_b32_e32 v3, 0x7c
	v_mov_b32_e32 v7, 0x7f
	v_cmp_lt_u32_e32 vcc, s8, v6
	v_cndmask_b32_e32 v3, v3, v7, vcc
; %bb.2651:
	s_or_b64 exec, exec, s[6:7]
	v_lshrrev_b32_e32 v2, 24, v2
	s_movk_i32 s6, 0x80
	v_and_or_b32 v2, v2, s6, v3
	global_store_byte v[4:5], v2, off
.LBB160_2652:
	s_mov_b64 s[6:7], 0
	s_mov_b64 s[8:9], -1
.LBB160_2653:
	s_andn2_b64 vcc, exec, s[6:7]
	s_mov_b64 s[6:7], 0
	s_cbranch_vccnz .LBB160_2660
; %bb.2654:
	v_mov_b32_e32 v2, 14
	v_cmp_gt_i16_sdwa s[6:7], v41, v2 src0_sel:BYTE_0 src1_sel:DWORD
	s_mov_b64 s[10:11], -1
	s_and_b64 vcc, exec, s[6:7]
	s_cbranch_vccz .LBB160_2658
; %bb.2655:
	v_mov_b32_e32 v2, 15
	v_cmp_eq_u16_sdwa s[6:7], v41, v2 src0_sel:BYTE_0 src1_sel:DWORD
	s_mov_b64 s[4:5], -1
	s_and_b64 vcc, exec, s[6:7]
	s_cbranch_vccz .LBB160_2657
; %bb.2656:
	v_cvt_f32_f64_e32 v2, v[0:1]
	v_bfe_u32 v3, v2, 16, 1
	s_movk_i32 s4, 0x7fff
	v_add3_u32 v3, v2, v3, s4
	v_lshrrev_b32_e32 v3, 16, v3
	v_mov_b32_e32 v6, 0x7fc0
	v_cmp_o_f32_e32 vcc, v2, v2
	v_cndmask_b32_e32 v2, v6, v3, vcc
	global_store_short v[4:5], v2, off
	s_mov_b64 s[4:5], 0
	s_mov_b64 s[8:9], -1
.LBB160_2657:
	s_mov_b64 s[10:11], 0
.LBB160_2658:
	s_mov_b64 s[6:7], 0
	s_and_b64 vcc, exec, s[10:11]
	s_cbranch_vccz .LBB160_2660
; %bb.2659:
	v_mov_b32_e32 v2, 11
	v_cmp_ne_u16_sdwa s[4:5], v41, v2 src0_sel:BYTE_0 src1_sel:DWORD
	s_mov_b64 s[6:7], -1
.LBB160_2660:
	s_and_b64 vcc, exec, s[4:5]
	s_cbranch_vccnz .LBB160_2716
; %bb.2661:
	s_andn2_b64 vcc, exec, s[6:7]
	s_cbranch_vccnz .LBB160_2663
.LBB160_2662:
	v_cmp_neq_f64_e32 vcc, 0, v[0:1]
	v_cndmask_b32_e64 v2, 0, 1, vcc
	s_mov_b64 s[8:9], -1
	global_store_byte v[4:5], v2, off
.LBB160_2663:
	s_mov_b64 s[4:5], 0
.LBB160_2664:
	s_and_b64 vcc, exec, s[4:5]
	s_cbranch_vccz .LBB160_2703
; %bb.2665:
	v_mov_b32_e32 v2, 5
	v_cmp_lt_i16_sdwa s[6:7], v41, v2 src0_sel:BYTE_0 src1_sel:DWORD
	s_mov_b64 s[4:5], -1
	s_and_b64 vcc, exec, s[6:7]
	s_cbranch_vccnz .LBB160_2686
; %bb.2666:
	v_mov_b32_e32 v2, 8
	v_cmp_lt_i16_sdwa s[6:7], v41, v2 src0_sel:BYTE_0 src1_sel:DWORD
	s_and_b64 vcc, exec, s[6:7]
	s_cbranch_vccnz .LBB160_2676
; %bb.2667:
	v_mov_b32_e32 v2, 9
	v_cmp_lt_i16_sdwa s[6:7], v41, v2 src0_sel:BYTE_0 src1_sel:DWORD
	s_and_b64 vcc, exec, s[6:7]
	s_cbranch_vccnz .LBB160_2673
; %bb.2668:
	v_cmp_gt_i16_sdwa s[6:7], v41, v2 src0_sel:BYTE_0 src1_sel:DWORD
	s_and_b64 vcc, exec, s[6:7]
	s_cbranch_vccz .LBB160_2670
; %bb.2669:
	v_mov_b32_e32 v2, 0
	v_mov_b32_e32 v3, v2
	global_store_dwordx4 v[4:5], v[0:3], off
	s_mov_b64 s[4:5], 0
.LBB160_2670:
	s_andn2_b64 vcc, exec, s[4:5]
	s_cbranch_vccnz .LBB160_2672
; %bb.2671:
	v_cvt_f32_f64_e32 v2, v[0:1]
	v_mov_b32_e32 v3, 0
	global_store_dwordx2 v[4:5], v[2:3], off
.LBB160_2672:
	s_mov_b64 s[4:5], 0
.LBB160_2673:
	s_andn2_b64 vcc, exec, s[4:5]
	s_cbranch_vccnz .LBB160_2675
; %bb.2674:
	v_cvt_f32_f64_e32 v2, v[0:1]
	v_cvt_f16_f32_e32 v2, v2
	global_store_dword v[4:5], v2, off
.LBB160_2675:
	s_mov_b64 s[4:5], 0
.LBB160_2676:
	s_andn2_b64 vcc, exec, s[4:5]
	s_cbranch_vccnz .LBB160_2685
; %bb.2677:
	v_mov_b32_e32 v2, 6
	v_cmp_lt_i16_sdwa s[6:7], v41, v2 src0_sel:BYTE_0 src1_sel:DWORD
	s_mov_b64 s[4:5], -1
	s_and_b64 vcc, exec, s[6:7]
	s_cbranch_vccnz .LBB160_2683
; %bb.2678:
	v_cmp_gt_i16_sdwa s[6:7], v41, v2 src0_sel:BYTE_0 src1_sel:DWORD
	s_and_b64 vcc, exec, s[6:7]
	s_cbranch_vccz .LBB160_2680
; %bb.2679:
	global_store_dwordx2 v[4:5], v[0:1], off
	s_mov_b64 s[4:5], 0
.LBB160_2680:
	s_andn2_b64 vcc, exec, s[4:5]
	s_cbranch_vccnz .LBB160_2682
; %bb.2681:
	v_cvt_f32_f64_e32 v2, v[0:1]
	global_store_dword v[4:5], v2, off
.LBB160_2682:
	s_mov_b64 s[4:5], 0
.LBB160_2683:
	s_andn2_b64 vcc, exec, s[4:5]
	s_cbranch_vccnz .LBB160_2685
; %bb.2684:
	v_cvt_f32_f64_e32 v2, v[0:1]
	v_cvt_f16_f32_e32 v2, v2
	global_store_short v[4:5], v2, off
.LBB160_2685:
	s_mov_b64 s[4:5], 0
.LBB160_2686:
	s_andn2_b64 vcc, exec, s[4:5]
	s_cbranch_vccnz .LBB160_2702
; %bb.2687:
	v_mov_b32_e32 v2, 2
	v_cmp_lt_i16_sdwa s[6:7], v41, v2 src0_sel:BYTE_0 src1_sel:DWORD
	s_mov_b64 s[4:5], -1
	s_and_b64 vcc, exec, s[6:7]
	s_cbranch_vccnz .LBB160_2697
; %bb.2688:
	v_mov_b32_e32 v2, 3
	v_cmp_lt_i16_sdwa s[6:7], v41, v2 src0_sel:BYTE_0 src1_sel:DWORD
	s_and_b64 vcc, exec, s[6:7]
	s_cbranch_vccnz .LBB160_2694
; %bb.2689:
	v_cmp_gt_i16_sdwa s[6:7], v41, v2 src0_sel:BYTE_0 src1_sel:DWORD
	s_and_b64 vcc, exec, s[6:7]
	s_cbranch_vccz .LBB160_2691
; %bb.2690:
	v_trunc_f64_e32 v[2:3], v[0:1]
	s_movk_i32 s4, 0xffe0
	v_ldexp_f64 v[6:7], v[2:3], s4
	v_floor_f64_e32 v[6:7], v[6:7]
	v_fmac_f64_e32 v[2:3], 0xc1f00000, v[6:7]
	v_cvt_i32_f64_e32 v9, v[6:7]
	v_cvt_u32_f64_e32 v8, v[2:3]
	global_store_dwordx2 v[4:5], v[8:9], off
	s_mov_b64 s[4:5], 0
.LBB160_2691:
	s_andn2_b64 vcc, exec, s[4:5]
	s_cbranch_vccnz .LBB160_2693
; %bb.2692:
	v_cvt_i32_f64_e32 v2, v[0:1]
	global_store_dword v[4:5], v2, off
.LBB160_2693:
	s_mov_b64 s[4:5], 0
.LBB160_2694:
	s_andn2_b64 vcc, exec, s[4:5]
	s_cbranch_vccnz .LBB160_2696
; %bb.2695:
	v_cvt_i32_f64_e32 v2, v[0:1]
	global_store_short v[4:5], v2, off
.LBB160_2696:
	s_mov_b64 s[4:5], 0
.LBB160_2697:
	s_andn2_b64 vcc, exec, s[4:5]
	s_cbranch_vccnz .LBB160_2702
; %bb.2698:
	v_mov_b32_e32 v2, 0
	v_cmp_gt_i16_sdwa s[6:7], v41, v2 src0_sel:BYTE_0 src1_sel:DWORD
	s_mov_b64 s[4:5], -1
	s_and_b64 vcc, exec, s[6:7]
	s_cbranch_vccz .LBB160_2700
; %bb.2699:
	v_cvt_i32_f64_e32 v2, v[0:1]
	global_store_byte v[4:5], v2, off
	s_mov_b64 s[4:5], 0
.LBB160_2700:
	s_andn2_b64 vcc, exec, s[4:5]
	s_cbranch_vccnz .LBB160_2702
; %bb.2701:
	v_trunc_f64_e32 v[0:1], v[0:1]
	s_movk_i32 s4, 0xffe0
	v_ldexp_f64 v[2:3], v[0:1], s4
	v_floor_f64_e32 v[2:3], v[2:3]
	v_fmac_f64_e32 v[0:1], 0xc1f00000, v[2:3]
	v_cvt_u32_f64_e32 v0, v[0:1]
	global_store_byte v[4:5], v0, off
.LBB160_2702:
	s_mov_b64 s[8:9], -1
.LBB160_2703:
	s_andn2_b64 vcc, exec, s[8:9]
	s_cbranch_vccnz .LBB160_3037
; %bb.2704:
	v_mov_b32_e32 v0, v42
	v_mov_b32_e32 v1, v43
	;; [unrolled: 1-line block ×4, first 2 shown]
	s_getpc_b64 s[4:5]
	s_add_u32 s4, s4, _ZZZZN2at6native33launch_standard_gamma_grad_kernelERNS_18TensorIteratorBaseEENKUlvE_clEvENKUlvE_clEvENKUlddE_clEdd@rel32@lo+4
	s_addc_u32 s5, s5, _ZZZZN2at6native33launch_standard_gamma_grad_kernelERNS_18TensorIteratorBaseEENKUlvE_clEvENKUlvE_clEvENKUlddE_clEdd@rel32@hi+12
	s_mov_b64 s[80:81], s[76:77]
	s_mov_b32 s76, s12
	s_swappc_b64 s[30:31], s[4:5]
	s_lshl_b32 s33, s76, 7
	s_mov_b64 s[76:77], s[80:81]
	v_add_u32_e32 v42, s33, v62
	v_ashrrev_i32_e32 v2, 31, v42
	v_mov_b32_e32 v3, s77
	v_add_co_u32_e32 v4, vcc, s76, v42
	v_addc_co_u32_e32 v5, vcc, v3, v2, vcc
	v_mov_b32_e32 v2, 11
	v_cmp_lt_i16_sdwa s[4:5], v41, v2 src0_sel:BYTE_0 src1_sel:DWORD
	s_and_b64 vcc, exec, s[4:5]
	s_cbranch_vccnz .LBB160_2711
; %bb.2705:
	v_mov_b32_e32 v2, 25
	v_cmp_gt_i16_sdwa s[4:5], v41, v2 src0_sel:BYTE_0 src1_sel:DWORD
	s_mov_b64 s[10:11], -1
	s_mov_b64 s[6:7], 0
	s_and_b64 vcc, exec, s[4:5]
	s_mov_b64 s[8:9], 0
	s_mov_b64 s[4:5], 0
	s_cbranch_vccz .LBB160_2747
; %bb.2706:
	v_mov_b32_e32 v2, 28
	v_cmp_gt_i16_sdwa s[4:5], v41, v2 src0_sel:BYTE_0 src1_sel:DWORD
	s_and_b64 vcc, exec, s[4:5]
	s_cbranch_vccz .LBB160_2712
; %bb.2707:
	v_mov_b32_e32 v2, 43
	v_cmp_gt_i16_sdwa s[4:5], v41, v2 src0_sel:BYTE_0 src1_sel:DWORD
	s_and_b64 vcc, exec, s[4:5]
	s_cbranch_vccz .LBB160_2715
; %bb.2708:
	v_mov_b32_e32 v2, 45
	v_cmp_gt_i16_sdwa s[4:5], v41, v2 src0_sel:BYTE_0 src1_sel:DWORD
	s_and_b64 vcc, exec, s[4:5]
	s_cbranch_vccz .LBB160_2719
; %bb.2709:
	v_mov_b32_e32 v2, 46
	v_cmp_eq_u16_sdwa s[8:9], v41, v2 src0_sel:BYTE_0 src1_sel:DWORD
	s_mov_b64 s[4:5], -1
	s_mov_b64 s[10:11], 0
	s_and_b64 vcc, exec, s[8:9]
	s_mov_b64 s[8:9], 0
	s_cbranch_vccz .LBB160_2720
; %bb.2710:
	v_cvt_f32_f64_e32 v2, v[0:1]
	v_bfe_u32 v3, v2, 16, 1
	s_movk_i32 s4, 0x7fff
	v_add3_u32 v3, v2, v3, s4
	v_lshrrev_b32_e32 v3, 16, v3
	v_mov_b32_e32 v6, 0x7fc0
	v_cmp_o_f32_e32 vcc, v2, v2
	v_cndmask_b32_e32 v2, v6, v3, vcc
	global_store_dword v[4:5], v2, off
	s_mov_b64 s[4:5], 0
	s_mov_b64 s[8:9], -1
	s_branch .LBB160_2720
.LBB160_2711:
	s_mov_b64 s[4:5], -1
	s_mov_b64 s[8:9], 0
	s_branch .LBB160_2791
.LBB160_2712:
	s_mov_b64 s[4:5], 0
	s_branch .LBB160_2730
.LBB160_2713:
	s_or_saveexec_b64 s[12:13], s[12:13]
                                        ; implicit-def: $sgpr14
	s_xor_b64 exec, exec, s[12:13]
	s_cbranch_execz .LBB160_2614
.LBB160_2714:
	s_mov_b32 s14, 0x46000000
	v_add_f32_e64 v3, |v2|, s14
	v_and_b32_e32 v3, 0xff, v3
	v_cmp_ne_u32_e32 vcc, 0, v3
	s_andn2_b64 s[10:11], s[10:11], exec
	s_and_b64 s[16:17], vcc, exec
	s_mov_b32 s14, 0
	s_or_b64 s[10:11], s[10:11], s[16:17]
	s_or_b64 exec, exec, s[12:13]
	v_mov_b32_e32 v6, s14
	s_and_saveexec_b64 s[12:13], s[10:11]
	s_cbranch_execnz .LBB160_2615
	s_branch .LBB160_2616
.LBB160_2715:
	s_mov_b64 s[4:5], 0
	s_branch .LBB160_2726
.LBB160_2716:
	s_trap 2
	s_or_b64 s[90:91], s[90:91], exec
	s_cbranch_execz .LBB160_2662
	s_branch .LBB160_2663
.LBB160_2717:
	s_or_saveexec_b64 s[10:11], s[10:11]
                                        ; implicit-def: $sgpr12
	s_xor_b64 exec, exec, s[10:11]
	s_cbranch_execz .LBB160_2627
.LBB160_2718:
	s_mov_b32 s12, 0x42800000
	v_add_f32_e64 v3, |v2|, s12
	v_and_b32_e32 v3, 0xff, v3
	v_cmp_ne_u32_e32 vcc, 0, v3
	s_andn2_b64 s[8:9], s[8:9], exec
	s_and_b64 s[14:15], vcc, exec
	s_mov_b32 s12, 0
	s_or_b64 s[8:9], s[8:9], s[14:15]
	s_or_b64 exec, exec, s[10:11]
	v_mov_b32_e32 v6, s12
	s_and_saveexec_b64 s[10:11], s[8:9]
	s_cbranch_execnz .LBB160_2628
	s_branch .LBB160_2629
.LBB160_2719:
	s_mov_b64 s[4:5], 0
.LBB160_2720:
	s_and_b64 vcc, exec, s[10:11]
	s_cbranch_vccz .LBB160_2725
; %bb.2721:
	v_mov_b32_e32 v2, 44
	v_cmp_eq_u16_sdwa s[10:11], v41, v2 src0_sel:BYTE_0 src1_sel:DWORD
	s_mov_b64 s[4:5], -1
	s_and_b64 vcc, exec, s[10:11]
	s_cbranch_vccz .LBB160_2725
; %bb.2722:
	v_cvt_f32_f64_e32 v2, v[0:1]
	v_bfe_u32 v3, v2, 23, 8
	s_movk_i32 s4, 0xff
	v_cmp_ne_u32_e32 vcc, s4, v3
	v_mov_b32_e32 v6, 0xff
	s_and_saveexec_b64 s[8:9], vcc
; %bb.2723:
	s_mov_b32 s4, 0x3fffff
	v_lshrrev_b32_e32 v6, 23, v2
	v_and_b32_e32 v7, 0x400000, v2
	v_and_or_b32 v2, v2, s4, v3
	v_cmp_ne_u32_e32 vcc, 0, v7
	v_cmp_ne_u32_e64 s[4:5], 0, v2
	s_and_b64 s[4:5], vcc, s[4:5]
	v_cndmask_b32_e64 v2, 0, 1, s[4:5]
	v_add_u32_e32 v6, v6, v2
; %bb.2724:
	s_or_b64 exec, exec, s[8:9]
	s_mov_b64 s[4:5], 0
	s_mov_b64 s[8:9], -1
	global_store_byte v[4:5], v6, off
.LBB160_2725:
	s_mov_b64 s[10:11], 0
.LBB160_2726:
	s_and_b64 vcc, exec, s[10:11]
	s_cbranch_vccz .LBB160_2729
; %bb.2727:
	v_mov_b32_e32 v2, 29
	v_cmp_eq_u16_sdwa s[10:11], v41, v2 src0_sel:BYTE_0 src1_sel:DWORD
	s_mov_b64 s[4:5], -1
	s_and_b64 vcc, exec, s[10:11]
                                        ; implicit-def: $sgpr78
	s_cbranch_vccz .LBB160_2729
; %bb.2728:
	v_trunc_f64_e32 v[2:3], v[0:1]
	s_movk_i32 s4, 0xffe0
	v_ldexp_f64 v[6:7], v[2:3], s4
	v_floor_f64_e32 v[6:7], v[6:7]
	v_fmac_f64_e32 v[2:3], 0xc1f00000, v[6:7]
	v_cvt_u32_f64_e32 v9, v[6:7]
	v_cvt_u32_f64_e32 v8, v[2:3]
	global_store_dwordx2 v[4:5], v[8:9], off
	s_mov_b64 s[4:5], 0
	s_mov_b64 s[8:9], -1
                                        ; implicit-def: $sgpr78
.LBB160_2729:
	s_mov_b64 s[76:77], s[80:81]
	s_mov_b64 s[10:11], 0
.LBB160_2730:
	s_and_b64 vcc, exec, s[10:11]
	s_cbranch_vccz .LBB160_2746
; %bb.2731:
	v_mov_b32_e32 v2, 27
	v_cmp_lt_i16_sdwa s[10:11], v41, v2 src0_sel:BYTE_0 src1_sel:DWORD
	s_mov_b64 s[8:9], -1
	s_and_b64 vcc, exec, s[10:11]
	s_cbranch_vccnz .LBB160_2737
; %bb.2732:
	v_cmp_gt_i16_sdwa s[10:11], v41, v2 src0_sel:BYTE_0 src1_sel:DWORD
	s_and_b64 vcc, exec, s[10:11]
	v_cvt_u32_f64_e32 v2, v[0:1]
	s_cbranch_vccz .LBB160_2734
; %bb.2733:
	s_mov_b64 s[8:9], 0
	global_store_dword v[4:5], v2, off
.LBB160_2734:
	s_andn2_b64 vcc, exec, s[8:9]
	s_cbranch_vccnz .LBB160_2736
; %bb.2735:
	global_store_short v[4:5], v2, off
.LBB160_2736:
	s_mov_b64 s[8:9], 0
	s_mov_b64 s[76:77], s[80:81]
.LBB160_2737:
	s_andn2_b64 vcc, exec, s[8:9]
	s_cbranch_vccnz .LBB160_2745
; %bb.2738:
	v_cvt_f32_f64_e32 v2, v[0:1]
	v_and_b32_e32 v3, 0x7fffffff, v2
	s_mov_b32 s8, 0x43800000
	v_cmp_gt_u32_e32 vcc, s8, v3
	v_mov_b32_e32 v6, 0x80
	s_and_saveexec_b64 s[8:9], vcc
	s_cbranch_execz .LBB160_2744
; %bb.2739:
	s_mov_b32 s10, 0x3bffffff
	v_cmp_lt_u32_e32 vcc, s10, v3
	s_mov_b64 s[10:11], 0
                                        ; implicit-def: $vgpr3
	s_and_saveexec_b64 s[12:13], vcc
	s_xor_b64 s[12:13], exec, s[12:13]
	s_cbranch_execz .LBB160_2840
; %bb.2740:
	v_bfe_u32 v3, v2, 20, 1
	s_mov_b32 s14, 0x487ffff
	v_add3_u32 v3, v2, v3, s14
	s_mov_b64 s[10:11], exec
	v_lshrrev_b32_e32 v3, 20, v3
	s_or_saveexec_b64 s[12:13], s[12:13]
                                        ; implicit-def: $sgpr14
	s_xor_b64 exec, exec, s[12:13]
	s_cbranch_execnz .LBB160_2841
.LBB160_2741:
	s_or_b64 exec, exec, s[12:13]
	v_mov_b32_e32 v6, s14
	s_and_saveexec_b64 s[12:13], s[10:11]
.LBB160_2742:
	v_lshrrev_b32_e32 v2, 24, v2
	s_movk_i32 s10, 0x80
	v_and_or_b32 v6, v2, s10, v3
.LBB160_2743:
	s_or_b64 exec, exec, s[12:13]
	s_mov_b64 s[76:77], s[80:81]
.LBB160_2744:
	s_or_b64 exec, exec, s[8:9]
	global_store_byte v[4:5], v6, off
.LBB160_2745:
	s_mov_b64 s[8:9], -1
.LBB160_2746:
	s_mov_b64 s[10:11], 0
.LBB160_2747:
	s_and_b64 vcc, exec, s[10:11]
	s_cbranch_vccz .LBB160_2787
; %bb.2748:
	v_mov_b32_e32 v2, 22
	v_cmp_gt_i16_sdwa s[10:11], v41, v2 src0_sel:BYTE_0 src1_sel:DWORD
	s_mov_b64 s[6:7], -1
	s_and_b64 vcc, exec, s[10:11]
	s_cbranch_vccz .LBB160_2780
; %bb.2749:
	v_mov_b32_e32 v2, 24
	v_cmp_lt_i16_sdwa s[8:9], v41, v2 src0_sel:BYTE_0 src1_sel:DWORD
	s_and_b64 vcc, exec, s[8:9]
	s_cbranch_vccnz .LBB160_2769
; %bb.2750:
	v_cmp_gt_i16_sdwa s[8:9], v41, v2 src0_sel:BYTE_0 src1_sel:DWORD
	s_and_b64 vcc, exec, s[8:9]
	s_cbranch_vccz .LBB160_2758
; %bb.2751:
	v_cvt_f32_f64_e32 v2, v[0:1]
	v_and_b32_e32 v3, 0x7fffffff, v2
	s_mov_b32 s6, 0x47800000
	v_cmp_gt_u32_e32 vcc, s6, v3
	v_mov_b32_e32 v6, 0x80
	s_and_saveexec_b64 s[6:7], vcc
	s_cbranch_execz .LBB160_2757
; %bb.2752:
	s_mov_b32 s8, 0x37ffffff
	v_cmp_lt_u32_e32 vcc, s8, v3
	s_mov_b64 s[8:9], 0
                                        ; implicit-def: $vgpr3
	s_and_saveexec_b64 s[10:11], vcc
	s_xor_b64 s[10:11], exec, s[10:11]
	s_cbranch_execz .LBB160_2844
; %bb.2753:
	v_bfe_u32 v3, v2, 21, 1
	s_mov_b32 s12, 0x88fffff
	v_add3_u32 v3, v2, v3, s12
	s_mov_b64 s[8:9], exec
	v_lshrrev_b32_e32 v3, 21, v3
	s_or_saveexec_b64 s[10:11], s[10:11]
                                        ; implicit-def: $sgpr12
	s_xor_b64 exec, exec, s[10:11]
	s_cbranch_execnz .LBB160_2845
.LBB160_2754:
	s_or_b64 exec, exec, s[10:11]
	v_mov_b32_e32 v6, s12
	s_and_saveexec_b64 s[10:11], s[8:9]
.LBB160_2755:
	v_lshrrev_b32_e32 v2, 24, v2
	s_movk_i32 s8, 0x80
	v_and_or_b32 v6, v2, s8, v3
.LBB160_2756:
	s_or_b64 exec, exec, s[10:11]
.LBB160_2757:
	s_or_b64 exec, exec, s[6:7]
	s_mov_b64 s[6:7], 0
	global_store_byte v[4:5], v6, off
.LBB160_2758:
	s_and_b64 vcc, exec, s[6:7]
	s_cbranch_vccz .LBB160_2768
; %bb.2759:
	v_cvt_f32_f64_e32 v2, v[0:1]
	v_and_b32_e32 v6, 0x7fffffff, v2
	s_mov_b32 s6, 0x43f00000
	v_cmp_gt_u32_e32 vcc, s6, v6
                                        ; implicit-def: $vgpr3
	s_and_saveexec_b64 s[6:7], vcc
	s_xor_b64 s[6:7], exec, s[6:7]
	s_cbranch_execz .LBB160_2765
; %bb.2760:
	s_mov_b32 s8, 0x3c7fffff
	v_cmp_lt_u32_e32 vcc, s8, v6
                                        ; implicit-def: $vgpr3
	s_and_saveexec_b64 s[8:9], vcc
	s_xor_b64 s[8:9], exec, s[8:9]
; %bb.2761:
	v_bfe_u32 v3, v2, 20, 1
	s_mov_b32 s10, 0x407ffff
	v_add3_u32 v3, v2, v3, s10
	v_lshrrev_b32_e32 v6, 20, v3
	v_and_b32_e32 v3, 0xff00000, v3
	s_mov_b32 s10, 0x7f00000
	v_mov_b32_e32 v7, 0x7e
	v_cmp_ne_u32_e32 vcc, s10, v3
	v_cndmask_b32_e32 v3, v7, v6, vcc
; %bb.2762:
	s_andn2_saveexec_b64 s[8:9], s[8:9]
; %bb.2763:
	s_mov_b32 s10, 0x46800000
	v_add_f32_e64 v3, |v2|, s10
; %bb.2764:
	s_or_b64 exec, exec, s[8:9]
                                        ; implicit-def: $vgpr6
.LBB160_2765:
	s_andn2_saveexec_b64 s[6:7], s[6:7]
; %bb.2766:
	s_mov_b32 s8, 0x7f800000
	v_mov_b32_e32 v3, 0x7e
	v_mov_b32_e32 v7, 0x7f
	v_cmp_lt_u32_e32 vcc, s8, v6
	v_cndmask_b32_e32 v3, v3, v7, vcc
; %bb.2767:
	s_or_b64 exec, exec, s[6:7]
	v_lshrrev_b32_e32 v2, 24, v2
	s_movk_i32 s6, 0x80
	v_and_or_b32 v2, v2, s6, v3
	global_store_byte v[4:5], v2, off
.LBB160_2768:
	s_mov_b64 s[6:7], 0
	s_mov_b64 s[76:77], s[80:81]
.LBB160_2769:
	s_andn2_b64 vcc, exec, s[6:7]
	s_cbranch_vccnz .LBB160_2779
; %bb.2770:
	v_cvt_f32_f64_e32 v2, v[0:1]
	v_and_b32_e32 v6, 0x7fffffff, v2
	s_mov_b32 s6, 0x47800000
	v_cmp_gt_u32_e32 vcc, s6, v6
                                        ; implicit-def: $vgpr3
	s_and_saveexec_b64 s[6:7], vcc
	s_xor_b64 s[6:7], exec, s[6:7]
	s_cbranch_execz .LBB160_2776
; %bb.2771:
	s_mov_b32 s8, 0x387fffff
	v_cmp_lt_u32_e32 vcc, s8, v6
                                        ; implicit-def: $vgpr3
	s_and_saveexec_b64 s[8:9], vcc
	s_xor_b64 s[8:9], exec, s[8:9]
; %bb.2772:
	v_bfe_u32 v3, v2, 21, 1
	s_mov_b32 s10, 0x80fffff
	v_add3_u32 v3, v2, v3, s10
	v_lshrrev_b32_e32 v3, 21, v3
; %bb.2773:
	s_andn2_saveexec_b64 s[8:9], s[8:9]
; %bb.2774:
	s_mov_b32 s10, 0x43000000
	v_add_f32_e64 v3, |v2|, s10
; %bb.2775:
	s_or_b64 exec, exec, s[8:9]
                                        ; implicit-def: $vgpr6
.LBB160_2776:
	s_andn2_saveexec_b64 s[6:7], s[6:7]
; %bb.2777:
	s_mov_b32 s8, 0x7f800000
	v_mov_b32_e32 v3, 0x7c
	v_mov_b32_e32 v7, 0x7f
	v_cmp_lt_u32_e32 vcc, s8, v6
	v_cndmask_b32_e32 v3, v3, v7, vcc
; %bb.2778:
	s_or_b64 exec, exec, s[6:7]
	v_lshrrev_b32_e32 v2, 24, v2
	s_movk_i32 s6, 0x80
	v_and_or_b32 v2, v2, s6, v3
	s_mov_b64 s[76:77], s[80:81]
	global_store_byte v[4:5], v2, off
.LBB160_2779:
	s_mov_b64 s[6:7], 0
	s_mov_b64 s[8:9], -1
.LBB160_2780:
	s_andn2_b64 vcc, exec, s[6:7]
	s_mov_b64 s[6:7], 0
	s_cbranch_vccnz .LBB160_2787
; %bb.2781:
	v_mov_b32_e32 v2, 14
	v_cmp_gt_i16_sdwa s[6:7], v41, v2 src0_sel:BYTE_0 src1_sel:DWORD
	s_mov_b64 s[10:11], -1
	s_and_b64 vcc, exec, s[6:7]
	s_cbranch_vccz .LBB160_2785
; %bb.2782:
	v_mov_b32_e32 v2, 15
	v_cmp_eq_u16_sdwa s[6:7], v41, v2 src0_sel:BYTE_0 src1_sel:DWORD
	s_mov_b64 s[4:5], -1
	s_and_b64 vcc, exec, s[6:7]
	s_cbranch_vccz .LBB160_2784
; %bb.2783:
	v_cvt_f32_f64_e32 v2, v[0:1]
	v_bfe_u32 v3, v2, 16, 1
	s_movk_i32 s4, 0x7fff
	v_add3_u32 v3, v2, v3, s4
	v_lshrrev_b32_e32 v3, 16, v3
	v_mov_b32_e32 v6, 0x7fc0
	v_cmp_o_f32_e32 vcc, v2, v2
	v_cndmask_b32_e32 v2, v6, v3, vcc
	global_store_short v[4:5], v2, off
	s_mov_b64 s[4:5], 0
	s_mov_b64 s[8:9], -1
.LBB160_2784:
	s_mov_b64 s[10:11], 0
.LBB160_2785:
	s_mov_b64 s[6:7], 0
	s_and_b64 vcc, exec, s[10:11]
	s_cbranch_vccz .LBB160_2787
; %bb.2786:
	v_mov_b32_e32 v2, 11
	v_cmp_ne_u16_sdwa s[4:5], v41, v2 src0_sel:BYTE_0 src1_sel:DWORD
	s_mov_b64 s[6:7], -1
.LBB160_2787:
	s_and_b64 vcc, exec, s[4:5]
	s_cbranch_vccnz .LBB160_2843
; %bb.2788:
	s_andn2_b64 vcc, exec, s[6:7]
	s_cbranch_vccnz .LBB160_2790
.LBB160_2789:
	v_cmp_neq_f64_e32 vcc, 0, v[0:1]
	v_cndmask_b32_e64 v2, 0, 1, vcc
	s_mov_b64 s[8:9], -1
	global_store_byte v[4:5], v2, off
.LBB160_2790:
	s_mov_b64 s[4:5], 0
.LBB160_2791:
	s_and_b64 vcc, exec, s[4:5]
	s_cbranch_vccz .LBB160_2830
; %bb.2792:
	v_mov_b32_e32 v2, 5
	v_cmp_lt_i16_sdwa s[6:7], v41, v2 src0_sel:BYTE_0 src1_sel:DWORD
	s_mov_b64 s[4:5], -1
	s_and_b64 vcc, exec, s[6:7]
	s_cbranch_vccnz .LBB160_2813
; %bb.2793:
	v_mov_b32_e32 v2, 8
	v_cmp_lt_i16_sdwa s[6:7], v41, v2 src0_sel:BYTE_0 src1_sel:DWORD
	s_and_b64 vcc, exec, s[6:7]
	s_cbranch_vccnz .LBB160_2803
; %bb.2794:
	v_mov_b32_e32 v2, 9
	v_cmp_lt_i16_sdwa s[6:7], v41, v2 src0_sel:BYTE_0 src1_sel:DWORD
	s_and_b64 vcc, exec, s[6:7]
	s_cbranch_vccnz .LBB160_2800
; %bb.2795:
	v_cmp_gt_i16_sdwa s[6:7], v41, v2 src0_sel:BYTE_0 src1_sel:DWORD
	s_and_b64 vcc, exec, s[6:7]
	s_cbranch_vccz .LBB160_2797
; %bb.2796:
	v_mov_b32_e32 v2, 0
	v_mov_b32_e32 v3, v2
	global_store_dwordx4 v[4:5], v[0:3], off
	s_mov_b64 s[4:5], 0
.LBB160_2797:
	s_andn2_b64 vcc, exec, s[4:5]
	s_cbranch_vccnz .LBB160_2799
; %bb.2798:
	v_cvt_f32_f64_e32 v2, v[0:1]
	v_mov_b32_e32 v3, 0
	global_store_dwordx2 v[4:5], v[2:3], off
.LBB160_2799:
	s_mov_b64 s[4:5], 0
	s_mov_b64 s[76:77], s[80:81]
.LBB160_2800:
	s_andn2_b64 vcc, exec, s[4:5]
	s_cbranch_vccnz .LBB160_2802
; %bb.2801:
	v_cvt_f32_f64_e32 v2, v[0:1]
	v_cvt_f16_f32_e32 v2, v2
	global_store_dword v[4:5], v2, off
.LBB160_2802:
	s_mov_b64 s[4:5], 0
.LBB160_2803:
	s_andn2_b64 vcc, exec, s[4:5]
	s_cbranch_vccnz .LBB160_2812
; %bb.2804:
	v_mov_b32_e32 v2, 6
	v_cmp_lt_i16_sdwa s[6:7], v41, v2 src0_sel:BYTE_0 src1_sel:DWORD
	s_mov_b64 s[4:5], -1
	s_and_b64 vcc, exec, s[6:7]
	s_cbranch_vccnz .LBB160_2810
; %bb.2805:
	v_cmp_gt_i16_sdwa s[6:7], v41, v2 src0_sel:BYTE_0 src1_sel:DWORD
	s_and_b64 vcc, exec, s[6:7]
	s_cbranch_vccz .LBB160_2807
; %bb.2806:
	global_store_dwordx2 v[4:5], v[0:1], off
	s_mov_b64 s[4:5], 0
.LBB160_2807:
	s_andn2_b64 vcc, exec, s[4:5]
	s_cbranch_vccnz .LBB160_2809
; %bb.2808:
	v_cvt_f32_f64_e32 v2, v[0:1]
	global_store_dword v[4:5], v2, off
.LBB160_2809:
	s_mov_b64 s[4:5], 0
	s_mov_b64 s[76:77], s[80:81]
.LBB160_2810:
	s_andn2_b64 vcc, exec, s[4:5]
	s_cbranch_vccnz .LBB160_2812
; %bb.2811:
	v_cvt_f32_f64_e32 v2, v[0:1]
	v_cvt_f16_f32_e32 v2, v2
	global_store_short v[4:5], v2, off
.LBB160_2812:
	s_mov_b64 s[4:5], 0
.LBB160_2813:
	s_andn2_b64 vcc, exec, s[4:5]
	s_cbranch_vccnz .LBB160_2829
; %bb.2814:
	v_mov_b32_e32 v2, 2
	v_cmp_lt_i16_sdwa s[6:7], v41, v2 src0_sel:BYTE_0 src1_sel:DWORD
	s_mov_b64 s[4:5], -1
	s_and_b64 vcc, exec, s[6:7]
	s_cbranch_vccnz .LBB160_2824
; %bb.2815:
	v_mov_b32_e32 v2, 3
	v_cmp_lt_i16_sdwa s[6:7], v41, v2 src0_sel:BYTE_0 src1_sel:DWORD
	s_and_b64 vcc, exec, s[6:7]
	s_cbranch_vccnz .LBB160_2821
; %bb.2816:
	v_cmp_gt_i16_sdwa s[6:7], v41, v2 src0_sel:BYTE_0 src1_sel:DWORD
	s_and_b64 vcc, exec, s[6:7]
	s_cbranch_vccz .LBB160_2818
; %bb.2817:
	v_trunc_f64_e32 v[2:3], v[0:1]
	s_movk_i32 s4, 0xffe0
	v_ldexp_f64 v[6:7], v[2:3], s4
	v_floor_f64_e32 v[6:7], v[6:7]
	v_fmac_f64_e32 v[2:3], 0xc1f00000, v[6:7]
	v_cvt_i32_f64_e32 v9, v[6:7]
	v_cvt_u32_f64_e32 v8, v[2:3]
	global_store_dwordx2 v[4:5], v[8:9], off
	s_mov_b64 s[4:5], 0
.LBB160_2818:
	s_andn2_b64 vcc, exec, s[4:5]
	s_cbranch_vccnz .LBB160_2820
; %bb.2819:
	v_cvt_i32_f64_e32 v2, v[0:1]
	global_store_dword v[4:5], v2, off
.LBB160_2820:
	s_mov_b64 s[4:5], 0
	s_mov_b64 s[76:77], s[80:81]
.LBB160_2821:
	s_andn2_b64 vcc, exec, s[4:5]
	s_cbranch_vccnz .LBB160_2823
; %bb.2822:
	v_cvt_i32_f64_e32 v2, v[0:1]
	global_store_short v[4:5], v2, off
.LBB160_2823:
	s_mov_b64 s[4:5], 0
.LBB160_2824:
	s_andn2_b64 vcc, exec, s[4:5]
	s_cbranch_vccnz .LBB160_2829
; %bb.2825:
	v_mov_b32_e32 v2, 0
	v_cmp_gt_i16_sdwa s[6:7], v41, v2 src0_sel:BYTE_0 src1_sel:DWORD
	s_mov_b64 s[4:5], -1
	s_and_b64 vcc, exec, s[6:7]
	s_cbranch_vccz .LBB160_2827
; %bb.2826:
	v_cvt_i32_f64_e32 v2, v[0:1]
	global_store_byte v[4:5], v2, off
	s_mov_b64 s[4:5], 0
.LBB160_2827:
	s_andn2_b64 vcc, exec, s[4:5]
	s_cbranch_vccnz .LBB160_2829
; %bb.2828:
	v_trunc_f64_e32 v[0:1], v[0:1]
	s_movk_i32 s4, 0xffe0
	v_ldexp_f64 v[2:3], v[0:1], s4
	v_floor_f64_e32 v[2:3], v[2:3]
	v_fmac_f64_e32 v[0:1], 0xc1f00000, v[2:3]
	v_cvt_u32_f64_e32 v0, v[0:1]
	global_store_byte v[4:5], v0, off
.LBB160_2829:
	s_mov_b64 s[8:9], -1
.LBB160_2830:
	s_andn2_b64 vcc, exec, s[8:9]
	s_cbranch_vccnz .LBB160_3037
; %bb.2831:
	v_mov_b32_e32 v0, v46
	v_mov_b32_e32 v1, v47
	;; [unrolled: 1-line block ×4, first 2 shown]
	s_getpc_b64 s[4:5]
	s_add_u32 s4, s4, _ZZZZN2at6native33launch_standard_gamma_grad_kernelERNS_18TensorIteratorBaseEENKUlvE_clEvENKUlvE_clEvENKUlddE_clEdd@rel32@lo+4
	s_addc_u32 s5, s5, _ZZZZN2at6native33launch_standard_gamma_grad_kernelERNS_18TensorIteratorBaseEENKUlvE_clEvENKUlvE_clEvENKUlddE_clEdd@rel32@hi+12
	s_swappc_b64 s[30:31], s[4:5]
	v_add_u32_e32 v42, s33, v42
	v_ashrrev_i32_e32 v2, 31, v42
	v_mov_b32_e32 v3, s77
	v_add_co_u32_e32 v4, vcc, s76, v42
	v_addc_co_u32_e32 v5, vcc, v3, v2, vcc
	v_mov_b32_e32 v2, 11
	v_cmp_lt_i16_sdwa s[4:5], v41, v2 src0_sel:BYTE_0 src1_sel:DWORD
	s_and_b64 vcc, exec, s[4:5]
	s_cbranch_vccnz .LBB160_2838
; %bb.2832:
	v_mov_b32_e32 v2, 25
	v_cmp_gt_i16_sdwa s[4:5], v41, v2 src0_sel:BYTE_0 src1_sel:DWORD
	s_mov_b64 s[10:11], -1
	s_mov_b64 s[6:7], 0
	s_and_b64 vcc, exec, s[4:5]
	s_mov_b64 s[8:9], 0
	s_mov_b64 s[4:5], 0
	s_cbranch_vccz .LBB160_2874
; %bb.2833:
	v_mov_b32_e32 v2, 28
	v_cmp_gt_i16_sdwa s[4:5], v41, v2 src0_sel:BYTE_0 src1_sel:DWORD
	s_and_b64 vcc, exec, s[4:5]
	s_cbranch_vccz .LBB160_2839
; %bb.2834:
	v_mov_b32_e32 v2, 43
	v_cmp_gt_i16_sdwa s[4:5], v41, v2 src0_sel:BYTE_0 src1_sel:DWORD
	s_and_b64 vcc, exec, s[4:5]
	;; [unrolled: 5-line block ×3, first 2 shown]
	s_cbranch_vccz .LBB160_2846
; %bb.2836:
	v_mov_b32_e32 v2, 46
	v_cmp_eq_u16_sdwa s[8:9], v41, v2 src0_sel:BYTE_0 src1_sel:DWORD
	s_mov_b64 s[4:5], -1
	s_mov_b64 s[10:11], 0
	s_and_b64 vcc, exec, s[8:9]
	s_mov_b64 s[8:9], 0
	s_cbranch_vccz .LBB160_2847
; %bb.2837:
	v_cvt_f32_f64_e32 v2, v[0:1]
	v_bfe_u32 v3, v2, 16, 1
	s_movk_i32 s4, 0x7fff
	v_add3_u32 v3, v2, v3, s4
	v_lshrrev_b32_e32 v3, 16, v3
	v_mov_b32_e32 v6, 0x7fc0
	v_cmp_o_f32_e32 vcc, v2, v2
	v_cndmask_b32_e32 v2, v6, v3, vcc
	global_store_dword v[4:5], v2, off
	s_mov_b64 s[4:5], 0
	s_mov_b64 s[8:9], -1
	s_branch .LBB160_2847
.LBB160_2838:
	s_mov_b64 s[4:5], -1
	s_mov_b64 s[8:9], 0
	s_branch .LBB160_2919
.LBB160_2839:
	s_mov_b64 s[4:5], 0
	s_branch .LBB160_2857
.LBB160_2840:
	s_or_saveexec_b64 s[12:13], s[12:13]
                                        ; implicit-def: $sgpr14
	s_xor_b64 exec, exec, s[12:13]
	s_cbranch_execz .LBB160_2741
.LBB160_2841:
	s_mov_b32 s14, 0x46000000
	v_add_f32_e64 v3, |v2|, s14
	v_and_b32_e32 v3, 0xff, v3
	v_cmp_ne_u32_e32 vcc, 0, v3
	s_andn2_b64 s[10:11], s[10:11], exec
	s_and_b64 s[16:17], vcc, exec
	s_mov_b32 s14, 0
	s_or_b64 s[10:11], s[10:11], s[16:17]
	s_or_b64 exec, exec, s[12:13]
	v_mov_b32_e32 v6, s14
	s_and_saveexec_b64 s[12:13], s[10:11]
	s_cbranch_execnz .LBB160_2742
	s_branch .LBB160_2743
.LBB160_2842:
	s_mov_b64 s[4:5], 0
	s_branch .LBB160_2853
.LBB160_2843:
	s_trap 2
	s_or_b64 s[90:91], s[90:91], exec
	s_cbranch_execz .LBB160_2789
	s_branch .LBB160_2790
.LBB160_2844:
	s_or_saveexec_b64 s[10:11], s[10:11]
                                        ; implicit-def: $sgpr12
	s_xor_b64 exec, exec, s[10:11]
	s_cbranch_execz .LBB160_2754
.LBB160_2845:
	s_mov_b32 s12, 0x42800000
	v_add_f32_e64 v3, |v2|, s12
	v_and_b32_e32 v3, 0xff, v3
	v_cmp_ne_u32_e32 vcc, 0, v3
	s_andn2_b64 s[8:9], s[8:9], exec
	s_and_b64 s[14:15], vcc, exec
	s_mov_b32 s12, 0
	s_or_b64 s[8:9], s[8:9], s[14:15]
	s_or_b64 exec, exec, s[10:11]
	v_mov_b32_e32 v6, s12
	s_and_saveexec_b64 s[10:11], s[8:9]
	s_cbranch_execnz .LBB160_2755
	s_branch .LBB160_2756
.LBB160_2846:
	s_mov_b64 s[4:5], 0
.LBB160_2847:
	s_and_b64 vcc, exec, s[10:11]
	s_cbranch_vccz .LBB160_2852
; %bb.2848:
	v_mov_b32_e32 v2, 44
	v_cmp_eq_u16_sdwa s[10:11], v41, v2 src0_sel:BYTE_0 src1_sel:DWORD
	s_mov_b64 s[4:5], -1
	s_and_b64 vcc, exec, s[10:11]
	s_cbranch_vccz .LBB160_2852
; %bb.2849:
	v_cvt_f32_f64_e32 v2, v[0:1]
	v_bfe_u32 v3, v2, 23, 8
	s_movk_i32 s4, 0xff
	v_cmp_ne_u32_e32 vcc, s4, v3
	v_mov_b32_e32 v6, 0xff
	s_and_saveexec_b64 s[8:9], vcc
; %bb.2850:
	s_mov_b32 s4, 0x3fffff
	v_lshrrev_b32_e32 v6, 23, v2
	v_and_b32_e32 v7, 0x400000, v2
	v_and_or_b32 v2, v2, s4, v3
	v_cmp_ne_u32_e32 vcc, 0, v7
	v_cmp_ne_u32_e64 s[4:5], 0, v2
	s_and_b64 s[4:5], vcc, s[4:5]
	v_cndmask_b32_e64 v2, 0, 1, s[4:5]
	v_add_u32_e32 v6, v6, v2
; %bb.2851:
	s_or_b64 exec, exec, s[8:9]
	s_mov_b64 s[4:5], 0
	s_mov_b64 s[8:9], -1
	global_store_byte v[4:5], v6, off
.LBB160_2852:
	s_mov_b64 s[10:11], 0
.LBB160_2853:
	s_and_b64 vcc, exec, s[10:11]
	s_cbranch_vccz .LBB160_2856
; %bb.2854:
	v_mov_b32_e32 v2, 29
	v_cmp_eq_u16_sdwa s[10:11], v41, v2 src0_sel:BYTE_0 src1_sel:DWORD
	s_mov_b64 s[4:5], -1
	s_and_b64 vcc, exec, s[10:11]
	s_cbranch_vccz .LBB160_2856
; %bb.2855:
	v_trunc_f64_e32 v[2:3], v[0:1]
	s_movk_i32 s4, 0xffe0
	v_ldexp_f64 v[6:7], v[2:3], s4
	v_floor_f64_e32 v[6:7], v[6:7]
	v_fmac_f64_e32 v[2:3], 0xc1f00000, v[6:7]
	v_cvt_u32_f64_e32 v9, v[6:7]
	v_cvt_u32_f64_e32 v8, v[2:3]
	global_store_dwordx2 v[4:5], v[8:9], off
	s_mov_b64 s[4:5], 0
	s_mov_b64 s[8:9], -1
.LBB160_2856:
	s_mov_b64 s[10:11], 0
	s_mov_b64 s[76:77], s[80:81]
.LBB160_2857:
	s_and_b64 vcc, exec, s[10:11]
	s_cbranch_vccz .LBB160_2873
; %bb.2858:
	v_mov_b32_e32 v2, 27
	v_cmp_lt_i16_sdwa s[10:11], v41, v2 src0_sel:BYTE_0 src1_sel:DWORD
	s_mov_b64 s[8:9], -1
	s_and_b64 vcc, exec, s[10:11]
	s_cbranch_vccnz .LBB160_2864
; %bb.2859:
	v_cmp_gt_i16_sdwa s[10:11], v41, v2 src0_sel:BYTE_0 src1_sel:DWORD
	s_and_b64 vcc, exec, s[10:11]
	v_cvt_u32_f64_e32 v2, v[0:1]
	s_cbranch_vccz .LBB160_2861
; %bb.2860:
	s_mov_b64 s[8:9], 0
	global_store_dword v[4:5], v2, off
.LBB160_2861:
	s_andn2_b64 vcc, exec, s[8:9]
	s_cbranch_vccnz .LBB160_2863
; %bb.2862:
	global_store_short v[4:5], v2, off
.LBB160_2863:
	s_mov_b64 s[8:9], 0
.LBB160_2864:
	s_andn2_b64 vcc, exec, s[8:9]
	s_cbranch_vccnz .LBB160_2872
; %bb.2865:
	v_cvt_f32_f64_e32 v2, v[0:1]
	v_and_b32_e32 v3, 0x7fffffff, v2
	s_mov_b32 s8, 0x43800000
	v_cmp_gt_u32_e32 vcc, s8, v3
	v_mov_b32_e32 v6, 0x80
	s_and_saveexec_b64 s[8:9], vcc
	s_cbranch_execz .LBB160_2871
; %bb.2866:
	s_mov_b32 s10, 0x3bffffff
	v_cmp_lt_u32_e32 vcc, s10, v3
	s_mov_b64 s[10:11], 0
                                        ; implicit-def: $vgpr3
	s_and_saveexec_b64 s[12:13], vcc
	s_xor_b64 s[12:13], exec, s[12:13]
	s_cbranch_execz .LBB160_3083
; %bb.2867:
	v_bfe_u32 v3, v2, 20, 1
	s_mov_b32 s14, 0x487ffff
	v_add3_u32 v3, v2, v3, s14
	s_mov_b64 s[10:11], exec
	v_lshrrev_b32_e32 v3, 20, v3
	s_or_saveexec_b64 s[12:13], s[12:13]
                                        ; implicit-def: $sgpr14
	s_xor_b64 exec, exec, s[12:13]
	s_cbranch_execnz .LBB160_3084
.LBB160_2868:
	s_or_b64 exec, exec, s[12:13]
	v_mov_b32_e32 v6, s14
	s_and_saveexec_b64 s[12:13], s[10:11]
.LBB160_2869:
	v_lshrrev_b32_e32 v2, 24, v2
	s_movk_i32 s10, 0x80
	v_and_or_b32 v6, v2, s10, v3
.LBB160_2870:
	s_or_b64 exec, exec, s[12:13]
.LBB160_2871:
	s_or_b64 exec, exec, s[8:9]
	global_store_byte v[4:5], v6, off
.LBB160_2872:
	s_mov_b64 s[8:9], -1
	s_mov_b64 s[76:77], s[80:81]
.LBB160_2873:
	s_mov_b64 s[10:11], 0
.LBB160_2874:
	s_and_b64 vcc, exec, s[10:11]
	s_cbranch_vccz .LBB160_2915
; %bb.2875:
	v_mov_b32_e32 v2, 22
	v_cmp_gt_i16_sdwa s[10:11], v41, v2 src0_sel:BYTE_0 src1_sel:DWORD
	s_mov_b64 s[6:7], -1
	s_and_b64 vcc, exec, s[10:11]
	s_cbranch_vccz .LBB160_2907
; %bb.2876:
	v_mov_b32_e32 v2, 24
	v_cmp_lt_i16_sdwa s[8:9], v41, v2 src0_sel:BYTE_0 src1_sel:DWORD
	s_and_b64 vcc, exec, s[8:9]
	s_cbranch_vccnz .LBB160_2896
; %bb.2877:
	v_cmp_gt_i16_sdwa s[8:9], v41, v2 src0_sel:BYTE_0 src1_sel:DWORD
	s_and_b64 vcc, exec, s[8:9]
	s_cbranch_vccz .LBB160_2885
; %bb.2878:
	v_cvt_f32_f64_e32 v2, v[0:1]
	v_and_b32_e32 v3, 0x7fffffff, v2
	s_mov_b32 s6, 0x47800000
	v_cmp_gt_u32_e32 vcc, s6, v3
	v_mov_b32_e32 v6, 0x80
	s_and_saveexec_b64 s[6:7], vcc
	s_cbranch_execz .LBB160_2884
; %bb.2879:
	s_mov_b32 s8, 0x37ffffff
	v_cmp_lt_u32_e32 vcc, s8, v3
	s_mov_b64 s[8:9], 0
                                        ; implicit-def: $vgpr3
	s_and_saveexec_b64 s[10:11], vcc
	s_xor_b64 s[10:11], exec, s[10:11]
	s_cbranch_execz .LBB160_3086
; %bb.2880:
	v_bfe_u32 v3, v2, 21, 1
	s_mov_b32 s12, 0x88fffff
	v_add3_u32 v3, v2, v3, s12
	s_mov_b64 s[8:9], exec
	v_lshrrev_b32_e32 v3, 21, v3
	s_or_saveexec_b64 s[10:11], s[10:11]
                                        ; implicit-def: $sgpr12
	s_xor_b64 exec, exec, s[10:11]
	s_cbranch_execnz .LBB160_3087
.LBB160_2881:
	s_or_b64 exec, exec, s[10:11]
	v_mov_b32_e32 v6, s12
	s_and_saveexec_b64 s[10:11], s[8:9]
.LBB160_2882:
	v_lshrrev_b32_e32 v2, 24, v2
	s_movk_i32 s8, 0x80
	v_and_or_b32 v6, v2, s8, v3
.LBB160_2883:
	s_or_b64 exec, exec, s[10:11]
.LBB160_2884:
	s_or_b64 exec, exec, s[6:7]
	s_mov_b64 s[6:7], 0
	global_store_byte v[4:5], v6, off
.LBB160_2885:
	s_and_b64 vcc, exec, s[6:7]
	s_cbranch_vccz .LBB160_2895
; %bb.2886:
	v_cvt_f32_f64_e32 v2, v[0:1]
	v_and_b32_e32 v6, 0x7fffffff, v2
	s_mov_b32 s6, 0x43f00000
	v_cmp_gt_u32_e32 vcc, s6, v6
                                        ; implicit-def: $vgpr3
	s_and_saveexec_b64 s[6:7], vcc
	s_xor_b64 s[6:7], exec, s[6:7]
	s_cbranch_execz .LBB160_2892
; %bb.2887:
	s_mov_b32 s8, 0x3c7fffff
	v_cmp_lt_u32_e32 vcc, s8, v6
                                        ; implicit-def: $vgpr3
	s_and_saveexec_b64 s[8:9], vcc
	s_xor_b64 s[8:9], exec, s[8:9]
; %bb.2888:
	v_bfe_u32 v3, v2, 20, 1
	s_mov_b32 s10, 0x407ffff
	v_add3_u32 v3, v2, v3, s10
	v_lshrrev_b32_e32 v6, 20, v3
	v_and_b32_e32 v3, 0xff00000, v3
	s_mov_b32 s10, 0x7f00000
	v_mov_b32_e32 v7, 0x7e
	v_cmp_ne_u32_e32 vcc, s10, v3
	v_cndmask_b32_e32 v3, v7, v6, vcc
; %bb.2889:
	s_andn2_saveexec_b64 s[8:9], s[8:9]
; %bb.2890:
	s_mov_b32 s10, 0x46800000
	v_add_f32_e64 v3, |v2|, s10
; %bb.2891:
	s_or_b64 exec, exec, s[8:9]
                                        ; implicit-def: $vgpr6
.LBB160_2892:
	s_andn2_saveexec_b64 s[6:7], s[6:7]
; %bb.2893:
	s_mov_b32 s8, 0x7f800000
	v_mov_b32_e32 v3, 0x7e
	v_mov_b32_e32 v7, 0x7f
	v_cmp_lt_u32_e32 vcc, s8, v6
	v_cndmask_b32_e32 v3, v3, v7, vcc
; %bb.2894:
	s_or_b64 exec, exec, s[6:7]
	v_lshrrev_b32_e32 v2, 24, v2
	s_movk_i32 s6, 0x80
	v_and_or_b32 v2, v2, s6, v3
	global_store_byte v[4:5], v2, off
.LBB160_2895:
	s_mov_b64 s[6:7], 0
.LBB160_2896:
	s_andn2_b64 vcc, exec, s[6:7]
	s_cbranch_vccnz .LBB160_2906
; %bb.2897:
	v_cvt_f32_f64_e32 v2, v[0:1]
	v_and_b32_e32 v6, 0x7fffffff, v2
	s_mov_b32 s6, 0x47800000
	v_cmp_gt_u32_e32 vcc, s6, v6
                                        ; implicit-def: $vgpr3
	s_and_saveexec_b64 s[6:7], vcc
	s_xor_b64 s[6:7], exec, s[6:7]
	s_cbranch_execz .LBB160_2903
; %bb.2898:
	s_mov_b32 s8, 0x387fffff
	v_cmp_lt_u32_e32 vcc, s8, v6
                                        ; implicit-def: $vgpr3
	s_and_saveexec_b64 s[8:9], vcc
	s_xor_b64 s[8:9], exec, s[8:9]
; %bb.2899:
	v_bfe_u32 v3, v2, 21, 1
	s_mov_b32 s10, 0x80fffff
	v_add3_u32 v3, v2, v3, s10
	v_lshrrev_b32_e32 v3, 21, v3
; %bb.2900:
	s_andn2_saveexec_b64 s[8:9], s[8:9]
; %bb.2901:
	s_mov_b32 s10, 0x43000000
	v_add_f32_e64 v3, |v2|, s10
; %bb.2902:
	s_or_b64 exec, exec, s[8:9]
                                        ; implicit-def: $vgpr6
.LBB160_2903:
	s_andn2_saveexec_b64 s[6:7], s[6:7]
; %bb.2904:
	s_mov_b32 s8, 0x7f800000
	v_mov_b32_e32 v3, 0x7c
	v_mov_b32_e32 v7, 0x7f
	v_cmp_lt_u32_e32 vcc, s8, v6
	v_cndmask_b32_e32 v3, v3, v7, vcc
; %bb.2905:
	s_or_b64 exec, exec, s[6:7]
	v_lshrrev_b32_e32 v2, 24, v2
	s_movk_i32 s6, 0x80
	v_and_or_b32 v2, v2, s6, v3
	global_store_byte v[4:5], v2, off
.LBB160_2906:
	s_mov_b64 s[6:7], 0
	s_mov_b64 s[8:9], -1
	s_mov_b64 s[76:77], s[80:81]
.LBB160_2907:
	s_andn2_b64 vcc, exec, s[6:7]
	s_mov_b64 s[6:7], 0
	s_cbranch_vccnz .LBB160_2915
; %bb.2908:
	v_mov_b32_e32 v2, 14
	v_cmp_gt_i16_sdwa s[6:7], v41, v2 src0_sel:BYTE_0 src1_sel:DWORD
	s_mov_b64 s[10:11], -1
	s_and_b64 vcc, exec, s[6:7]
	s_cbranch_vccz .LBB160_2912
; %bb.2909:
	v_mov_b32_e32 v2, 15
	v_cmp_eq_u16_sdwa s[6:7], v41, v2 src0_sel:BYTE_0 src1_sel:DWORD
	s_mov_b64 s[4:5], -1
	s_and_b64 vcc, exec, s[6:7]
	s_cbranch_vccz .LBB160_2911
; %bb.2910:
	v_cvt_f32_f64_e32 v2, v[0:1]
	v_bfe_u32 v3, v2, 16, 1
	s_movk_i32 s4, 0x7fff
	v_add3_u32 v3, v2, v3, s4
	v_lshrrev_b32_e32 v3, 16, v3
	v_mov_b32_e32 v6, 0x7fc0
	v_cmp_o_f32_e32 vcc, v2, v2
	v_cndmask_b32_e32 v2, v6, v3, vcc
	global_store_short v[4:5], v2, off
	s_mov_b64 s[4:5], 0
	s_mov_b64 s[8:9], -1
.LBB160_2911:
	s_mov_b64 s[10:11], 0
.LBB160_2912:
	s_mov_b64 s[6:7], 0
	s_and_b64 vcc, exec, s[10:11]
	s_cbranch_vccz .LBB160_2914
; %bb.2913:
	v_mov_b32_e32 v2, 11
	v_cmp_ne_u16_sdwa s[4:5], v41, v2 src0_sel:BYTE_0 src1_sel:DWORD
	s_mov_b64 s[6:7], -1
.LBB160_2914:
	s_mov_b64 s[76:77], s[80:81]
.LBB160_2915:
	s_and_b64 vcc, exec, s[4:5]
	s_cbranch_vccnz .LBB160_3085
; %bb.2916:
	s_andn2_b64 vcc, exec, s[6:7]
	s_cbranch_vccnz .LBB160_2918
.LBB160_2917:
	v_cmp_neq_f64_e32 vcc, 0, v[0:1]
	v_cndmask_b32_e64 v2, 0, 1, vcc
	s_mov_b64 s[8:9], -1
	global_store_byte v[4:5], v2, off
.LBB160_2918:
	s_mov_b64 s[4:5], 0
.LBB160_2919:
	s_and_b64 vcc, exec, s[4:5]
	s_cbranch_vccz .LBB160_2960
; %bb.2920:
	v_mov_b32_e32 v2, 5
	v_cmp_lt_i16_sdwa s[6:7], v41, v2 src0_sel:BYTE_0 src1_sel:DWORD
	s_mov_b64 s[4:5], -1
	s_and_b64 vcc, exec, s[6:7]
	s_cbranch_vccnz .LBB160_2942
; %bb.2921:
	v_mov_b32_e32 v2, 8
	v_cmp_lt_i16_sdwa s[6:7], v41, v2 src0_sel:BYTE_0 src1_sel:DWORD
	s_and_b64 vcc, exec, s[6:7]
	s_cbranch_vccnz .LBB160_2931
; %bb.2922:
	v_mov_b32_e32 v2, 9
	v_cmp_lt_i16_sdwa s[6:7], v41, v2 src0_sel:BYTE_0 src1_sel:DWORD
	s_and_b64 vcc, exec, s[6:7]
	s_cbranch_vccnz .LBB160_2928
; %bb.2923:
	v_cmp_gt_i16_sdwa s[6:7], v41, v2 src0_sel:BYTE_0 src1_sel:DWORD
	s_and_b64 vcc, exec, s[6:7]
	s_cbranch_vccz .LBB160_2925
; %bb.2924:
	v_mov_b32_e32 v2, 0
	v_mov_b32_e32 v3, v2
	global_store_dwordx4 v[4:5], v[0:3], off
	s_mov_b64 s[4:5], 0
.LBB160_2925:
	s_andn2_b64 vcc, exec, s[4:5]
	s_cbranch_vccnz .LBB160_2927
; %bb.2926:
	v_cvt_f32_f64_e32 v2, v[0:1]
	v_mov_b32_e32 v3, 0
	global_store_dwordx2 v[4:5], v[2:3], off
.LBB160_2927:
	s_mov_b64 s[4:5], 0
.LBB160_2928:
	s_andn2_b64 vcc, exec, s[4:5]
	s_cbranch_vccnz .LBB160_2930
; %bb.2929:
	v_cvt_f32_f64_e32 v2, v[0:1]
	v_cvt_f16_f32_e32 v2, v2
	global_store_dword v[4:5], v2, off
.LBB160_2930:
	s_mov_b64 s[4:5], 0
	s_mov_b64 s[76:77], s[80:81]
.LBB160_2931:
	s_andn2_b64 vcc, exec, s[4:5]
	s_cbranch_vccnz .LBB160_2941
; %bb.2932:
	v_mov_b32_e32 v2, 6
	v_cmp_lt_i16_sdwa s[6:7], v41, v2 src0_sel:BYTE_0 src1_sel:DWORD
	s_mov_b64 s[4:5], -1
	s_and_b64 vcc, exec, s[6:7]
	s_cbranch_vccnz .LBB160_2938
; %bb.2933:
	v_cmp_gt_i16_sdwa s[6:7], v41, v2 src0_sel:BYTE_0 src1_sel:DWORD
	s_and_b64 vcc, exec, s[6:7]
	s_cbranch_vccz .LBB160_2935
; %bb.2934:
	global_store_dwordx2 v[4:5], v[0:1], off
	s_mov_b64 s[4:5], 0
.LBB160_2935:
	s_andn2_b64 vcc, exec, s[4:5]
	s_cbranch_vccnz .LBB160_2937
; %bb.2936:
	v_cvt_f32_f64_e32 v2, v[0:1]
	global_store_dword v[4:5], v2, off
.LBB160_2937:
	s_mov_b64 s[4:5], 0
.LBB160_2938:
	s_andn2_b64 vcc, exec, s[4:5]
	s_cbranch_vccnz .LBB160_2940
; %bb.2939:
	v_cvt_f32_f64_e32 v2, v[0:1]
	v_cvt_f16_f32_e32 v2, v2
	global_store_short v[4:5], v2, off
.LBB160_2940:
	s_mov_b64 s[76:77], s[80:81]
.LBB160_2941:
	s_mov_b64 s[4:5], 0
.LBB160_2942:
	s_andn2_b64 vcc, exec, s[4:5]
	s_cbranch_vccnz .LBB160_2959
; %bb.2943:
	v_mov_b32_e32 v2, 2
	v_cmp_lt_i16_sdwa s[6:7], v41, v2 src0_sel:BYTE_0 src1_sel:DWORD
	s_mov_b64 s[4:5], -1
	s_and_b64 vcc, exec, s[6:7]
	s_cbranch_vccnz .LBB160_2953
; %bb.2944:
	v_mov_b32_e32 v2, 3
	v_cmp_lt_i16_sdwa s[6:7], v41, v2 src0_sel:BYTE_0 src1_sel:DWORD
	s_and_b64 vcc, exec, s[6:7]
	s_cbranch_vccnz .LBB160_2950
; %bb.2945:
	v_cmp_gt_i16_sdwa s[6:7], v41, v2 src0_sel:BYTE_0 src1_sel:DWORD
	s_and_b64 vcc, exec, s[6:7]
	s_cbranch_vccz .LBB160_2947
; %bb.2946:
	v_trunc_f64_e32 v[2:3], v[0:1]
	s_movk_i32 s4, 0xffe0
	v_ldexp_f64 v[6:7], v[2:3], s4
	v_floor_f64_e32 v[6:7], v[6:7]
	v_fmac_f64_e32 v[2:3], 0xc1f00000, v[6:7]
	v_cvt_i32_f64_e32 v9, v[6:7]
	v_cvt_u32_f64_e32 v8, v[2:3]
	global_store_dwordx2 v[4:5], v[8:9], off
	s_mov_b64 s[4:5], 0
.LBB160_2947:
	s_andn2_b64 vcc, exec, s[4:5]
	s_cbranch_vccnz .LBB160_2949
; %bb.2948:
	v_cvt_i32_f64_e32 v2, v[0:1]
	global_store_dword v[4:5], v2, off
.LBB160_2949:
	s_mov_b64 s[4:5], 0
.LBB160_2950:
	s_andn2_b64 vcc, exec, s[4:5]
	s_cbranch_vccnz .LBB160_2952
; %bb.2951:
	v_cvt_i32_f64_e32 v2, v[0:1]
	global_store_short v[4:5], v2, off
.LBB160_2952:
	s_mov_b64 s[4:5], 0
	s_mov_b64 s[76:77], s[80:81]
.LBB160_2953:
	s_andn2_b64 vcc, exec, s[4:5]
	s_cbranch_vccnz .LBB160_2959
; %bb.2954:
	v_mov_b32_e32 v2, 0
	v_cmp_gt_i16_sdwa s[6:7], v41, v2 src0_sel:BYTE_0 src1_sel:DWORD
	s_mov_b64 s[4:5], -1
	s_and_b64 vcc, exec, s[6:7]
	s_cbranch_vccz .LBB160_2956
; %bb.2955:
	v_cvt_i32_f64_e32 v2, v[0:1]
	global_store_byte v[4:5], v2, off
	s_mov_b64 s[4:5], 0
.LBB160_2956:
	s_andn2_b64 vcc, exec, s[4:5]
	s_cbranch_vccnz .LBB160_2958
; %bb.2957:
	v_trunc_f64_e32 v[0:1], v[0:1]
	s_movk_i32 s4, 0xffe0
	v_ldexp_f64 v[2:3], v[0:1], s4
	v_floor_f64_e32 v[2:3], v[2:3]
	v_fmac_f64_e32 v[0:1], 0xc1f00000, v[2:3]
	v_cvt_u32_f64_e32 v0, v[0:1]
	global_store_byte v[4:5], v0, off
.LBB160_2958:
	s_mov_b64 s[76:77], s[80:81]
.LBB160_2959:
	s_mov_b64 s[8:9], -1
.LBB160_2960:
	s_andn2_b64 vcc, exec, s[8:9]
	s_cbranch_vccnz .LBB160_3037
; %bb.2961:
	v_mov_b32_e32 v0, v58
	v_mov_b32_e32 v1, v59
	;; [unrolled: 1-line block ×4, first 2 shown]
	s_getpc_b64 s[4:5]
	s_add_u32 s4, s4, _ZZZZN2at6native33launch_standard_gamma_grad_kernelERNS_18TensorIteratorBaseEENKUlvE_clEvENKUlvE_clEvENKUlddE_clEdd@rel32@lo+4
	s_addc_u32 s5, s5, _ZZZZN2at6native33launch_standard_gamma_grad_kernelERNS_18TensorIteratorBaseEENKUlvE_clEvENKUlvE_clEvENKUlddE_clEdd@rel32@hi+12
	s_swappc_b64 s[30:31], s[4:5]
	v_add_u32_e32 v2, s33, v42
	v_ashrrev_i32_e32 v3, 31, v2
	v_mov_b32_e32 v5, s77
	v_add_co_u32_e32 v4, vcc, s76, v2
	v_addc_co_u32_e32 v5, vcc, v5, v3, vcc
	v_and_b32_e32 v6, 0xff, v41
	v_cmp_gt_i16_e32 vcc, 11, v6
	s_cbranch_vccnz .LBB160_3082
; %bb.2962:
	v_cmp_lt_i16_e32 vcc, 25, v6
	s_mov_b64 s[8:9], -1
	s_mov_b64 s[6:7], 0
	s_mov_b64 s[4:5], 0
	s_cbranch_vccz .LBB160_2995
; %bb.2963:
	v_cmp_lt_i16_e32 vcc, 28, v6
	s_cbranch_vccz .LBB160_2979
; %bb.2964:
	v_cmp_lt_i16_e32 vcc, 43, v6
	;; [unrolled: 3-line block ×3, first 2 shown]
	s_cbranch_vccz .LBB160_2969
; %bb.2966:
	v_cmp_eq_u16_e32 vcc, 46, v6
	s_mov_b64 s[4:5], -1
	s_cbranch_vccz .LBB160_2968
; %bb.2967:
	v_cvt_f32_f64_e32 v2, v[0:1]
	v_bfe_u32 v3, v2, 16, 1
	s_movk_i32 s4, 0x7fff
	v_add3_u32 v3, v2, v3, s4
	v_lshrrev_b32_e32 v3, 16, v3
	v_mov_b32_e32 v7, 0x7fc0
	v_cmp_o_f32_e32 vcc, v2, v2
	v_cndmask_b32_e32 v2, v7, v3, vcc
	global_store_dword v[4:5], v2, off
	s_mov_b64 s[4:5], 0
.LBB160_2968:
	s_mov_b64 s[8:9], 0
.LBB160_2969:
	s_and_b64 vcc, exec, s[8:9]
	s_cbranch_vccz .LBB160_2974
; %bb.2970:
	v_cmp_eq_u16_e32 vcc, 44, v6
	s_mov_b64 s[4:5], -1
	s_cbranch_vccz .LBB160_2974
; %bb.2971:
	v_cvt_f32_f64_e32 v2, v[0:1]
	v_bfe_u32 v3, v2, 23, 8
	s_movk_i32 s4, 0xff
	v_cmp_ne_u32_e32 vcc, s4, v3
	v_mov_b32_e32 v7, 0xff
	s_and_saveexec_b64 s[8:9], vcc
; %bb.2972:
	s_mov_b32 s4, 0x3fffff
	v_lshrrev_b32_e32 v7, 23, v2
	v_and_b32_e32 v8, 0x400000, v2
	v_and_or_b32 v2, v2, s4, v3
	v_cmp_ne_u32_e32 vcc, 0, v8
	v_cmp_ne_u32_e64 s[4:5], 0, v2
	s_and_b64 s[4:5], vcc, s[4:5]
	v_cndmask_b32_e64 v2, 0, 1, s[4:5]
	v_add_u32_e32 v7, v7, v2
; %bb.2973:
	s_or_b64 exec, exec, s[8:9]
	s_mov_b64 s[4:5], 0
	global_store_byte v[4:5], v7, off
.LBB160_2974:
	s_mov_b64 s[8:9], 0
.LBB160_2975:
	s_and_b64 vcc, exec, s[8:9]
	s_cbranch_vccz .LBB160_2978
; %bb.2976:
	v_cmp_eq_u16_e32 vcc, 29, v6
	s_mov_b64 s[4:5], -1
	s_cbranch_vccz .LBB160_2978
; %bb.2977:
	v_trunc_f64_e32 v[2:3], v[0:1]
	s_movk_i32 s4, 0xffe0
	v_ldexp_f64 v[8:9], v[2:3], s4
	v_floor_f64_e32 v[8:9], v[8:9]
	v_fmac_f64_e32 v[2:3], 0xc1f00000, v[8:9]
	v_cvt_u32_f64_e32 v11, v[8:9]
	v_cvt_u32_f64_e32 v10, v[2:3]
	global_store_dwordx2 v[4:5], v[10:11], off
	s_mov_b64 s[4:5], 0
.LBB160_2978:
	s_mov_b64 s[8:9], 0
.LBB160_2979:
	s_and_b64 vcc, exec, s[8:9]
	s_cbranch_vccz .LBB160_2994
; %bb.2980:
	v_cmp_gt_i16_e32 vcc, 27, v6
	s_mov_b64 s[8:9], -1
	s_cbranch_vccnz .LBB160_2986
; %bb.2981:
	v_cmp_lt_i16_e32 vcc, 27, v6
	v_cvt_u32_f64_e32 v2, v[0:1]
	s_cbranch_vccz .LBB160_2983
; %bb.2982:
	global_store_dword v[4:5], v2, off
	s_mov_b64 s[8:9], 0
.LBB160_2983:
	s_andn2_b64 vcc, exec, s[8:9]
	s_cbranch_vccnz .LBB160_2985
; %bb.2984:
	global_store_short v[4:5], v2, off
.LBB160_2985:
	s_mov_b64 s[8:9], 0
.LBB160_2986:
	s_andn2_b64 vcc, exec, s[8:9]
	s_cbranch_vccnz .LBB160_2994
; %bb.2987:
	v_cvt_f32_f64_e32 v2, v[0:1]
	v_and_b32_e32 v3, 0x7fffffff, v2
	s_mov_b32 s8, 0x43800000
	v_cmp_gt_u32_e32 vcc, s8, v3
	v_mov_b32_e32 v7, 0x80
	s_and_saveexec_b64 s[8:9], vcc
	s_cbranch_execz .LBB160_2993
; %bb.2988:
	s_mov_b32 s10, 0x3bffffff
	v_cmp_lt_u32_e32 vcc, s10, v3
	s_mov_b64 s[10:11], 0
                                        ; implicit-def: $vgpr3
	s_and_saveexec_b64 s[12:13], vcc
	s_xor_b64 s[12:13], exec, s[12:13]
	s_cbranch_execz .LBB160_3088
; %bb.2989:
	v_bfe_u32 v3, v2, 20, 1
	s_mov_b32 s14, 0x487ffff
	v_add3_u32 v3, v2, v3, s14
	s_mov_b64 s[10:11], exec
	v_lshrrev_b32_e32 v3, 20, v3
	s_or_saveexec_b64 s[12:13], s[12:13]
                                        ; implicit-def: $sgpr14
	s_xor_b64 exec, exec, s[12:13]
	s_cbranch_execnz .LBB160_3089
.LBB160_2990:
	s_or_b64 exec, exec, s[12:13]
	v_mov_b32_e32 v7, s14
	s_and_saveexec_b64 s[12:13], s[10:11]
.LBB160_2991:
	v_lshrrev_b32_e32 v2, 24, v2
	s_movk_i32 s10, 0x80
	v_and_or_b32 v7, v2, s10, v3
.LBB160_2992:
	s_or_b64 exec, exec, s[12:13]
.LBB160_2993:
	s_or_b64 exec, exec, s[8:9]
	global_store_byte v[4:5], v7, off
.LBB160_2994:
	s_mov_b64 s[8:9], 0
.LBB160_2995:
	s_and_b64 vcc, exec, s[8:9]
	s_cbranch_vccz .LBB160_3035
; %bb.2996:
	v_cmp_lt_i16_e32 vcc, 22, v6
	s_mov_b64 s[6:7], -1
	s_cbranch_vccz .LBB160_3028
; %bb.2997:
	v_cmp_gt_i16_e32 vcc, 24, v6
	s_cbranch_vccnz .LBB160_3017
; %bb.2998:
	v_cmp_lt_i16_e32 vcc, 24, v6
	s_cbranch_vccz .LBB160_3006
; %bb.2999:
	v_cvt_f32_f64_e32 v2, v[0:1]
	v_and_b32_e32 v3, 0x7fffffff, v2
	s_mov_b32 s6, 0x47800000
	v_cmp_gt_u32_e32 vcc, s6, v3
	v_mov_b32_e32 v7, 0x80
	s_and_saveexec_b64 s[6:7], vcc
	s_cbranch_execz .LBB160_3005
; %bb.3000:
	s_mov_b32 s8, 0x37ffffff
	v_cmp_lt_u32_e32 vcc, s8, v3
	s_mov_b64 s[8:9], 0
                                        ; implicit-def: $vgpr3
	s_and_saveexec_b64 s[10:11], vcc
	s_xor_b64 s[10:11], exec, s[10:11]
	s_cbranch_execz .LBB160_3091
; %bb.3001:
	v_bfe_u32 v3, v2, 21, 1
	s_mov_b32 s12, 0x88fffff
	v_add3_u32 v3, v2, v3, s12
	s_mov_b64 s[8:9], exec
	v_lshrrev_b32_e32 v3, 21, v3
	s_or_saveexec_b64 s[10:11], s[10:11]
                                        ; implicit-def: $sgpr12
	s_xor_b64 exec, exec, s[10:11]
	s_cbranch_execnz .LBB160_3092
.LBB160_3002:
	s_or_b64 exec, exec, s[10:11]
	v_mov_b32_e32 v7, s12
	s_and_saveexec_b64 s[10:11], s[8:9]
.LBB160_3003:
	v_lshrrev_b32_e32 v2, 24, v2
	s_movk_i32 s8, 0x80
	v_and_or_b32 v7, v2, s8, v3
.LBB160_3004:
	s_or_b64 exec, exec, s[10:11]
.LBB160_3005:
	s_or_b64 exec, exec, s[6:7]
	s_mov_b64 s[6:7], 0
	global_store_byte v[4:5], v7, off
.LBB160_3006:
	s_and_b64 vcc, exec, s[6:7]
	s_cbranch_vccz .LBB160_3016
; %bb.3007:
	v_cvt_f32_f64_e32 v2, v[0:1]
	v_and_b32_e32 v7, 0x7fffffff, v2
	s_mov_b32 s6, 0x43f00000
	v_cmp_gt_u32_e32 vcc, s6, v7
                                        ; implicit-def: $vgpr3
	s_and_saveexec_b64 s[6:7], vcc
	s_xor_b64 s[6:7], exec, s[6:7]
	s_cbranch_execz .LBB160_3013
; %bb.3008:
	s_mov_b32 s8, 0x3c7fffff
	v_cmp_lt_u32_e32 vcc, s8, v7
                                        ; implicit-def: $vgpr3
	s_and_saveexec_b64 s[8:9], vcc
	s_xor_b64 s[8:9], exec, s[8:9]
; %bb.3009:
	v_bfe_u32 v3, v2, 20, 1
	s_mov_b32 s10, 0x407ffff
	v_add3_u32 v3, v2, v3, s10
	v_lshrrev_b32_e32 v7, 20, v3
	v_and_b32_e32 v3, 0xff00000, v3
	s_mov_b32 s10, 0x7f00000
	v_mov_b32_e32 v8, 0x7e
	v_cmp_ne_u32_e32 vcc, s10, v3
	v_cndmask_b32_e32 v3, v8, v7, vcc
; %bb.3010:
	s_andn2_saveexec_b64 s[8:9], s[8:9]
; %bb.3011:
	s_mov_b32 s10, 0x46800000
	v_add_f32_e64 v3, |v2|, s10
; %bb.3012:
	s_or_b64 exec, exec, s[8:9]
                                        ; implicit-def: $vgpr7
.LBB160_3013:
	s_andn2_saveexec_b64 s[6:7], s[6:7]
; %bb.3014:
	s_mov_b32 s8, 0x7f800000
	v_mov_b32_e32 v3, 0x7e
	v_mov_b32_e32 v8, 0x7f
	v_cmp_lt_u32_e32 vcc, s8, v7
	v_cndmask_b32_e32 v3, v3, v8, vcc
; %bb.3015:
	s_or_b64 exec, exec, s[6:7]
	v_lshrrev_b32_e32 v2, 24, v2
	s_movk_i32 s6, 0x80
	v_and_or_b32 v2, v2, s6, v3
	global_store_byte v[4:5], v2, off
.LBB160_3016:
	s_mov_b64 s[6:7], 0
.LBB160_3017:
	s_andn2_b64 vcc, exec, s[6:7]
	s_cbranch_vccnz .LBB160_3027
; %bb.3018:
	v_cvt_f32_f64_e32 v2, v[0:1]
	v_and_b32_e32 v7, 0x7fffffff, v2
	s_mov_b32 s6, 0x47800000
	v_cmp_gt_u32_e32 vcc, s6, v7
                                        ; implicit-def: $vgpr3
	s_and_saveexec_b64 s[6:7], vcc
	s_xor_b64 s[6:7], exec, s[6:7]
	s_cbranch_execz .LBB160_3024
; %bb.3019:
	s_mov_b32 s8, 0x387fffff
	v_cmp_lt_u32_e32 vcc, s8, v7
                                        ; implicit-def: $vgpr3
	s_and_saveexec_b64 s[8:9], vcc
	s_xor_b64 s[8:9], exec, s[8:9]
; %bb.3020:
	v_bfe_u32 v3, v2, 21, 1
	s_mov_b32 s10, 0x80fffff
	v_add3_u32 v3, v2, v3, s10
	v_lshrrev_b32_e32 v3, 21, v3
; %bb.3021:
	s_andn2_saveexec_b64 s[8:9], s[8:9]
; %bb.3022:
	s_mov_b32 s10, 0x43000000
	v_add_f32_e64 v3, |v2|, s10
; %bb.3023:
	s_or_b64 exec, exec, s[8:9]
                                        ; implicit-def: $vgpr7
.LBB160_3024:
	s_andn2_saveexec_b64 s[6:7], s[6:7]
; %bb.3025:
	s_mov_b32 s8, 0x7f800000
	v_mov_b32_e32 v3, 0x7c
	v_mov_b32_e32 v8, 0x7f
	v_cmp_lt_u32_e32 vcc, s8, v7
	v_cndmask_b32_e32 v3, v3, v8, vcc
; %bb.3026:
	s_or_b64 exec, exec, s[6:7]
	v_lshrrev_b32_e32 v2, 24, v2
	s_movk_i32 s6, 0x80
	v_and_or_b32 v2, v2, s6, v3
	global_store_byte v[4:5], v2, off
.LBB160_3027:
	s_mov_b64 s[6:7], 0
.LBB160_3028:
	s_andn2_b64 vcc, exec, s[6:7]
	s_mov_b64 s[6:7], 0
	s_cbranch_vccnz .LBB160_3035
; %bb.3029:
	v_cmp_lt_i16_e32 vcc, 14, v6
	s_mov_b64 s[8:9], -1
	s_cbranch_vccz .LBB160_3033
; %bb.3030:
	v_cmp_eq_u16_e32 vcc, 15, v6
	s_mov_b64 s[4:5], -1
	s_cbranch_vccz .LBB160_3032
; %bb.3031:
	v_cvt_f32_f64_e32 v2, v[0:1]
	v_bfe_u32 v3, v2, 16, 1
	s_movk_i32 s4, 0x7fff
	v_add3_u32 v3, v2, v3, s4
	v_lshrrev_b32_e32 v3, 16, v3
	v_mov_b32_e32 v7, 0x7fc0
	v_cmp_o_f32_e32 vcc, v2, v2
	v_cndmask_b32_e32 v2, v7, v3, vcc
	global_store_short v[4:5], v2, off
	s_mov_b64 s[4:5], 0
.LBB160_3032:
	s_mov_b64 s[8:9], 0
.LBB160_3033:
	s_and_b64 vcc, exec, s[8:9]
	s_cbranch_vccz .LBB160_3035
; %bb.3034:
	v_cmp_ne_u16_e64 s[4:5], 11, v6
	s_mov_b64 s[6:7], -1
.LBB160_3035:
	s_and_b64 vcc, exec, s[4:5]
	s_cbranch_vccnz .LBB160_3090
.LBB160_3036:
	s_mov_b64 s[4:5], 0
	s_branch .LBB160_3038
.LBB160_3037:
	s_mov_b64 s[4:5], 0
	s_mov_b64 s[6:7], 0
                                        ; implicit-def: $vgpr6
                                        ; implicit-def: $vgpr4_vgpr5
                                        ; implicit-def: $vgpr0_vgpr1
.LBB160_3038:
	s_and_b64 s[84:85], s[6:7], exec
	s_andn2_b64 s[6:7], s[88:89], exec
	s_and_b64 s[8:9], s[90:91], exec
	s_and_b64 s[4:5], s[4:5], exec
	s_or_b64 s[88:89], s[6:7], s[8:9]
.LBB160_3039:
	s_or_b64 exec, exec, s[86:87]
	s_and_saveexec_b64 s[6:7], s[88:89]
	s_cbranch_execz .LBB160_3042
; %bb.3040:
	; divergent unreachable
	s_or_b64 exec, exec, s[6:7]
	s_and_saveexec_b64 s[6:7], s[84:85]
	s_xor_b64 s[6:7], exec, s[6:7]
	s_cbranch_execnz .LBB160_3043
.LBB160_3041:
	s_or_b64 exec, exec, s[6:7]
	s_and_saveexec_b64 s[6:7], s[4:5]
	s_cbranch_execnz .LBB160_3044
	s_branch .LBB160_3081
.LBB160_3042:
	s_or_b64 exec, exec, s[6:7]
	s_and_saveexec_b64 s[6:7], s[84:85]
	s_xor_b64 s[6:7], exec, s[6:7]
	s_cbranch_execz .LBB160_3041
.LBB160_3043:
	s_waitcnt vmcnt(0)
	v_cmp_neq_f64_e32 vcc, 0, v[0:1]
	v_cndmask_b32_e64 v2, 0, 1, vcc
	global_store_byte v[4:5], v2, off
	s_or_b64 exec, exec, s[6:7]
	s_and_saveexec_b64 s[6:7], s[4:5]
	s_cbranch_execz .LBB160_3081
.LBB160_3044:
	v_cmp_gt_i16_e32 vcc, 5, v6
	s_mov_b64 s[4:5], -1
	s_cbranch_vccnz .LBB160_3065
; %bb.3045:
	v_cmp_gt_i16_e32 vcc, 8, v6
	s_cbranch_vccnz .LBB160_3055
; %bb.3046:
	v_cmp_gt_i16_e32 vcc, 9, v6
	s_cbranch_vccnz .LBB160_3052
; %bb.3047:
	v_cmp_lt_i16_e32 vcc, 9, v6
	s_cbranch_vccz .LBB160_3049
; %bb.3048:
	s_waitcnt vmcnt(0)
	v_mov_b32_e32 v2, 0
	v_mov_b32_e32 v3, v2
	global_store_dwordx4 v[4:5], v[0:3], off
	s_mov_b64 s[4:5], 0
.LBB160_3049:
	s_andn2_b64 vcc, exec, s[4:5]
	s_cbranch_vccnz .LBB160_3051
; %bb.3050:
	s_waitcnt vmcnt(0)
	v_cvt_f32_f64_e32 v2, v[0:1]
	v_mov_b32_e32 v3, 0
	global_store_dwordx2 v[4:5], v[2:3], off
.LBB160_3051:
	s_mov_b64 s[4:5], 0
.LBB160_3052:
	s_andn2_b64 vcc, exec, s[4:5]
	s_cbranch_vccnz .LBB160_3054
; %bb.3053:
	s_waitcnt vmcnt(0)
	v_cvt_f32_f64_e32 v2, v[0:1]
	v_cvt_f16_f32_e32 v2, v2
	global_store_dword v[4:5], v2, off
.LBB160_3054:
	s_mov_b64 s[4:5], 0
.LBB160_3055:
	s_andn2_b64 vcc, exec, s[4:5]
	s_cbranch_vccnz .LBB160_3064
; %bb.3056:
	v_cmp_gt_i16_e32 vcc, 6, v6
	s_mov_b64 s[4:5], -1
	s_cbranch_vccnz .LBB160_3062
; %bb.3057:
	v_cmp_lt_i16_e32 vcc, 6, v6
	s_cbranch_vccz .LBB160_3059
; %bb.3058:
	s_waitcnt vmcnt(0)
	global_store_dwordx2 v[4:5], v[0:1], off
	s_mov_b64 s[4:5], 0
.LBB160_3059:
	s_andn2_b64 vcc, exec, s[4:5]
	s_cbranch_vccnz .LBB160_3061
; %bb.3060:
	s_waitcnt vmcnt(0)
	v_cvt_f32_f64_e32 v2, v[0:1]
	global_store_dword v[4:5], v2, off
.LBB160_3061:
	s_mov_b64 s[4:5], 0
.LBB160_3062:
	s_andn2_b64 vcc, exec, s[4:5]
	s_cbranch_vccnz .LBB160_3064
; %bb.3063:
	s_waitcnt vmcnt(0)
	v_cvt_f32_f64_e32 v2, v[0:1]
	v_cvt_f16_f32_e32 v2, v2
	global_store_short v[4:5], v2, off
.LBB160_3064:
	s_mov_b64 s[4:5], 0
.LBB160_3065:
	s_andn2_b64 vcc, exec, s[4:5]
	s_cbranch_vccnz .LBB160_3081
; %bb.3066:
	v_cmp_gt_i16_e32 vcc, 2, v6
	s_mov_b64 s[4:5], -1
	s_cbranch_vccnz .LBB160_3076
; %bb.3067:
	v_cmp_gt_i16_e32 vcc, 3, v6
	s_cbranch_vccnz .LBB160_3073
; %bb.3068:
	v_cmp_lt_i16_e32 vcc, 3, v6
	s_cbranch_vccz .LBB160_3070
; %bb.3069:
	s_waitcnt vmcnt(0)
	v_trunc_f64_e32 v[2:3], v[0:1]
	s_movk_i32 s4, 0xffe0
	v_ldexp_f64 v[8:9], v[2:3], s4
	v_floor_f64_e32 v[8:9], v[8:9]
	v_fmac_f64_e32 v[2:3], 0xc1f00000, v[8:9]
	v_cvt_i32_f64_e32 v11, v[8:9]
	v_cvt_u32_f64_e32 v10, v[2:3]
	global_store_dwordx2 v[4:5], v[10:11], off
	s_mov_b64 s[4:5], 0
.LBB160_3070:
	s_andn2_b64 vcc, exec, s[4:5]
	s_cbranch_vccnz .LBB160_3072
; %bb.3071:
	s_waitcnt vmcnt(0)
	v_cvt_i32_f64_e32 v2, v[0:1]
	global_store_dword v[4:5], v2, off
.LBB160_3072:
	s_mov_b64 s[4:5], 0
.LBB160_3073:
	s_andn2_b64 vcc, exec, s[4:5]
	s_cbranch_vccnz .LBB160_3075
; %bb.3074:
	s_waitcnt vmcnt(0)
	v_cvt_i32_f64_e32 v2, v[0:1]
	global_store_short v[4:5], v2, off
.LBB160_3075:
	s_mov_b64 s[4:5], 0
.LBB160_3076:
	s_andn2_b64 vcc, exec, s[4:5]
	s_cbranch_vccnz .LBB160_3081
; %bb.3077:
	v_cmp_lt_i16_e32 vcc, 0, v6
	s_mov_b64 s[4:5], -1
	s_cbranch_vccz .LBB160_3079
; %bb.3078:
	s_waitcnt vmcnt(0)
	v_cvt_i32_f64_e32 v2, v[0:1]
	global_store_byte v[4:5], v2, off
	s_mov_b64 s[4:5], 0
.LBB160_3079:
	s_andn2_b64 vcc, exec, s[4:5]
	s_cbranch_vccnz .LBB160_3081
; %bb.3080:
	s_waitcnt vmcnt(0)
	v_trunc_f64_e32 v[0:1], v[0:1]
	s_movk_i32 s4, 0xffe0
	v_ldexp_f64 v[2:3], v[0:1], s4
	v_floor_f64_e32 v[2:3], v[2:3]
	v_fmac_f64_e32 v[0:1], 0xc1f00000, v[2:3]
	v_cvt_u32_f64_e32 v0, v[0:1]
	global_store_byte v[4:5], v0, off
	s_endpgm
.LBB160_3081:
	s_endpgm
.LBB160_3082:
	s_mov_b64 s[6:7], 0
	s_mov_b64 s[4:5], -1
	s_branch .LBB160_3038
.LBB160_3083:
	s_or_saveexec_b64 s[12:13], s[12:13]
                                        ; implicit-def: $sgpr14
	s_xor_b64 exec, exec, s[12:13]
	s_cbranch_execz .LBB160_2868
.LBB160_3084:
	s_mov_b32 s14, 0x46000000
	v_add_f32_e64 v3, |v2|, s14
	v_and_b32_e32 v3, 0xff, v3
	v_cmp_ne_u32_e32 vcc, 0, v3
	s_andn2_b64 s[10:11], s[10:11], exec
	s_and_b64 s[16:17], vcc, exec
	s_mov_b32 s14, 0
	s_or_b64 s[10:11], s[10:11], s[16:17]
	s_or_b64 exec, exec, s[12:13]
	v_mov_b32_e32 v6, s14
	s_and_saveexec_b64 s[12:13], s[10:11]
	s_cbranch_execnz .LBB160_2869
	s_branch .LBB160_2870
.LBB160_3085:
	s_trap 2
	s_or_b64 s[90:91], s[90:91], exec
	s_cbranch_execz .LBB160_2917
	s_branch .LBB160_2918
.LBB160_3086:
	s_or_saveexec_b64 s[10:11], s[10:11]
                                        ; implicit-def: $sgpr12
	s_xor_b64 exec, exec, s[10:11]
	s_cbranch_execz .LBB160_2881
.LBB160_3087:
	s_mov_b32 s12, 0x42800000
	v_add_f32_e64 v3, |v2|, s12
	v_and_b32_e32 v3, 0xff, v3
	v_cmp_ne_u32_e32 vcc, 0, v3
	s_andn2_b64 s[8:9], s[8:9], exec
	s_and_b64 s[14:15], vcc, exec
	s_mov_b32 s12, 0
	s_or_b64 s[8:9], s[8:9], s[14:15]
	s_or_b64 exec, exec, s[10:11]
	v_mov_b32_e32 v6, s12
	s_and_saveexec_b64 s[10:11], s[8:9]
	s_cbranch_execnz .LBB160_2882
	s_branch .LBB160_2883
.LBB160_3088:
	s_or_saveexec_b64 s[12:13], s[12:13]
                                        ; implicit-def: $sgpr14
	s_xor_b64 exec, exec, s[12:13]
	s_cbranch_execz .LBB160_2990
.LBB160_3089:
	s_mov_b32 s14, 0x46000000
	v_add_f32_e64 v3, |v2|, s14
	v_and_b32_e32 v3, 0xff, v3
	v_cmp_ne_u32_e32 vcc, 0, v3
	s_andn2_b64 s[10:11], s[10:11], exec
	s_and_b64 s[16:17], vcc, exec
	s_mov_b32 s14, 0
	s_or_b64 s[10:11], s[10:11], s[16:17]
	s_or_b64 exec, exec, s[12:13]
	v_mov_b32_e32 v7, s14
	s_and_saveexec_b64 s[12:13], s[10:11]
	s_cbranch_execnz .LBB160_2991
	s_branch .LBB160_2992
.LBB160_3090:
	s_mov_b64 s[6:7], 0
	s_or_b64 s[90:91], s[90:91], exec
	s_trap 2
	s_branch .LBB160_3036
.LBB160_3091:
	s_or_saveexec_b64 s[10:11], s[10:11]
                                        ; implicit-def: $sgpr12
	s_xor_b64 exec, exec, s[10:11]
	s_cbranch_execz .LBB160_3002
.LBB160_3092:
	s_mov_b32 s12, 0x42800000
	v_add_f32_e64 v3, |v2|, s12
	v_and_b32_e32 v3, 0xff, v3
	v_cmp_ne_u32_e32 vcc, 0, v3
	s_andn2_b64 s[8:9], s[8:9], exec
	s_and_b64 s[14:15], vcc, exec
	s_mov_b32 s12, 0
	s_or_b64 s[8:9], s[8:9], s[14:15]
	s_or_b64 exec, exec, s[10:11]
	v_mov_b32_e32 v7, s12
	s_and_saveexec_b64 s[10:11], s[8:9]
	s_cbranch_execnz .LBB160_3003
	s_branch .LBB160_3004
	.section	.rodata,"a",@progbits
	.p2align	6, 0x0
	.amdhsa_kernel _ZN2at6native32elementwise_kernel_manual_unrollILi128ELi4EZNS0_15gpu_kernel_implIZZZNS0_33launch_standard_gamma_grad_kernelERNS_18TensorIteratorBaseEENKUlvE_clEvENKUlvE_clEvEUlddE_EEvS4_RKT_EUlibE_EEviT1_
		.amdhsa_group_segment_fixed_size 0
		.amdhsa_private_segment_fixed_size 8
		.amdhsa_kernarg_size 48
		.amdhsa_user_sgpr_count 8
		.amdhsa_user_sgpr_private_segment_buffer 1
		.amdhsa_user_sgpr_dispatch_ptr 0
		.amdhsa_user_sgpr_queue_ptr 0
		.amdhsa_user_sgpr_kernarg_segment_ptr 1
		.amdhsa_user_sgpr_dispatch_id 0
		.amdhsa_user_sgpr_flat_scratch_init 1
		.amdhsa_user_sgpr_kernarg_preload_length 0
		.amdhsa_user_sgpr_kernarg_preload_offset 0
		.amdhsa_user_sgpr_private_segment_size 0
		.amdhsa_uses_dynamic_stack 0
		.amdhsa_system_sgpr_private_segment_wavefront_offset 1
		.amdhsa_system_sgpr_workgroup_id_x 1
		.amdhsa_system_sgpr_workgroup_id_y 0
		.amdhsa_system_sgpr_workgroup_id_z 0
		.amdhsa_system_sgpr_workgroup_info 0
		.amdhsa_system_vgpr_workitem_id 0
		.amdhsa_next_free_vgpr 65
		.amdhsa_next_free_sgpr 100
		.amdhsa_accum_offset 68
		.amdhsa_reserve_vcc 1
		.amdhsa_reserve_flat_scratch 1
		.amdhsa_float_round_mode_32 0
		.amdhsa_float_round_mode_16_64 0
		.amdhsa_float_denorm_mode_32 3
		.amdhsa_float_denorm_mode_16_64 3
		.amdhsa_dx10_clamp 1
		.amdhsa_ieee_mode 1
		.amdhsa_fp16_overflow 0
		.amdhsa_tg_split 0
		.amdhsa_exception_fp_ieee_invalid_op 0
		.amdhsa_exception_fp_denorm_src 0
		.amdhsa_exception_fp_ieee_div_zero 0
		.amdhsa_exception_fp_ieee_overflow 0
		.amdhsa_exception_fp_ieee_underflow 0
		.amdhsa_exception_fp_ieee_inexact 0
		.amdhsa_exception_int_div_zero 0
	.end_amdhsa_kernel
	.section	.text._ZN2at6native32elementwise_kernel_manual_unrollILi128ELi4EZNS0_15gpu_kernel_implIZZZNS0_33launch_standard_gamma_grad_kernelERNS_18TensorIteratorBaseEENKUlvE_clEvENKUlvE_clEvEUlddE_EEvS4_RKT_EUlibE_EEviT1_,"axG",@progbits,_ZN2at6native32elementwise_kernel_manual_unrollILi128ELi4EZNS0_15gpu_kernel_implIZZZNS0_33launch_standard_gamma_grad_kernelERNS_18TensorIteratorBaseEENKUlvE_clEvENKUlvE_clEvEUlddE_EEvS4_RKT_EUlibE_EEviT1_,comdat
.Lfunc_end160:
	.size	_ZN2at6native32elementwise_kernel_manual_unrollILi128ELi4EZNS0_15gpu_kernel_implIZZZNS0_33launch_standard_gamma_grad_kernelERNS_18TensorIteratorBaseEENKUlvE_clEvENKUlvE_clEvEUlddE_EEvS4_RKT_EUlibE_EEviT1_, .Lfunc_end160-_ZN2at6native32elementwise_kernel_manual_unrollILi128ELi4EZNS0_15gpu_kernel_implIZZZNS0_33launch_standard_gamma_grad_kernelERNS_18TensorIteratorBaseEENKUlvE_clEvENKUlvE_clEvEUlddE_EEvS4_RKT_EUlibE_EEviT1_
                                        ; -- End function
	.section	.AMDGPU.csdata,"",@progbits
; Kernel info:
; codeLenInByte = 55376
; NumSgprs: 106
; NumVgprs: 65
; NumAgprs: 0
; TotalNumVgprs: 65
; ScratchSize: 8
; MemoryBound: 1
; FloatMode: 240
; IeeeMode: 1
; LDSByteSize: 0 bytes/workgroup (compile time only)
; SGPRBlocks: 13
; VGPRBlocks: 8
; NumSGPRsForWavesPerEU: 106
; NumVGPRsForWavesPerEU: 65
; AccumOffset: 68
; Occupancy: 7
; WaveLimiterHint : 0
; COMPUTE_PGM_RSRC2:SCRATCH_EN: 1
; COMPUTE_PGM_RSRC2:USER_SGPR: 8
; COMPUTE_PGM_RSRC2:TRAP_HANDLER: 0
; COMPUTE_PGM_RSRC2:TGID_X_EN: 1
; COMPUTE_PGM_RSRC2:TGID_Y_EN: 0
; COMPUTE_PGM_RSRC2:TGID_Z_EN: 0
; COMPUTE_PGM_RSRC2:TIDIG_COMP_CNT: 0
; COMPUTE_PGM_RSRC3_GFX90A:ACCUM_OFFSET: 16
; COMPUTE_PGM_RSRC3_GFX90A:TG_SPLIT: 0
	.section	.text._ZN2at6native32elementwise_kernel_manual_unrollILi128ELi4EZNS0_15gpu_kernel_implIZZZNS0_33launch_standard_gamma_grad_kernelERNS_18TensorIteratorBaseEENKUlvE_clEvENKUlvE_clEvEUlddE_EEvS4_RKT_EUlibE0_EEviT1_,"axG",@progbits,_ZN2at6native32elementwise_kernel_manual_unrollILi128ELi4EZNS0_15gpu_kernel_implIZZZNS0_33launch_standard_gamma_grad_kernelERNS_18TensorIteratorBaseEENKUlvE_clEvENKUlvE_clEvEUlddE_EEvS4_RKT_EUlibE0_EEviT1_,comdat
	.globl	_ZN2at6native32elementwise_kernel_manual_unrollILi128ELi4EZNS0_15gpu_kernel_implIZZZNS0_33launch_standard_gamma_grad_kernelERNS_18TensorIteratorBaseEENKUlvE_clEvENKUlvE_clEvEUlddE_EEvS4_RKT_EUlibE0_EEviT1_ ; -- Begin function _ZN2at6native32elementwise_kernel_manual_unrollILi128ELi4EZNS0_15gpu_kernel_implIZZZNS0_33launch_standard_gamma_grad_kernelERNS_18TensorIteratorBaseEENKUlvE_clEvENKUlvE_clEvEUlddE_EEvS4_RKT_EUlibE0_EEviT1_
	.p2align	8
	.type	_ZN2at6native32elementwise_kernel_manual_unrollILi128ELi4EZNS0_15gpu_kernel_implIZZZNS0_33launch_standard_gamma_grad_kernelERNS_18TensorIteratorBaseEENKUlvE_clEvENKUlvE_clEvEUlddE_EEvS4_RKT_EUlibE0_EEviT1_,@function
_ZN2at6native32elementwise_kernel_manual_unrollILi128ELi4EZNS0_15gpu_kernel_implIZZZNS0_33launch_standard_gamma_grad_kernelERNS_18TensorIteratorBaseEENKUlvE_clEvENKUlvE_clEvEUlddE_EEvS4_RKT_EUlibE0_EEviT1_: ; @_ZN2at6native32elementwise_kernel_manual_unrollILi128ELi4EZNS0_15gpu_kernel_implIZZZNS0_33launch_standard_gamma_grad_kernelERNS_18TensorIteratorBaseEENKUlvE_clEvENKUlvE_clEvEUlddE_EEvS4_RKT_EUlibE0_EEviT1_
; %bb.0:
	s_load_dword s10, s[4:5], 0x0
	s_load_dword s91, s[4:5], 0x8
	s_add_u32 flat_scratch_lo, s6, s9
	s_addc_u32 flat_scratch_hi, s7, 0
	s_add_u32 s0, s0, s9
	s_addc_u32 s1, s1, 0
	s_or_b32 s74, s4, 8
	v_lshl_or_b32 v45, s8, 9, v0
	s_waitcnt lgkmcnt(0)
	s_add_i32 s33, s91, -1
	v_or_b32_e32 v16, 0x180, v45
	s_cmp_gt_u32 s33, 1
	s_mov_b32 s75, s5
	v_cmp_le_i32_e32 vcc, s10, v16
	s_cselect_b64 s[86:87], -1, 0
	s_mov_b64 s[88:89], 0
	s_mov_b64 s[80:81], 0
	s_mov_b32 s32, 0
	s_and_saveexec_b64 s[6:7], vcc
	s_xor_b64 s[36:37], exec, s[6:7]
	s_cbranch_execz .LBB161_1593
; %bb.1:
	v_mov_b32_e32 v0, 0
	global_load_ushort v41, v0, s[74:75] offset:417
	global_load_sbyte v44, v0, s[74:75] offset:419
                                        ; implicit-def: $vgpr70 : SGPR spill to VGPR lane
	s_load_dwordx4 s[48:51], s[74:75], 0x4
	s_load_dwordx2 s[84:85], s[74:75], 0x14
	s_load_dwordx4 s[96:99], s[74:75], 0xc4
	s_load_dwordx2 s[38:39], s[74:75], 0xd4
	s_load_dwordx2 s[52:53], s[74:75], 0x198
	s_load_dwordx4 s[40:43], s[74:75], 0x188
	v_writelane_b32 v70, s10, 0
	s_mov_b64 s[8:9], 0
	v_writelane_b32 v70, s8, 1
	v_writelane_b32 v70, s9, 2
	s_mov_b64 s[8:9], 0
	s_cmp_lg_u32 s91, 0
	v_writelane_b32 v70, s8, 3
	v_writelane_b32 v70, s9, 4
	s_cselect_b64 s[8:9], -1, 0
	v_writelane_b32 v70, s8, 5
	v_writelane_b32 v70, s9, 6
	s_min_u32 s8, s33, 15
	v_writelane_b32 v70, s8, 7
	s_cmp_gt_u32 s91, 1
	s_mov_b64 s[8:9], 0
	v_cmp_gt_i32_e32 vcc, s10, v45
	s_mov_b64 s[6:7], -1
	s_mov_b64 s[24:25], 0
	s_cselect_b64 s[56:57], -1, 0
	v_writelane_b32 v70, s8, 8
	v_writelane_b32 v70, s9, 9
	s_waitcnt vmcnt(1)
	v_lshrrev_b32_e32 v46, 8, v41
	s_and_saveexec_b64 s[76:77], vcc
	s_cbranch_execz .LBB161_393
; %bb.2:
	s_andn2_b64 vcc, exec, s[86:87]
	s_cbranch_vccnz .LBB161_9
; %bb.3:
	v_readlane_b32 s6, v70, 5
	v_readlane_b32 s7, v70, 6
	s_andn2_b64 vcc, exec, s[6:7]
	v_mov_b32_e32 v2, 0
	v_mov_b32_e32 v0, 0
	;; [unrolled: 1-line block ×3, first 2 shown]
	s_cbranch_vccnz .LBB161_8
; %bb.4:
	v_readlane_b32 s9, v70, 7
	s_add_i32 s6, s9, 1
	s_and_b32 s8, s6, 30
	s_add_u32 s6, s74, 0xffffffec
	s_addc_u32 s7, s75, -1
	v_mov_b32_e32 v42, 0
	v_mov_b32_e32 v1, v45
	;; [unrolled: 1-line block ×4, first 2 shown]
.LBB161_5:                              ; =>This Inner Loop Header: Depth=1
	s_mov_b64 s[10:11], s[6:7]
	s_load_dwordx4 s[12:15], s[10:11], 0x18
	s_load_dwordx2 s[20:21], s[10:11], 0x28
	s_load_dwordx2 s[22:23], s[10:11], 0xe8
	s_load_dwordx4 s[16:19], s[10:11], 0xd8
	s_add_u32 s6, s10, 24
	s_waitcnt lgkmcnt(0)
	v_mul_hi_u32 v3, s13, v1
	v_add_u32_e32 v3, v1, v3
	v_lshrrev_b32_e32 v3, s14, v3
	v_mul_lo_u32 v4, v3, s12
	v_mul_hi_u32 v5, s20, v3
	v_sub_u32_e32 v1, v1, v4
	v_add_u32_e32 v4, v3, v5
	v_mul_lo_u32 v5, v1, s16
	v_mul_lo_u32 v6, v1, s17
	;; [unrolled: 1-line block ×3, first 2 shown]
	v_lshrrev_b32_e32 v1, s21, v4
	v_mul_lo_u32 v4, v1, s15
	v_sub_u32_e32 v3, v3, v4
	s_addc_u32 s7, s11, 0
	s_add_i32 s8, s8, -2
	v_mul_lo_u32 v4, v3, s19
	v_mul_lo_u32 v8, v3, s22
	;; [unrolled: 1-line block ×3, first 2 shown]
	s_cmp_lg_u32 s8, 0
	v_add3_u32 v42, v5, v42, v4
	v_add3_u32 v2, v7, v2, v3
	;; [unrolled: 1-line block ×3, first 2 shown]
	s_cbranch_scc1 .LBB161_5
; %bb.6:
	s_bitcmp1_b32 s9, 0
	s_cselect_b64 s[8:9], -1, 0
	s_and_b64 vcc, exec, s[8:9]
	s_cbranch_vccnz .LBB161_8
; %bb.7:
	s_load_dwordx2 s[8:9], s[6:7], 0x18
	s_load_dword s10, s[6:7], 0x20
	s_load_dword s11, s[6:7], 0xe0
	s_nop 0
	s_load_dwordx2 s[6:7], s[6:7], 0xd8
	s_waitcnt lgkmcnt(0)
	v_mul_hi_u32 v3, s9, v1
	v_add_u32_e32 v3, v1, v3
	v_lshrrev_b32_e32 v3, s10, v3
	v_mul_lo_u32 v3, v3, s8
	v_sub_u32_e32 v3, v1, v3
	v_mad_u64_u32 v[42:43], s[8:9], v3, s6, v[42:43]
	v_mad_u64_u32 v[0:1], s[6:7], v3, s7, v[0:1]
	;; [unrolled: 1-line block ×3, first 2 shown]
.LBB161_8:
	s_cbranch_execz .LBB161_10
	s_branch .LBB161_12
.LBB161_9:
                                        ; implicit-def: $vgpr2
                                        ; implicit-def: $vgpr0
                                        ; implicit-def: $vgpr42
	s_andn2_b64 vcc, exec, s[6:7]
	s_cbranch_vccnz .LBB161_12
.LBB161_10:
	s_waitcnt lgkmcnt(0)
	v_mul_hi_u32 v0, s49, v45
	v_add_u32_e32 v0, v45, v0
	v_lshrrev_b32_e32 v1, s50, v0
	v_mul_lo_u32 v0, v1, s48
	v_sub_u32_e32 v0, v45, v0
	v_mul_lo_u32 v42, v0, s96
	v_mul_lo_u32 v2, v0, s98
	s_andn2_b64 vcc, exec, s[56:57]
	v_mul_lo_u32 v0, v0, s97
	s_cbranch_vccnz .LBB161_12
; %bb.11:
	v_mul_hi_u32 v3, s84, v1
	v_add_u32_e32 v3, v1, v3
	v_lshrrev_b32_e32 v3, s85, v3
	v_mul_lo_u32 v3, v3, s51
	v_sub_u32_e32 v3, v1, v3
	v_mad_u64_u32 v[42:43], s[6:7], v3, s99, v[42:43]
	v_mad_u64_u32 v[0:1], s[6:7], v3, s38, v[0:1]
	;; [unrolled: 1-line block ×3, first 2 shown]
.LBB161_12:
	s_waitcnt lgkmcnt(0)
	v_mov_b32_e32 v1, s43
	v_add_co_u32_e32 v4, vcc, s42, v0
	v_mov_b32_e32 v0, 11
	v_addc_co_u32_e32 v5, vcc, 0, v1, vcc
	v_cmp_lt_i16_sdwa s[6:7], v46, v0 src0_sel:BYTE_0 src1_sel:DWORD
	s_and_b64 vcc, exec, s[6:7]
	s_cbranch_vccnz .LBB161_19
; %bb.13:
	v_mov_b32_e32 v0, 25
	v_cmp_gt_i16_sdwa s[6:7], v46, v0 src0_sel:BYTE_0 src1_sel:DWORD
	s_and_b64 vcc, exec, s[6:7]
	s_cbranch_vccz .LBB161_28
; %bb.14:
	v_mov_b32_e32 v0, 28
	v_cmp_gt_i16_sdwa s[6:7], v46, v0 src0_sel:BYTE_0 src1_sel:DWORD
	s_and_b64 vcc, exec, s[6:7]
	s_cbranch_vccz .LBB161_38
	;; [unrolled: 5-line block ×4, first 2 shown]
; %bb.17:
	v_mov_b32_e32 v0, 46
	v_cmp_eq_u16_sdwa s[6:7], v46, v0 src0_sel:BYTE_0 src1_sel:DWORD
	s_mov_b64 s[8:9], 0
	s_and_b64 vcc, exec, s[6:7]
	s_cbranch_vccz .LBB161_47
; %bb.18:
	global_load_dword v0, v[4:5], off
	s_mov_b64 s[6:7], -1
	s_mov_b64 s[92:93], 0
	s_waitcnt vmcnt(0)
	v_lshlrev_b32_e32 v0, 16, v0
	v_cvt_f64_f32_e32 v[0:1], v0
	s_branch .LBB161_49
.LBB161_19:
	s_mov_b64 s[92:93], 0
                                        ; implicit-def: $vgpr0_vgpr1
	s_mov_b64 s[6:7], 0
	s_cbranch_execnz .LBB161_115
.LBB161_20:
	s_andn2_b64 vcc, exec, s[6:7]
	s_cbranch_vccnz .LBB161_162
.LBB161_21:
	v_mov_b32_e32 v3, s53
	v_add_co_u32_e32 v4, vcc, s52, v2
	v_mov_b32_e32 v2, 11
	v_addc_co_u32_e32 v5, vcc, 0, v3, vcc
	s_waitcnt vmcnt(0)
	v_cmp_lt_i16_sdwa s[6:7], v44, v2 src0_sel:BYTE_0 src1_sel:DWORD
	s_and_b64 vcc, exec, s[6:7]
	s_cbranch_vccnz .LBB161_29
; %bb.22:
	v_mov_b32_e32 v2, 25
	v_cmp_gt_i16_sdwa s[6:7], v44, v2 src0_sel:BYTE_0 src1_sel:DWORD
	s_and_b64 vcc, exec, s[6:7]
	s_cbranch_vccz .LBB161_39
; %bb.23:
	v_mov_b32_e32 v2, 28
	v_cmp_gt_i16_sdwa s[6:7], v44, v2 src0_sel:BYTE_0 src1_sel:DWORD
	s_and_b64 vcc, exec, s[6:7]
	s_cbranch_vccz .LBB161_42
	;; [unrolled: 5-line block ×4, first 2 shown]
; %bb.26:
	v_mov_b32_e32 v2, 46
	v_cmp_eq_u16_sdwa s[6:7], v44, v2 src0_sel:BYTE_0 src1_sel:DWORD
	s_mov_b64 s[8:9], 0
	s_and_b64 vcc, exec, s[6:7]
	s_cbranch_vccz .LBB161_163
; %bb.27:
	global_load_dword v2, v[4:5], off
	s_mov_b64 s[6:7], -1
	s_mov_b64 s[78:79], 0
	s_waitcnt vmcnt(0)
	v_lshlrev_b32_e32 v2, 16, v2
	v_cvt_f64_f32_e32 v[2:3], v2
	s_branch .LBB161_165
.LBB161_28:
	s_mov_b64 s[92:93], 0
	s_mov_b64 s[6:7], 0
                                        ; implicit-def: $vgpr0_vgpr1
	s_cbranch_execnz .LBB161_80
	s_branch .LBB161_114
.LBB161_29:
	s_mov_b64 s[78:79], 0
                                        ; implicit-def: $vgpr2_vgpr3
	s_mov_b64 s[6:7], 0
	s_cbranch_execnz .LBB161_342
.LBB161_30:
	s_andn2_b64 vcc, exec, s[6:7]
	s_cbranch_vccnz .LBB161_390
.LBB161_31:
	s_mov_b64 s[80:81], s[96:97]
	s_mov_b64 s[82:83], s[98:99]
	;; [unrolled: 1-line block ×4, first 2 shown]
	v_writelane_b32 v70, s91, 12
	s_mov_b64 s[90:91], s[86:87]
	s_mov_b64 s[88:89], s[52:53]
	;; [unrolled: 1-line block ×4, first 2 shown]
	s_getpc_b64 s[4:5]
	s_add_u32 s4, s4, _ZZZZN2at6native33launch_standard_gamma_grad_kernelERNS_18TensorIteratorBaseEENKUlvE_clEvENKUlvE_clEvENKUlddE_clEdd@rel32@lo+4
	s_addc_u32 s5, s5, _ZZZZN2at6native33launch_standard_gamma_grad_kernelERNS_18TensorIteratorBaseEENKUlvE_clEvENKUlvE_clEvENKUlddE_clEdd@rel32@hi+12
	s_mov_b64 s[96:97], s[40:41]
	s_swappc_b64 s[30:31], s[4:5]
	s_mov_b64 s[40:41], s[96:97]
	v_mov_b32_e32 v2, s41
	v_add_co_u32_e32 v4, vcc, s40, v42
	v_addc_co_u32_e32 v5, vcc, 0, v2, vcc
	v_mov_b32_e32 v2, 11
	v_cmp_lt_i16_sdwa s[4:5], v41, v2 src0_sel:BYTE_0 src1_sel:DWORD
	s_mov_b64 s[42:43], s[98:99]
	s_and_b64 vcc, exec, s[4:5]
	s_cbranch_vccnz .LBB161_40
; %bb.32:
	v_mov_b32_e32 v2, 25
	v_cmp_gt_i16_sdwa s[4:5], v41, v2 src0_sel:BYTE_0 src1_sel:DWORD
	s_and_b64 vcc, exec, s[4:5]
	s_cbranch_vccz .LBB161_43
; %bb.33:
	v_mov_b32_e32 v2, 28
	v_cmp_gt_i16_sdwa s[4:5], v41, v2 src0_sel:BYTE_0 src1_sel:DWORD
	s_mov_b64 s[98:99], s[82:83]
	s_and_b64 vcc, exec, s[4:5]
	s_mov_b64 s[4:5], s[84:85]
	s_mov_b64 s[36:37], s[86:87]
	;; [unrolled: 1-line block ×3, first 2 shown]
	s_cbranch_vccz .LBB161_46
; %bb.34:
	s_load_dwordx2 s[38:39], s[74:75], 0xd4
	s_load_dwordx4 s[48:51], s[74:75], 0x4
	v_mov_b32_e32 v2, 43
	v_cmp_gt_i16_sdwa s[6:7], v41, v2 src0_sel:BYTE_0 src1_sel:DWORD
	s_and_b64 vcc, exec, s[6:7]
	s_mov_b64 s[52:53], s[88:89]
	s_mov_b64 s[86:87], s[90:91]
	s_cbranch_vccz .LBB161_53
; %bb.35:
	s_load_dwordx2 s[84:85], s[74:75], 0x14
	v_mov_b32_e32 v2, 45
	v_cmp_gt_i16_sdwa s[6:7], v41, v2 src0_sel:BYTE_0 src1_sel:DWORD
	s_and_b64 vcc, exec, s[6:7]
	s_mov_b64 s[88:89], 0
	v_readlane_b32 s91, v70, 12
	s_mov_b64 s[56:57], s[94:95]
	s_mov_b64 s[24:25], 0
	s_cbranch_vccz .LBB161_168
; %bb.36:
	v_mov_b32_e32 v2, 46
	v_cmp_eq_u16_sdwa s[8:9], v41, v2 src0_sel:BYTE_0 src1_sel:DWORD
	s_mov_b64 s[10:11], 0
	s_mov_b64 s[6:7], -1
	s_and_b64 vcc, exec, s[8:9]
	s_mov_b64 s[8:9], 0
	s_cbranch_vccz .LBB161_169
; %bb.37:
	v_cvt_f32_f64_e32 v2, v[0:1]
	v_bfe_u32 v3, v2, 16, 1
	s_movk_i32 s6, 0x7fff
	v_add3_u32 v3, v2, v3, s6
	v_lshrrev_b32_e32 v3, 16, v3
	v_mov_b32_e32 v6, 0x7fc0
	v_cmp_o_f32_e32 vcc, v2, v2
	v_cndmask_b32_e32 v2, v6, v3, vcc
	global_store_dword v[4:5], v2, off
	s_mov_b64 s[8:9], -1
	s_mov_b64 s[6:7], 0
	s_branch .LBB161_169
.LBB161_38:
	s_mov_b64 s[8:9], -1
	s_mov_b64 s[92:93], 0
	s_mov_b64 s[6:7], 0
                                        ; implicit-def: $vgpr0_vgpr1
	s_branch .LBB161_61
.LBB161_39:
	s_mov_b64 s[8:9], -1
	s_mov_b64 s[78:79], 0
	s_mov_b64 s[6:7], 0
                                        ; implicit-def: $vgpr2_vgpr3
	s_branch .LBB161_306
.LBB161_40:
	s_mov_b64 s[4:5], s[84:85]
	s_load_dwordx2 s[38:39], s[74:75], 0xd4
	s_load_dwordx4 s[48:51], s[74:75], 0x4
	s_load_dwordx2 s[84:85], s[74:75], 0x14
	s_mov_b64 s[98:99], s[82:83]
	s_mov_b64 s[10:11], -1
	s_mov_b64 s[6:7], 0
	s_mov_b64 s[8:9], 0
	;; [unrolled: 1-line block ×7, first 2 shown]
	v_readlane_b32 s91, v70, 12
	s_mov_b64 s[56:57], s[94:95]
	s_mov_b64 s[24:25], 0
	s_branch .LBB161_238
.LBB161_41:
	s_mov_b64 s[8:9], -1
	s_mov_b64 s[92:93], 0
	s_mov_b64 s[6:7], 0
                                        ; implicit-def: $vgpr0_vgpr1
	s_branch .LBB161_56
.LBB161_42:
	s_mov_b64 s[8:9], -1
	s_mov_b64 s[78:79], 0
	s_mov_b64 s[6:7], 0
                                        ; implicit-def: $vgpr2_vgpr3
	s_branch .LBB161_287
.LBB161_43:
	s_mov_b64 s[4:5], s[84:85]
	s_load_dwordx2 s[38:39], s[74:75], 0xd4
	s_load_dwordx4 s[48:51], s[74:75], 0x4
	s_load_dwordx2 s[84:85], s[74:75], 0x14
	s_mov_b64 s[98:99], s[82:83]
	s_mov_b64 s[10:11], -1
	s_mov_b64 s[6:7], 0
	s_mov_b64 s[8:9], 0
	;; [unrolled: 1-line block ×7, first 2 shown]
	v_readlane_b32 s91, v70, 12
	s_mov_b64 s[56:57], s[94:95]
	s_mov_b64 s[24:25], 0
	s_branch .LBB161_196
.LBB161_44:
	s_mov_b64 s[8:9], -1
	s_mov_b64 s[92:93], 0
	s_branch .LBB161_48
.LBB161_45:
	s_mov_b64 s[8:9], -1
	s_mov_b64 s[78:79], 0
	s_mov_b64 s[6:7], 0
                                        ; implicit-def: $vgpr2_vgpr3
	s_branch .LBB161_282
.LBB161_46:
	s_load_dwordx2 s[38:39], s[74:75], 0xd4
	s_load_dwordx4 s[48:51], s[74:75], 0x4
	s_load_dwordx2 s[84:85], s[74:75], 0x14
	s_mov_b64 s[10:11], -1
	s_mov_b64 s[6:7], 0
	s_mov_b64 s[8:9], 0
	;; [unrolled: 1-line block ×5, first 2 shown]
	v_readlane_b32 s91, v70, 12
	s_mov_b64 s[56:57], s[94:95]
	s_mov_b64 s[24:25], 0
	s_branch .LBB161_179
.LBB161_47:
	s_mov_b64 s[92:93], -1
.LBB161_48:
	s_mov_b64 s[6:7], 0
                                        ; implicit-def: $vgpr0_vgpr1
.LBB161_49:
	s_and_b64 vcc, exec, s[8:9]
	s_cbranch_vccz .LBB161_55
; %bb.50:
	v_mov_b32_e32 v0, 44
	v_cmp_eq_u16_sdwa s[8:9], v46, v0 src0_sel:BYTE_0 src1_sel:DWORD
	s_and_b64 vcc, exec, s[8:9]
	s_cbranch_vccz .LBB161_54
; %bb.51:
	global_load_ubyte v3, v[4:5], off
	s_movk_i32 s8, 0xff
	v_bfrev_b32_e32 v6, 4
	v_mov_b32_e32 v7, 0x7ff80000
	v_bfrev_b32_e32 v8, 28
	s_mov_b64 s[6:7], -1
	s_mov_b64 s[92:93], 0
	s_waitcnt vmcnt(0)
	v_lshlrev_b32_e32 v0, 23, v3
	v_cvt_f64_f32_e32 v[0:1], v0
	v_cmp_ne_u32_e32 vcc, s8, v3
	v_cndmask_b32_e32 v0, v6, v0, vcc
	v_cndmask_b32_e32 v1, v7, v1, vcc
	v_cmp_ne_u32_e32 vcc, 0, v3
	v_cndmask_b32_e32 v1, v8, v1, vcc
	v_cndmask_b32_e32 v0, 0, v0, vcc
	s_branch .LBB161_55
.LBB161_52:
	s_mov_b64 s[8:9], -1
	s_mov_b64 s[78:79], 0
	s_branch .LBB161_164
.LBB161_53:
	s_load_dwordx2 s[84:85], s[74:75], 0x14
	s_mov_b64 s[10:11], -1
	s_mov_b64 s[6:7], 0
	s_mov_b64 s[8:9], 0
	;; [unrolled: 1-line block ×3, first 2 shown]
	v_readlane_b32 s91, v70, 12
	s_mov_b64 s[56:57], s[94:95]
	s_mov_b64 s[24:25], 0
	s_branch .LBB161_175
.LBB161_54:
	s_mov_b64 s[92:93], -1
                                        ; implicit-def: $vgpr0_vgpr1
.LBB161_55:
	s_mov_b64 s[8:9], 0
.LBB161_56:
	s_and_b64 vcc, exec, s[8:9]
	s_cbranch_vccz .LBB161_60
; %bb.57:
	v_mov_b32_e32 v0, 29
	v_cmp_eq_u16_sdwa s[8:9], v46, v0 src0_sel:BYTE_0 src1_sel:DWORD
	s_and_b64 vcc, exec, s[8:9]
	s_cbranch_vccz .LBB161_59
; %bb.58:
	global_load_dwordx2 v[0:1], v[4:5], off
	s_mov_b64 s[6:7], -1
	s_mov_b64 s[92:93], 0
	s_mov_b64 s[8:9], 0
	s_waitcnt vmcnt(0)
	v_cvt_f64_u32_e32 v[6:7], v1
	v_cvt_f64_u32_e32 v[0:1], v0
	v_ldexp_f64 v[6:7], v[6:7], 32
	v_add_f64 v[0:1], v[6:7], v[0:1]
	s_branch .LBB161_61
.LBB161_59:
	s_mov_b64 s[92:93], -1
                                        ; implicit-def: $vgpr0_vgpr1
.LBB161_60:
	s_mov_b64 s[8:9], 0
.LBB161_61:
	s_and_b64 vcc, exec, s[8:9]
	s_cbranch_vccz .LBB161_79
; %bb.62:
	v_mov_b32_e32 v0, 27
	v_cmp_lt_i16_sdwa s[6:7], v46, v0 src0_sel:BYTE_0 src1_sel:DWORD
	s_and_b64 vcc, exec, s[6:7]
	s_cbranch_vccnz .LBB161_65
; %bb.63:
	v_cmp_gt_i16_sdwa s[6:7], v46, v0 src0_sel:BYTE_0 src1_sel:DWORD
	s_and_b64 vcc, exec, s[6:7]
	s_cbranch_vccz .LBB161_66
; %bb.64:
	global_load_dword v0, v[4:5], off
	s_mov_b64 s[6:7], 0
	s_waitcnt vmcnt(0)
	v_cvt_f64_u32_e32 v[0:1], v0
	s_branch .LBB161_67
.LBB161_65:
	s_mov_b64 s[6:7], -1
                                        ; implicit-def: $vgpr0_vgpr1
	s_branch .LBB161_70
.LBB161_66:
	s_mov_b64 s[6:7], -1
                                        ; implicit-def: $vgpr0_vgpr1
.LBB161_67:
	s_andn2_b64 vcc, exec, s[6:7]
	s_cbranch_vccnz .LBB161_69
; %bb.68:
	global_load_ushort v0, v[4:5], off
	s_waitcnt vmcnt(0)
	v_cvt_f64_u32_e32 v[0:1], v0
.LBB161_69:
	s_mov_b64 s[6:7], 0
.LBB161_70:
	s_andn2_b64 vcc, exec, s[6:7]
	s_cbranch_vccnz .LBB161_78
; %bb.71:
	global_load_ubyte v3, v[4:5], off
	s_movk_i32 s6, 0x7f
                                        ; implicit-def: $sgpr8_sgpr9
	s_waitcnt vmcnt(0)
	v_cmp_lt_i16_e32 vcc, s6, v3
	s_mov_b64 s[6:7], 0
	s_and_saveexec_b64 s[10:11], vcc
	s_xor_b64 s[10:11], exec, s[10:11]
	s_cbranch_execz .LBB161_91
; %bb.72:
	s_movk_i32 s6, 0x80
	v_cmp_eq_u16_e32 vcc, s6, v3
	s_mov_b64 s[12:13], -1
                                        ; implicit-def: $sgpr8_sgpr9
	s_and_saveexec_b64 s[6:7], vcc
; %bb.73:
	s_mov_b32 s9, 0x7ff80000
	s_brev_b32 s8, 4
	s_xor_b64 s[12:13], exec, -1
; %bb.74:
	s_or_b64 exec, exec, s[6:7]
	s_and_b64 s[6:7], s[12:13], exec
	s_or_saveexec_b64 s[10:11], s[10:11]
	v_pk_mov_b32 v[0:1], s[8:9], s[8:9] op_sel:[0,1]
	s_xor_b64 exec, exec, s[10:11]
	s_cbranch_execnz .LBB161_92
.LBB161_75:
	s_or_b64 exec, exec, s[10:11]
	s_and_saveexec_b64 s[8:9], s[6:7]
	s_cbranch_execz .LBB161_77
.LBB161_76:
	v_and_b32_e32 v1, 0xffff, v3
	v_lshlrev_b32_e32 v0, 24, v3
	v_and_b32_e32 v3, 7, v1
	v_ffbh_u32_e32 v7, v3
	v_min_u32_e32 v7, 32, v7
	v_subrev_u32_e32 v8, 28, v7
	v_bfe_u32 v6, v1, 3, 4
	v_lshlrev_b32_e32 v1, v8, v1
	v_sub_u32_e32 v7, 29, v7
	v_and_b32_e32 v1, 7, v1
	v_cmp_eq_u32_e32 vcc, 0, v6
	v_cndmask_b32_e32 v6, v6, v7, vcc
	v_cndmask_b32_e32 v1, v3, v1, vcc
	v_mov_b32_e32 v3, 0x3b800000
	v_lshlrev_b32_e32 v1, 20, v1
	v_and_b32_e32 v0, 0x80000000, v0
	v_lshl_add_u32 v3, v6, 23, v3
	v_or3_b32 v0, v0, v3, v1
	v_cvt_f64_f32_e32 v[0:1], v0
.LBB161_77:
	s_or_b64 exec, exec, s[8:9]
.LBB161_78:
	s_mov_b64 s[6:7], -1
.LBB161_79:
	s_branch .LBB161_114
.LBB161_80:
	v_mov_b32_e32 v0, 22
	v_cmp_gt_i16_sdwa s[8:9], v46, v0 src0_sel:BYTE_0 src1_sel:DWORD
	s_and_b64 vcc, exec, s[8:9]
	s_cbranch_vccz .LBB161_90
; %bb.81:
	v_mov_b32_e32 v0, 24
	v_cmp_lt_i16_sdwa s[6:7], v46, v0 src0_sel:BYTE_0 src1_sel:DWORD
	s_and_b64 vcc, exec, s[6:7]
	s_cbranch_vccnz .LBB161_93
; %bb.82:
	v_cmp_gt_i16_sdwa s[6:7], v46, v0 src0_sel:BYTE_0 src1_sel:DWORD
	s_and_b64 vcc, exec, s[6:7]
	s_cbranch_vccz .LBB161_94
; %bb.83:
	global_load_ubyte v3, v[4:5], off
	s_movk_i32 s6, 0x7f
                                        ; implicit-def: $sgpr8_sgpr9
	s_waitcnt vmcnt(0)
	v_cmp_lt_i16_e32 vcc, s6, v3
	s_mov_b64 s[6:7], 0
	s_and_saveexec_b64 s[10:11], vcc
	s_xor_b64 s[10:11], exec, s[10:11]
	s_cbranch_execz .LBB161_106
; %bb.84:
	s_movk_i32 s6, 0x80
	v_cmp_eq_u16_e32 vcc, s6, v3
	s_mov_b64 s[12:13], -1
                                        ; implicit-def: $sgpr8_sgpr9
	s_and_saveexec_b64 s[6:7], vcc
; %bb.85:
	s_mov_b32 s9, 0x7ff80000
	s_brev_b32 s8, 4
	s_xor_b64 s[12:13], exec, -1
; %bb.86:
	s_or_b64 exec, exec, s[6:7]
	s_and_b64 s[6:7], s[12:13], exec
	s_or_saveexec_b64 s[10:11], s[10:11]
	v_pk_mov_b32 v[0:1], s[8:9], s[8:9] op_sel:[0,1]
	s_xor_b64 exec, exec, s[10:11]
	s_cbranch_execnz .LBB161_107
.LBB161_87:
	s_or_b64 exec, exec, s[10:11]
	s_and_saveexec_b64 s[8:9], s[6:7]
	s_cbranch_execz .LBB161_89
.LBB161_88:
	v_and_b32_e32 v1, 0xffff, v3
	v_lshlrev_b32_e32 v0, 24, v3
	v_and_b32_e32 v3, 3, v1
	v_ffbh_u32_e32 v7, v3
	v_min_u32_e32 v7, 32, v7
	v_subrev_u32_e32 v8, 29, v7
	v_bfe_u32 v6, v1, 2, 5
	v_lshlrev_b32_e32 v1, v8, v1
	v_sub_u32_e32 v7, 30, v7
	v_and_b32_e32 v1, 3, v1
	v_cmp_eq_u32_e32 vcc, 0, v6
	v_cndmask_b32_e32 v6, v6, v7, vcc
	v_cndmask_b32_e32 v1, v3, v1, vcc
	v_mov_b32_e32 v3, 0x37800000
	v_lshlrev_b32_e32 v1, 21, v1
	v_and_b32_e32 v0, 0x80000000, v0
	v_lshl_add_u32 v3, v6, 23, v3
	v_or3_b32 v0, v0, v3, v1
	v_cvt_f64_f32_e32 v[0:1], v0
.LBB161_89:
	s_or_b64 exec, exec, s[8:9]
	s_mov_b64 s[6:7], 0
	s_branch .LBB161_95
.LBB161_90:
	s_mov_b64 s[8:9], -1
                                        ; implicit-def: $vgpr0_vgpr1
	s_branch .LBB161_101
.LBB161_91:
	s_or_saveexec_b64 s[10:11], s[10:11]
	v_pk_mov_b32 v[0:1], s[8:9], s[8:9] op_sel:[0,1]
	s_xor_b64 exec, exec, s[10:11]
	s_cbranch_execz .LBB161_75
.LBB161_92:
	v_cmp_ne_u16_e32 vcc, 0, v3
	s_andn2_b64 s[6:7], s[6:7], exec
	s_and_b64 s[8:9], vcc, exec
	v_pk_mov_b32 v[0:1], 0, 0
	s_or_b64 s[6:7], s[6:7], s[8:9]
	s_or_b64 exec, exec, s[10:11]
	s_and_saveexec_b64 s[8:9], s[6:7]
	s_cbranch_execnz .LBB161_76
	s_branch .LBB161_77
.LBB161_93:
	s_mov_b64 s[6:7], -1
                                        ; implicit-def: $vgpr0_vgpr1
	s_branch .LBB161_98
.LBB161_94:
	s_mov_b64 s[6:7], -1
                                        ; implicit-def: $vgpr0_vgpr1
.LBB161_95:
	s_and_b64 vcc, exec, s[6:7]
	s_cbranch_vccz .LBB161_97
; %bb.96:
	global_load_ubyte v0, v[4:5], off
	s_mov_b32 s6, 0x7f800000
	s_waitcnt vmcnt(0)
	v_lshlrev_b32_e32 v0, 24, v0
	v_and_b32_e32 v1, 0x7f000000, v0
	v_ffbh_u32_e32 v3, v1
	v_min_u32_e32 v3, 32, v3
	v_sub_u32_e64 v3, v3, 4 clamp
	v_lshlrev_b32_e32 v7, v3, v1
	v_lshlrev_b32_e32 v3, 23, v3
	v_lshrrev_b32_e32 v7, 4, v7
	v_add_u32_e32 v6, 0x1000000, v1
	v_sub_u32_e32 v3, v7, v3
	v_ashrrev_i32_e32 v6, 8, v6
	v_add_u32_e32 v3, 0x3c000000, v3
	v_and_or_b32 v3, v6, s6, v3
	v_cmp_ne_u32_e32 vcc, 0, v1
	v_cndmask_b32_e32 v1, 0, v3, vcc
	s_brev_b32 s6, 1
	v_and_or_b32 v0, v0, s6, v1
	v_cvt_f64_f32_e32 v[0:1], v0
.LBB161_97:
	s_mov_b64 s[6:7], 0
.LBB161_98:
	s_andn2_b64 vcc, exec, s[6:7]
	s_cbranch_vccnz .LBB161_100
; %bb.99:
	global_load_ubyte v0, v[4:5], off
	s_movk_i32 s6, 0x7f00
	s_brev_b32 s7, 16
	s_waitcnt vmcnt(0)
	v_lshlrev_b16_e32 v1, 8, v0
	v_lshlrev_b32_e32 v0, 25, v0
	v_lshrrev_b32_e32 v3, 4, v0
	v_and_or_b32 v6, v1, s6, 0.5
	v_or_b32_e32 v3, 0x70000000, v3
	v_add_f32_e32 v6, -0.5, v6
	v_mul_f32_e32 v3, 0x7800000, v3
	v_cmp_gt_u32_e32 vcc, s7, v0
	v_bfe_i32 v1, v1, 0, 16
	v_cndmask_b32_e32 v0, v3, v6, vcc
	s_brev_b32 s6, 1
	v_and_or_b32 v0, v1, s6, v0
	v_cvt_f64_f32_e32 v[0:1], v0
.LBB161_100:
	s_mov_b64 s[8:9], 0
	s_mov_b64 s[6:7], -1
.LBB161_101:
	s_andn2_b64 vcc, exec, s[8:9]
	s_cbranch_vccnz .LBB161_114
; %bb.102:
	v_mov_b32_e32 v0, 14
	v_cmp_gt_i16_sdwa s[8:9], v46, v0 src0_sel:BYTE_0 src1_sel:DWORD
	s_and_b64 vcc, exec, s[8:9]
	s_cbranch_vccz .LBB161_105
; %bb.103:
	v_mov_b32_e32 v0, 15
	v_cmp_eq_u16_sdwa s[8:9], v46, v0 src0_sel:BYTE_0 src1_sel:DWORD
	s_and_b64 vcc, exec, s[8:9]
	s_cbranch_vccz .LBB161_108
; %bb.104:
	global_load_ushort v0, v[4:5], off
	s_mov_b64 s[6:7], -1
	s_mov_b64 s[92:93], 0
	s_waitcnt vmcnt(0)
	v_lshlrev_b32_e32 v0, 16, v0
	v_cvt_f64_f32_e32 v[0:1], v0
	s_branch .LBB161_109
.LBB161_105:
	s_mov_b64 s[8:9], -1
                                        ; implicit-def: $vgpr0_vgpr1
	s_branch .LBB161_110
.LBB161_106:
	s_or_saveexec_b64 s[10:11], s[10:11]
	v_pk_mov_b32 v[0:1], s[8:9], s[8:9] op_sel:[0,1]
	s_xor_b64 exec, exec, s[10:11]
	s_cbranch_execz .LBB161_87
.LBB161_107:
	v_cmp_ne_u16_e32 vcc, 0, v3
	s_andn2_b64 s[6:7], s[6:7], exec
	s_and_b64 s[8:9], vcc, exec
	v_pk_mov_b32 v[0:1], 0, 0
	s_or_b64 s[6:7], s[6:7], s[8:9]
	s_or_b64 exec, exec, s[10:11]
	s_and_saveexec_b64 s[8:9], s[6:7]
	s_cbranch_execnz .LBB161_88
	s_branch .LBB161_89
.LBB161_108:
	s_mov_b64 s[92:93], -1
                                        ; implicit-def: $vgpr0_vgpr1
.LBB161_109:
	s_mov_b64 s[8:9], 0
.LBB161_110:
	s_and_b64 vcc, exec, s[8:9]
	s_cbranch_vccz .LBB161_114
; %bb.111:
	v_mov_b32_e32 v0, 11
	v_cmp_eq_u16_sdwa s[8:9], v46, v0 src0_sel:BYTE_0 src1_sel:DWORD
	s_and_b64 vcc, exec, s[8:9]
	s_cbranch_vccz .LBB161_113
; %bb.112:
	global_load_ubyte v1, v[4:5], off
	v_mov_b32_e32 v3, 0x3ff00000
	v_mov_b32_e32 v0, 0
	s_mov_b64 s[6:7], -1
	s_mov_b64 s[92:93], 0
	s_waitcnt vmcnt(0)
	v_cmp_ne_u16_e32 vcc, 0, v1
	v_cndmask_b32_e32 v1, 0, v3, vcc
	s_branch .LBB161_114
.LBB161_113:
	s_mov_b64 s[92:93], -1
                                        ; implicit-def: $vgpr0_vgpr1
.LBB161_114:
	s_branch .LBB161_20
.LBB161_115:
	v_mov_b32_e32 v0, 5
	v_cmp_lt_i16_sdwa s[6:7], v46, v0 src0_sel:BYTE_0 src1_sel:DWORD
	s_and_b64 vcc, exec, s[6:7]
	s_cbranch_vccnz .LBB161_120
; %bb.116:
	v_mov_b32_e32 v0, 8
	v_cmp_lt_i16_sdwa s[6:7], v46, v0 src0_sel:BYTE_0 src1_sel:DWORD
	s_and_b64 vcc, exec, s[6:7]
	s_cbranch_vccnz .LBB161_121
; %bb.117:
	;; [unrolled: 5-line block ×3, first 2 shown]
	v_cmp_gt_i16_sdwa s[6:7], v46, v0 src0_sel:BYTE_0 src1_sel:DWORD
	s_and_b64 vcc, exec, s[6:7]
	s_cbranch_vccz .LBB161_123
; %bb.119:
	global_load_dwordx2 v[0:1], v[4:5], off
	s_mov_b64 s[6:7], 0
	s_branch .LBB161_124
.LBB161_120:
                                        ; implicit-def: $vgpr0_vgpr1
	s_branch .LBB161_142
.LBB161_121:
	s_mov_b64 s[6:7], -1
                                        ; implicit-def: $vgpr0_vgpr1
	s_branch .LBB161_130
.LBB161_122:
	s_mov_b64 s[6:7], -1
                                        ; implicit-def: $vgpr0_vgpr1
	s_branch .LBB161_127
.LBB161_123:
	s_mov_b64 s[6:7], -1
                                        ; implicit-def: $vgpr0_vgpr1
.LBB161_124:
	s_andn2_b64 vcc, exec, s[6:7]
	s_cbranch_vccnz .LBB161_126
; %bb.125:
	global_load_dword v0, v[4:5], off
	s_waitcnt vmcnt(0)
	v_cvt_f64_f32_e32 v[0:1], v0
.LBB161_126:
	s_mov_b64 s[6:7], 0
.LBB161_127:
	s_andn2_b64 vcc, exec, s[6:7]
	s_cbranch_vccnz .LBB161_129
; %bb.128:
	global_load_dword v0, v[4:5], off
	s_waitcnt vmcnt(0)
	v_cvt_f32_f16_e32 v0, v0
	v_cvt_f64_f32_e32 v[0:1], v0
.LBB161_129:
	s_mov_b64 s[6:7], 0
.LBB161_130:
	s_andn2_b64 vcc, exec, s[6:7]
	s_cbranch_vccnz .LBB161_141
; %bb.131:
	s_waitcnt vmcnt(0)
	v_mov_b32_e32 v0, 6
	v_cmp_lt_i16_sdwa s[6:7], v46, v0 src0_sel:BYTE_0 src1_sel:DWORD
	s_and_b64 vcc, exec, s[6:7]
	s_cbranch_vccnz .LBB161_134
; %bb.132:
	v_cmp_gt_i16_sdwa s[6:7], v46, v0 src0_sel:BYTE_0 src1_sel:DWORD
	s_and_b64 vcc, exec, s[6:7]
	s_cbranch_vccz .LBB161_135
; %bb.133:
	global_load_dwordx2 v[0:1], v[4:5], off
	s_mov_b64 s[6:7], 0
	s_branch .LBB161_136
.LBB161_134:
	s_mov_b64 s[6:7], -1
                                        ; implicit-def: $vgpr0_vgpr1
	s_branch .LBB161_139
.LBB161_135:
	s_mov_b64 s[6:7], -1
                                        ; implicit-def: $vgpr0_vgpr1
.LBB161_136:
	s_andn2_b64 vcc, exec, s[6:7]
	s_cbranch_vccnz .LBB161_138
; %bb.137:
	global_load_dword v0, v[4:5], off
	s_waitcnt vmcnt(0)
	v_cvt_f64_f32_e32 v[0:1], v0
.LBB161_138:
	s_mov_b64 s[6:7], 0
.LBB161_139:
	s_andn2_b64 vcc, exec, s[6:7]
	s_cbranch_vccnz .LBB161_141
; %bb.140:
	global_load_ushort v0, v[4:5], off
	s_waitcnt vmcnt(0)
	v_cvt_f32_f16_e32 v0, v0
	v_cvt_f64_f32_e32 v[0:1], v0
.LBB161_141:
	s_cbranch_execnz .LBB161_161
.LBB161_142:
	s_waitcnt vmcnt(0)
	v_mov_b32_e32 v0, 2
	v_cmp_lt_i16_sdwa s[6:7], v46, v0 src0_sel:BYTE_0 src1_sel:DWORD
	s_and_b64 vcc, exec, s[6:7]
	s_cbranch_vccnz .LBB161_146
; %bb.143:
	v_mov_b32_e32 v0, 3
	v_cmp_lt_i16_sdwa s[6:7], v46, v0 src0_sel:BYTE_0 src1_sel:DWORD
	s_and_b64 vcc, exec, s[6:7]
	s_cbranch_vccnz .LBB161_147
; %bb.144:
	v_cmp_gt_i16_sdwa s[6:7], v46, v0 src0_sel:BYTE_0 src1_sel:DWORD
	s_and_b64 vcc, exec, s[6:7]
	s_cbranch_vccz .LBB161_148
; %bb.145:
	global_load_dwordx2 v[0:1], v[4:5], off
	s_mov_b64 s[6:7], 0
	s_waitcnt vmcnt(0)
	v_cvt_f64_i32_e32 v[6:7], v1
	v_cvt_f64_u32_e32 v[0:1], v0
	v_ldexp_f64 v[6:7], v[6:7], 32
	v_add_f64 v[0:1], v[6:7], v[0:1]
	s_branch .LBB161_149
.LBB161_146:
	s_mov_b64 s[6:7], -1
                                        ; implicit-def: $vgpr0_vgpr1
	s_branch .LBB161_155
.LBB161_147:
	s_mov_b64 s[6:7], -1
                                        ; implicit-def: $vgpr0_vgpr1
	s_branch .LBB161_152
.LBB161_148:
	s_mov_b64 s[6:7], -1
                                        ; implicit-def: $vgpr0_vgpr1
.LBB161_149:
	s_andn2_b64 vcc, exec, s[6:7]
	s_cbranch_vccnz .LBB161_151
; %bb.150:
	global_load_dword v0, v[4:5], off
	s_waitcnt vmcnt(0)
	v_cvt_f64_i32_e32 v[0:1], v0
.LBB161_151:
	s_mov_b64 s[6:7], 0
.LBB161_152:
	s_andn2_b64 vcc, exec, s[6:7]
	s_cbranch_vccnz .LBB161_154
; %bb.153:
	global_load_sshort v0, v[4:5], off
	s_waitcnt vmcnt(0)
	v_cvt_f64_i32_e32 v[0:1], v0
.LBB161_154:
	s_mov_b64 s[6:7], 0
.LBB161_155:
	s_andn2_b64 vcc, exec, s[6:7]
	s_cbranch_vccnz .LBB161_161
; %bb.156:
	v_mov_b32_e32 v0, 0
	v_cmp_gt_i16_sdwa s[6:7], v46, v0 src0_sel:BYTE_0 src1_sel:DWORD
	s_and_b64 vcc, exec, s[6:7]
	s_cbranch_vccz .LBB161_158
; %bb.157:
	global_load_sbyte v0, v[4:5], off
	s_mov_b64 s[6:7], 0
	s_waitcnt vmcnt(0)
	v_cvt_f64_i32_e32 v[0:1], v0
	s_branch .LBB161_159
.LBB161_158:
	s_mov_b64 s[6:7], -1
                                        ; implicit-def: $vgpr0_vgpr1
.LBB161_159:
	s_andn2_b64 vcc, exec, s[6:7]
	s_cbranch_vccnz .LBB161_161
; %bb.160:
	global_load_ubyte v0, v[4:5], off
	s_waitcnt vmcnt(0)
	v_cvt_f64_u32_e32 v[0:1], v0
.LBB161_161:
	s_branch .LBB161_21
.LBB161_162:
	s_mov_b64 s[6:7], 0
	s_mov_b64 s[78:79], 0
	s_branch .LBB161_391
.LBB161_163:
	s_mov_b64 s[78:79], -1
.LBB161_164:
	s_mov_b64 s[6:7], 0
                                        ; implicit-def: $vgpr2_vgpr3
.LBB161_165:
	s_and_b64 vcc, exec, s[8:9]
	s_cbranch_vccz .LBB161_281
; %bb.166:
	v_mov_b32_e32 v2, 44
	v_cmp_eq_u16_sdwa s[8:9], v44, v2 src0_sel:BYTE_0 src1_sel:DWORD
	s_and_b64 vcc, exec, s[8:9]
	s_cbranch_vccz .LBB161_280
; %bb.167:
	global_load_ubyte v6, v[4:5], off
	s_movk_i32 s8, 0xff
	v_bfrev_b32_e32 v7, 4
	v_mov_b32_e32 v8, 0x7ff80000
	v_bfrev_b32_e32 v9, 28
	s_mov_b64 s[6:7], -1
	s_mov_b64 s[78:79], 0
	s_waitcnt vmcnt(0)
	v_lshlrev_b32_e32 v2, 23, v6
	v_cvt_f64_f32_e32 v[2:3], v2
	v_cmp_ne_u32_e32 vcc, s8, v6
	v_cndmask_b32_e32 v2, v7, v2, vcc
	v_cndmask_b32_e32 v3, v8, v3, vcc
	v_cmp_ne_u32_e32 vcc, 0, v6
	v_cndmask_b32_e32 v3, v9, v3, vcc
	v_cndmask_b32_e32 v2, 0, v2, vcc
	s_branch .LBB161_281
.LBB161_168:
	s_mov_b64 s[10:11], -1
	s_mov_b64 s[6:7], 0
	s_mov_b64 s[8:9], 0
.LBB161_169:
	s_and_b64 vcc, exec, s[10:11]
	s_cbranch_vccz .LBB161_174
; %bb.170:
	v_mov_b32_e32 v2, 44
	v_cmp_eq_u16_sdwa s[10:11], v41, v2 src0_sel:BYTE_0 src1_sel:DWORD
	s_mov_b64 s[6:7], -1
	s_and_b64 vcc, exec, s[10:11]
	s_cbranch_vccz .LBB161_174
; %bb.171:
	v_cvt_f32_f64_e32 v2, v[0:1]
	v_bfe_u32 v3, v2, 23, 8
	s_movk_i32 s6, 0xff
	v_cmp_ne_u32_e32 vcc, s6, v3
	v_mov_b32_e32 v6, 0xff
	s_and_saveexec_b64 s[8:9], vcc
; %bb.172:
	s_mov_b32 s6, 0x3fffff
	v_lshrrev_b32_e32 v6, 23, v2
	v_and_b32_e32 v7, 0x400000, v2
	v_and_or_b32 v2, v2, s6, v3
	v_cmp_ne_u32_e32 vcc, 0, v7
	v_cmp_ne_u32_e64 s[6:7], 0, v2
	s_and_b64 s[6:7], vcc, s[6:7]
	v_cndmask_b32_e64 v2, 0, 1, s[6:7]
	v_add_u32_e32 v6, v6, v2
; %bb.173:
	s_or_b64 exec, exec, s[8:9]
	s_mov_b64 s[8:9], -1
	s_mov_b64 s[6:7], 0
	global_store_byte v[4:5], v6, off
.LBB161_174:
	s_mov_b64 s[10:11], 0
.LBB161_175:
	s_and_b64 vcc, exec, s[10:11]
	s_cbranch_vccz .LBB161_178
; %bb.176:
	v_mov_b32_e32 v2, 29
	v_cmp_eq_u16_sdwa s[10:11], v41, v2 src0_sel:BYTE_0 src1_sel:DWORD
	s_mov_b64 s[6:7], -1
	s_and_b64 vcc, exec, s[10:11]
	s_cbranch_vccz .LBB161_178
; %bb.177:
	v_trunc_f64_e32 v[2:3], v[0:1]
	s_movk_i32 s6, 0xffe0
	v_ldexp_f64 v[6:7], v[2:3], s6
	v_floor_f64_e32 v[6:7], v[6:7]
	v_fmac_f64_e32 v[2:3], 0xc1f00000, v[6:7]
	v_cvt_u32_f64_e32 v9, v[6:7]
	v_cvt_u32_f64_e32 v8, v[2:3]
	global_store_dwordx2 v[4:5], v[8:9], off
	s_mov_b64 s[8:9], -1
	s_mov_b64 s[6:7], 0
.LBB161_178:
	s_mov_b64 s[10:11], 0
.LBB161_179:
	s_and_b64 vcc, exec, s[10:11]
	s_cbranch_vccz .LBB161_195
; %bb.180:
	v_mov_b32_e32 v2, 27
	v_cmp_lt_i16_sdwa s[10:11], v41, v2 src0_sel:BYTE_0 src1_sel:DWORD
	s_mov_b64 s[8:9], -1
	s_and_b64 vcc, exec, s[10:11]
	s_cbranch_vccnz .LBB161_186
; %bb.181:
	v_cmp_gt_i16_sdwa s[10:11], v41, v2 src0_sel:BYTE_0 src1_sel:DWORD
	s_and_b64 vcc, exec, s[10:11]
	v_cvt_u32_f64_e32 v2, v[0:1]
	s_cbranch_vccz .LBB161_183
; %bb.182:
	s_mov_b64 s[8:9], 0
	global_store_dword v[4:5], v2, off
.LBB161_183:
	s_andn2_b64 vcc, exec, s[8:9]
	s_cbranch_vccnz .LBB161_185
; %bb.184:
	global_store_short v[4:5], v2, off
.LBB161_185:
	s_mov_b64 s[8:9], 0
.LBB161_186:
	s_andn2_b64 vcc, exec, s[8:9]
	s_cbranch_vccnz .LBB161_194
; %bb.187:
	v_cvt_f32_f64_e32 v2, v[0:1]
	v_and_b32_e32 v3, 0x7fffffff, v2
	s_mov_b32 s8, 0x43800000
	v_cmp_gt_u32_e32 vcc, s8, v3
	v_mov_b32_e32 v6, 0x80
	s_and_saveexec_b64 s[8:9], vcc
	s_cbranch_execz .LBB161_193
; %bb.188:
	s_mov_b32 s10, 0x3bffffff
	v_cmp_lt_u32_e32 vcc, s10, v3
	s_mov_b64 s[10:11], 0
                                        ; implicit-def: $vgpr3
	s_and_saveexec_b64 s[12:13], vcc
	s_xor_b64 s[12:13], exec, s[12:13]
	s_cbranch_execz .LBB161_429
; %bb.189:
	v_bfe_u32 v3, v2, 20, 1
	s_mov_b32 s14, 0x487ffff
	v_add3_u32 v3, v2, v3, s14
	s_mov_b64 s[10:11], exec
	v_lshrrev_b32_e32 v3, 20, v3
	s_or_saveexec_b64 s[12:13], s[12:13]
                                        ; implicit-def: $sgpr14
	s_xor_b64 exec, exec, s[12:13]
	s_cbranch_execnz .LBB161_430
.LBB161_190:
	s_or_b64 exec, exec, s[12:13]
	v_mov_b32_e32 v6, s14
	s_and_saveexec_b64 s[12:13], s[10:11]
.LBB161_191:
	v_lshrrev_b32_e32 v2, 24, v2
	s_movk_i32 s10, 0x80
	v_and_or_b32 v6, v2, s10, v3
.LBB161_192:
	s_or_b64 exec, exec, s[12:13]
.LBB161_193:
	s_or_b64 exec, exec, s[8:9]
	global_store_byte v[4:5], v6, off
.LBB161_194:
	s_mov_b64 s[8:9], -1
.LBB161_195:
	s_mov_b64 s[10:11], 0
.LBB161_196:
	s_and_b64 vcc, exec, s[10:11]
	s_cbranch_vccz .LBB161_237
; %bb.197:
	v_mov_b32_e32 v2, 22
	v_cmp_gt_i16_sdwa s[12:13], v41, v2 src0_sel:BYTE_0 src1_sel:DWORD
	s_mov_b64 s[10:11], -1
	s_and_b64 vcc, exec, s[12:13]
	s_cbranch_vccz .LBB161_229
; %bb.198:
	v_mov_b32_e32 v2, 24
	v_cmp_lt_i16_sdwa s[10:11], v41, v2 src0_sel:BYTE_0 src1_sel:DWORD
	s_mov_b64 s[8:9], -1
	s_and_b64 vcc, exec, s[10:11]
	s_cbranch_vccnz .LBB161_218
; %bb.199:
	v_cmp_gt_i16_sdwa s[10:11], v41, v2 src0_sel:BYTE_0 src1_sel:DWORD
	s_and_b64 vcc, exec, s[10:11]
	s_cbranch_vccz .LBB161_207
; %bb.200:
	v_cvt_f32_f64_e32 v2, v[0:1]
	v_and_b32_e32 v3, 0x7fffffff, v2
	s_mov_b32 s8, 0x47800000
	v_cmp_gt_u32_e32 vcc, s8, v3
	v_mov_b32_e32 v6, 0x80
	s_and_saveexec_b64 s[8:9], vcc
	s_cbranch_execz .LBB161_206
; %bb.201:
	s_mov_b32 s10, 0x37ffffff
	v_cmp_lt_u32_e32 vcc, s10, v3
	s_mov_b64 s[10:11], 0
                                        ; implicit-def: $vgpr3
	s_and_saveexec_b64 s[12:13], vcc
	s_xor_b64 s[12:13], exec, s[12:13]
	s_cbranch_execz .LBB161_547
; %bb.202:
	v_bfe_u32 v3, v2, 21, 1
	s_mov_b32 s14, 0x88fffff
	v_add3_u32 v3, v2, v3, s14
	s_mov_b64 s[10:11], exec
	v_lshrrev_b32_e32 v3, 21, v3
	s_or_saveexec_b64 s[12:13], s[12:13]
                                        ; implicit-def: $sgpr14
	s_xor_b64 exec, exec, s[12:13]
	s_cbranch_execnz .LBB161_548
.LBB161_203:
	s_or_b64 exec, exec, s[12:13]
	v_mov_b32_e32 v6, s14
	s_and_saveexec_b64 s[12:13], s[10:11]
.LBB161_204:
	v_lshrrev_b32_e32 v2, 24, v2
	s_movk_i32 s10, 0x80
	v_and_or_b32 v6, v2, s10, v3
.LBB161_205:
	s_or_b64 exec, exec, s[12:13]
.LBB161_206:
	s_or_b64 exec, exec, s[8:9]
	s_mov_b64 s[8:9], 0
	global_store_byte v[4:5], v6, off
.LBB161_207:
	s_and_b64 vcc, exec, s[8:9]
	s_cbranch_vccz .LBB161_217
; %bb.208:
	v_cvt_f32_f64_e32 v2, v[0:1]
	v_and_b32_e32 v6, 0x7fffffff, v2
	s_mov_b32 s8, 0x43f00000
	v_cmp_gt_u32_e32 vcc, s8, v6
                                        ; implicit-def: $vgpr3
	s_and_saveexec_b64 s[8:9], vcc
	s_xor_b64 s[8:9], exec, s[8:9]
	s_cbranch_execz .LBB161_214
; %bb.209:
	s_mov_b32 s10, 0x3c7fffff
	v_cmp_lt_u32_e32 vcc, s10, v6
                                        ; implicit-def: $vgpr3
	s_and_saveexec_b64 s[10:11], vcc
	s_xor_b64 s[10:11], exec, s[10:11]
; %bb.210:
	v_bfe_u32 v3, v2, 20, 1
	s_mov_b32 s12, 0x407ffff
	v_add3_u32 v3, v2, v3, s12
	v_lshrrev_b32_e32 v6, 20, v3
	v_and_b32_e32 v3, 0xff00000, v3
	s_mov_b32 s12, 0x7f00000
	v_mov_b32_e32 v7, 0x7e
	v_cmp_ne_u32_e32 vcc, s12, v3
	v_cndmask_b32_e32 v3, v7, v6, vcc
; %bb.211:
	s_andn2_saveexec_b64 s[10:11], s[10:11]
; %bb.212:
	s_mov_b32 s12, 0x46800000
	v_add_f32_e64 v3, |v2|, s12
; %bb.213:
	s_or_b64 exec, exec, s[10:11]
                                        ; implicit-def: $vgpr6
.LBB161_214:
	s_andn2_saveexec_b64 s[8:9], s[8:9]
; %bb.215:
	s_mov_b32 s10, 0x7f800000
	v_mov_b32_e32 v3, 0x7e
	v_mov_b32_e32 v7, 0x7f
	v_cmp_lt_u32_e32 vcc, s10, v6
	v_cndmask_b32_e32 v3, v3, v7, vcc
; %bb.216:
	s_or_b64 exec, exec, s[8:9]
	v_lshrrev_b32_e32 v2, 24, v2
	s_movk_i32 s8, 0x80
	v_and_or_b32 v2, v2, s8, v3
	global_store_byte v[4:5], v2, off
.LBB161_217:
	s_mov_b64 s[8:9], 0
.LBB161_218:
	s_andn2_b64 vcc, exec, s[8:9]
	s_cbranch_vccnz .LBB161_228
; %bb.219:
	v_cvt_f32_f64_e32 v2, v[0:1]
	v_and_b32_e32 v6, 0x7fffffff, v2
	s_mov_b32 s8, 0x47800000
	v_cmp_gt_u32_e32 vcc, s8, v6
                                        ; implicit-def: $vgpr3
	s_and_saveexec_b64 s[8:9], vcc
	s_xor_b64 s[8:9], exec, s[8:9]
	s_cbranch_execz .LBB161_225
; %bb.220:
	s_mov_b32 s10, 0x387fffff
	v_cmp_lt_u32_e32 vcc, s10, v6
                                        ; implicit-def: $vgpr3
	s_and_saveexec_b64 s[10:11], vcc
	s_xor_b64 s[10:11], exec, s[10:11]
; %bb.221:
	v_bfe_u32 v3, v2, 21, 1
	s_mov_b32 s12, 0x80fffff
	v_add3_u32 v3, v2, v3, s12
	v_lshrrev_b32_e32 v3, 21, v3
; %bb.222:
	s_andn2_saveexec_b64 s[10:11], s[10:11]
; %bb.223:
	s_mov_b32 s12, 0x43000000
	v_add_f32_e64 v3, |v2|, s12
; %bb.224:
	s_or_b64 exec, exec, s[10:11]
                                        ; implicit-def: $vgpr6
.LBB161_225:
	s_andn2_saveexec_b64 s[8:9], s[8:9]
; %bb.226:
	s_mov_b32 s10, 0x7f800000
	v_mov_b32_e32 v3, 0x7c
	v_mov_b32_e32 v7, 0x7f
	v_cmp_lt_u32_e32 vcc, s10, v6
	v_cndmask_b32_e32 v3, v3, v7, vcc
; %bb.227:
	s_or_b64 exec, exec, s[8:9]
	v_lshrrev_b32_e32 v2, 24, v2
	s_movk_i32 s8, 0x80
	v_and_or_b32 v2, v2, s8, v3
	global_store_byte v[4:5], v2, off
.LBB161_228:
	s_mov_b64 s[10:11], 0
	s_mov_b64 s[8:9], -1
.LBB161_229:
	s_andn2_b64 vcc, exec, s[10:11]
	s_cbranch_vccnz .LBB161_237
; %bb.230:
	v_mov_b32_e32 v2, 14
	v_cmp_gt_i16_sdwa s[12:13], v41, v2 src0_sel:BYTE_0 src1_sel:DWORD
	s_mov_b64 s[10:11], -1
	s_and_b64 vcc, exec, s[12:13]
	s_cbranch_vccz .LBB161_234
; %bb.231:
	v_mov_b32_e32 v2, 15
	v_cmp_eq_u16_sdwa s[10:11], v41, v2 src0_sel:BYTE_0 src1_sel:DWORD
	s_mov_b64 s[6:7], -1
	s_and_b64 vcc, exec, s[10:11]
	s_cbranch_vccz .LBB161_233
; %bb.232:
	v_cvt_f32_f64_e32 v2, v[0:1]
	v_bfe_u32 v3, v2, 16, 1
	s_movk_i32 s6, 0x7fff
	v_add3_u32 v3, v2, v3, s6
	v_lshrrev_b32_e32 v3, 16, v3
	v_mov_b32_e32 v6, 0x7fc0
	v_cmp_o_f32_e32 vcc, v2, v2
	v_cndmask_b32_e32 v2, v6, v3, vcc
	global_store_short v[4:5], v2, off
	s_mov_b64 s[8:9], -1
	s_mov_b64 s[6:7], 0
.LBB161_233:
	s_mov_b64 s[10:11], 0
.LBB161_234:
	s_and_b64 vcc, exec, s[10:11]
	s_cbranch_vccz .LBB161_237
; %bb.235:
	v_mov_b32_e32 v2, 11
	v_cmp_eq_u16_sdwa s[10:11], v41, v2 src0_sel:BYTE_0 src1_sel:DWORD
	s_mov_b64 s[6:7], -1
	s_and_b64 vcc, exec, s[10:11]
	s_cbranch_vccz .LBB161_237
; %bb.236:
	v_cmp_neq_f64_e32 vcc, 0, v[0:1]
	s_mov_b64 s[6:7], 0
	v_cndmask_b32_e64 v2, 0, 1, vcc
	s_mov_b64 s[8:9], -1
	global_store_byte v[4:5], v2, off
.LBB161_237:
	s_mov_b64 s[10:11], 0
.LBB161_238:
	s_and_b64 vcc, exec, s[10:11]
	s_cbranch_vccz .LBB161_277
; %bb.239:
	v_mov_b32_e32 v2, 5
	v_cmp_lt_i16_sdwa s[10:11], v41, v2 src0_sel:BYTE_0 src1_sel:DWORD
	s_mov_b64 s[8:9], -1
	s_and_b64 vcc, exec, s[10:11]
	s_cbranch_vccnz .LBB161_260
; %bb.240:
	v_mov_b32_e32 v2, 8
	v_cmp_lt_i16_sdwa s[10:11], v41, v2 src0_sel:BYTE_0 src1_sel:DWORD
	s_and_b64 vcc, exec, s[10:11]
	s_cbranch_vccnz .LBB161_250
; %bb.241:
	v_mov_b32_e32 v2, 9
	v_cmp_lt_i16_sdwa s[10:11], v41, v2 src0_sel:BYTE_0 src1_sel:DWORD
	s_and_b64 vcc, exec, s[10:11]
	s_cbranch_vccnz .LBB161_247
; %bb.242:
	v_cmp_gt_i16_sdwa s[10:11], v41, v2 src0_sel:BYTE_0 src1_sel:DWORD
	s_and_b64 vcc, exec, s[10:11]
	s_cbranch_vccz .LBB161_244
; %bb.243:
	v_mov_b32_e32 v2, 0
	v_mov_b32_e32 v3, v2
	global_store_dwordx4 v[4:5], v[0:3], off
	s_mov_b64 s[8:9], 0
.LBB161_244:
	s_andn2_b64 vcc, exec, s[8:9]
	s_cbranch_vccnz .LBB161_246
; %bb.245:
	v_cvt_f32_f64_e32 v2, v[0:1]
	v_mov_b32_e32 v3, 0
	global_store_dwordx2 v[4:5], v[2:3], off
.LBB161_246:
	s_mov_b64 s[8:9], 0
.LBB161_247:
	s_andn2_b64 vcc, exec, s[8:9]
	s_cbranch_vccnz .LBB161_249
; %bb.248:
	v_cvt_f32_f64_e32 v2, v[0:1]
	v_cvt_f16_f32_e32 v2, v2
	global_store_dword v[4:5], v2, off
.LBB161_249:
	s_mov_b64 s[8:9], 0
.LBB161_250:
	s_andn2_b64 vcc, exec, s[8:9]
	s_cbranch_vccnz .LBB161_259
; %bb.251:
	v_mov_b32_e32 v2, 6
	v_cmp_lt_i16_sdwa s[10:11], v41, v2 src0_sel:BYTE_0 src1_sel:DWORD
	s_mov_b64 s[8:9], -1
	s_and_b64 vcc, exec, s[10:11]
	s_cbranch_vccnz .LBB161_257
; %bb.252:
	v_cmp_gt_i16_sdwa s[10:11], v41, v2 src0_sel:BYTE_0 src1_sel:DWORD
	s_and_b64 vcc, exec, s[10:11]
	s_cbranch_vccz .LBB161_254
; %bb.253:
	global_store_dwordx2 v[4:5], v[0:1], off
	s_mov_b64 s[8:9], 0
.LBB161_254:
	s_andn2_b64 vcc, exec, s[8:9]
	s_cbranch_vccnz .LBB161_256
; %bb.255:
	v_cvt_f32_f64_e32 v2, v[0:1]
	global_store_dword v[4:5], v2, off
.LBB161_256:
	s_mov_b64 s[8:9], 0
.LBB161_257:
	s_andn2_b64 vcc, exec, s[8:9]
	s_cbranch_vccnz .LBB161_259
; %bb.258:
	v_cvt_f32_f64_e32 v2, v[0:1]
	v_cvt_f16_f32_e32 v2, v2
	global_store_short v[4:5], v2, off
.LBB161_259:
	s_mov_b64 s[8:9], 0
.LBB161_260:
	s_andn2_b64 vcc, exec, s[8:9]
	s_cbranch_vccnz .LBB161_276
; %bb.261:
	v_mov_b32_e32 v2, 2
	v_cmp_lt_i16_sdwa s[10:11], v41, v2 src0_sel:BYTE_0 src1_sel:DWORD
	s_mov_b64 s[8:9], -1
	s_and_b64 vcc, exec, s[10:11]
	s_cbranch_vccnz .LBB161_271
; %bb.262:
	v_mov_b32_e32 v2, 3
	v_cmp_lt_i16_sdwa s[10:11], v41, v2 src0_sel:BYTE_0 src1_sel:DWORD
	s_and_b64 vcc, exec, s[10:11]
	s_cbranch_vccnz .LBB161_268
; %bb.263:
	v_cmp_gt_i16_sdwa s[10:11], v41, v2 src0_sel:BYTE_0 src1_sel:DWORD
	s_and_b64 vcc, exec, s[10:11]
	s_cbranch_vccz .LBB161_265
; %bb.264:
	v_trunc_f64_e32 v[2:3], v[0:1]
	s_movk_i32 s8, 0xffe0
	v_ldexp_f64 v[6:7], v[2:3], s8
	v_floor_f64_e32 v[6:7], v[6:7]
	v_fmac_f64_e32 v[2:3], 0xc1f00000, v[6:7]
	v_cvt_i32_f64_e32 v9, v[6:7]
	v_cvt_u32_f64_e32 v8, v[2:3]
	global_store_dwordx2 v[4:5], v[8:9], off
	s_mov_b64 s[8:9], 0
.LBB161_265:
	s_andn2_b64 vcc, exec, s[8:9]
	s_cbranch_vccnz .LBB161_267
; %bb.266:
	v_cvt_i32_f64_e32 v2, v[0:1]
	global_store_dword v[4:5], v2, off
.LBB161_267:
	s_mov_b64 s[8:9], 0
.LBB161_268:
	s_andn2_b64 vcc, exec, s[8:9]
	s_cbranch_vccnz .LBB161_270
; %bb.269:
	v_cvt_i32_f64_e32 v2, v[0:1]
	global_store_short v[4:5], v2, off
.LBB161_270:
	s_mov_b64 s[8:9], 0
.LBB161_271:
	s_andn2_b64 vcc, exec, s[8:9]
	s_cbranch_vccnz .LBB161_276
; %bb.272:
	v_mov_b32_e32 v2, 0
	v_cmp_gt_i16_sdwa s[10:11], v41, v2 src0_sel:BYTE_0 src1_sel:DWORD
	s_mov_b64 s[8:9], -1
	s_and_b64 vcc, exec, s[10:11]
	s_cbranch_vccz .LBB161_274
; %bb.273:
	v_cvt_i32_f64_e32 v2, v[0:1]
	global_store_byte v[4:5], v2, off
	s_mov_b64 s[8:9], 0
.LBB161_274:
	s_andn2_b64 vcc, exec, s[8:9]
	s_cbranch_vccnz .LBB161_276
; %bb.275:
	v_trunc_f64_e32 v[0:1], v[0:1]
	s_movk_i32 s8, 0xffe0
	v_ldexp_f64 v[2:3], v[0:1], s8
	v_floor_f64_e32 v[2:3], v[2:3]
	v_fmac_f64_e32 v[0:1], 0xc1f00000, v[2:3]
	v_cvt_u32_f64_e32 v0, v[0:1]
	global_store_byte v[4:5], v0, off
.LBB161_276:
	s_mov_b64 s[8:9], -1
.LBB161_277:
	s_andn2_b64 vcc, exec, s[8:9]
	s_cbranch_vccnz .LBB161_279
; %bb.278:
	v_add_u32_e32 v45, 0x80, v45
	s_mov_b64 s[8:9], -1
	s_branch .LBB161_392
.LBB161_279:
	s_mov_b64 s[8:9], 0
                                        ; implicit-def: $vgpr45
	s_branch .LBB161_392
.LBB161_280:
	s_mov_b64 s[78:79], -1
                                        ; implicit-def: $vgpr2_vgpr3
.LBB161_281:
	s_mov_b64 s[8:9], 0
.LBB161_282:
	s_and_b64 vcc, exec, s[8:9]
	s_cbranch_vccz .LBB161_286
; %bb.283:
	v_mov_b32_e32 v2, 29
	v_cmp_eq_u16_sdwa s[8:9], v44, v2 src0_sel:BYTE_0 src1_sel:DWORD
	s_and_b64 vcc, exec, s[8:9]
	s_cbranch_vccz .LBB161_285
; %bb.284:
	global_load_dwordx2 v[2:3], v[4:5], off
	s_mov_b64 s[6:7], -1
	s_mov_b64 s[78:79], 0
	s_mov_b64 s[8:9], 0
	s_waitcnt vmcnt(0)
	v_cvt_f64_u32_e32 v[6:7], v3
	v_cvt_f64_u32_e32 v[2:3], v2
	v_ldexp_f64 v[6:7], v[6:7], 32
	v_add_f64 v[2:3], v[6:7], v[2:3]
	s_branch .LBB161_287
.LBB161_285:
	s_mov_b64 s[78:79], -1
                                        ; implicit-def: $vgpr2_vgpr3
.LBB161_286:
	s_mov_b64 s[8:9], 0
.LBB161_287:
	s_and_b64 vcc, exec, s[8:9]
	s_cbranch_vccz .LBB161_305
; %bb.288:
	v_mov_b32_e32 v2, 27
	v_cmp_lt_i16_sdwa s[6:7], v44, v2 src0_sel:BYTE_0 src1_sel:DWORD
	s_and_b64 vcc, exec, s[6:7]
	s_cbranch_vccnz .LBB161_291
; %bb.289:
	v_cmp_gt_i16_sdwa s[6:7], v44, v2 src0_sel:BYTE_0 src1_sel:DWORD
	s_and_b64 vcc, exec, s[6:7]
	s_cbranch_vccz .LBB161_292
; %bb.290:
	global_load_dword v2, v[4:5], off
	s_mov_b64 s[6:7], 0
	s_waitcnt vmcnt(0)
	v_cvt_f64_u32_e32 v[2:3], v2
	s_branch .LBB161_293
.LBB161_291:
	s_mov_b64 s[6:7], -1
                                        ; implicit-def: $vgpr2_vgpr3
	s_branch .LBB161_296
.LBB161_292:
	s_mov_b64 s[6:7], -1
                                        ; implicit-def: $vgpr2_vgpr3
.LBB161_293:
	s_andn2_b64 vcc, exec, s[6:7]
	s_cbranch_vccnz .LBB161_295
; %bb.294:
	global_load_ushort v2, v[4:5], off
	s_waitcnt vmcnt(0)
	v_cvt_f64_u32_e32 v[2:3], v2
.LBB161_295:
	s_mov_b64 s[6:7], 0
.LBB161_296:
	s_andn2_b64 vcc, exec, s[6:7]
	s_cbranch_vccnz .LBB161_304
; %bb.297:
	global_load_ubyte v6, v[4:5], off
	s_movk_i32 s6, 0x7f
                                        ; implicit-def: $sgpr8_sgpr9
	s_waitcnt vmcnt(0)
	v_cmp_lt_i16_e32 vcc, s6, v6
	s_mov_b64 s[6:7], 0
	s_and_saveexec_b64 s[10:11], vcc
	s_xor_b64 s[10:11], exec, s[10:11]
	s_cbranch_execz .LBB161_318
; %bb.298:
	s_movk_i32 s6, 0x80
	v_cmp_eq_u16_e32 vcc, s6, v6
	s_mov_b64 s[12:13], -1
                                        ; implicit-def: $sgpr8_sgpr9
	s_and_saveexec_b64 s[6:7], vcc
; %bb.299:
	s_mov_b32 s9, 0x7ff80000
	s_brev_b32 s8, 4
	s_xor_b64 s[12:13], exec, -1
; %bb.300:
	s_or_b64 exec, exec, s[6:7]
	s_and_b64 s[6:7], s[12:13], exec
	s_or_saveexec_b64 s[10:11], s[10:11]
	v_pk_mov_b32 v[2:3], s[8:9], s[8:9] op_sel:[0,1]
	s_xor_b64 exec, exec, s[10:11]
	s_cbranch_execnz .LBB161_319
.LBB161_301:
	s_or_b64 exec, exec, s[10:11]
	s_and_saveexec_b64 s[8:9], s[6:7]
	s_cbranch_execz .LBB161_303
.LBB161_302:
	v_and_b32_e32 v3, 0xffff, v6
	v_lshlrev_b32_e32 v2, 24, v6
	v_and_b32_e32 v6, 7, v3
	v_ffbh_u32_e32 v8, v6
	v_min_u32_e32 v8, 32, v8
	v_subrev_u32_e32 v9, 28, v8
	v_bfe_u32 v7, v3, 3, 4
	v_lshlrev_b32_e32 v3, v9, v3
	v_sub_u32_e32 v8, 29, v8
	v_and_b32_e32 v3, 7, v3
	v_cmp_eq_u32_e32 vcc, 0, v7
	v_cndmask_b32_e32 v7, v7, v8, vcc
	v_cndmask_b32_e32 v3, v6, v3, vcc
	v_mov_b32_e32 v6, 0x3b800000
	v_lshlrev_b32_e32 v3, 20, v3
	v_and_b32_e32 v2, 0x80000000, v2
	v_lshl_add_u32 v6, v7, 23, v6
	v_or3_b32 v2, v2, v6, v3
	v_cvt_f64_f32_e32 v[2:3], v2
.LBB161_303:
	s_or_b64 exec, exec, s[8:9]
.LBB161_304:
	s_mov_b64 s[6:7], -1
.LBB161_305:
	s_mov_b64 s[8:9], 0
.LBB161_306:
	s_and_b64 vcc, exec, s[8:9]
	s_cbranch_vccz .LBB161_341
; %bb.307:
	v_mov_b32_e32 v2, 22
	v_cmp_gt_i16_sdwa s[8:9], v44, v2 src0_sel:BYTE_0 src1_sel:DWORD
	s_and_b64 vcc, exec, s[8:9]
	s_cbranch_vccz .LBB161_317
; %bb.308:
	v_mov_b32_e32 v2, 24
	v_cmp_lt_i16_sdwa s[6:7], v44, v2 src0_sel:BYTE_0 src1_sel:DWORD
	s_and_b64 vcc, exec, s[6:7]
	s_cbranch_vccnz .LBB161_320
; %bb.309:
	v_cmp_gt_i16_sdwa s[6:7], v44, v2 src0_sel:BYTE_0 src1_sel:DWORD
	s_and_b64 vcc, exec, s[6:7]
	s_cbranch_vccz .LBB161_321
; %bb.310:
	global_load_ubyte v6, v[4:5], off
	s_movk_i32 s6, 0x7f
                                        ; implicit-def: $sgpr8_sgpr9
	s_waitcnt vmcnt(0)
	v_cmp_lt_i16_e32 vcc, s6, v6
	s_mov_b64 s[6:7], 0
	s_and_saveexec_b64 s[10:11], vcc
	s_xor_b64 s[10:11], exec, s[10:11]
	s_cbranch_execz .LBB161_333
; %bb.311:
	s_movk_i32 s6, 0x80
	v_cmp_eq_u16_e32 vcc, s6, v6
	s_mov_b64 s[12:13], -1
                                        ; implicit-def: $sgpr8_sgpr9
	s_and_saveexec_b64 s[6:7], vcc
; %bb.312:
	s_mov_b32 s9, 0x7ff80000
	s_brev_b32 s8, 4
	s_xor_b64 s[12:13], exec, -1
; %bb.313:
	s_or_b64 exec, exec, s[6:7]
	s_and_b64 s[6:7], s[12:13], exec
	s_or_saveexec_b64 s[10:11], s[10:11]
	v_pk_mov_b32 v[2:3], s[8:9], s[8:9] op_sel:[0,1]
	s_xor_b64 exec, exec, s[10:11]
	s_cbranch_execnz .LBB161_334
.LBB161_314:
	s_or_b64 exec, exec, s[10:11]
	s_and_saveexec_b64 s[8:9], s[6:7]
	s_cbranch_execz .LBB161_316
.LBB161_315:
	v_and_b32_e32 v3, 0xffff, v6
	v_lshlrev_b32_e32 v2, 24, v6
	v_and_b32_e32 v6, 3, v3
	v_ffbh_u32_e32 v8, v6
	v_min_u32_e32 v8, 32, v8
	v_subrev_u32_e32 v9, 29, v8
	v_bfe_u32 v7, v3, 2, 5
	v_lshlrev_b32_e32 v3, v9, v3
	v_sub_u32_e32 v8, 30, v8
	v_and_b32_e32 v3, 3, v3
	v_cmp_eq_u32_e32 vcc, 0, v7
	v_cndmask_b32_e32 v7, v7, v8, vcc
	v_cndmask_b32_e32 v3, v6, v3, vcc
	v_mov_b32_e32 v6, 0x37800000
	v_lshlrev_b32_e32 v3, 21, v3
	v_and_b32_e32 v2, 0x80000000, v2
	v_lshl_add_u32 v6, v7, 23, v6
	v_or3_b32 v2, v2, v6, v3
	v_cvt_f64_f32_e32 v[2:3], v2
.LBB161_316:
	s_or_b64 exec, exec, s[8:9]
	s_mov_b64 s[6:7], 0
	s_branch .LBB161_322
.LBB161_317:
	s_mov_b64 s[8:9], -1
                                        ; implicit-def: $vgpr2_vgpr3
	s_branch .LBB161_328
.LBB161_318:
	s_or_saveexec_b64 s[10:11], s[10:11]
	v_pk_mov_b32 v[2:3], s[8:9], s[8:9] op_sel:[0,1]
	s_xor_b64 exec, exec, s[10:11]
	s_cbranch_execz .LBB161_301
.LBB161_319:
	v_cmp_ne_u16_e32 vcc, 0, v6
	s_andn2_b64 s[6:7], s[6:7], exec
	s_and_b64 s[8:9], vcc, exec
	v_pk_mov_b32 v[2:3], 0, 0
	s_or_b64 s[6:7], s[6:7], s[8:9]
	s_or_b64 exec, exec, s[10:11]
	s_and_saveexec_b64 s[8:9], s[6:7]
	s_cbranch_execnz .LBB161_302
	s_branch .LBB161_303
.LBB161_320:
	s_mov_b64 s[6:7], -1
                                        ; implicit-def: $vgpr2_vgpr3
	s_branch .LBB161_325
.LBB161_321:
	s_mov_b64 s[6:7], -1
                                        ; implicit-def: $vgpr2_vgpr3
.LBB161_322:
	s_and_b64 vcc, exec, s[6:7]
	s_cbranch_vccz .LBB161_324
; %bb.323:
	global_load_ubyte v2, v[4:5], off
	s_mov_b32 s6, 0x7f800000
	s_waitcnt vmcnt(0)
	v_lshlrev_b32_e32 v2, 24, v2
	v_and_b32_e32 v3, 0x7f000000, v2
	v_ffbh_u32_e32 v6, v3
	v_min_u32_e32 v6, 32, v6
	v_sub_u32_e64 v6, v6, 4 clamp
	v_lshlrev_b32_e32 v8, v6, v3
	v_lshlrev_b32_e32 v6, 23, v6
	v_lshrrev_b32_e32 v8, 4, v8
	v_add_u32_e32 v7, 0x1000000, v3
	v_sub_u32_e32 v6, v8, v6
	v_ashrrev_i32_e32 v7, 8, v7
	v_add_u32_e32 v6, 0x3c000000, v6
	v_and_or_b32 v6, v7, s6, v6
	v_cmp_ne_u32_e32 vcc, 0, v3
	v_cndmask_b32_e32 v3, 0, v6, vcc
	s_brev_b32 s6, 1
	v_and_or_b32 v2, v2, s6, v3
	v_cvt_f64_f32_e32 v[2:3], v2
.LBB161_324:
	s_mov_b64 s[6:7], 0
.LBB161_325:
	s_andn2_b64 vcc, exec, s[6:7]
	s_cbranch_vccnz .LBB161_327
; %bb.326:
	global_load_ubyte v2, v[4:5], off
	s_movk_i32 s6, 0x7f00
	s_brev_b32 s7, 16
	s_waitcnt vmcnt(0)
	v_lshlrev_b16_e32 v3, 8, v2
	v_lshlrev_b32_e32 v2, 25, v2
	v_lshrrev_b32_e32 v6, 4, v2
	v_and_or_b32 v7, v3, s6, 0.5
	v_or_b32_e32 v6, 0x70000000, v6
	v_add_f32_e32 v7, -0.5, v7
	v_mul_f32_e32 v6, 0x7800000, v6
	v_cmp_gt_u32_e32 vcc, s7, v2
	v_bfe_i32 v3, v3, 0, 16
	v_cndmask_b32_e32 v2, v6, v7, vcc
	s_brev_b32 s6, 1
	v_and_or_b32 v2, v3, s6, v2
	v_cvt_f64_f32_e32 v[2:3], v2
.LBB161_327:
	s_mov_b64 s[8:9], 0
	s_mov_b64 s[6:7], -1
.LBB161_328:
	s_andn2_b64 vcc, exec, s[8:9]
	s_cbranch_vccnz .LBB161_341
; %bb.329:
	v_mov_b32_e32 v2, 14
	v_cmp_gt_i16_sdwa s[8:9], v44, v2 src0_sel:BYTE_0 src1_sel:DWORD
	s_and_b64 vcc, exec, s[8:9]
	s_cbranch_vccz .LBB161_332
; %bb.330:
	v_mov_b32_e32 v2, 15
	v_cmp_eq_u16_sdwa s[8:9], v44, v2 src0_sel:BYTE_0 src1_sel:DWORD
	s_and_b64 vcc, exec, s[8:9]
	s_cbranch_vccz .LBB161_335
; %bb.331:
	global_load_ushort v2, v[4:5], off
	s_mov_b64 s[6:7], -1
	s_mov_b64 s[78:79], 0
	s_waitcnt vmcnt(0)
	v_lshlrev_b32_e32 v2, 16, v2
	v_cvt_f64_f32_e32 v[2:3], v2
	s_branch .LBB161_336
.LBB161_332:
	s_mov_b64 s[8:9], -1
                                        ; implicit-def: $vgpr2_vgpr3
	s_branch .LBB161_337
.LBB161_333:
	s_or_saveexec_b64 s[10:11], s[10:11]
	v_pk_mov_b32 v[2:3], s[8:9], s[8:9] op_sel:[0,1]
	s_xor_b64 exec, exec, s[10:11]
	s_cbranch_execz .LBB161_314
.LBB161_334:
	v_cmp_ne_u16_e32 vcc, 0, v6
	s_andn2_b64 s[6:7], s[6:7], exec
	s_and_b64 s[8:9], vcc, exec
	v_pk_mov_b32 v[2:3], 0, 0
	s_or_b64 s[6:7], s[6:7], s[8:9]
	s_or_b64 exec, exec, s[10:11]
	s_and_saveexec_b64 s[8:9], s[6:7]
	s_cbranch_execnz .LBB161_315
	s_branch .LBB161_316
.LBB161_335:
	s_mov_b64 s[78:79], -1
                                        ; implicit-def: $vgpr2_vgpr3
.LBB161_336:
	s_mov_b64 s[8:9], 0
.LBB161_337:
	s_and_b64 vcc, exec, s[8:9]
	s_cbranch_vccz .LBB161_341
; %bb.338:
	v_mov_b32_e32 v2, 11
	v_cmp_eq_u16_sdwa s[8:9], v44, v2 src0_sel:BYTE_0 src1_sel:DWORD
	s_and_b64 vcc, exec, s[8:9]
	s_cbranch_vccz .LBB161_340
; %bb.339:
	global_load_ubyte v3, v[4:5], off
	v_mov_b32_e32 v6, 0x3ff00000
	v_mov_b32_e32 v2, 0
	s_mov_b64 s[6:7], -1
	s_mov_b64 s[78:79], 0
	s_waitcnt vmcnt(0)
	v_cmp_ne_u16_e32 vcc, 0, v3
	v_cndmask_b32_e32 v3, 0, v6, vcc
	s_branch .LBB161_341
.LBB161_340:
	s_mov_b64 s[78:79], -1
                                        ; implicit-def: $vgpr2_vgpr3
.LBB161_341:
	s_branch .LBB161_30
.LBB161_342:
	v_mov_b32_e32 v2, 5
	v_cmp_lt_i16_sdwa s[6:7], v44, v2 src0_sel:BYTE_0 src1_sel:DWORD
	s_and_b64 vcc, exec, s[6:7]
	s_cbranch_vccnz .LBB161_347
; %bb.343:
	v_mov_b32_e32 v2, 8
	v_cmp_lt_i16_sdwa s[6:7], v44, v2 src0_sel:BYTE_0 src1_sel:DWORD
	s_and_b64 vcc, exec, s[6:7]
	s_cbranch_vccnz .LBB161_348
; %bb.344:
	;; [unrolled: 5-line block ×3, first 2 shown]
	v_cmp_gt_i16_sdwa s[6:7], v44, v2 src0_sel:BYTE_0 src1_sel:DWORD
	s_and_b64 vcc, exec, s[6:7]
	s_cbranch_vccz .LBB161_350
; %bb.346:
	global_load_dwordx2 v[2:3], v[4:5], off
	s_mov_b64 s[6:7], 0
	s_branch .LBB161_351
.LBB161_347:
	s_mov_b64 s[6:7], -1
                                        ; implicit-def: $vgpr2_vgpr3
	s_branch .LBB161_369
.LBB161_348:
	s_mov_b64 s[6:7], -1
                                        ; implicit-def: $vgpr2_vgpr3
	s_branch .LBB161_357
.LBB161_349:
	s_mov_b64 s[6:7], -1
                                        ; implicit-def: $vgpr2_vgpr3
	s_branch .LBB161_354
.LBB161_350:
	s_mov_b64 s[6:7], -1
                                        ; implicit-def: $vgpr2_vgpr3
.LBB161_351:
	s_andn2_b64 vcc, exec, s[6:7]
	s_cbranch_vccnz .LBB161_353
; %bb.352:
	global_load_dword v2, v[4:5], off
	s_waitcnt vmcnt(0)
	v_cvt_f64_f32_e32 v[2:3], v2
.LBB161_353:
	s_mov_b64 s[6:7], 0
.LBB161_354:
	s_andn2_b64 vcc, exec, s[6:7]
	s_cbranch_vccnz .LBB161_356
; %bb.355:
	global_load_dword v2, v[4:5], off
	s_waitcnt vmcnt(0)
	v_cvt_f32_f16_e32 v2, v2
	v_cvt_f64_f32_e32 v[2:3], v2
.LBB161_356:
	s_mov_b64 s[6:7], 0
.LBB161_357:
	s_andn2_b64 vcc, exec, s[6:7]
	s_cbranch_vccnz .LBB161_368
; %bb.358:
	s_waitcnt vmcnt(0)
	v_mov_b32_e32 v2, 6
	v_cmp_lt_i16_sdwa s[6:7], v44, v2 src0_sel:BYTE_0 src1_sel:DWORD
	s_and_b64 vcc, exec, s[6:7]
	s_cbranch_vccnz .LBB161_361
; %bb.359:
	v_cmp_gt_i16_sdwa s[6:7], v44, v2 src0_sel:BYTE_0 src1_sel:DWORD
	s_and_b64 vcc, exec, s[6:7]
	s_cbranch_vccz .LBB161_362
; %bb.360:
	global_load_dwordx2 v[2:3], v[4:5], off
	s_mov_b64 s[6:7], 0
	s_branch .LBB161_363
.LBB161_361:
	s_mov_b64 s[6:7], -1
                                        ; implicit-def: $vgpr2_vgpr3
	s_branch .LBB161_366
.LBB161_362:
	s_mov_b64 s[6:7], -1
                                        ; implicit-def: $vgpr2_vgpr3
.LBB161_363:
	s_andn2_b64 vcc, exec, s[6:7]
	s_cbranch_vccnz .LBB161_365
; %bb.364:
	global_load_dword v2, v[4:5], off
	s_waitcnt vmcnt(0)
	v_cvt_f64_f32_e32 v[2:3], v2
.LBB161_365:
	s_mov_b64 s[6:7], 0
.LBB161_366:
	s_andn2_b64 vcc, exec, s[6:7]
	s_cbranch_vccnz .LBB161_368
; %bb.367:
	global_load_ushort v2, v[4:5], off
	s_waitcnt vmcnt(0)
	v_cvt_f32_f16_e32 v2, v2
	v_cvt_f64_f32_e32 v[2:3], v2
.LBB161_368:
	s_mov_b64 s[6:7], 0
.LBB161_369:
	s_andn2_b64 vcc, exec, s[6:7]
	s_cbranch_vccnz .LBB161_389
; %bb.370:
	s_waitcnt vmcnt(0)
	v_mov_b32_e32 v2, 2
	v_cmp_lt_i16_sdwa s[6:7], v44, v2 src0_sel:BYTE_0 src1_sel:DWORD
	s_and_b64 vcc, exec, s[6:7]
	s_cbranch_vccnz .LBB161_374
; %bb.371:
	v_mov_b32_e32 v2, 3
	v_cmp_lt_i16_sdwa s[6:7], v44, v2 src0_sel:BYTE_0 src1_sel:DWORD
	s_and_b64 vcc, exec, s[6:7]
	s_cbranch_vccnz .LBB161_375
; %bb.372:
	v_cmp_gt_i16_sdwa s[6:7], v44, v2 src0_sel:BYTE_0 src1_sel:DWORD
	s_and_b64 vcc, exec, s[6:7]
	s_cbranch_vccz .LBB161_376
; %bb.373:
	global_load_dwordx2 v[2:3], v[4:5], off
	s_mov_b64 s[6:7], 0
	s_waitcnt vmcnt(0)
	v_cvt_f64_i32_e32 v[6:7], v3
	v_cvt_f64_u32_e32 v[2:3], v2
	v_ldexp_f64 v[6:7], v[6:7], 32
	v_add_f64 v[2:3], v[6:7], v[2:3]
	s_branch .LBB161_377
.LBB161_374:
	s_mov_b64 s[6:7], -1
                                        ; implicit-def: $vgpr2_vgpr3
	s_branch .LBB161_383
.LBB161_375:
	s_mov_b64 s[6:7], -1
                                        ; implicit-def: $vgpr2_vgpr3
	s_branch .LBB161_380
.LBB161_376:
	s_mov_b64 s[6:7], -1
                                        ; implicit-def: $vgpr2_vgpr3
.LBB161_377:
	s_andn2_b64 vcc, exec, s[6:7]
	s_cbranch_vccnz .LBB161_379
; %bb.378:
	global_load_dword v2, v[4:5], off
	s_waitcnt vmcnt(0)
	v_cvt_f64_i32_e32 v[2:3], v2
.LBB161_379:
	s_mov_b64 s[6:7], 0
.LBB161_380:
	s_andn2_b64 vcc, exec, s[6:7]
	s_cbranch_vccnz .LBB161_382
; %bb.381:
	global_load_sshort v2, v[4:5], off
	s_waitcnt vmcnt(0)
	v_cvt_f64_i32_e32 v[2:3], v2
.LBB161_382:
	s_mov_b64 s[6:7], 0
.LBB161_383:
	s_andn2_b64 vcc, exec, s[6:7]
	s_cbranch_vccnz .LBB161_389
; %bb.384:
	v_mov_b32_e32 v2, 0
	v_cmp_gt_i16_sdwa s[6:7], v44, v2 src0_sel:BYTE_0 src1_sel:DWORD
	s_and_b64 vcc, exec, s[6:7]
	s_cbranch_vccz .LBB161_386
; %bb.385:
	global_load_sbyte v2, v[4:5], off
	s_mov_b64 s[6:7], 0
	s_waitcnt vmcnt(0)
	v_cvt_f64_i32_e32 v[2:3], v2
	s_branch .LBB161_387
.LBB161_386:
	s_mov_b64 s[6:7], -1
                                        ; implicit-def: $vgpr2_vgpr3
.LBB161_387:
	s_andn2_b64 vcc, exec, s[6:7]
	s_cbranch_vccnz .LBB161_389
; %bb.388:
	global_load_ubyte v2, v[4:5], off
	s_waitcnt vmcnt(0)
	v_cvt_f64_u32_e32 v[2:3], v2
.LBB161_389:
	s_branch .LBB161_31
.LBB161_390:
	s_mov_b64 s[6:7], 0
.LBB161_391:
                                        ; implicit-def: $vgpr45
	s_mov_b64 s[8:9], 0
.LBB161_392:
	s_and_b64 s[6:7], s[6:7], exec
	v_writelane_b32 v70, s6, 8
	v_writelane_b32 v70, s7, 9
	s_and_b64 s[6:7], s[78:79], exec
	v_writelane_b32 v70, s6, 3
	v_writelane_b32 v70, s7, 4
	;; [unrolled: 3-line block ×3, first 2 shown]
	s_orn2_b64 s[6:7], s[8:9], exec
.LBB161_393:
	s_or_b64 exec, exec, s[76:77]
	s_mov_b64 s[10:11], 0
	s_mov_b64 s[8:9], 0
                                        ; implicit-def: $vgpr1
                                        ; implicit-def: $vgpr2_vgpr3
                                        ; implicit-def: $vgpr0
                                        ; implicit-def: $vgpr42
                                        ; implicit-def: $vgpr4_vgpr5
	s_mov_b64 s[12:13], exec
	v_writelane_b32 v70, s12, 10
	s_and_b64 s[6:7], s[12:13], s[6:7]
	v_writelane_b32 v70, s13, 11
	s_mov_b64 exec, s[6:7]
	s_cbranch_execz .LBB161_1293
; %bb.394:
	v_readlane_b32 s8, v70, 8
	v_readlane_b32 s6, v70, 0
	;; [unrolled: 1-line block ×5, first 2 shown]
	v_cmp_gt_i32_e32 vcc, s6, v45
	s_mov_b64 s[6:7], -1
	v_readlane_b32 s81, v70, 2
	v_readlane_b32 s95, v70, 4
	v_writelane_b32 v70, s8, 13
	v_writelane_b32 v70, s9, 14
	s_mov_b64 s[8:9], exec
	v_writelane_b32 v70, s8, 15
	v_writelane_b32 v70, s9, 16
	s_and_b64 s[8:9], s[8:9], vcc
	s_mov_b64 exec, s[8:9]
	s_cbranch_execz .LBB161_794
; %bb.395:
	s_andn2_b64 vcc, exec, s[86:87]
	s_cbranch_vccnz .LBB161_402
; %bb.396:
	v_readlane_b32 s6, v70, 5
	v_readlane_b32 s7, v70, 6
	s_andn2_b64 vcc, exec, s[6:7]
	s_waitcnt vmcnt(0)
	v_mov_b32_e32 v2, 0
	v_mov_b32_e32 v0, 0
	;; [unrolled: 1-line block ×3, first 2 shown]
	s_cbranch_vccnz .LBB161_401
; %bb.397:
	v_readlane_b32 s9, v70, 7
	s_add_i32 s6, s9, 1
	s_and_b32 s8, s6, 30
	s_add_u32 s6, s74, 0xffffffec
	s_addc_u32 s7, s75, -1
	v_mov_b32_e32 v42, 0
	v_mov_b32_e32 v1, v45
	;; [unrolled: 1-line block ×4, first 2 shown]
.LBB161_398:                            ; =>This Inner Loop Header: Depth=1
	s_mov_b64 s[10:11], s[6:7]
	s_load_dwordx4 s[12:15], s[10:11], 0x18
	s_load_dwordx2 s[20:21], s[10:11], 0x28
	s_load_dwordx2 s[22:23], s[10:11], 0xe8
	s_load_dwordx4 s[16:19], s[10:11], 0xd8
	s_add_u32 s6, s10, 24
	s_waitcnt lgkmcnt(0)
	v_mul_hi_u32 v3, s13, v1
	v_add_u32_e32 v3, v1, v3
	v_lshrrev_b32_e32 v3, s14, v3
	v_mul_lo_u32 v4, v3, s12
	v_mul_hi_u32 v5, s20, v3
	v_sub_u32_e32 v1, v1, v4
	v_add_u32_e32 v4, v3, v5
	v_mul_lo_u32 v5, v1, s16
	v_mul_lo_u32 v6, v1, s17
	v_mul_lo_u32 v7, v1, s18
	v_lshrrev_b32_e32 v1, s21, v4
	v_mul_lo_u32 v4, v1, s15
	v_sub_u32_e32 v3, v3, v4
	s_addc_u32 s7, s11, 0
	s_add_i32 s8, s8, -2
	v_mul_lo_u32 v4, v3, s19
	v_mul_lo_u32 v8, v3, s22
	;; [unrolled: 1-line block ×3, first 2 shown]
	s_cmp_eq_u32 s8, 0
	v_add3_u32 v42, v5, v42, v4
	v_add3_u32 v2, v7, v2, v3
	v_add3_u32 v0, v6, v0, v8
	s_cbranch_scc0 .LBB161_398
; %bb.399:
	s_bitcmp1_b32 s9, 0
	s_cselect_b64 s[8:9], -1, 0
	s_and_b64 vcc, exec, s[8:9]
	s_cbranch_vccnz .LBB161_401
; %bb.400:
	s_load_dwordx2 s[8:9], s[6:7], 0x18
	s_load_dword s10, s[6:7], 0x20
	s_load_dword s11, s[6:7], 0xe0
	s_nop 0
	s_load_dwordx2 s[6:7], s[6:7], 0xd8
	s_waitcnt lgkmcnt(0)
	v_mul_hi_u32 v3, s9, v1
	v_add_u32_e32 v3, v1, v3
	v_lshrrev_b32_e32 v3, s10, v3
	v_mul_lo_u32 v3, v3, s8
	v_sub_u32_e32 v3, v1, v3
	v_mad_u64_u32 v[42:43], s[8:9], v3, s6, v[42:43]
	v_mad_u64_u32 v[0:1], s[6:7], v3, s7, v[0:1]
	;; [unrolled: 1-line block ×3, first 2 shown]
.LBB161_401:
	s_cbranch_execz .LBB161_403
	s_branch .LBB161_405
.LBB161_402:
                                        ; implicit-def: $vgpr2
                                        ; implicit-def: $vgpr0
                                        ; implicit-def: $vgpr42
	s_andn2_b64 vcc, exec, s[6:7]
	s_cbranch_vccnz .LBB161_405
.LBB161_403:
	s_waitcnt vmcnt(0) lgkmcnt(0)
	v_mul_hi_u32 v0, s49, v45
	v_add_u32_e32 v0, v45, v0
	v_lshrrev_b32_e32 v1, s50, v0
	v_mul_lo_u32 v0, v1, s48
	v_sub_u32_e32 v0, v45, v0
	v_mul_lo_u32 v42, v0, s96
	v_mul_lo_u32 v2, v0, s98
	s_andn2_b64 vcc, exec, s[56:57]
	v_mul_lo_u32 v0, v0, s97
	s_cbranch_vccnz .LBB161_405
; %bb.404:
	v_mul_hi_u32 v3, s84, v1
	v_add_u32_e32 v3, v1, v3
	v_lshrrev_b32_e32 v3, s85, v3
	v_mul_lo_u32 v3, v3, s51
	v_sub_u32_e32 v3, v1, v3
	v_mad_u64_u32 v[42:43], s[6:7], v3, s99, v[42:43]
	v_mad_u64_u32 v[0:1], s[6:7], v3, s38, v[0:1]
	;; [unrolled: 1-line block ×3, first 2 shown]
.LBB161_405:
	s_waitcnt vmcnt(0) lgkmcnt(0)
	v_mov_b32_e32 v1, s43
	v_add_co_u32_e32 v4, vcc, s42, v0
	v_mov_b32_e32 v0, 11
	v_addc_co_u32_e32 v5, vcc, 0, v1, vcc
	v_cmp_lt_i16_sdwa s[6:7], v46, v0 src0_sel:BYTE_0 src1_sel:DWORD
	s_and_b64 vcc, exec, s[6:7]
	s_cbranch_vccnz .LBB161_412
; %bb.406:
	v_mov_b32_e32 v0, 25
	v_cmp_gt_i16_sdwa s[6:7], v46, v0 src0_sel:BYTE_0 src1_sel:DWORD
	s_and_b64 vcc, exec, s[6:7]
	s_cbranch_vccz .LBB161_421
; %bb.407:
	v_mov_b32_e32 v0, 28
	v_cmp_gt_i16_sdwa s[6:7], v46, v0 src0_sel:BYTE_0 src1_sel:DWORD
	s_and_b64 vcc, exec, s[6:7]
	s_cbranch_vccz .LBB161_423
	;; [unrolled: 5-line block ×4, first 2 shown]
; %bb.410:
	v_mov_b32_e32 v0, 46
	v_cmp_eq_u16_sdwa s[6:7], v46, v0 src0_sel:BYTE_0 src1_sel:DWORD
	s_mov_b64 s[8:9], 0
	s_and_b64 vcc, exec, s[6:7]
	s_cbranch_vccz .LBB161_431
; %bb.411:
	global_load_dword v0, v[4:5], off
	s_mov_b64 s[10:11], 0
	v_writelane_b32 v70, s10, 19
	s_mov_b64 s[6:7], -1
	v_writelane_b32 v70, s11, 20
	s_waitcnt vmcnt(0)
	v_lshlrev_b32_e32 v0, 16, v0
	v_cvt_f64_f32_e32 v[0:1], v0
	s_branch .LBB161_432
.LBB161_412:
	v_readlane_b32 s10, v70, 1
	v_readlane_b32 s11, v70, 2
	v_writelane_b32 v70, s10, 19
	s_mov_b64 s[6:7], 0
                                        ; implicit-def: $vgpr0_vgpr1
	v_writelane_b32 v70, s11, 20
	s_cbranch_execnz .LBB161_498
.LBB161_413:
	s_andn2_b64 vcc, exec, s[6:7]
	s_cbranch_vccnz .LBB161_546
.LBB161_414:
	v_mov_b32_e32 v3, s53
	v_add_co_u32_e32 v4, vcc, s52, v2
	v_mov_b32_e32 v2, 11
	v_addc_co_u32_e32 v5, vcc, 0, v3, vcc
	v_cmp_lt_i16_sdwa s[6:7], v44, v2 src0_sel:BYTE_0 src1_sel:DWORD
	s_and_b64 vcc, exec, s[6:7]
	s_cbranch_vccnz .LBB161_422
; %bb.415:
	v_mov_b32_e32 v2, 25
	v_cmp_gt_i16_sdwa s[6:7], v44, v2 src0_sel:BYTE_0 src1_sel:DWORD
	s_and_b64 vcc, exec, s[6:7]
	s_cbranch_vccz .LBB161_424
; %bb.416:
	v_mov_b32_e32 v2, 28
	v_cmp_gt_i16_sdwa s[6:7], v44, v2 src0_sel:BYTE_0 src1_sel:DWORD
	s_and_b64 vcc, exec, s[6:7]
	s_cbranch_vccz .LBB161_426
	;; [unrolled: 5-line block ×4, first 2 shown]
; %bb.419:
	v_mov_b32_e32 v2, 46
	v_cmp_eq_u16_sdwa s[6:7], v44, v2 src0_sel:BYTE_0 src1_sel:DWORD
	s_mov_b64 s[8:9], 0
	s_and_b64 vcc, exec, s[6:7]
	s_cbranch_vccz .LBB161_549
; %bb.420:
	global_load_dword v2, v[4:5], off
	s_mov_b64 s[10:11], 0
	v_writelane_b32 v70, s10, 21
	s_mov_b64 s[6:7], -1
	v_writelane_b32 v70, s11, 22
	s_waitcnt vmcnt(0)
	v_lshlrev_b32_e32 v2, 16, v2
	v_cvt_f64_f32_e32 v[2:3], v2
	s_branch .LBB161_550
.LBB161_421:
	v_readlane_b32 s10, v70, 1
	v_readlane_b32 s11, v70, 2
	s_mov_b64 s[8:9], -1
	s_mov_b64 s[6:7], 0
	v_writelane_b32 v70, s10, 19
                                        ; implicit-def: $vgpr0_vgpr1
	v_writelane_b32 v70, s11, 20
	s_branch .LBB161_462
.LBB161_422:
	v_readlane_b32 s10, v70, 3
	v_readlane_b32 s11, v70, 4
	v_writelane_b32 v70, s10, 21
	s_mov_b64 s[8:9], -1
	s_mov_b64 s[6:7], 0
                                        ; implicit-def: $vgpr2_vgpr3
	v_writelane_b32 v70, s11, 22
	s_branch .LBB161_618
.LBB161_423:
	v_readlane_b32 s10, v70, 1
	v_readlane_b32 s11, v70, 2
	s_mov_b64 s[8:9], -1
	s_mov_b64 s[6:7], 0
	v_writelane_b32 v70, s10, 19
                                        ; implicit-def: $vgpr0_vgpr1
	v_writelane_b32 v70, s11, 20
	s_branch .LBB161_443
.LBB161_424:
	v_readlane_b32 s10, v70, 3
	v_readlane_b32 s11, v70, 4
	s_mov_b64 s[8:9], -1
	s_mov_b64 s[6:7], 0
	v_writelane_b32 v70, s10, 21
                                        ; implicit-def: $vgpr2_vgpr3
	v_writelane_b32 v70, s11, 22
	s_branch .LBB161_581
.LBB161_425:
	v_readlane_b32 s10, v70, 1
	v_readlane_b32 s11, v70, 2
	s_mov_b64 s[8:9], -1
	s_mov_b64 s[6:7], 0
	v_writelane_b32 v70, s10, 19
                                        ; implicit-def: $vgpr0_vgpr1
	v_writelane_b32 v70, s11, 20
	s_branch .LBB161_438
.LBB161_426:
	v_readlane_b32 s10, v70, 3
	v_readlane_b32 s11, v70, 4
	s_mov_b64 s[8:9], -1
	s_mov_b64 s[6:7], 0
	v_writelane_b32 v70, s10, 21
                                        ; implicit-def: $vgpr2_vgpr3
	v_writelane_b32 v70, s11, 22
	s_branch .LBB161_562
.LBB161_427:
	v_readlane_b32 s10, v70, 1
	v_readlane_b32 s11, v70, 2
	s_mov_b64 s[8:9], -1
	s_mov_b64 s[6:7], 0
	v_writelane_b32 v70, s10, 19
	v_writelane_b32 v70, s11, 20
                                        ; implicit-def: $vgpr0_vgpr1
	s_branch .LBB161_432
.LBB161_428:
	v_readlane_b32 s10, v70, 3
	v_readlane_b32 s11, v70, 4
	s_mov_b64 s[8:9], -1
	s_mov_b64 s[6:7], 0
	v_writelane_b32 v70, s10, 21
                                        ; implicit-def: $vgpr2_vgpr3
	v_writelane_b32 v70, s11, 22
	s_branch .LBB161_556
.LBB161_429:
	s_or_saveexec_b64 s[12:13], s[12:13]
                                        ; implicit-def: $sgpr14
	s_xor_b64 exec, exec, s[12:13]
	s_cbranch_execz .LBB161_190
.LBB161_430:
	s_mov_b32 s14, 0x46000000
	v_add_f32_e64 v3, |v2|, s14
	v_and_b32_e32 v3, 0xff, v3
	v_cmp_ne_u32_e32 vcc, 0, v3
	s_andn2_b64 s[10:11], s[10:11], exec
	s_and_b64 s[16:17], vcc, exec
	s_mov_b32 s14, 0
	s_or_b64 s[10:11], s[10:11], s[16:17]
	s_or_b64 exec, exec, s[12:13]
	v_mov_b32_e32 v6, s14
	s_and_saveexec_b64 s[12:13], s[10:11]
	s_cbranch_execnz .LBB161_191
	s_branch .LBB161_192
.LBB161_431:
	s_mov_b64 s[6:7], -1
	v_writelane_b32 v70, s6, 19
	v_writelane_b32 v70, s7, 20
                                        ; implicit-def: $vgpr0_vgpr1
	s_mov_b64 s[6:7], 0
.LBB161_432:
	s_and_b64 vcc, exec, s[8:9]
	s_cbranch_vccz .LBB161_437
; %bb.433:
	v_mov_b32_e32 v0, 44
	v_cmp_eq_u16_sdwa s[8:9], v46, v0 src0_sel:BYTE_0 src1_sel:DWORD
	s_and_b64 vcc, exec, s[8:9]
	s_cbranch_vccz .LBB161_436
; %bb.434:
	global_load_ubyte v3, v[4:5], off
	s_movk_i32 s8, 0xff
	v_bfrev_b32_e32 v6, 4
	v_mov_b32_e32 v7, 0x7ff80000
	v_bfrev_b32_e32 v8, 28
	s_mov_b64 s[6:7], -1
	s_waitcnt vmcnt(0)
	v_lshlrev_b32_e32 v0, 23, v3
	v_cvt_f64_f32_e32 v[0:1], v0
	v_cmp_ne_u32_e32 vcc, s8, v3
	v_cndmask_b32_e32 v0, v6, v0, vcc
	v_cndmask_b32_e32 v1, v7, v1, vcc
	v_cmp_ne_u32_e32 vcc, 0, v3
	s_mov_b64 s[8:9], 0
	v_cndmask_b32_e32 v1, v8, v1, vcc
	v_cndmask_b32_e32 v0, 0, v0, vcc
	v_writelane_b32 v70, s8, 19
	v_writelane_b32 v70, s9, 20
	s_branch .LBB161_437
.LBB161_435:
	v_readlane_b32 s10, v70, 3
	v_readlane_b32 s11, v70, 4
	s_mov_b64 s[8:9], -1
	s_mov_b64 s[6:7], 0
	v_writelane_b32 v70, s10, 21
	v_writelane_b32 v70, s11, 22
                                        ; implicit-def: $vgpr2_vgpr3
	s_branch .LBB161_550
.LBB161_436:
	s_mov_b64 s[8:9], -1
	v_writelane_b32 v70, s8, 19
	v_writelane_b32 v70, s9, 20
                                        ; implicit-def: $vgpr0_vgpr1
.LBB161_437:
	s_mov_b64 s[8:9], 0
.LBB161_438:
	s_and_b64 vcc, exec, s[8:9]
	s_cbranch_vccz .LBB161_442
; %bb.439:
	v_mov_b32_e32 v0, 29
	v_cmp_eq_u16_sdwa s[8:9], v46, v0 src0_sel:BYTE_0 src1_sel:DWORD
	s_and_b64 vcc, exec, s[8:9]
	s_cbranch_vccz .LBB161_441
; %bb.440:
	global_load_dwordx2 v[0:1], v[4:5], off
	s_mov_b64 s[8:9], 0
	v_writelane_b32 v70, s8, 19
	s_mov_b64 s[6:7], -1
	v_writelane_b32 v70, s9, 20
	s_mov_b64 s[8:9], 0
	s_waitcnt vmcnt(0)
	v_cvt_f64_u32_e32 v[6:7], v1
	v_cvt_f64_u32_e32 v[0:1], v0
	v_ldexp_f64 v[6:7], v[6:7], 32
	v_add_f64 v[0:1], v[6:7], v[0:1]
	s_branch .LBB161_443
.LBB161_441:
	s_mov_b64 s[8:9], -1
	v_writelane_b32 v70, s8, 19
	v_writelane_b32 v70, s9, 20
                                        ; implicit-def: $vgpr0_vgpr1
.LBB161_442:
	s_mov_b64 s[8:9], 0
.LBB161_443:
	s_and_b64 vcc, exec, s[8:9]
	s_cbranch_vccz .LBB161_461
; %bb.444:
	v_mov_b32_e32 v0, 27
	v_cmp_lt_i16_sdwa s[6:7], v46, v0 src0_sel:BYTE_0 src1_sel:DWORD
	s_and_b64 vcc, exec, s[6:7]
	s_cbranch_vccnz .LBB161_447
; %bb.445:
	v_cmp_gt_i16_sdwa s[6:7], v46, v0 src0_sel:BYTE_0 src1_sel:DWORD
	s_and_b64 vcc, exec, s[6:7]
	s_cbranch_vccz .LBB161_448
; %bb.446:
	global_load_dword v0, v[4:5], off
	s_mov_b64 s[6:7], 0
	s_waitcnt vmcnt(0)
	v_cvt_f64_u32_e32 v[0:1], v0
	s_branch .LBB161_449
.LBB161_447:
	s_mov_b64 s[6:7], -1
                                        ; implicit-def: $vgpr0_vgpr1
	s_branch .LBB161_452
.LBB161_448:
	s_mov_b64 s[6:7], -1
                                        ; implicit-def: $vgpr0_vgpr1
.LBB161_449:
	s_andn2_b64 vcc, exec, s[6:7]
	s_cbranch_vccnz .LBB161_451
; %bb.450:
	global_load_ushort v0, v[4:5], off
	s_waitcnt vmcnt(0)
	v_cvt_f64_u32_e32 v[0:1], v0
.LBB161_451:
	s_mov_b64 s[6:7], 0
.LBB161_452:
	s_andn2_b64 vcc, exec, s[6:7]
	s_cbranch_vccnz .LBB161_460
; %bb.453:
	global_load_ubyte v3, v[4:5], off
	s_movk_i32 s6, 0x7f
                                        ; implicit-def: $sgpr8_sgpr9
	s_waitcnt vmcnt(0)
	v_cmp_lt_i16_e32 vcc, s6, v3
	s_mov_b64 s[6:7], 0
	s_and_saveexec_b64 s[10:11], vcc
	s_xor_b64 s[10:11], exec, s[10:11]
	s_cbranch_execz .LBB161_474
; %bb.454:
	s_movk_i32 s6, 0x80
	v_cmp_eq_u16_e32 vcc, s6, v3
	s_mov_b64 s[12:13], -1
                                        ; implicit-def: $sgpr8_sgpr9
	s_and_saveexec_b64 s[6:7], vcc
; %bb.455:
	s_mov_b32 s9, 0x7ff80000
	s_brev_b32 s8, 4
	s_xor_b64 s[12:13], exec, -1
; %bb.456:
	s_or_b64 exec, exec, s[6:7]
	s_and_b64 s[6:7], s[12:13], exec
	s_or_saveexec_b64 s[10:11], s[10:11]
	v_pk_mov_b32 v[0:1], s[8:9], s[8:9] op_sel:[0,1]
	s_xor_b64 exec, exec, s[10:11]
	s_cbranch_execnz .LBB161_475
.LBB161_457:
	s_or_b64 exec, exec, s[10:11]
	s_and_saveexec_b64 s[8:9], s[6:7]
	s_cbranch_execz .LBB161_459
.LBB161_458:
	v_and_b32_e32 v1, 0xffff, v3
	v_lshlrev_b32_e32 v0, 24, v3
	v_and_b32_e32 v3, 7, v1
	v_ffbh_u32_e32 v7, v3
	v_min_u32_e32 v7, 32, v7
	v_subrev_u32_e32 v8, 28, v7
	v_bfe_u32 v6, v1, 3, 4
	v_lshlrev_b32_e32 v1, v8, v1
	v_sub_u32_e32 v7, 29, v7
	v_and_b32_e32 v1, 7, v1
	v_cmp_eq_u32_e32 vcc, 0, v6
	v_cndmask_b32_e32 v6, v6, v7, vcc
	v_cndmask_b32_e32 v1, v3, v1, vcc
	v_mov_b32_e32 v3, 0x3b800000
	v_lshlrev_b32_e32 v1, 20, v1
	v_and_b32_e32 v0, 0x80000000, v0
	v_lshl_add_u32 v3, v6, 23, v3
	v_or3_b32 v0, v0, v3, v1
	v_cvt_f64_f32_e32 v[0:1], v0
.LBB161_459:
	s_or_b64 exec, exec, s[8:9]
.LBB161_460:
	s_mov_b64 s[6:7], -1
.LBB161_461:
	s_mov_b64 s[8:9], 0
.LBB161_462:
	s_and_b64 vcc, exec, s[8:9]
	s_cbranch_vccz .LBB161_497
; %bb.463:
	v_mov_b32_e32 v0, 22
	v_cmp_gt_i16_sdwa s[8:9], v46, v0 src0_sel:BYTE_0 src1_sel:DWORD
	s_and_b64 vcc, exec, s[8:9]
	s_cbranch_vccz .LBB161_473
; %bb.464:
	v_mov_b32_e32 v0, 24
	v_cmp_lt_i16_sdwa s[6:7], v46, v0 src0_sel:BYTE_0 src1_sel:DWORD
	s_and_b64 vcc, exec, s[6:7]
	s_cbranch_vccnz .LBB161_476
; %bb.465:
	v_cmp_gt_i16_sdwa s[6:7], v46, v0 src0_sel:BYTE_0 src1_sel:DWORD
	s_and_b64 vcc, exec, s[6:7]
	s_cbranch_vccz .LBB161_477
; %bb.466:
	global_load_ubyte v3, v[4:5], off
	s_movk_i32 s6, 0x7f
                                        ; implicit-def: $sgpr8_sgpr9
	s_waitcnt vmcnt(0)
	v_cmp_lt_i16_e32 vcc, s6, v3
	s_mov_b64 s[6:7], 0
	s_and_saveexec_b64 s[10:11], vcc
	s_xor_b64 s[10:11], exec, s[10:11]
	s_cbranch_execz .LBB161_489
; %bb.467:
	s_movk_i32 s6, 0x80
	v_cmp_eq_u16_e32 vcc, s6, v3
	s_mov_b64 s[12:13], -1
                                        ; implicit-def: $sgpr8_sgpr9
	s_and_saveexec_b64 s[6:7], vcc
; %bb.468:
	s_mov_b32 s9, 0x7ff80000
	s_brev_b32 s8, 4
	s_xor_b64 s[12:13], exec, -1
; %bb.469:
	s_or_b64 exec, exec, s[6:7]
	s_and_b64 s[6:7], s[12:13], exec
	s_or_saveexec_b64 s[10:11], s[10:11]
	v_pk_mov_b32 v[0:1], s[8:9], s[8:9] op_sel:[0,1]
	s_xor_b64 exec, exec, s[10:11]
	s_cbranch_execnz .LBB161_490
.LBB161_470:
	s_or_b64 exec, exec, s[10:11]
	s_and_saveexec_b64 s[8:9], s[6:7]
	s_cbranch_execz .LBB161_472
.LBB161_471:
	v_and_b32_e32 v1, 0xffff, v3
	v_lshlrev_b32_e32 v0, 24, v3
	v_and_b32_e32 v3, 3, v1
	v_ffbh_u32_e32 v7, v3
	v_min_u32_e32 v7, 32, v7
	v_subrev_u32_e32 v8, 29, v7
	v_bfe_u32 v6, v1, 2, 5
	v_lshlrev_b32_e32 v1, v8, v1
	v_sub_u32_e32 v7, 30, v7
	v_and_b32_e32 v1, 3, v1
	v_cmp_eq_u32_e32 vcc, 0, v6
	v_cndmask_b32_e32 v6, v6, v7, vcc
	v_cndmask_b32_e32 v1, v3, v1, vcc
	v_mov_b32_e32 v3, 0x37800000
	v_lshlrev_b32_e32 v1, 21, v1
	v_and_b32_e32 v0, 0x80000000, v0
	v_lshl_add_u32 v3, v6, 23, v3
	v_or3_b32 v0, v0, v3, v1
	v_cvt_f64_f32_e32 v[0:1], v0
.LBB161_472:
	s_or_b64 exec, exec, s[8:9]
	s_mov_b64 s[6:7], 0
	s_branch .LBB161_478
.LBB161_473:
	s_mov_b64 s[8:9], -1
                                        ; implicit-def: $vgpr0_vgpr1
	s_branch .LBB161_484
.LBB161_474:
	s_or_saveexec_b64 s[10:11], s[10:11]
	v_pk_mov_b32 v[0:1], s[8:9], s[8:9] op_sel:[0,1]
	s_xor_b64 exec, exec, s[10:11]
	s_cbranch_execz .LBB161_457
.LBB161_475:
	v_cmp_ne_u16_e32 vcc, 0, v3
	s_andn2_b64 s[6:7], s[6:7], exec
	s_and_b64 s[8:9], vcc, exec
	v_pk_mov_b32 v[0:1], 0, 0
	s_or_b64 s[6:7], s[6:7], s[8:9]
	s_or_b64 exec, exec, s[10:11]
	s_and_saveexec_b64 s[8:9], s[6:7]
	s_cbranch_execnz .LBB161_458
	s_branch .LBB161_459
.LBB161_476:
	s_mov_b64 s[6:7], -1
                                        ; implicit-def: $vgpr0_vgpr1
	s_branch .LBB161_481
.LBB161_477:
	s_mov_b64 s[6:7], -1
                                        ; implicit-def: $vgpr0_vgpr1
.LBB161_478:
	s_and_b64 vcc, exec, s[6:7]
	s_cbranch_vccz .LBB161_480
; %bb.479:
	global_load_ubyte v0, v[4:5], off
	s_mov_b32 s6, 0x7f800000
	s_waitcnt vmcnt(0)
	v_lshlrev_b32_e32 v0, 24, v0
	v_and_b32_e32 v1, 0x7f000000, v0
	v_ffbh_u32_e32 v3, v1
	v_min_u32_e32 v3, 32, v3
	v_sub_u32_e64 v3, v3, 4 clamp
	v_lshlrev_b32_e32 v7, v3, v1
	v_lshlrev_b32_e32 v3, 23, v3
	v_lshrrev_b32_e32 v7, 4, v7
	v_add_u32_e32 v6, 0x1000000, v1
	v_sub_u32_e32 v3, v7, v3
	v_ashrrev_i32_e32 v6, 8, v6
	v_add_u32_e32 v3, 0x3c000000, v3
	v_and_or_b32 v3, v6, s6, v3
	v_cmp_ne_u32_e32 vcc, 0, v1
	v_cndmask_b32_e32 v1, 0, v3, vcc
	s_brev_b32 s6, 1
	v_and_or_b32 v0, v0, s6, v1
	v_cvt_f64_f32_e32 v[0:1], v0
.LBB161_480:
	s_mov_b64 s[6:7], 0
.LBB161_481:
	s_andn2_b64 vcc, exec, s[6:7]
	s_cbranch_vccnz .LBB161_483
; %bb.482:
	global_load_ubyte v0, v[4:5], off
	s_movk_i32 s6, 0x7f00
	s_brev_b32 s7, 16
	s_waitcnt vmcnt(0)
	v_lshlrev_b16_e32 v1, 8, v0
	v_lshlrev_b32_e32 v0, 25, v0
	v_lshrrev_b32_e32 v3, 4, v0
	v_and_or_b32 v6, v1, s6, 0.5
	v_or_b32_e32 v3, 0x70000000, v3
	v_add_f32_e32 v6, -0.5, v6
	v_mul_f32_e32 v3, 0x7800000, v3
	v_cmp_gt_u32_e32 vcc, s7, v0
	v_bfe_i32 v1, v1, 0, 16
	v_cndmask_b32_e32 v0, v3, v6, vcc
	s_brev_b32 s6, 1
	v_and_or_b32 v0, v1, s6, v0
	v_cvt_f64_f32_e32 v[0:1], v0
.LBB161_483:
	s_mov_b64 s[8:9], 0
	s_mov_b64 s[6:7], -1
.LBB161_484:
	s_andn2_b64 vcc, exec, s[8:9]
	s_cbranch_vccnz .LBB161_497
; %bb.485:
	v_mov_b32_e32 v0, 14
	v_cmp_gt_i16_sdwa s[8:9], v46, v0 src0_sel:BYTE_0 src1_sel:DWORD
	s_and_b64 vcc, exec, s[8:9]
	s_cbranch_vccz .LBB161_488
; %bb.486:
	v_mov_b32_e32 v0, 15
	v_cmp_eq_u16_sdwa s[8:9], v46, v0 src0_sel:BYTE_0 src1_sel:DWORD
	s_and_b64 vcc, exec, s[8:9]
	s_cbranch_vccz .LBB161_491
; %bb.487:
	global_load_ushort v0, v[4:5], off
	s_mov_b64 s[8:9], 0
	v_writelane_b32 v70, s8, 19
	s_mov_b64 s[6:7], -1
	v_writelane_b32 v70, s9, 20
	s_waitcnt vmcnt(0)
	v_lshlrev_b32_e32 v0, 16, v0
	v_cvt_f64_f32_e32 v[0:1], v0
	s_branch .LBB161_492
.LBB161_488:
	s_mov_b64 s[8:9], -1
                                        ; implicit-def: $vgpr0_vgpr1
	s_branch .LBB161_493
.LBB161_489:
	s_or_saveexec_b64 s[10:11], s[10:11]
	v_pk_mov_b32 v[0:1], s[8:9], s[8:9] op_sel:[0,1]
	s_xor_b64 exec, exec, s[10:11]
	s_cbranch_execz .LBB161_470
.LBB161_490:
	v_cmp_ne_u16_e32 vcc, 0, v3
	s_andn2_b64 s[6:7], s[6:7], exec
	s_and_b64 s[8:9], vcc, exec
	v_pk_mov_b32 v[0:1], 0, 0
	s_or_b64 s[6:7], s[6:7], s[8:9]
	s_or_b64 exec, exec, s[10:11]
	s_and_saveexec_b64 s[8:9], s[6:7]
	s_cbranch_execnz .LBB161_471
	s_branch .LBB161_472
.LBB161_491:
	s_mov_b64 s[8:9], -1
	v_writelane_b32 v70, s8, 19
	v_writelane_b32 v70, s9, 20
                                        ; implicit-def: $vgpr0_vgpr1
.LBB161_492:
	s_mov_b64 s[8:9], 0
.LBB161_493:
	s_and_b64 vcc, exec, s[8:9]
	s_cbranch_vccz .LBB161_497
; %bb.494:
	v_mov_b32_e32 v0, 11
	v_cmp_eq_u16_sdwa s[8:9], v46, v0 src0_sel:BYTE_0 src1_sel:DWORD
	s_and_b64 vcc, exec, s[8:9]
	s_cbranch_vccz .LBB161_496
; %bb.495:
	global_load_ubyte v1, v[4:5], off
	v_mov_b32_e32 v3, 0x3ff00000
	s_mov_b64 s[8:9], 0
	v_mov_b32_e32 v0, 0
	s_mov_b64 s[6:7], -1
	v_writelane_b32 v70, s8, 19
	v_writelane_b32 v70, s9, 20
	s_waitcnt vmcnt(0)
	v_cmp_ne_u16_e32 vcc, 0, v1
	v_cndmask_b32_e32 v1, 0, v3, vcc
	s_branch .LBB161_497
.LBB161_496:
	s_mov_b64 s[8:9], -1
	v_writelane_b32 v70, s8, 19
	v_writelane_b32 v70, s9, 20
                                        ; implicit-def: $vgpr0_vgpr1
.LBB161_497:
	s_branch .LBB161_413
.LBB161_498:
	v_mov_b32_e32 v0, 5
	v_cmp_lt_i16_sdwa s[6:7], v46, v0 src0_sel:BYTE_0 src1_sel:DWORD
	s_and_b64 vcc, exec, s[6:7]
	s_cbranch_vccnz .LBB161_503
; %bb.499:
	v_mov_b32_e32 v0, 8
	v_cmp_lt_i16_sdwa s[6:7], v46, v0 src0_sel:BYTE_0 src1_sel:DWORD
	s_and_b64 vcc, exec, s[6:7]
	s_cbranch_vccnz .LBB161_504
; %bb.500:
	;; [unrolled: 5-line block ×3, first 2 shown]
	v_cmp_gt_i16_sdwa s[6:7], v46, v0 src0_sel:BYTE_0 src1_sel:DWORD
	s_and_b64 vcc, exec, s[6:7]
	s_cbranch_vccz .LBB161_506
; %bb.502:
	global_load_dwordx2 v[0:1], v[4:5], off
	s_mov_b64 s[6:7], 0
	s_branch .LBB161_507
.LBB161_503:
	s_mov_b64 s[6:7], -1
                                        ; implicit-def: $vgpr0_vgpr1
	s_branch .LBB161_525
.LBB161_504:
	s_mov_b64 s[6:7], -1
                                        ; implicit-def: $vgpr0_vgpr1
	s_branch .LBB161_513
.LBB161_505:
	s_mov_b64 s[6:7], -1
                                        ; implicit-def: $vgpr0_vgpr1
	s_branch .LBB161_510
.LBB161_506:
	s_mov_b64 s[6:7], -1
                                        ; implicit-def: $vgpr0_vgpr1
.LBB161_507:
	s_andn2_b64 vcc, exec, s[6:7]
	s_cbranch_vccnz .LBB161_509
; %bb.508:
	global_load_dword v0, v[4:5], off
	s_waitcnt vmcnt(0)
	v_cvt_f64_f32_e32 v[0:1], v0
.LBB161_509:
	s_mov_b64 s[6:7], 0
.LBB161_510:
	s_andn2_b64 vcc, exec, s[6:7]
	s_cbranch_vccnz .LBB161_512
; %bb.511:
	global_load_dword v0, v[4:5], off
	s_waitcnt vmcnt(0)
	v_cvt_f32_f16_e32 v0, v0
	v_cvt_f64_f32_e32 v[0:1], v0
.LBB161_512:
	s_mov_b64 s[6:7], 0
.LBB161_513:
	s_andn2_b64 vcc, exec, s[6:7]
	s_cbranch_vccnz .LBB161_524
; %bb.514:
	s_waitcnt vmcnt(0)
	v_mov_b32_e32 v0, 6
	v_cmp_lt_i16_sdwa s[6:7], v46, v0 src0_sel:BYTE_0 src1_sel:DWORD
	s_and_b64 vcc, exec, s[6:7]
	s_cbranch_vccnz .LBB161_517
; %bb.515:
	v_cmp_gt_i16_sdwa s[6:7], v46, v0 src0_sel:BYTE_0 src1_sel:DWORD
	s_and_b64 vcc, exec, s[6:7]
	s_cbranch_vccz .LBB161_518
; %bb.516:
	global_load_dwordx2 v[0:1], v[4:5], off
	s_mov_b64 s[6:7], 0
	s_branch .LBB161_519
.LBB161_517:
	s_mov_b64 s[6:7], -1
                                        ; implicit-def: $vgpr0_vgpr1
	s_branch .LBB161_522
.LBB161_518:
	s_mov_b64 s[6:7], -1
                                        ; implicit-def: $vgpr0_vgpr1
.LBB161_519:
	s_andn2_b64 vcc, exec, s[6:7]
	s_cbranch_vccnz .LBB161_521
; %bb.520:
	global_load_dword v0, v[4:5], off
	s_waitcnt vmcnt(0)
	v_cvt_f64_f32_e32 v[0:1], v0
.LBB161_521:
	s_mov_b64 s[6:7], 0
.LBB161_522:
	s_andn2_b64 vcc, exec, s[6:7]
	s_cbranch_vccnz .LBB161_524
; %bb.523:
	global_load_ushort v0, v[4:5], off
	s_waitcnt vmcnt(0)
	v_cvt_f32_f16_e32 v0, v0
	v_cvt_f64_f32_e32 v[0:1], v0
.LBB161_524:
	s_mov_b64 s[6:7], 0
.LBB161_525:
	s_andn2_b64 vcc, exec, s[6:7]
	s_cbranch_vccnz .LBB161_545
; %bb.526:
	s_waitcnt vmcnt(0)
	v_mov_b32_e32 v0, 2
	v_cmp_lt_i16_sdwa s[6:7], v46, v0 src0_sel:BYTE_0 src1_sel:DWORD
	s_and_b64 vcc, exec, s[6:7]
	s_cbranch_vccnz .LBB161_530
; %bb.527:
	v_mov_b32_e32 v0, 3
	v_cmp_lt_i16_sdwa s[6:7], v46, v0 src0_sel:BYTE_0 src1_sel:DWORD
	s_and_b64 vcc, exec, s[6:7]
	s_cbranch_vccnz .LBB161_531
; %bb.528:
	v_cmp_gt_i16_sdwa s[6:7], v46, v0 src0_sel:BYTE_0 src1_sel:DWORD
	s_and_b64 vcc, exec, s[6:7]
	s_cbranch_vccz .LBB161_532
; %bb.529:
	global_load_dwordx2 v[0:1], v[4:5], off
	s_mov_b64 s[6:7], 0
	s_waitcnt vmcnt(0)
	v_cvt_f64_i32_e32 v[6:7], v1
	v_cvt_f64_u32_e32 v[0:1], v0
	v_ldexp_f64 v[6:7], v[6:7], 32
	v_add_f64 v[0:1], v[6:7], v[0:1]
	s_branch .LBB161_533
.LBB161_530:
	s_mov_b64 s[6:7], -1
                                        ; implicit-def: $vgpr0_vgpr1
	s_branch .LBB161_539
.LBB161_531:
	s_mov_b64 s[6:7], -1
                                        ; implicit-def: $vgpr0_vgpr1
	s_branch .LBB161_536
.LBB161_532:
	s_mov_b64 s[6:7], -1
                                        ; implicit-def: $vgpr0_vgpr1
.LBB161_533:
	s_andn2_b64 vcc, exec, s[6:7]
	s_cbranch_vccnz .LBB161_535
; %bb.534:
	global_load_dword v0, v[4:5], off
	s_waitcnt vmcnt(0)
	v_cvt_f64_i32_e32 v[0:1], v0
.LBB161_535:
	s_mov_b64 s[6:7], 0
.LBB161_536:
	s_andn2_b64 vcc, exec, s[6:7]
	s_cbranch_vccnz .LBB161_538
; %bb.537:
	global_load_sshort v0, v[4:5], off
	s_waitcnt vmcnt(0)
	v_cvt_f64_i32_e32 v[0:1], v0
.LBB161_538:
	s_mov_b64 s[6:7], 0
.LBB161_539:
	s_andn2_b64 vcc, exec, s[6:7]
	s_cbranch_vccnz .LBB161_545
; %bb.540:
	v_mov_b32_e32 v0, 0
	v_cmp_gt_i16_sdwa s[6:7], v46, v0 src0_sel:BYTE_0 src1_sel:DWORD
	s_and_b64 vcc, exec, s[6:7]
	s_cbranch_vccz .LBB161_542
; %bb.541:
	global_load_sbyte v0, v[4:5], off
	s_mov_b64 s[6:7], 0
	s_waitcnt vmcnt(0)
	v_cvt_f64_i32_e32 v[0:1], v0
	s_branch .LBB161_543
.LBB161_542:
	s_mov_b64 s[6:7], -1
                                        ; implicit-def: $vgpr0_vgpr1
.LBB161_543:
	s_andn2_b64 vcc, exec, s[6:7]
	s_cbranch_vccnz .LBB161_545
; %bb.544:
	global_load_ubyte v0, v[4:5], off
	s_waitcnt vmcnt(0)
	v_cvt_f64_u32_e32 v[0:1], v0
.LBB161_545:
	s_branch .LBB161_414
.LBB161_546:
	v_readlane_b32 s10, v70, 8
	v_readlane_b32 s12, v70, 3
	;; [unrolled: 1-line block ×4, first 2 shown]
	s_mov_b64 s[8:9], 0
	s_mov_b64 s[6:7], s[10:11]
	;; [unrolled: 1-line block ×3, first 2 shown]
                                        ; implicit-def: $vgpr45
	s_branch .LBB161_793
.LBB161_547:
	s_or_saveexec_b64 s[12:13], s[12:13]
                                        ; implicit-def: $sgpr14
	s_xor_b64 exec, exec, s[12:13]
	s_cbranch_execz .LBB161_203
.LBB161_548:
	s_mov_b32 s14, 0x42800000
	v_add_f32_e64 v3, |v2|, s14
	v_and_b32_e32 v3, 0xff, v3
	v_cmp_ne_u32_e32 vcc, 0, v3
	s_andn2_b64 s[10:11], s[10:11], exec
	s_and_b64 s[16:17], vcc, exec
	s_mov_b32 s14, 0
	s_or_b64 s[10:11], s[10:11], s[16:17]
	s_or_b64 exec, exec, s[12:13]
	v_mov_b32_e32 v6, s14
	s_and_saveexec_b64 s[12:13], s[10:11]
	s_cbranch_execnz .LBB161_204
	s_branch .LBB161_205
.LBB161_549:
	s_mov_b64 s[6:7], -1
	v_writelane_b32 v70, s6, 21
	v_writelane_b32 v70, s7, 22
                                        ; implicit-def: $vgpr2_vgpr3
	s_mov_b64 s[6:7], 0
.LBB161_550:
	s_and_b64 vcc, exec, s[8:9]
	s_cbranch_vccz .LBB161_555
; %bb.551:
	v_mov_b32_e32 v2, 44
	v_cmp_eq_u16_sdwa s[8:9], v44, v2 src0_sel:BYTE_0 src1_sel:DWORD
	s_and_b64 vcc, exec, s[8:9]
	s_cbranch_vccz .LBB161_553
; %bb.552:
	global_load_ubyte v6, v[4:5], off
	s_movk_i32 s8, 0xff
	v_bfrev_b32_e32 v7, 4
	v_mov_b32_e32 v8, 0x7ff80000
	v_bfrev_b32_e32 v9, 28
	s_mov_b64 s[6:7], -1
	s_waitcnt vmcnt(0)
	v_lshlrev_b32_e32 v2, 23, v6
	v_cvt_f64_f32_e32 v[2:3], v2
	v_cmp_ne_u32_e32 vcc, s8, v6
	v_cndmask_b32_e32 v2, v7, v2, vcc
	v_cndmask_b32_e32 v3, v8, v3, vcc
	v_cmp_ne_u32_e32 vcc, 0, v6
	v_cndmask_b32_e32 v3, v9, v3, vcc
	v_cndmask_b32_e32 v2, 0, v2, vcc
	s_mov_b64 s[8:9], 0
	s_branch .LBB161_554
.LBB161_553:
	s_mov_b64 s[8:9], -1
                                        ; implicit-def: $vgpr2_vgpr3
.LBB161_554:
	v_writelane_b32 v70, s8, 21
	v_writelane_b32 v70, s9, 22
.LBB161_555:
	s_mov_b64 s[8:9], 0
.LBB161_556:
	s_and_b64 vcc, exec, s[8:9]
	s_cbranch_vccz .LBB161_561
; %bb.557:
	v_mov_b32_e32 v2, 29
	v_cmp_eq_u16_sdwa s[8:9], v44, v2 src0_sel:BYTE_0 src1_sel:DWORD
	s_and_b64 vcc, exec, s[8:9]
	s_cbranch_vccz .LBB161_559
; %bb.558:
	global_load_dwordx2 v[2:3], v[4:5], off
	s_mov_b64 s[6:7], -1
	s_mov_b64 s[8:9], 0
	s_waitcnt vmcnt(0)
	v_cvt_f64_u32_e32 v[6:7], v3
	v_cvt_f64_u32_e32 v[2:3], v2
	v_ldexp_f64 v[6:7], v[6:7], 32
	v_add_f64 v[2:3], v[6:7], v[2:3]
	s_branch .LBB161_560
.LBB161_559:
	s_mov_b64 s[8:9], -1
                                        ; implicit-def: $vgpr2_vgpr3
.LBB161_560:
	v_writelane_b32 v70, s8, 21
	v_writelane_b32 v70, s9, 22
.LBB161_561:
	s_mov_b64 s[8:9], 0
.LBB161_562:
	s_and_b64 vcc, exec, s[8:9]
	s_cbranch_vccz .LBB161_580
; %bb.563:
	v_mov_b32_e32 v2, 27
	v_cmp_lt_i16_sdwa s[6:7], v44, v2 src0_sel:BYTE_0 src1_sel:DWORD
	s_and_b64 vcc, exec, s[6:7]
	s_cbranch_vccnz .LBB161_566
; %bb.564:
	v_cmp_gt_i16_sdwa s[6:7], v44, v2 src0_sel:BYTE_0 src1_sel:DWORD
	s_and_b64 vcc, exec, s[6:7]
	s_cbranch_vccz .LBB161_567
; %bb.565:
	global_load_dword v2, v[4:5], off
	s_mov_b64 s[6:7], 0
	s_waitcnt vmcnt(0)
	v_cvt_f64_u32_e32 v[2:3], v2
	s_branch .LBB161_568
.LBB161_566:
	s_mov_b64 s[6:7], -1
                                        ; implicit-def: $vgpr2_vgpr3
	s_branch .LBB161_571
.LBB161_567:
	s_mov_b64 s[6:7], -1
                                        ; implicit-def: $vgpr2_vgpr3
.LBB161_568:
	s_andn2_b64 vcc, exec, s[6:7]
	s_cbranch_vccnz .LBB161_570
; %bb.569:
	global_load_ushort v2, v[4:5], off
	s_waitcnt vmcnt(0)
	v_cvt_f64_u32_e32 v[2:3], v2
.LBB161_570:
	s_mov_b64 s[6:7], 0
.LBB161_571:
	s_andn2_b64 vcc, exec, s[6:7]
	s_cbranch_vccnz .LBB161_579
; %bb.572:
	global_load_ubyte v6, v[4:5], off
	s_movk_i32 s6, 0x7f
                                        ; implicit-def: $sgpr8_sgpr9
	s_waitcnt vmcnt(0)
	v_cmp_lt_i16_e32 vcc, s6, v6
	s_mov_b64 s[6:7], 0
	s_and_saveexec_b64 s[10:11], vcc
	s_xor_b64 s[10:11], exec, s[10:11]
	s_cbranch_execz .LBB161_593
; %bb.573:
	s_movk_i32 s6, 0x80
	v_cmp_eq_u16_e32 vcc, s6, v6
	s_mov_b64 s[12:13], -1
                                        ; implicit-def: $sgpr8_sgpr9
	s_and_saveexec_b64 s[6:7], vcc
; %bb.574:
	s_mov_b32 s9, 0x7ff80000
	s_brev_b32 s8, 4
	s_xor_b64 s[12:13], exec, -1
; %bb.575:
	s_or_b64 exec, exec, s[6:7]
	s_and_b64 s[6:7], s[12:13], exec
	s_or_saveexec_b64 s[10:11], s[10:11]
	v_pk_mov_b32 v[2:3], s[8:9], s[8:9] op_sel:[0,1]
	s_xor_b64 exec, exec, s[10:11]
	s_cbranch_execnz .LBB161_594
.LBB161_576:
	s_or_b64 exec, exec, s[10:11]
	s_and_saveexec_b64 s[8:9], s[6:7]
	s_cbranch_execz .LBB161_578
.LBB161_577:
	v_and_b32_e32 v3, 0xffff, v6
	v_lshlrev_b32_e32 v2, 24, v6
	v_and_b32_e32 v6, 7, v3
	v_ffbh_u32_e32 v8, v6
	v_min_u32_e32 v8, 32, v8
	v_subrev_u32_e32 v9, 28, v8
	v_bfe_u32 v7, v3, 3, 4
	v_lshlrev_b32_e32 v3, v9, v3
	v_sub_u32_e32 v8, 29, v8
	v_and_b32_e32 v3, 7, v3
	v_cmp_eq_u32_e32 vcc, 0, v7
	v_cndmask_b32_e32 v7, v7, v8, vcc
	v_cndmask_b32_e32 v3, v6, v3, vcc
	v_mov_b32_e32 v6, 0x3b800000
	v_lshlrev_b32_e32 v3, 20, v3
	v_and_b32_e32 v2, 0x80000000, v2
	v_lshl_add_u32 v6, v7, 23, v6
	v_or3_b32 v2, v2, v6, v3
	v_cvt_f64_f32_e32 v[2:3], v2
.LBB161_578:
	s_or_b64 exec, exec, s[8:9]
.LBB161_579:
	s_mov_b64 s[6:7], -1
.LBB161_580:
	s_mov_b64 s[8:9], 0
.LBB161_581:
	s_and_b64 vcc, exec, s[8:9]
	s_cbranch_vccz .LBB161_617
; %bb.582:
	v_mov_b32_e32 v2, 22
	v_cmp_gt_i16_sdwa s[8:9], v44, v2 src0_sel:BYTE_0 src1_sel:DWORD
	s_and_b64 vcc, exec, s[8:9]
	s_cbranch_vccz .LBB161_592
; %bb.583:
	v_mov_b32_e32 v2, 24
	v_cmp_lt_i16_sdwa s[6:7], v44, v2 src0_sel:BYTE_0 src1_sel:DWORD
	s_and_b64 vcc, exec, s[6:7]
	s_cbranch_vccnz .LBB161_595
; %bb.584:
	v_cmp_gt_i16_sdwa s[6:7], v44, v2 src0_sel:BYTE_0 src1_sel:DWORD
	s_and_b64 vcc, exec, s[6:7]
	s_cbranch_vccz .LBB161_596
; %bb.585:
	global_load_ubyte v6, v[4:5], off
	s_movk_i32 s6, 0x7f
                                        ; implicit-def: $sgpr8_sgpr9
	s_waitcnt vmcnt(0)
	v_cmp_lt_i16_e32 vcc, s6, v6
	s_mov_b64 s[6:7], 0
	s_and_saveexec_b64 s[10:11], vcc
	s_xor_b64 s[10:11], exec, s[10:11]
	s_cbranch_execz .LBB161_608
; %bb.586:
	s_movk_i32 s6, 0x80
	v_cmp_eq_u16_e32 vcc, s6, v6
	s_mov_b64 s[12:13], -1
                                        ; implicit-def: $sgpr8_sgpr9
	s_and_saveexec_b64 s[6:7], vcc
; %bb.587:
	s_mov_b32 s9, 0x7ff80000
	s_brev_b32 s8, 4
	s_xor_b64 s[12:13], exec, -1
; %bb.588:
	s_or_b64 exec, exec, s[6:7]
	s_and_b64 s[6:7], s[12:13], exec
	s_or_saveexec_b64 s[10:11], s[10:11]
	v_pk_mov_b32 v[2:3], s[8:9], s[8:9] op_sel:[0,1]
	s_xor_b64 exec, exec, s[10:11]
	s_cbranch_execnz .LBB161_609
.LBB161_589:
	s_or_b64 exec, exec, s[10:11]
	s_and_saveexec_b64 s[8:9], s[6:7]
	s_cbranch_execz .LBB161_591
.LBB161_590:
	v_and_b32_e32 v3, 0xffff, v6
	v_lshlrev_b32_e32 v2, 24, v6
	v_and_b32_e32 v6, 3, v3
	v_ffbh_u32_e32 v8, v6
	v_min_u32_e32 v8, 32, v8
	v_subrev_u32_e32 v9, 29, v8
	v_bfe_u32 v7, v3, 2, 5
	v_lshlrev_b32_e32 v3, v9, v3
	v_sub_u32_e32 v8, 30, v8
	v_and_b32_e32 v3, 3, v3
	v_cmp_eq_u32_e32 vcc, 0, v7
	v_cndmask_b32_e32 v7, v7, v8, vcc
	v_cndmask_b32_e32 v3, v6, v3, vcc
	v_mov_b32_e32 v6, 0x37800000
	v_lshlrev_b32_e32 v3, 21, v3
	v_and_b32_e32 v2, 0x80000000, v2
	v_lshl_add_u32 v6, v7, 23, v6
	v_or3_b32 v2, v2, v6, v3
	v_cvt_f64_f32_e32 v[2:3], v2
.LBB161_591:
	s_or_b64 exec, exec, s[8:9]
	s_mov_b64 s[6:7], 0
	s_branch .LBB161_597
.LBB161_592:
	s_mov_b64 s[8:9], -1
                                        ; implicit-def: $vgpr2_vgpr3
	s_branch .LBB161_603
.LBB161_593:
	s_or_saveexec_b64 s[10:11], s[10:11]
	v_pk_mov_b32 v[2:3], s[8:9], s[8:9] op_sel:[0,1]
	s_xor_b64 exec, exec, s[10:11]
	s_cbranch_execz .LBB161_576
.LBB161_594:
	v_cmp_ne_u16_e32 vcc, 0, v6
	s_andn2_b64 s[6:7], s[6:7], exec
	s_and_b64 s[8:9], vcc, exec
	v_pk_mov_b32 v[2:3], 0, 0
	s_or_b64 s[6:7], s[6:7], s[8:9]
	s_or_b64 exec, exec, s[10:11]
	s_and_saveexec_b64 s[8:9], s[6:7]
	s_cbranch_execnz .LBB161_577
	s_branch .LBB161_578
.LBB161_595:
	s_mov_b64 s[6:7], -1
                                        ; implicit-def: $vgpr2_vgpr3
	s_branch .LBB161_600
.LBB161_596:
	s_mov_b64 s[6:7], -1
                                        ; implicit-def: $vgpr2_vgpr3
.LBB161_597:
	s_and_b64 vcc, exec, s[6:7]
	s_cbranch_vccz .LBB161_599
; %bb.598:
	global_load_ubyte v2, v[4:5], off
	s_mov_b32 s6, 0x7f800000
	s_waitcnt vmcnt(0)
	v_lshlrev_b32_e32 v2, 24, v2
	v_and_b32_e32 v3, 0x7f000000, v2
	v_ffbh_u32_e32 v6, v3
	v_min_u32_e32 v6, 32, v6
	v_sub_u32_e64 v6, v6, 4 clamp
	v_lshlrev_b32_e32 v8, v6, v3
	v_lshlrev_b32_e32 v6, 23, v6
	v_lshrrev_b32_e32 v8, 4, v8
	v_add_u32_e32 v7, 0x1000000, v3
	v_sub_u32_e32 v6, v8, v6
	v_ashrrev_i32_e32 v7, 8, v7
	v_add_u32_e32 v6, 0x3c000000, v6
	v_and_or_b32 v6, v7, s6, v6
	v_cmp_ne_u32_e32 vcc, 0, v3
	v_cndmask_b32_e32 v3, 0, v6, vcc
	s_brev_b32 s6, 1
	v_and_or_b32 v2, v2, s6, v3
	v_cvt_f64_f32_e32 v[2:3], v2
.LBB161_599:
	s_mov_b64 s[6:7], 0
.LBB161_600:
	s_andn2_b64 vcc, exec, s[6:7]
	s_cbranch_vccnz .LBB161_602
; %bb.601:
	global_load_ubyte v2, v[4:5], off
	s_movk_i32 s6, 0x7f00
	s_brev_b32 s7, 16
	s_waitcnt vmcnt(0)
	v_lshlrev_b16_e32 v3, 8, v2
	v_lshlrev_b32_e32 v2, 25, v2
	v_lshrrev_b32_e32 v6, 4, v2
	v_and_or_b32 v7, v3, s6, 0.5
	v_or_b32_e32 v6, 0x70000000, v6
	v_add_f32_e32 v7, -0.5, v7
	v_mul_f32_e32 v6, 0x7800000, v6
	v_cmp_gt_u32_e32 vcc, s7, v2
	v_bfe_i32 v3, v3, 0, 16
	v_cndmask_b32_e32 v2, v6, v7, vcc
	s_brev_b32 s6, 1
	v_and_or_b32 v2, v3, s6, v2
	v_cvt_f64_f32_e32 v[2:3], v2
.LBB161_602:
	s_mov_b64 s[8:9], 0
	s_mov_b64 s[6:7], -1
.LBB161_603:
	s_andn2_b64 vcc, exec, s[8:9]
	s_cbranch_vccnz .LBB161_617
; %bb.604:
	v_mov_b32_e32 v2, 14
	v_cmp_gt_i16_sdwa s[8:9], v44, v2 src0_sel:BYTE_0 src1_sel:DWORD
	s_and_b64 vcc, exec, s[8:9]
	s_cbranch_vccz .LBB161_607
; %bb.605:
	v_mov_b32_e32 v2, 15
	v_cmp_eq_u16_sdwa s[8:9], v44, v2 src0_sel:BYTE_0 src1_sel:DWORD
	s_and_b64 vcc, exec, s[8:9]
	s_cbranch_vccz .LBB161_610
; %bb.606:
	global_load_ushort v2, v[4:5], off
	s_mov_b64 s[8:9], 0
	v_writelane_b32 v70, s8, 21
	s_mov_b64 s[6:7], -1
	v_writelane_b32 v70, s9, 22
	s_waitcnt vmcnt(0)
	v_lshlrev_b32_e32 v2, 16, v2
	v_cvt_f64_f32_e32 v[2:3], v2
	s_branch .LBB161_611
.LBB161_607:
	s_mov_b64 s[8:9], -1
                                        ; implicit-def: $vgpr2_vgpr3
	s_branch .LBB161_612
.LBB161_608:
	s_or_saveexec_b64 s[10:11], s[10:11]
	v_pk_mov_b32 v[2:3], s[8:9], s[8:9] op_sel:[0,1]
	s_xor_b64 exec, exec, s[10:11]
	s_cbranch_execz .LBB161_589
.LBB161_609:
	v_cmp_ne_u16_e32 vcc, 0, v6
	s_andn2_b64 s[6:7], s[6:7], exec
	s_and_b64 s[8:9], vcc, exec
	v_pk_mov_b32 v[2:3], 0, 0
	s_or_b64 s[6:7], s[6:7], s[8:9]
	s_or_b64 exec, exec, s[10:11]
	s_and_saveexec_b64 s[8:9], s[6:7]
	s_cbranch_execnz .LBB161_590
	s_branch .LBB161_591
.LBB161_610:
	s_mov_b64 s[8:9], -1
	v_writelane_b32 v70, s8, 21
	v_writelane_b32 v70, s9, 22
                                        ; implicit-def: $vgpr2_vgpr3
.LBB161_611:
	s_mov_b64 s[8:9], 0
.LBB161_612:
	s_and_b64 vcc, exec, s[8:9]
	s_cbranch_vccz .LBB161_617
; %bb.613:
	v_mov_b32_e32 v2, 11
	v_cmp_eq_u16_sdwa s[8:9], v44, v2 src0_sel:BYTE_0 src1_sel:DWORD
	s_and_b64 vcc, exec, s[8:9]
	s_cbranch_vccz .LBB161_615
; %bb.614:
	global_load_ubyte v3, v[4:5], off
	v_mov_b32_e32 v6, 0x3ff00000
	v_mov_b32_e32 v2, 0
	s_mov_b64 s[6:7], -1
	s_mov_b64 s[8:9], 0
	s_waitcnt vmcnt(0)
	v_cmp_ne_u16_e32 vcc, 0, v3
	v_cndmask_b32_e32 v3, 0, v6, vcc
	s_branch .LBB161_616
.LBB161_615:
	s_mov_b64 s[8:9], -1
                                        ; implicit-def: $vgpr2_vgpr3
.LBB161_616:
	v_writelane_b32 v70, s8, 21
	v_writelane_b32 v70, s9, 22
.LBB161_617:
	s_mov_b64 s[8:9], 0
.LBB161_618:
	s_and_b64 vcc, exec, s[8:9]
	s_cbranch_vccz .LBB161_667
; %bb.619:
	v_mov_b32_e32 v2, 5
	v_cmp_lt_i16_sdwa s[6:7], v44, v2 src0_sel:BYTE_0 src1_sel:DWORD
	s_and_b64 vcc, exec, s[6:7]
	s_cbranch_vccnz .LBB161_624
; %bb.620:
	v_mov_b32_e32 v2, 8
	v_cmp_lt_i16_sdwa s[6:7], v44, v2 src0_sel:BYTE_0 src1_sel:DWORD
	s_and_b64 vcc, exec, s[6:7]
	s_cbranch_vccnz .LBB161_625
	;; [unrolled: 5-line block ×3, first 2 shown]
; %bb.622:
	v_cmp_gt_i16_sdwa s[6:7], v44, v2 src0_sel:BYTE_0 src1_sel:DWORD
	s_and_b64 vcc, exec, s[6:7]
	s_cbranch_vccz .LBB161_627
; %bb.623:
	global_load_dwordx2 v[2:3], v[4:5], off
	s_mov_b64 s[6:7], 0
	s_branch .LBB161_628
.LBB161_624:
	s_mov_b64 s[6:7], -1
                                        ; implicit-def: $vgpr2_vgpr3
	s_branch .LBB161_646
.LBB161_625:
	s_mov_b64 s[6:7], -1
                                        ; implicit-def: $vgpr2_vgpr3
	s_branch .LBB161_634
.LBB161_626:
	s_mov_b64 s[6:7], -1
                                        ; implicit-def: $vgpr2_vgpr3
	s_branch .LBB161_631
.LBB161_627:
	s_mov_b64 s[6:7], -1
                                        ; implicit-def: $vgpr2_vgpr3
.LBB161_628:
	s_andn2_b64 vcc, exec, s[6:7]
	s_cbranch_vccnz .LBB161_630
; %bb.629:
	global_load_dword v2, v[4:5], off
	s_waitcnt vmcnt(0)
	v_cvt_f64_f32_e32 v[2:3], v2
.LBB161_630:
	s_mov_b64 s[6:7], 0
.LBB161_631:
	s_andn2_b64 vcc, exec, s[6:7]
	s_cbranch_vccnz .LBB161_633
; %bb.632:
	global_load_dword v2, v[4:5], off
	s_waitcnt vmcnt(0)
	v_cvt_f32_f16_e32 v2, v2
	v_cvt_f64_f32_e32 v[2:3], v2
.LBB161_633:
	s_mov_b64 s[6:7], 0
.LBB161_634:
	s_andn2_b64 vcc, exec, s[6:7]
	s_cbranch_vccnz .LBB161_645
; %bb.635:
	s_waitcnt vmcnt(0)
	v_mov_b32_e32 v2, 6
	v_cmp_lt_i16_sdwa s[6:7], v44, v2 src0_sel:BYTE_0 src1_sel:DWORD
	s_and_b64 vcc, exec, s[6:7]
	s_cbranch_vccnz .LBB161_638
; %bb.636:
	v_cmp_gt_i16_sdwa s[6:7], v44, v2 src0_sel:BYTE_0 src1_sel:DWORD
	s_and_b64 vcc, exec, s[6:7]
	s_cbranch_vccz .LBB161_639
; %bb.637:
	global_load_dwordx2 v[2:3], v[4:5], off
	s_mov_b64 s[6:7], 0
	s_branch .LBB161_640
.LBB161_638:
	s_mov_b64 s[6:7], -1
                                        ; implicit-def: $vgpr2_vgpr3
	s_branch .LBB161_643
.LBB161_639:
	s_mov_b64 s[6:7], -1
                                        ; implicit-def: $vgpr2_vgpr3
.LBB161_640:
	s_andn2_b64 vcc, exec, s[6:7]
	s_cbranch_vccnz .LBB161_642
; %bb.641:
	global_load_dword v2, v[4:5], off
	s_waitcnt vmcnt(0)
	v_cvt_f64_f32_e32 v[2:3], v2
.LBB161_642:
	s_mov_b64 s[6:7], 0
.LBB161_643:
	s_andn2_b64 vcc, exec, s[6:7]
	s_cbranch_vccnz .LBB161_645
; %bb.644:
	global_load_ushort v2, v[4:5], off
	s_waitcnt vmcnt(0)
	v_cvt_f32_f16_e32 v2, v2
	v_cvt_f64_f32_e32 v[2:3], v2
.LBB161_645:
	s_mov_b64 s[6:7], 0
.LBB161_646:
	s_andn2_b64 vcc, exec, s[6:7]
	s_cbranch_vccnz .LBB161_666
; %bb.647:
	s_waitcnt vmcnt(0)
	v_mov_b32_e32 v2, 2
	v_cmp_lt_i16_sdwa s[6:7], v44, v2 src0_sel:BYTE_0 src1_sel:DWORD
	s_and_b64 vcc, exec, s[6:7]
	s_cbranch_vccnz .LBB161_651
; %bb.648:
	v_mov_b32_e32 v2, 3
	v_cmp_lt_i16_sdwa s[6:7], v44, v2 src0_sel:BYTE_0 src1_sel:DWORD
	s_and_b64 vcc, exec, s[6:7]
	s_cbranch_vccnz .LBB161_652
; %bb.649:
	v_cmp_gt_i16_sdwa s[6:7], v44, v2 src0_sel:BYTE_0 src1_sel:DWORD
	s_and_b64 vcc, exec, s[6:7]
	s_cbranch_vccz .LBB161_653
; %bb.650:
	global_load_dwordx2 v[2:3], v[4:5], off
	s_mov_b64 s[6:7], 0
	s_waitcnt vmcnt(0)
	v_cvt_f64_i32_e32 v[6:7], v3
	v_cvt_f64_u32_e32 v[2:3], v2
	v_ldexp_f64 v[6:7], v[6:7], 32
	v_add_f64 v[2:3], v[6:7], v[2:3]
	s_branch .LBB161_654
.LBB161_651:
	s_mov_b64 s[6:7], -1
                                        ; implicit-def: $vgpr2_vgpr3
	s_branch .LBB161_660
.LBB161_652:
	s_mov_b64 s[6:7], -1
                                        ; implicit-def: $vgpr2_vgpr3
	s_branch .LBB161_657
.LBB161_653:
	s_mov_b64 s[6:7], -1
                                        ; implicit-def: $vgpr2_vgpr3
.LBB161_654:
	s_andn2_b64 vcc, exec, s[6:7]
	s_cbranch_vccnz .LBB161_656
; %bb.655:
	global_load_dword v2, v[4:5], off
	s_waitcnt vmcnt(0)
	v_cvt_f64_i32_e32 v[2:3], v2
.LBB161_656:
	s_mov_b64 s[6:7], 0
.LBB161_657:
	s_andn2_b64 vcc, exec, s[6:7]
	s_cbranch_vccnz .LBB161_659
; %bb.658:
	global_load_sshort v2, v[4:5], off
	s_waitcnt vmcnt(0)
	v_cvt_f64_i32_e32 v[2:3], v2
.LBB161_659:
	s_mov_b64 s[6:7], 0
.LBB161_660:
	s_andn2_b64 vcc, exec, s[6:7]
	s_cbranch_vccnz .LBB161_666
; %bb.661:
	v_mov_b32_e32 v2, 0
	v_cmp_gt_i16_sdwa s[6:7], v44, v2 src0_sel:BYTE_0 src1_sel:DWORD
	s_and_b64 vcc, exec, s[6:7]
	s_cbranch_vccz .LBB161_663
; %bb.662:
	global_load_sbyte v2, v[4:5], off
	s_mov_b64 s[6:7], 0
	s_waitcnt vmcnt(0)
	v_cvt_f64_i32_e32 v[2:3], v2
	s_branch .LBB161_664
.LBB161_663:
	s_mov_b64 s[6:7], -1
                                        ; implicit-def: $vgpr2_vgpr3
.LBB161_664:
	s_andn2_b64 vcc, exec, s[6:7]
	s_cbranch_vccnz .LBB161_666
; %bb.665:
	global_load_ubyte v2, v[4:5], off
	s_waitcnt vmcnt(0)
	v_cvt_f64_u32_e32 v[2:3], v2
.LBB161_666:
	s_mov_b64 s[6:7], -1
.LBB161_667:
	s_andn2_b64 vcc, exec, s[6:7]
	s_cbranch_vccnz .LBB161_675
; %bb.668:
	v_writelane_b32 v70, s56, 23
	v_writelane_b32 v70, s57, 24
	s_mov_b64 s[78:79], s[50:51]
	s_mov_b64 s[80:81], s[96:97]
	v_writelane_b32 v70, s91, 12
	s_mov_b64 s[90:91], s[42:43]
	s_mov_b64 s[94:95], s[52:53]
	s_mov_b64 s[76:77], s[48:49]
	s_mov_b64 s[82:83], s[98:99]
	s_mov_b64 s[92:93], s[38:39]
	s_mov_b64 s[98:99], s[36:37]
	s_mov_b64 s[96:97], s[4:5]
	s_getpc_b64 s[4:5]
	s_add_u32 s4, s4, _ZZZZN2at6native33launch_standard_gamma_grad_kernelERNS_18TensorIteratorBaseEENKUlvE_clEvENKUlvE_clEvENKUlddE_clEdd@rel32@lo+4
	s_addc_u32 s5, s5, _ZZZZN2at6native33launch_standard_gamma_grad_kernelERNS_18TensorIteratorBaseEENKUlvE_clEvENKUlvE_clEvENKUlddE_clEdd@rel32@hi+12
	s_mov_b64 s[88:89], s[40:41]
	s_swappc_b64 s[30:31], s[4:5]
	s_mov_b64 s[40:41], s[88:89]
	v_mov_b32_e32 v2, s41
	v_add_co_u32_e32 v4, vcc, s40, v42
	v_addc_co_u32_e32 v5, vcc, 0, v2, vcc
	v_mov_b32_e32 v2, 11
	v_cmp_lt_i16_sdwa s[4:5], v41, v2 src0_sel:BYTE_0 src1_sel:DWORD
	s_mov_b64 s[42:43], s[90:91]
	s_and_b64 vcc, exec, s[4:5]
	s_cbranch_vccnz .LBB161_676
; %bb.669:
	v_mov_b32_e32 v2, 25
	v_cmp_gt_i16_sdwa s[4:5], v41, v2 src0_sel:BYTE_0 src1_sel:DWORD
	s_and_b64 vcc, exec, s[4:5]
	s_cbranch_vccz .LBB161_677
; %bb.670:
	v_mov_b32_e32 v2, 28
	v_cmp_gt_i16_sdwa s[4:5], v41, v2 src0_sel:BYTE_0 src1_sel:DWORD
	s_and_b64 vcc, exec, s[4:5]
	s_mov_b64 s[4:5], s[96:97]
	s_mov_b64 s[36:37], s[98:99]
	;; [unrolled: 1-line block ×3, first 2 shown]
	v_readlane_b32 s91, v70, 12
	s_mov_b64 s[96:97], s[80:81]
	s_cbranch_vccz .LBB161_678
; %bb.671:
	v_mov_b32_e32 v2, 43
	v_cmp_gt_i16_sdwa s[6:7], v41, v2 src0_sel:BYTE_0 src1_sel:DWORD
	s_mov_b64 s[48:49], s[76:77]
	s_and_b64 vcc, exec, s[6:7]
	s_mov_b64 s[38:39], s[92:93]
	s_mov_b64 s[50:51], s[78:79]
	;; [unrolled: 1-line block ×3, first 2 shown]
	s_cbranch_vccz .LBB161_679
; %bb.672:
	v_mov_b32_e32 v2, 45
	v_cmp_gt_i16_sdwa s[6:7], v41, v2 src0_sel:BYTE_0 src1_sel:DWORD
	v_readlane_b32 s56, v70, 23
	s_and_b64 vcc, exec, s[6:7]
	s_mov_b64 s[88:89], 0
	v_readlane_b32 s57, v70, 24
	s_cbranch_vccz .LBB161_680
; %bb.673:
	v_mov_b32_e32 v2, 46
	v_cmp_eq_u16_sdwa s[8:9], v41, v2 src0_sel:BYTE_0 src1_sel:DWORD
	s_mov_b64 s[10:11], 0
	s_mov_b64 s[6:7], -1
	s_and_b64 vcc, exec, s[8:9]
	s_mov_b64 s[8:9], 0
	s_cbranch_vccz .LBB161_681
; %bb.674:
	v_cvt_f32_f64_e32 v2, v[0:1]
	v_bfe_u32 v3, v2, 16, 1
	s_movk_i32 s6, 0x7fff
	v_add3_u32 v3, v2, v3, s6
	v_lshrrev_b32_e32 v3, 16, v3
	v_mov_b32_e32 v6, 0x7fc0
	v_cmp_o_f32_e32 vcc, v2, v2
	v_cndmask_b32_e32 v2, v6, v3, vcc
	global_store_dword v[4:5], v2, off
	s_mov_b64 s[8:9], -1
	s_mov_b64 s[6:7], 0
	s_branch .LBB161_681
.LBB161_675:
	v_readlane_b32 s6, v70, 8
	s_mov_b64 s[8:9], 0
                                        ; implicit-def: $vgpr45
	v_readlane_b32 s7, v70, 9
	s_branch .LBB161_792
.LBB161_676:
	v_readlane_b32 s6, v70, 8
	s_mov_b64 s[4:5], s[96:97]
	s_mov_b64 s[36:37], s[98:99]
	;; [unrolled: 1-line block ×4, first 2 shown]
	v_readlane_b32 s56, v70, 23
	s_mov_b64 s[10:11], -1
	s_mov_b64 s[8:9], 0
	v_readlane_b32 s7, v70, 9
	v_readlane_b32 s91, v70, 12
	s_mov_b64 s[38:39], s[92:93]
	s_mov_b64 s[88:89], 0
	;; [unrolled: 1-line block ×5, first 2 shown]
	v_readlane_b32 s57, v70, 24
	s_branch .LBB161_750
.LBB161_677:
	v_readlane_b32 s6, v70, 8
	s_mov_b64 s[4:5], s[96:97]
	s_mov_b64 s[36:37], s[98:99]
	;; [unrolled: 1-line block ×4, first 2 shown]
	v_readlane_b32 s56, v70, 23
	s_mov_b64 s[10:11], -1
	s_mov_b64 s[8:9], 0
	v_readlane_b32 s7, v70, 9
	v_readlane_b32 s91, v70, 12
	s_mov_b64 s[38:39], s[92:93]
	s_mov_b64 s[88:89], 0
	;; [unrolled: 1-line block ×5, first 2 shown]
	v_readlane_b32 s57, v70, 24
	s_branch .LBB161_708
.LBB161_678:
	v_readlane_b32 s6, v70, 8
	s_mov_b64 s[48:49], s[76:77]
	v_readlane_b32 s56, v70, 23
	s_mov_b64 s[10:11], -1
	s_mov_b64 s[8:9], 0
	v_readlane_b32 s7, v70, 9
	s_mov_b64 s[38:39], s[92:93]
	s_mov_b64 s[88:89], 0
	;; [unrolled: 1-line block ×4, first 2 shown]
	v_readlane_b32 s57, v70, 24
	s_branch .LBB161_691
.LBB161_679:
	v_readlane_b32 s6, v70, 8
	v_readlane_b32 s56, v70, 23
	s_mov_b64 s[10:11], -1
	s_mov_b64 s[8:9], 0
	v_readlane_b32 s7, v70, 9
	s_mov_b64 s[88:89], 0
	v_readlane_b32 s57, v70, 24
	s_branch .LBB161_687
.LBB161_680:
	v_readlane_b32 s6, v70, 8
	s_mov_b64 s[10:11], -1
	s_mov_b64 s[8:9], 0
	v_readlane_b32 s7, v70, 9
.LBB161_681:
	s_and_b64 vcc, exec, s[10:11]
	s_cbranch_vccz .LBB161_686
; %bb.682:
	v_mov_b32_e32 v2, 44
	v_cmp_eq_u16_sdwa s[10:11], v41, v2 src0_sel:BYTE_0 src1_sel:DWORD
	s_mov_b64 s[6:7], -1
	s_and_b64 vcc, exec, s[10:11]
	s_cbranch_vccz .LBB161_686
; %bb.683:
	v_cvt_f32_f64_e32 v2, v[0:1]
	v_bfe_u32 v3, v2, 23, 8
	s_movk_i32 s6, 0xff
	v_cmp_ne_u32_e32 vcc, s6, v3
	v_mov_b32_e32 v6, 0xff
	s_and_saveexec_b64 s[8:9], vcc
; %bb.684:
	s_mov_b32 s6, 0x3fffff
	v_lshrrev_b32_e32 v6, 23, v2
	v_and_b32_e32 v7, 0x400000, v2
	v_and_or_b32 v2, v2, s6, v3
	v_cmp_ne_u32_e32 vcc, 0, v7
	v_cmp_ne_u32_e64 s[6:7], 0, v2
	s_and_b64 s[6:7], vcc, s[6:7]
	v_cndmask_b32_e64 v2, 0, 1, s[6:7]
	v_add_u32_e32 v6, v6, v2
; %bb.685:
	s_or_b64 exec, exec, s[8:9]
	s_mov_b64 s[8:9], -1
	s_mov_b64 s[6:7], 0
	global_store_byte v[4:5], v6, off
.LBB161_686:
	s_mov_b64 s[10:11], 0
.LBB161_687:
	s_and_b64 vcc, exec, s[10:11]
	s_cbranch_vccz .LBB161_690
; %bb.688:
	v_mov_b32_e32 v2, 29
	v_cmp_eq_u16_sdwa s[10:11], v41, v2 src0_sel:BYTE_0 src1_sel:DWORD
	s_mov_b64 s[6:7], -1
	s_and_b64 vcc, exec, s[10:11]
	s_cbranch_vccz .LBB161_690
; %bb.689:
	v_trunc_f64_e32 v[2:3], v[0:1]
	s_movk_i32 s6, 0xffe0
	v_ldexp_f64 v[6:7], v[2:3], s6
	v_floor_f64_e32 v[6:7], v[6:7]
	v_fmac_f64_e32 v[2:3], 0xc1f00000, v[6:7]
	v_cvt_u32_f64_e32 v9, v[6:7]
	v_cvt_u32_f64_e32 v8, v[2:3]
	global_store_dwordx2 v[4:5], v[8:9], off
	s_mov_b64 s[8:9], -1
	s_mov_b64 s[6:7], 0
.LBB161_690:
	s_mov_b64 s[10:11], 0
.LBB161_691:
	s_and_b64 vcc, exec, s[10:11]
	s_cbranch_vccz .LBB161_707
; %bb.692:
	v_mov_b32_e32 v2, 27
	v_cmp_lt_i16_sdwa s[10:11], v41, v2 src0_sel:BYTE_0 src1_sel:DWORD
	s_mov_b64 s[8:9], -1
	s_and_b64 vcc, exec, s[10:11]
	s_cbranch_vccnz .LBB161_698
; %bb.693:
	v_cmp_gt_i16_sdwa s[10:11], v41, v2 src0_sel:BYTE_0 src1_sel:DWORD
	s_and_b64 vcc, exec, s[10:11]
	v_cvt_u32_f64_e32 v2, v[0:1]
	s_cbranch_vccz .LBB161_695
; %bb.694:
	s_mov_b64 s[8:9], 0
	global_store_dword v[4:5], v2, off
.LBB161_695:
	s_andn2_b64 vcc, exec, s[8:9]
	s_cbranch_vccnz .LBB161_697
; %bb.696:
	global_store_short v[4:5], v2, off
.LBB161_697:
	s_mov_b64 s[8:9], 0
.LBB161_698:
	s_andn2_b64 vcc, exec, s[8:9]
	s_cbranch_vccnz .LBB161_706
; %bb.699:
	v_cvt_f32_f64_e32 v2, v[0:1]
	v_and_b32_e32 v3, 0x7fffffff, v2
	s_mov_b32 s8, 0x43800000
	v_cmp_gt_u32_e32 vcc, s8, v3
	v_mov_b32_e32 v6, 0x80
	s_and_saveexec_b64 s[8:9], vcc
	s_cbranch_execz .LBB161_705
; %bb.700:
	s_mov_b32 s10, 0x3bffffff
	v_cmp_lt_u32_e32 vcc, s10, v3
	s_mov_b64 s[10:11], 0
                                        ; implicit-def: $vgpr3
	s_and_saveexec_b64 s[12:13], vcc
	s_xor_b64 s[12:13], exec, s[12:13]
	s_cbranch_execz .LBB161_819
; %bb.701:
	v_bfe_u32 v3, v2, 20, 1
	s_mov_b32 s14, 0x487ffff
	v_add3_u32 v3, v2, v3, s14
	s_mov_b64 s[10:11], exec
	v_lshrrev_b32_e32 v3, 20, v3
	s_or_saveexec_b64 s[12:13], s[12:13]
                                        ; implicit-def: $sgpr14
	s_xor_b64 exec, exec, s[12:13]
	s_cbranch_execnz .LBB161_820
.LBB161_702:
	s_or_b64 exec, exec, s[12:13]
	v_mov_b32_e32 v6, s14
	s_and_saveexec_b64 s[12:13], s[10:11]
.LBB161_703:
	v_lshrrev_b32_e32 v2, 24, v2
	s_movk_i32 s10, 0x80
	v_and_or_b32 v6, v2, s10, v3
.LBB161_704:
	s_or_b64 exec, exec, s[12:13]
.LBB161_705:
	s_or_b64 exec, exec, s[8:9]
	global_store_byte v[4:5], v6, off
.LBB161_706:
	s_mov_b64 s[8:9], -1
.LBB161_707:
	s_mov_b64 s[10:11], 0
.LBB161_708:
	s_and_b64 vcc, exec, s[10:11]
	s_cbranch_vccz .LBB161_749
; %bb.709:
	v_mov_b32_e32 v2, 22
	v_cmp_gt_i16_sdwa s[12:13], v41, v2 src0_sel:BYTE_0 src1_sel:DWORD
	s_mov_b64 s[10:11], -1
	s_and_b64 vcc, exec, s[12:13]
	s_cbranch_vccz .LBB161_741
; %bb.710:
	v_mov_b32_e32 v2, 24
	v_cmp_lt_i16_sdwa s[10:11], v41, v2 src0_sel:BYTE_0 src1_sel:DWORD
	s_mov_b64 s[8:9], -1
	s_and_b64 vcc, exec, s[10:11]
	s_cbranch_vccnz .LBB161_730
; %bb.711:
	v_cmp_gt_i16_sdwa s[10:11], v41, v2 src0_sel:BYTE_0 src1_sel:DWORD
	s_and_b64 vcc, exec, s[10:11]
	s_cbranch_vccz .LBB161_719
; %bb.712:
	v_cvt_f32_f64_e32 v2, v[0:1]
	v_and_b32_e32 v3, 0x7fffffff, v2
	s_mov_b32 s8, 0x47800000
	v_cmp_gt_u32_e32 vcc, s8, v3
	v_mov_b32_e32 v6, 0x80
	s_and_saveexec_b64 s[8:9], vcc
	s_cbranch_execz .LBB161_718
; %bb.713:
	s_mov_b32 s10, 0x37ffffff
	v_cmp_lt_u32_e32 vcc, s10, v3
	s_mov_b64 s[10:11], 0
                                        ; implicit-def: $vgpr3
	s_and_saveexec_b64 s[12:13], vcc
	s_xor_b64 s[12:13], exec, s[12:13]
	s_cbranch_execz .LBB161_950
; %bb.714:
	v_bfe_u32 v3, v2, 21, 1
	s_mov_b32 s14, 0x88fffff
	v_add3_u32 v3, v2, v3, s14
	s_mov_b64 s[10:11], exec
	v_lshrrev_b32_e32 v3, 21, v3
	s_or_saveexec_b64 s[12:13], s[12:13]
                                        ; implicit-def: $sgpr14
	s_xor_b64 exec, exec, s[12:13]
	s_cbranch_execnz .LBB161_951
.LBB161_715:
	s_or_b64 exec, exec, s[12:13]
	v_mov_b32_e32 v6, s14
	s_and_saveexec_b64 s[12:13], s[10:11]
.LBB161_716:
	v_lshrrev_b32_e32 v2, 24, v2
	s_movk_i32 s10, 0x80
	v_and_or_b32 v6, v2, s10, v3
.LBB161_717:
	s_or_b64 exec, exec, s[12:13]
.LBB161_718:
	s_or_b64 exec, exec, s[8:9]
	s_mov_b64 s[8:9], 0
	global_store_byte v[4:5], v6, off
.LBB161_719:
	s_and_b64 vcc, exec, s[8:9]
	s_cbranch_vccz .LBB161_729
; %bb.720:
	v_cvt_f32_f64_e32 v2, v[0:1]
	v_and_b32_e32 v6, 0x7fffffff, v2
	s_mov_b32 s8, 0x43f00000
	v_cmp_gt_u32_e32 vcc, s8, v6
                                        ; implicit-def: $vgpr3
	s_and_saveexec_b64 s[8:9], vcc
	s_xor_b64 s[8:9], exec, s[8:9]
	s_cbranch_execz .LBB161_726
; %bb.721:
	s_mov_b32 s10, 0x3c7fffff
	v_cmp_lt_u32_e32 vcc, s10, v6
                                        ; implicit-def: $vgpr3
	s_and_saveexec_b64 s[10:11], vcc
	s_xor_b64 s[10:11], exec, s[10:11]
; %bb.722:
	v_bfe_u32 v3, v2, 20, 1
	s_mov_b32 s12, 0x407ffff
	v_add3_u32 v3, v2, v3, s12
	v_lshrrev_b32_e32 v6, 20, v3
	v_and_b32_e32 v3, 0xff00000, v3
	s_mov_b32 s12, 0x7f00000
	v_mov_b32_e32 v7, 0x7e
	v_cmp_ne_u32_e32 vcc, s12, v3
	v_cndmask_b32_e32 v3, v7, v6, vcc
; %bb.723:
	s_andn2_saveexec_b64 s[10:11], s[10:11]
; %bb.724:
	s_mov_b32 s12, 0x46800000
	v_add_f32_e64 v3, |v2|, s12
; %bb.725:
	s_or_b64 exec, exec, s[10:11]
                                        ; implicit-def: $vgpr6
.LBB161_726:
	s_andn2_saveexec_b64 s[8:9], s[8:9]
; %bb.727:
	s_mov_b32 s10, 0x7f800000
	v_mov_b32_e32 v3, 0x7e
	v_mov_b32_e32 v7, 0x7f
	v_cmp_lt_u32_e32 vcc, s10, v6
	v_cndmask_b32_e32 v3, v3, v7, vcc
; %bb.728:
	s_or_b64 exec, exec, s[8:9]
	v_lshrrev_b32_e32 v2, 24, v2
	s_movk_i32 s8, 0x80
	v_and_or_b32 v2, v2, s8, v3
	global_store_byte v[4:5], v2, off
.LBB161_729:
	s_mov_b64 s[8:9], 0
.LBB161_730:
	s_andn2_b64 vcc, exec, s[8:9]
	s_cbranch_vccnz .LBB161_740
; %bb.731:
	v_cvt_f32_f64_e32 v2, v[0:1]
	v_and_b32_e32 v6, 0x7fffffff, v2
	s_mov_b32 s8, 0x47800000
	v_cmp_gt_u32_e32 vcc, s8, v6
                                        ; implicit-def: $vgpr3
	s_and_saveexec_b64 s[8:9], vcc
	s_xor_b64 s[8:9], exec, s[8:9]
	s_cbranch_execz .LBB161_737
; %bb.732:
	s_mov_b32 s10, 0x387fffff
	v_cmp_lt_u32_e32 vcc, s10, v6
                                        ; implicit-def: $vgpr3
	s_and_saveexec_b64 s[10:11], vcc
	s_xor_b64 s[10:11], exec, s[10:11]
; %bb.733:
	v_bfe_u32 v3, v2, 21, 1
	s_mov_b32 s12, 0x80fffff
	v_add3_u32 v3, v2, v3, s12
	v_lshrrev_b32_e32 v3, 21, v3
; %bb.734:
	s_andn2_saveexec_b64 s[10:11], s[10:11]
; %bb.735:
	s_mov_b32 s12, 0x43000000
	v_add_f32_e64 v3, |v2|, s12
; %bb.736:
	s_or_b64 exec, exec, s[10:11]
                                        ; implicit-def: $vgpr6
.LBB161_737:
	s_andn2_saveexec_b64 s[8:9], s[8:9]
; %bb.738:
	s_mov_b32 s10, 0x7f800000
	v_mov_b32_e32 v3, 0x7c
	v_mov_b32_e32 v7, 0x7f
	v_cmp_lt_u32_e32 vcc, s10, v6
	v_cndmask_b32_e32 v3, v3, v7, vcc
; %bb.739:
	s_or_b64 exec, exec, s[8:9]
	v_lshrrev_b32_e32 v2, 24, v2
	s_movk_i32 s8, 0x80
	v_and_or_b32 v2, v2, s8, v3
	global_store_byte v[4:5], v2, off
.LBB161_740:
	s_mov_b64 s[10:11], 0
	s_mov_b64 s[8:9], -1
.LBB161_741:
	s_andn2_b64 vcc, exec, s[10:11]
	s_cbranch_vccnz .LBB161_749
; %bb.742:
	v_mov_b32_e32 v2, 14
	v_cmp_gt_i16_sdwa s[12:13], v41, v2 src0_sel:BYTE_0 src1_sel:DWORD
	s_mov_b64 s[10:11], -1
	s_and_b64 vcc, exec, s[12:13]
	s_cbranch_vccz .LBB161_746
; %bb.743:
	v_mov_b32_e32 v2, 15
	v_cmp_eq_u16_sdwa s[10:11], v41, v2 src0_sel:BYTE_0 src1_sel:DWORD
	s_mov_b64 s[6:7], -1
	s_and_b64 vcc, exec, s[10:11]
	s_cbranch_vccz .LBB161_745
; %bb.744:
	v_cvt_f32_f64_e32 v2, v[0:1]
	v_bfe_u32 v3, v2, 16, 1
	s_movk_i32 s6, 0x7fff
	v_add3_u32 v3, v2, v3, s6
	v_lshrrev_b32_e32 v3, 16, v3
	v_mov_b32_e32 v6, 0x7fc0
	v_cmp_o_f32_e32 vcc, v2, v2
	v_cndmask_b32_e32 v2, v6, v3, vcc
	global_store_short v[4:5], v2, off
	s_mov_b64 s[8:9], -1
	s_mov_b64 s[6:7], 0
.LBB161_745:
	s_mov_b64 s[10:11], 0
.LBB161_746:
	s_and_b64 vcc, exec, s[10:11]
	s_cbranch_vccz .LBB161_749
; %bb.747:
	v_mov_b32_e32 v2, 11
	v_cmp_eq_u16_sdwa s[10:11], v41, v2 src0_sel:BYTE_0 src1_sel:DWORD
	s_mov_b64 s[6:7], -1
	s_and_b64 vcc, exec, s[10:11]
	s_cbranch_vccz .LBB161_749
; %bb.748:
	v_cmp_neq_f64_e32 vcc, 0, v[0:1]
	s_mov_b64 s[6:7], 0
	v_cndmask_b32_e64 v2, 0, 1, vcc
	s_mov_b64 s[8:9], -1
	global_store_byte v[4:5], v2, off
.LBB161_749:
	s_mov_b64 s[10:11], 0
.LBB161_750:
	s_and_b64 vcc, exec, s[10:11]
	s_cbranch_vccz .LBB161_789
; %bb.751:
	v_mov_b32_e32 v2, 5
	v_cmp_lt_i16_sdwa s[10:11], v41, v2 src0_sel:BYTE_0 src1_sel:DWORD
	s_mov_b64 s[8:9], -1
	s_and_b64 vcc, exec, s[10:11]
	s_cbranch_vccnz .LBB161_772
; %bb.752:
	v_mov_b32_e32 v2, 8
	v_cmp_lt_i16_sdwa s[10:11], v41, v2 src0_sel:BYTE_0 src1_sel:DWORD
	s_and_b64 vcc, exec, s[10:11]
	s_cbranch_vccnz .LBB161_762
; %bb.753:
	v_mov_b32_e32 v2, 9
	v_cmp_lt_i16_sdwa s[10:11], v41, v2 src0_sel:BYTE_0 src1_sel:DWORD
	s_and_b64 vcc, exec, s[10:11]
	s_cbranch_vccnz .LBB161_759
; %bb.754:
	v_cmp_gt_i16_sdwa s[10:11], v41, v2 src0_sel:BYTE_0 src1_sel:DWORD
	s_and_b64 vcc, exec, s[10:11]
	s_cbranch_vccz .LBB161_756
; %bb.755:
	v_mov_b32_e32 v2, 0
	v_mov_b32_e32 v3, v2
	s_mov_b64 s[8:9], 0
	global_store_dwordx4 v[4:5], v[0:3], off
.LBB161_756:
	s_andn2_b64 vcc, exec, s[8:9]
	s_cbranch_vccnz .LBB161_758
; %bb.757:
	v_cvt_f32_f64_e32 v2, v[0:1]
	v_mov_b32_e32 v3, 0
	global_store_dwordx2 v[4:5], v[2:3], off
.LBB161_758:
	s_mov_b64 s[8:9], 0
.LBB161_759:
	s_andn2_b64 vcc, exec, s[8:9]
	s_cbranch_vccnz .LBB161_761
; %bb.760:
	v_cvt_f32_f64_e32 v2, v[0:1]
	v_cvt_f16_f32_e32 v2, v2
	global_store_dword v[4:5], v2, off
.LBB161_761:
	s_mov_b64 s[8:9], 0
.LBB161_762:
	s_andn2_b64 vcc, exec, s[8:9]
	s_cbranch_vccnz .LBB161_771
; %bb.763:
	v_mov_b32_e32 v2, 6
	v_cmp_lt_i16_sdwa s[10:11], v41, v2 src0_sel:BYTE_0 src1_sel:DWORD
	s_mov_b64 s[8:9], -1
	s_and_b64 vcc, exec, s[10:11]
	s_cbranch_vccnz .LBB161_769
; %bb.764:
	v_cmp_gt_i16_sdwa s[10:11], v41, v2 src0_sel:BYTE_0 src1_sel:DWORD
	s_and_b64 vcc, exec, s[10:11]
	s_cbranch_vccz .LBB161_766
; %bb.765:
	s_mov_b64 s[8:9], 0
	global_store_dwordx2 v[4:5], v[0:1], off
.LBB161_766:
	s_andn2_b64 vcc, exec, s[8:9]
	s_cbranch_vccnz .LBB161_768
; %bb.767:
	v_cvt_f32_f64_e32 v2, v[0:1]
	global_store_dword v[4:5], v2, off
.LBB161_768:
	s_mov_b64 s[8:9], 0
.LBB161_769:
	s_andn2_b64 vcc, exec, s[8:9]
	s_cbranch_vccnz .LBB161_771
; %bb.770:
	v_cvt_f32_f64_e32 v2, v[0:1]
	v_cvt_f16_f32_e32 v2, v2
	global_store_short v[4:5], v2, off
.LBB161_771:
	s_mov_b64 s[8:9], 0
.LBB161_772:
	s_andn2_b64 vcc, exec, s[8:9]
	s_cbranch_vccnz .LBB161_788
; %bb.773:
	v_mov_b32_e32 v2, 2
	v_cmp_lt_i16_sdwa s[10:11], v41, v2 src0_sel:BYTE_0 src1_sel:DWORD
	s_mov_b64 s[8:9], -1
	s_and_b64 vcc, exec, s[10:11]
	s_cbranch_vccnz .LBB161_783
; %bb.774:
	v_mov_b32_e32 v2, 3
	v_cmp_lt_i16_sdwa s[10:11], v41, v2 src0_sel:BYTE_0 src1_sel:DWORD
	s_and_b64 vcc, exec, s[10:11]
	s_cbranch_vccnz .LBB161_780
; %bb.775:
	v_cmp_gt_i16_sdwa s[10:11], v41, v2 src0_sel:BYTE_0 src1_sel:DWORD
	s_and_b64 vcc, exec, s[10:11]
	s_cbranch_vccz .LBB161_777
; %bb.776:
	v_trunc_f64_e32 v[2:3], v[0:1]
	s_movk_i32 s8, 0xffe0
	v_ldexp_f64 v[6:7], v[2:3], s8
	v_floor_f64_e32 v[6:7], v[6:7]
	v_fmac_f64_e32 v[2:3], 0xc1f00000, v[6:7]
	v_cvt_i32_f64_e32 v9, v[6:7]
	v_cvt_u32_f64_e32 v8, v[2:3]
	s_mov_b64 s[8:9], 0
	global_store_dwordx2 v[4:5], v[8:9], off
.LBB161_777:
	s_andn2_b64 vcc, exec, s[8:9]
	s_cbranch_vccnz .LBB161_779
; %bb.778:
	v_cvt_i32_f64_e32 v2, v[0:1]
	global_store_dword v[4:5], v2, off
.LBB161_779:
	s_mov_b64 s[8:9], 0
.LBB161_780:
	s_andn2_b64 vcc, exec, s[8:9]
	s_cbranch_vccnz .LBB161_782
; %bb.781:
	v_cvt_i32_f64_e32 v2, v[0:1]
	global_store_short v[4:5], v2, off
.LBB161_782:
	s_mov_b64 s[8:9], 0
.LBB161_783:
	s_andn2_b64 vcc, exec, s[8:9]
	s_cbranch_vccnz .LBB161_788
; %bb.784:
	v_mov_b32_e32 v2, 0
	v_cmp_gt_i16_sdwa s[10:11], v41, v2 src0_sel:BYTE_0 src1_sel:DWORD
	s_mov_b64 s[8:9], -1
	s_and_b64 vcc, exec, s[10:11]
	s_cbranch_vccz .LBB161_786
; %bb.785:
	v_cvt_i32_f64_e32 v2, v[0:1]
	s_mov_b64 s[8:9], 0
	global_store_byte v[4:5], v2, off
.LBB161_786:
	s_andn2_b64 vcc, exec, s[8:9]
	s_cbranch_vccnz .LBB161_788
; %bb.787:
	v_trunc_f64_e32 v[0:1], v[0:1]
	s_movk_i32 s8, 0xffe0
	v_ldexp_f64 v[2:3], v[0:1], s8
	v_floor_f64_e32 v[2:3], v[2:3]
	v_fmac_f64_e32 v[0:1], 0xc1f00000, v[2:3]
	v_cvt_u32_f64_e32 v0, v[0:1]
	global_store_byte v[4:5], v0, off
.LBB161_788:
	s_mov_b64 s[8:9], -1
.LBB161_789:
	s_andn2_b64 vcc, exec, s[8:9]
	s_cbranch_vccnz .LBB161_791
; %bb.790:
	v_add_u32_e32 v45, 0x80, v45
	s_mov_b64 s[8:9], -1
	s_branch .LBB161_792
.LBB161_791:
	s_mov_b64 s[8:9], 0
                                        ; implicit-def: $vgpr45
.LBB161_792:
	v_readlane_b32 s10, v70, 8
	v_readlane_b32 s12, v70, 3
	;; [unrolled: 1-line block ×6, first 2 shown]
.LBB161_793:
	s_andn2_b64 s[10:11], s[10:11], exec
	s_and_b64 s[6:7], s[6:7], exec
	s_or_b64 s[6:7], s[10:11], s[6:7]
	v_writelane_b32 v70, s6, 13
	v_writelane_b32 v70, s7, 14
	s_andn2_b64 s[6:7], s[12:13], exec
	s_and_b64 s[10:11], s[14:15], exec
	s_or_b64 s[94:95], s[6:7], s[10:11]
	v_readlane_b32 s6, v70, 1
	v_readlane_b32 s10, v70, 19
	;; [unrolled: 1-line block ×4, first 2 shown]
	s_andn2_b64 s[6:7], s[6:7], exec
	s_and_b64 s[10:11], s[10:11], exec
	s_or_b64 s[80:81], s[6:7], s[10:11]
	s_orn2_b64 s[6:7], s[8:9], exec
.LBB161_794:
	v_readlane_b32 s8, v70, 15
	v_readlane_b32 s9, v70, 16
	s_or_b64 exec, exec, s[8:9]
	s_mov_b64 s[12:13], 0
	s_mov_b64 s[10:11], 0
	;; [unrolled: 1-line block ×3, first 2 shown]
                                        ; implicit-def: $vgpr1
                                        ; implicit-def: $vgpr2_vgpr3
                                        ; implicit-def: $vgpr0
                                        ; implicit-def: $vgpr42
                                        ; implicit-def: $vgpr4_vgpr5
	s_mov_b64 s[14:15], exec
	v_writelane_b32 v70, s14, 17
	s_and_b64 s[6:7], s[14:15], s[6:7]
	v_writelane_b32 v70, s15, 18
	s_mov_b64 exec, s[6:7]
	s_cbranch_execz .LBB161_1292
; %bb.795:
	v_readlane_b32 s6, v70, 0
	v_readlane_b32 s10, v70, 13
	v_cmp_gt_i32_e32 vcc, s6, v45
	s_mov_b64 s[20:21], -1
	s_mov_b64 s[6:7], s[80:81]
	s_mov_b64 s[8:9], s[94:95]
	v_readlane_b32 s11, v70, 14
	s_mov_b64 s[12:13], exec
	v_writelane_b32 v70, s12, 25
	v_writelane_b32 v70, s13, 26
	s_and_b64 s[12:13], s[12:13], vcc
	s_mov_b64 exec, s[12:13]
	s_cbranch_execz .LBB161_1198
; %bb.796:
	s_andn2_b64 vcc, exec, s[86:87]
	s_cbranch_vccnz .LBB161_803
; %bb.797:
	v_readlane_b32 s6, v70, 5
	v_readlane_b32 s7, v70, 6
	s_andn2_b64 vcc, exec, s[6:7]
	s_waitcnt vmcnt(0)
	v_mov_b32_e32 v2, 0
	v_mov_b32_e32 v0, 0
	;; [unrolled: 1-line block ×3, first 2 shown]
	s_cbranch_vccnz .LBB161_802
; %bb.798:
	v_readlane_b32 s9, v70, 7
	s_add_i32 s6, s9, 1
	s_and_b32 s8, s6, 30
	s_add_u32 s6, s74, 0xffffffec
	s_addc_u32 s7, s75, -1
	v_mov_b32_e32 v42, 0
	v_mov_b32_e32 v1, v45
	;; [unrolled: 1-line block ×4, first 2 shown]
.LBB161_799:                            ; =>This Inner Loop Header: Depth=1
	s_mov_b64 s[10:11], s[6:7]
	s_load_dwordx4 s[12:15], s[10:11], 0x18
	s_load_dwordx2 s[20:21], s[10:11], 0x28
	s_load_dwordx2 s[22:23], s[10:11], 0xe8
	s_load_dwordx4 s[16:19], s[10:11], 0xd8
	s_add_u32 s6, s10, 24
	s_waitcnt lgkmcnt(0)
	v_mul_hi_u32 v3, s13, v1
	v_add_u32_e32 v3, v1, v3
	v_lshrrev_b32_e32 v3, s14, v3
	v_mul_lo_u32 v4, v3, s12
	v_mul_hi_u32 v5, s20, v3
	v_sub_u32_e32 v1, v1, v4
	v_add_u32_e32 v4, v3, v5
	v_mul_lo_u32 v5, v1, s16
	v_mul_lo_u32 v6, v1, s17
	;; [unrolled: 1-line block ×3, first 2 shown]
	v_lshrrev_b32_e32 v1, s21, v4
	v_mul_lo_u32 v4, v1, s15
	v_sub_u32_e32 v3, v3, v4
	s_addc_u32 s7, s11, 0
	s_add_i32 s8, s8, -2
	v_mul_lo_u32 v4, v3, s19
	v_mul_lo_u32 v8, v3, s22
	v_mul_lo_u32 v3, v3, s23
	s_cmp_eq_u32 s8, 0
	v_add3_u32 v42, v5, v42, v4
	v_add3_u32 v2, v7, v2, v3
	;; [unrolled: 1-line block ×3, first 2 shown]
	s_cbranch_scc0 .LBB161_799
; %bb.800:
	s_bitcmp1_b32 s9, 0
	s_cselect_b64 s[8:9], -1, 0
	s_and_b64 vcc, exec, s[8:9]
	s_cbranch_vccnz .LBB161_802
; %bb.801:
	s_load_dwordx2 s[8:9], s[6:7], 0x18
	s_load_dword s10, s[6:7], 0x20
	s_load_dword s11, s[6:7], 0xe0
	s_nop 0
	s_load_dwordx2 s[6:7], s[6:7], 0xd8
	s_waitcnt lgkmcnt(0)
	v_mul_hi_u32 v3, s9, v1
	v_add_u32_e32 v3, v1, v3
	v_lshrrev_b32_e32 v3, s10, v3
	v_mul_lo_u32 v3, v3, s8
	v_sub_u32_e32 v3, v1, v3
	v_mad_u64_u32 v[42:43], s[8:9], v3, s6, v[42:43]
	v_mad_u64_u32 v[0:1], s[6:7], v3, s7, v[0:1]
	;; [unrolled: 1-line block ×3, first 2 shown]
.LBB161_802:
	s_mov_b64 s[6:7], 0
	s_branch .LBB161_804
.LBB161_803:
	s_mov_b64 s[6:7], -1
                                        ; implicit-def: $vgpr2
                                        ; implicit-def: $vgpr0
                                        ; implicit-def: $vgpr42
.LBB161_804:
	s_andn2_b64 vcc, exec, s[6:7]
	s_cbranch_vccnz .LBB161_807
; %bb.805:
	s_waitcnt vmcnt(0) lgkmcnt(0)
	v_mul_hi_u32 v0, s49, v45
	v_add_u32_e32 v0, v45, v0
	v_lshrrev_b32_e32 v1, s50, v0
	v_mul_lo_u32 v0, v1, s48
	v_sub_u32_e32 v0, v45, v0
	v_mul_lo_u32 v42, v0, s96
	v_mul_lo_u32 v2, v0, s98
	s_andn2_b64 vcc, exec, s[56:57]
	v_mul_lo_u32 v0, v0, s97
	s_cbranch_vccnz .LBB161_807
; %bb.806:
	v_mul_hi_u32 v3, s84, v1
	v_add_u32_e32 v3, v1, v3
	v_lshrrev_b32_e32 v3, s85, v3
	v_mul_lo_u32 v3, v3, s51
	v_sub_u32_e32 v3, v1, v3
	v_mad_u64_u32 v[42:43], s[6:7], v3, s99, v[42:43]
	v_mad_u64_u32 v[0:1], s[6:7], v3, s38, v[0:1]
	;; [unrolled: 1-line block ×3, first 2 shown]
.LBB161_807:
	s_waitcnt vmcnt(0) lgkmcnt(0)
	v_mov_b32_e32 v1, s43
	v_add_co_u32_e32 v4, vcc, s42, v0
	v_mov_b32_e32 v0, 11
	v_addc_co_u32_e32 v5, vcc, 0, v1, vcc
	v_cmp_lt_i16_sdwa s[6:7], v46, v0 src0_sel:BYTE_0 src1_sel:DWORD
	s_and_b64 vcc, exec, s[6:7]
	s_cbranch_vccnz .LBB161_814
; %bb.808:
	v_mov_b32_e32 v0, 25
	v_cmp_gt_i16_sdwa s[6:7], v46, v0 src0_sel:BYTE_0 src1_sel:DWORD
	s_and_b64 vcc, exec, s[6:7]
	s_cbranch_vccz .LBB161_815
; %bb.809:
	v_mov_b32_e32 v0, 28
	v_cmp_gt_i16_sdwa s[6:7], v46, v0 src0_sel:BYTE_0 src1_sel:DWORD
	s_and_b64 vcc, exec, s[6:7]
	s_cbranch_vccz .LBB161_816
	;; [unrolled: 5-line block ×4, first 2 shown]
; %bb.812:
	v_mov_b32_e32 v0, 46
	v_cmp_eq_u16_sdwa s[6:7], v46, v0 src0_sel:BYTE_0 src1_sel:DWORD
	s_mov_b64 s[8:9], 0
	s_and_b64 vcc, exec, s[6:7]
	s_cbranch_vccz .LBB161_821
; %bb.813:
	global_load_dword v0, v[4:5], off
	s_mov_b64 s[10:11], 0
	v_writelane_b32 v70, s10, 27
	s_mov_b64 s[6:7], -1
	v_writelane_b32 v70, s11, 28
	s_waitcnt vmcnt(0)
	v_lshlrev_b32_e32 v0, 16, v0
	v_cvt_f64_f32_e32 v[0:1], v0
	s_branch .LBB161_822
.LBB161_814:
	v_writelane_b32 v70, s80, 27
	s_mov_b64 s[8:9], -1
	s_mov_b64 s[6:7], 0
                                        ; implicit-def: $vgpr0_vgpr1
	v_writelane_b32 v70, s81, 28
	s_branch .LBB161_887
.LBB161_815:
	s_mov_b64 s[8:9], -1
	s_mov_b64 s[6:7], 0
	v_writelane_b32 v70, s80, 27
                                        ; implicit-def: $vgpr0_vgpr1
	v_writelane_b32 v70, s81, 28
	s_branch .LBB161_851
.LBB161_816:
	s_mov_b64 s[8:9], -1
	s_mov_b64 s[6:7], 0
	v_writelane_b32 v70, s80, 27
                                        ; implicit-def: $vgpr0_vgpr1
	v_writelane_b32 v70, s81, 28
	s_branch .LBB161_832
.LBB161_817:
	s_mov_b64 s[8:9], -1
	s_mov_b64 s[6:7], 0
	v_writelane_b32 v70, s80, 27
                                        ; implicit-def: $vgpr0_vgpr1
	v_writelane_b32 v70, s81, 28
	s_branch .LBB161_827
.LBB161_818:
	s_mov_b64 s[8:9], -1
	s_mov_b64 s[6:7], 0
	v_writelane_b32 v70, s80, 27
	v_writelane_b32 v70, s81, 28
                                        ; implicit-def: $vgpr0_vgpr1
	s_branch .LBB161_822
.LBB161_819:
	s_or_saveexec_b64 s[12:13], s[12:13]
                                        ; implicit-def: $sgpr14
	s_xor_b64 exec, exec, s[12:13]
	s_cbranch_execz .LBB161_702
.LBB161_820:
	s_mov_b32 s14, 0x46000000
	v_add_f32_e64 v3, |v2|, s14
	v_and_b32_e32 v3, 0xff, v3
	v_cmp_ne_u32_e32 vcc, 0, v3
	s_andn2_b64 s[10:11], s[10:11], exec
	s_and_b64 s[16:17], vcc, exec
	s_mov_b32 s14, 0
	s_or_b64 s[10:11], s[10:11], s[16:17]
	s_or_b64 exec, exec, s[12:13]
	v_mov_b32_e32 v6, s14
	s_and_saveexec_b64 s[12:13], s[10:11]
	s_cbranch_execnz .LBB161_703
	s_branch .LBB161_704
.LBB161_821:
	s_mov_b64 s[6:7], -1
	v_writelane_b32 v70, s6, 27
	v_writelane_b32 v70, s7, 28
                                        ; implicit-def: $vgpr0_vgpr1
	s_mov_b64 s[6:7], 0
.LBB161_822:
	s_and_b64 vcc, exec, s[8:9]
	s_cbranch_vccz .LBB161_826
; %bb.823:
	v_mov_b32_e32 v0, 44
	v_cmp_eq_u16_sdwa s[8:9], v46, v0 src0_sel:BYTE_0 src1_sel:DWORD
	s_and_b64 vcc, exec, s[8:9]
	s_cbranch_vccz .LBB161_825
; %bb.824:
	global_load_ubyte v3, v[4:5], off
	s_movk_i32 s8, 0xff
	v_bfrev_b32_e32 v6, 4
	v_mov_b32_e32 v7, 0x7ff80000
	v_bfrev_b32_e32 v8, 28
	s_mov_b64 s[6:7], -1
	s_waitcnt vmcnt(0)
	v_lshlrev_b32_e32 v0, 23, v3
	v_cvt_f64_f32_e32 v[0:1], v0
	v_cmp_ne_u32_e32 vcc, s8, v3
	v_cndmask_b32_e32 v0, v6, v0, vcc
	v_cndmask_b32_e32 v1, v7, v1, vcc
	v_cmp_ne_u32_e32 vcc, 0, v3
	s_mov_b64 s[8:9], 0
	v_cndmask_b32_e32 v1, v8, v1, vcc
	v_cndmask_b32_e32 v0, 0, v0, vcc
	v_writelane_b32 v70, s8, 27
	v_writelane_b32 v70, s9, 28
	s_branch .LBB161_826
.LBB161_825:
	s_mov_b64 s[8:9], -1
	v_writelane_b32 v70, s8, 27
	v_writelane_b32 v70, s9, 28
                                        ; implicit-def: $vgpr0_vgpr1
.LBB161_826:
	s_mov_b64 s[8:9], 0
.LBB161_827:
	s_and_b64 vcc, exec, s[8:9]
	s_cbranch_vccz .LBB161_831
; %bb.828:
	v_mov_b32_e32 v0, 29
	v_cmp_eq_u16_sdwa s[8:9], v46, v0 src0_sel:BYTE_0 src1_sel:DWORD
	s_and_b64 vcc, exec, s[8:9]
	s_cbranch_vccz .LBB161_830
; %bb.829:
	global_load_dwordx2 v[0:1], v[4:5], off
	s_mov_b64 s[8:9], 0
	v_writelane_b32 v70, s8, 27
	s_mov_b64 s[6:7], -1
	v_writelane_b32 v70, s9, 28
	s_mov_b64 s[8:9], 0
	s_waitcnt vmcnt(0)
	v_cvt_f64_u32_e32 v[6:7], v1
	v_cvt_f64_u32_e32 v[0:1], v0
	v_ldexp_f64 v[6:7], v[6:7], 32
	v_add_f64 v[0:1], v[6:7], v[0:1]
	s_branch .LBB161_832
.LBB161_830:
	s_mov_b64 s[8:9], -1
	v_writelane_b32 v70, s8, 27
	v_writelane_b32 v70, s9, 28
                                        ; implicit-def: $vgpr0_vgpr1
.LBB161_831:
	s_mov_b64 s[8:9], 0
.LBB161_832:
	s_and_b64 vcc, exec, s[8:9]
	s_cbranch_vccz .LBB161_850
; %bb.833:
	v_mov_b32_e32 v0, 27
	v_cmp_lt_i16_sdwa s[6:7], v46, v0 src0_sel:BYTE_0 src1_sel:DWORD
	s_and_b64 vcc, exec, s[6:7]
	s_cbranch_vccnz .LBB161_836
; %bb.834:
	v_cmp_gt_i16_sdwa s[6:7], v46, v0 src0_sel:BYTE_0 src1_sel:DWORD
	s_and_b64 vcc, exec, s[6:7]
	s_cbranch_vccz .LBB161_837
; %bb.835:
	global_load_dword v0, v[4:5], off
	s_mov_b64 s[6:7], 0
	s_waitcnt vmcnt(0)
	v_cvt_f64_u32_e32 v[0:1], v0
	s_branch .LBB161_838
.LBB161_836:
	s_mov_b64 s[6:7], -1
                                        ; implicit-def: $vgpr0_vgpr1
	s_branch .LBB161_841
.LBB161_837:
	s_mov_b64 s[6:7], -1
                                        ; implicit-def: $vgpr0_vgpr1
.LBB161_838:
	s_andn2_b64 vcc, exec, s[6:7]
	s_cbranch_vccnz .LBB161_840
; %bb.839:
	global_load_ushort v0, v[4:5], off
	s_waitcnt vmcnt(0)
	v_cvt_f64_u32_e32 v[0:1], v0
.LBB161_840:
	s_mov_b64 s[6:7], 0
.LBB161_841:
	s_andn2_b64 vcc, exec, s[6:7]
	s_cbranch_vccnz .LBB161_849
; %bb.842:
	global_load_ubyte v3, v[4:5], off
	s_movk_i32 s6, 0x7f
                                        ; implicit-def: $sgpr8_sgpr9
	s_waitcnt vmcnt(0)
	v_cmp_lt_i16_e32 vcc, s6, v3
	s_mov_b64 s[6:7], 0
	s_and_saveexec_b64 s[10:11], vcc
	s_xor_b64 s[10:11], exec, s[10:11]
	s_cbranch_execz .LBB161_863
; %bb.843:
	s_movk_i32 s6, 0x80
	v_cmp_eq_u16_e32 vcc, s6, v3
	s_mov_b64 s[12:13], -1
                                        ; implicit-def: $sgpr8_sgpr9
	s_and_saveexec_b64 s[6:7], vcc
; %bb.844:
	s_mov_b32 s9, 0x7ff80000
	s_brev_b32 s8, 4
	s_xor_b64 s[12:13], exec, -1
; %bb.845:
	s_or_b64 exec, exec, s[6:7]
	s_and_b64 s[6:7], s[12:13], exec
	s_or_saveexec_b64 s[10:11], s[10:11]
	v_pk_mov_b32 v[0:1], s[8:9], s[8:9] op_sel:[0,1]
	s_xor_b64 exec, exec, s[10:11]
	s_cbranch_execnz .LBB161_864
.LBB161_846:
	s_or_b64 exec, exec, s[10:11]
	s_and_saveexec_b64 s[8:9], s[6:7]
	s_cbranch_execz .LBB161_848
.LBB161_847:
	v_and_b32_e32 v1, 0xffff, v3
	v_lshlrev_b32_e32 v0, 24, v3
	v_and_b32_e32 v3, 7, v1
	v_ffbh_u32_e32 v7, v3
	v_min_u32_e32 v7, 32, v7
	v_subrev_u32_e32 v8, 28, v7
	v_bfe_u32 v6, v1, 3, 4
	v_lshlrev_b32_e32 v1, v8, v1
	v_sub_u32_e32 v7, 29, v7
	v_and_b32_e32 v1, 7, v1
	v_cmp_eq_u32_e32 vcc, 0, v6
	v_cndmask_b32_e32 v6, v6, v7, vcc
	v_cndmask_b32_e32 v1, v3, v1, vcc
	v_mov_b32_e32 v3, 0x3b800000
	v_lshlrev_b32_e32 v1, 20, v1
	v_and_b32_e32 v0, 0x80000000, v0
	v_lshl_add_u32 v3, v6, 23, v3
	v_or3_b32 v0, v0, v3, v1
	v_cvt_f64_f32_e32 v[0:1], v0
.LBB161_848:
	s_or_b64 exec, exec, s[8:9]
.LBB161_849:
	s_mov_b64 s[6:7], -1
.LBB161_850:
	s_mov_b64 s[8:9], 0
.LBB161_851:
	s_and_b64 vcc, exec, s[8:9]
	s_cbranch_vccz .LBB161_886
; %bb.852:
	v_mov_b32_e32 v0, 22
	v_cmp_gt_i16_sdwa s[8:9], v46, v0 src0_sel:BYTE_0 src1_sel:DWORD
	s_and_b64 vcc, exec, s[8:9]
	s_cbranch_vccz .LBB161_862
; %bb.853:
	v_mov_b32_e32 v0, 24
	v_cmp_lt_i16_sdwa s[6:7], v46, v0 src0_sel:BYTE_0 src1_sel:DWORD
	s_and_b64 vcc, exec, s[6:7]
	s_cbranch_vccnz .LBB161_865
; %bb.854:
	v_cmp_gt_i16_sdwa s[6:7], v46, v0 src0_sel:BYTE_0 src1_sel:DWORD
	s_and_b64 vcc, exec, s[6:7]
	s_cbranch_vccz .LBB161_866
; %bb.855:
	global_load_ubyte v3, v[4:5], off
	s_movk_i32 s6, 0x7f
                                        ; implicit-def: $sgpr8_sgpr9
	s_waitcnt vmcnt(0)
	v_cmp_lt_i16_e32 vcc, s6, v3
	s_mov_b64 s[6:7], 0
	s_and_saveexec_b64 s[10:11], vcc
	s_xor_b64 s[10:11], exec, s[10:11]
	s_cbranch_execz .LBB161_878
; %bb.856:
	s_movk_i32 s6, 0x80
	v_cmp_eq_u16_e32 vcc, s6, v3
	s_mov_b64 s[12:13], -1
                                        ; implicit-def: $sgpr8_sgpr9
	s_and_saveexec_b64 s[6:7], vcc
; %bb.857:
	s_mov_b32 s9, 0x7ff80000
	s_brev_b32 s8, 4
	s_xor_b64 s[12:13], exec, -1
; %bb.858:
	s_or_b64 exec, exec, s[6:7]
	s_and_b64 s[6:7], s[12:13], exec
	s_or_saveexec_b64 s[10:11], s[10:11]
	v_pk_mov_b32 v[0:1], s[8:9], s[8:9] op_sel:[0,1]
	s_xor_b64 exec, exec, s[10:11]
	s_cbranch_execnz .LBB161_879
.LBB161_859:
	s_or_b64 exec, exec, s[10:11]
	s_and_saveexec_b64 s[8:9], s[6:7]
	s_cbranch_execz .LBB161_861
.LBB161_860:
	v_and_b32_e32 v1, 0xffff, v3
	v_lshlrev_b32_e32 v0, 24, v3
	v_and_b32_e32 v3, 3, v1
	v_ffbh_u32_e32 v7, v3
	v_min_u32_e32 v7, 32, v7
	v_subrev_u32_e32 v8, 29, v7
	v_bfe_u32 v6, v1, 2, 5
	v_lshlrev_b32_e32 v1, v8, v1
	v_sub_u32_e32 v7, 30, v7
	v_and_b32_e32 v1, 3, v1
	v_cmp_eq_u32_e32 vcc, 0, v6
	v_cndmask_b32_e32 v6, v6, v7, vcc
	v_cndmask_b32_e32 v1, v3, v1, vcc
	v_mov_b32_e32 v3, 0x37800000
	v_lshlrev_b32_e32 v1, 21, v1
	v_and_b32_e32 v0, 0x80000000, v0
	v_lshl_add_u32 v3, v6, 23, v3
	v_or3_b32 v0, v0, v3, v1
	v_cvt_f64_f32_e32 v[0:1], v0
.LBB161_861:
	s_or_b64 exec, exec, s[8:9]
	s_mov_b64 s[6:7], 0
	s_branch .LBB161_867
.LBB161_862:
	s_mov_b64 s[8:9], -1
                                        ; implicit-def: $vgpr0_vgpr1
	s_branch .LBB161_873
.LBB161_863:
	s_or_saveexec_b64 s[10:11], s[10:11]
	v_pk_mov_b32 v[0:1], s[8:9], s[8:9] op_sel:[0,1]
	s_xor_b64 exec, exec, s[10:11]
	s_cbranch_execz .LBB161_846
.LBB161_864:
	v_cmp_ne_u16_e32 vcc, 0, v3
	s_andn2_b64 s[6:7], s[6:7], exec
	s_and_b64 s[8:9], vcc, exec
	v_pk_mov_b32 v[0:1], 0, 0
	s_or_b64 s[6:7], s[6:7], s[8:9]
	s_or_b64 exec, exec, s[10:11]
	s_and_saveexec_b64 s[8:9], s[6:7]
	s_cbranch_execnz .LBB161_847
	s_branch .LBB161_848
.LBB161_865:
	s_mov_b64 s[6:7], -1
                                        ; implicit-def: $vgpr0_vgpr1
	s_branch .LBB161_870
.LBB161_866:
	s_mov_b64 s[6:7], -1
                                        ; implicit-def: $vgpr0_vgpr1
.LBB161_867:
	s_and_b64 vcc, exec, s[6:7]
	s_cbranch_vccz .LBB161_869
; %bb.868:
	global_load_ubyte v0, v[4:5], off
	s_mov_b32 s6, 0x7f800000
	s_waitcnt vmcnt(0)
	v_lshlrev_b32_e32 v0, 24, v0
	v_and_b32_e32 v1, 0x7f000000, v0
	v_ffbh_u32_e32 v3, v1
	v_min_u32_e32 v3, 32, v3
	v_sub_u32_e64 v3, v3, 4 clamp
	v_lshlrev_b32_e32 v7, v3, v1
	v_lshlrev_b32_e32 v3, 23, v3
	v_lshrrev_b32_e32 v7, 4, v7
	v_add_u32_e32 v6, 0x1000000, v1
	v_sub_u32_e32 v3, v7, v3
	v_ashrrev_i32_e32 v6, 8, v6
	v_add_u32_e32 v3, 0x3c000000, v3
	v_and_or_b32 v3, v6, s6, v3
	v_cmp_ne_u32_e32 vcc, 0, v1
	v_cndmask_b32_e32 v1, 0, v3, vcc
	s_brev_b32 s6, 1
	v_and_or_b32 v0, v0, s6, v1
	v_cvt_f64_f32_e32 v[0:1], v0
.LBB161_869:
	s_mov_b64 s[6:7], 0
.LBB161_870:
	s_andn2_b64 vcc, exec, s[6:7]
	s_cbranch_vccnz .LBB161_872
; %bb.871:
	global_load_ubyte v0, v[4:5], off
	s_movk_i32 s6, 0x7f00
	s_brev_b32 s7, 16
	s_waitcnt vmcnt(0)
	v_lshlrev_b16_e32 v1, 8, v0
	v_lshlrev_b32_e32 v0, 25, v0
	v_lshrrev_b32_e32 v3, 4, v0
	v_and_or_b32 v6, v1, s6, 0.5
	v_or_b32_e32 v3, 0x70000000, v3
	v_add_f32_e32 v6, -0.5, v6
	v_mul_f32_e32 v3, 0x7800000, v3
	v_cmp_gt_u32_e32 vcc, s7, v0
	v_bfe_i32 v1, v1, 0, 16
	v_cndmask_b32_e32 v0, v3, v6, vcc
	s_brev_b32 s6, 1
	v_and_or_b32 v0, v1, s6, v0
	v_cvt_f64_f32_e32 v[0:1], v0
.LBB161_872:
	s_mov_b64 s[8:9], 0
	s_mov_b64 s[6:7], -1
.LBB161_873:
	s_andn2_b64 vcc, exec, s[8:9]
	s_cbranch_vccnz .LBB161_886
; %bb.874:
	v_mov_b32_e32 v0, 14
	v_cmp_gt_i16_sdwa s[8:9], v46, v0 src0_sel:BYTE_0 src1_sel:DWORD
	s_and_b64 vcc, exec, s[8:9]
	s_cbranch_vccz .LBB161_877
; %bb.875:
	v_mov_b32_e32 v0, 15
	v_cmp_eq_u16_sdwa s[8:9], v46, v0 src0_sel:BYTE_0 src1_sel:DWORD
	s_and_b64 vcc, exec, s[8:9]
	s_cbranch_vccz .LBB161_880
; %bb.876:
	global_load_ushort v0, v[4:5], off
	s_mov_b64 s[8:9], 0
	v_writelane_b32 v70, s8, 27
	s_mov_b64 s[6:7], -1
	v_writelane_b32 v70, s9, 28
	s_waitcnt vmcnt(0)
	v_lshlrev_b32_e32 v0, 16, v0
	v_cvt_f64_f32_e32 v[0:1], v0
	s_branch .LBB161_881
.LBB161_877:
	s_mov_b64 s[8:9], -1
                                        ; implicit-def: $vgpr0_vgpr1
	s_branch .LBB161_882
.LBB161_878:
	s_or_saveexec_b64 s[10:11], s[10:11]
	v_pk_mov_b32 v[0:1], s[8:9], s[8:9] op_sel:[0,1]
	s_xor_b64 exec, exec, s[10:11]
	s_cbranch_execz .LBB161_859
.LBB161_879:
	v_cmp_ne_u16_e32 vcc, 0, v3
	s_andn2_b64 s[6:7], s[6:7], exec
	s_and_b64 s[8:9], vcc, exec
	v_pk_mov_b32 v[0:1], 0, 0
	s_or_b64 s[6:7], s[6:7], s[8:9]
	s_or_b64 exec, exec, s[10:11]
	s_and_saveexec_b64 s[8:9], s[6:7]
	s_cbranch_execnz .LBB161_860
	s_branch .LBB161_861
.LBB161_880:
	s_mov_b64 s[8:9], -1
	v_writelane_b32 v70, s8, 27
	v_writelane_b32 v70, s9, 28
                                        ; implicit-def: $vgpr0_vgpr1
.LBB161_881:
	s_mov_b64 s[8:9], 0
.LBB161_882:
	s_and_b64 vcc, exec, s[8:9]
	s_cbranch_vccz .LBB161_886
; %bb.883:
	v_mov_b32_e32 v0, 11
	v_cmp_eq_u16_sdwa s[8:9], v46, v0 src0_sel:BYTE_0 src1_sel:DWORD
	s_and_b64 vcc, exec, s[8:9]
	s_cbranch_vccz .LBB161_885
; %bb.884:
	global_load_ubyte v1, v[4:5], off
	v_mov_b32_e32 v3, 0x3ff00000
	s_mov_b64 s[8:9], 0
	v_mov_b32_e32 v0, 0
	s_mov_b64 s[6:7], -1
	v_writelane_b32 v70, s8, 27
	v_writelane_b32 v70, s9, 28
	s_waitcnt vmcnt(0)
	v_cmp_ne_u16_e32 vcc, 0, v1
	v_cndmask_b32_e32 v1, 0, v3, vcc
	s_branch .LBB161_886
.LBB161_885:
	s_mov_b64 s[8:9], -1
	v_writelane_b32 v70, s8, 27
	v_writelane_b32 v70, s9, 28
                                        ; implicit-def: $vgpr0_vgpr1
.LBB161_886:
	s_mov_b64 s[8:9], 0
.LBB161_887:
	s_and_b64 vcc, exec, s[8:9]
	s_mov_b64 s[8:9], s[94:95]
	s_cbranch_vccz .LBB161_936
; %bb.888:
	v_mov_b32_e32 v0, 5
	v_cmp_lt_i16_sdwa s[6:7], v46, v0 src0_sel:BYTE_0 src1_sel:DWORD
	s_and_b64 vcc, exec, s[6:7]
	s_cbranch_vccnz .LBB161_893
; %bb.889:
	v_mov_b32_e32 v0, 8
	v_cmp_lt_i16_sdwa s[6:7], v46, v0 src0_sel:BYTE_0 src1_sel:DWORD
	s_and_b64 vcc, exec, s[6:7]
	s_cbranch_vccnz .LBB161_894
	;; [unrolled: 5-line block ×3, first 2 shown]
; %bb.891:
	v_cmp_gt_i16_sdwa s[6:7], v46, v0 src0_sel:BYTE_0 src1_sel:DWORD
	s_and_b64 vcc, exec, s[6:7]
	s_cbranch_vccz .LBB161_896
; %bb.892:
	global_load_dwordx2 v[0:1], v[4:5], off
	s_mov_b64 s[6:7], 0
	s_branch .LBB161_897
.LBB161_893:
	s_mov_b64 s[6:7], -1
                                        ; implicit-def: $vgpr0_vgpr1
	s_branch .LBB161_915
.LBB161_894:
	s_mov_b64 s[6:7], -1
                                        ; implicit-def: $vgpr0_vgpr1
	s_branch .LBB161_903
.LBB161_895:
	s_mov_b64 s[6:7], -1
                                        ; implicit-def: $vgpr0_vgpr1
	s_branch .LBB161_900
.LBB161_896:
	s_mov_b64 s[6:7], -1
                                        ; implicit-def: $vgpr0_vgpr1
.LBB161_897:
	s_andn2_b64 vcc, exec, s[6:7]
	s_cbranch_vccnz .LBB161_899
; %bb.898:
	global_load_dword v0, v[4:5], off
	s_waitcnt vmcnt(0)
	v_cvt_f64_f32_e32 v[0:1], v0
.LBB161_899:
	s_mov_b64 s[6:7], 0
.LBB161_900:
	s_andn2_b64 vcc, exec, s[6:7]
	s_cbranch_vccnz .LBB161_902
; %bb.901:
	global_load_dword v0, v[4:5], off
	s_waitcnt vmcnt(0)
	v_cvt_f32_f16_e32 v0, v0
	v_cvt_f64_f32_e32 v[0:1], v0
.LBB161_902:
	s_mov_b64 s[6:7], 0
.LBB161_903:
	s_andn2_b64 vcc, exec, s[6:7]
	s_cbranch_vccnz .LBB161_914
; %bb.904:
	s_waitcnt vmcnt(0)
	v_mov_b32_e32 v0, 6
	v_cmp_lt_i16_sdwa s[6:7], v46, v0 src0_sel:BYTE_0 src1_sel:DWORD
	s_and_b64 vcc, exec, s[6:7]
	s_cbranch_vccnz .LBB161_907
; %bb.905:
	v_cmp_gt_i16_sdwa s[6:7], v46, v0 src0_sel:BYTE_0 src1_sel:DWORD
	s_and_b64 vcc, exec, s[6:7]
	s_cbranch_vccz .LBB161_908
; %bb.906:
	global_load_dwordx2 v[0:1], v[4:5], off
	s_mov_b64 s[6:7], 0
	s_branch .LBB161_909
.LBB161_907:
	s_mov_b64 s[6:7], -1
                                        ; implicit-def: $vgpr0_vgpr1
	s_branch .LBB161_912
.LBB161_908:
	s_mov_b64 s[6:7], -1
                                        ; implicit-def: $vgpr0_vgpr1
.LBB161_909:
	s_andn2_b64 vcc, exec, s[6:7]
	s_cbranch_vccnz .LBB161_911
; %bb.910:
	global_load_dword v0, v[4:5], off
	s_waitcnt vmcnt(0)
	v_cvt_f64_f32_e32 v[0:1], v0
.LBB161_911:
	s_mov_b64 s[6:7], 0
.LBB161_912:
	s_andn2_b64 vcc, exec, s[6:7]
	s_cbranch_vccnz .LBB161_914
; %bb.913:
	global_load_ushort v0, v[4:5], off
	s_waitcnt vmcnt(0)
	v_cvt_f32_f16_e32 v0, v0
	v_cvt_f64_f32_e32 v[0:1], v0
.LBB161_914:
	s_mov_b64 s[6:7], 0
.LBB161_915:
	s_andn2_b64 vcc, exec, s[6:7]
	s_cbranch_vccnz .LBB161_935
; %bb.916:
	s_waitcnt vmcnt(0)
	v_mov_b32_e32 v0, 2
	v_cmp_lt_i16_sdwa s[6:7], v46, v0 src0_sel:BYTE_0 src1_sel:DWORD
	s_and_b64 vcc, exec, s[6:7]
	s_cbranch_vccnz .LBB161_920
; %bb.917:
	v_mov_b32_e32 v0, 3
	v_cmp_lt_i16_sdwa s[6:7], v46, v0 src0_sel:BYTE_0 src1_sel:DWORD
	s_and_b64 vcc, exec, s[6:7]
	s_cbranch_vccnz .LBB161_921
; %bb.918:
	v_cmp_gt_i16_sdwa s[6:7], v46, v0 src0_sel:BYTE_0 src1_sel:DWORD
	s_and_b64 vcc, exec, s[6:7]
	s_cbranch_vccz .LBB161_922
; %bb.919:
	global_load_dwordx2 v[0:1], v[4:5], off
	s_mov_b64 s[6:7], 0
	s_waitcnt vmcnt(0)
	v_cvt_f64_i32_e32 v[6:7], v1
	v_cvt_f64_u32_e32 v[0:1], v0
	v_ldexp_f64 v[6:7], v[6:7], 32
	v_add_f64 v[0:1], v[6:7], v[0:1]
	s_branch .LBB161_923
.LBB161_920:
	s_mov_b64 s[6:7], -1
                                        ; implicit-def: $vgpr0_vgpr1
	s_branch .LBB161_929
.LBB161_921:
	s_mov_b64 s[6:7], -1
                                        ; implicit-def: $vgpr0_vgpr1
	s_branch .LBB161_926
.LBB161_922:
	s_mov_b64 s[6:7], -1
                                        ; implicit-def: $vgpr0_vgpr1
.LBB161_923:
	s_andn2_b64 vcc, exec, s[6:7]
	s_cbranch_vccnz .LBB161_925
; %bb.924:
	global_load_dword v0, v[4:5], off
	s_waitcnt vmcnt(0)
	v_cvt_f64_i32_e32 v[0:1], v0
.LBB161_925:
	s_mov_b64 s[6:7], 0
.LBB161_926:
	s_andn2_b64 vcc, exec, s[6:7]
	s_cbranch_vccnz .LBB161_928
; %bb.927:
	global_load_sshort v0, v[4:5], off
	s_waitcnt vmcnt(0)
	v_cvt_f64_i32_e32 v[0:1], v0
.LBB161_928:
	s_mov_b64 s[6:7], 0
.LBB161_929:
	s_andn2_b64 vcc, exec, s[6:7]
	s_cbranch_vccnz .LBB161_935
; %bb.930:
	v_mov_b32_e32 v0, 0
	v_cmp_gt_i16_sdwa s[6:7], v46, v0 src0_sel:BYTE_0 src1_sel:DWORD
	s_and_b64 vcc, exec, s[6:7]
	s_cbranch_vccz .LBB161_932
; %bb.931:
	global_load_sbyte v0, v[4:5], off
	s_mov_b64 s[6:7], 0
	s_waitcnt vmcnt(0)
	v_cvt_f64_i32_e32 v[0:1], v0
	s_branch .LBB161_933
.LBB161_932:
	s_mov_b64 s[6:7], -1
                                        ; implicit-def: $vgpr0_vgpr1
.LBB161_933:
	s_andn2_b64 vcc, exec, s[6:7]
	s_cbranch_vccnz .LBB161_935
; %bb.934:
	global_load_ubyte v0, v[4:5], off
	s_waitcnt vmcnt(0)
	v_cvt_f64_u32_e32 v[0:1], v0
.LBB161_935:
	s_mov_b64 s[6:7], -1
.LBB161_936:
	s_andn2_b64 vcc, exec, s[6:7]
	s_cbranch_vccnz .LBB161_944
; %bb.937:
	v_mov_b32_e32 v3, s53
	v_add_co_u32_e32 v4, vcc, s52, v2
	v_mov_b32_e32 v2, 11
	v_addc_co_u32_e32 v5, vcc, 0, v3, vcc
	v_cmp_lt_i16_sdwa s[6:7], v44, v2 src0_sel:BYTE_0 src1_sel:DWORD
	s_and_b64 vcc, exec, s[6:7]
	s_cbranch_vccnz .LBB161_945
; %bb.938:
	v_mov_b32_e32 v2, 25
	v_cmp_gt_i16_sdwa s[6:7], v44, v2 src0_sel:BYTE_0 src1_sel:DWORD
	s_and_b64 vcc, exec, s[6:7]
	s_cbranch_vccz .LBB161_946
; %bb.939:
	v_mov_b32_e32 v2, 28
	v_cmp_gt_i16_sdwa s[6:7], v44, v2 src0_sel:BYTE_0 src1_sel:DWORD
	s_and_b64 vcc, exec, s[6:7]
	s_cbranch_vccz .LBB161_947
	;; [unrolled: 5-line block ×4, first 2 shown]
; %bb.942:
	v_mov_b32_e32 v2, 46
	v_cmp_eq_u16_sdwa s[6:7], v44, v2 src0_sel:BYTE_0 src1_sel:DWORD
	s_mov_b64 s[8:9], 0
	s_and_b64 vcc, exec, s[6:7]
	s_cbranch_vccz .LBB161_952
; %bb.943:
	global_load_dword v2, v[4:5], off
	s_mov_b64 s[10:11], 0
	v_writelane_b32 v70, s10, 29
	s_mov_b64 s[6:7], -1
	v_writelane_b32 v70, s11, 30
	s_waitcnt vmcnt(0)
	v_lshlrev_b32_e32 v2, 16, v2
	v_cvt_f64_f32_e32 v[2:3], v2
	s_branch .LBB161_953
.LBB161_944:
	v_readlane_b32 s10, v70, 13
	v_readlane_b32 s11, v70, 14
	s_mov_b64 s[12:13], 0
	s_mov_b64 s[6:7], s[10:11]
	;; [unrolled: 1-line block ×4, first 2 shown]
                                        ; implicit-def: $vgpr45
	s_branch .LBB161_1197
.LBB161_945:
	s_mov_b64 s[10:11], s[8:9]
	v_writelane_b32 v70, s10, 29
	s_mov_b64 s[8:9], -1
	s_mov_b64 s[6:7], 0
                                        ; implicit-def: $vgpr2_vgpr3
	v_writelane_b32 v70, s11, 30
	s_branch .LBB161_1021
.LBB161_946:
	s_mov_b64 s[10:11], s[8:9]
	s_mov_b64 s[8:9], -1
	s_mov_b64 s[6:7], 0
	v_writelane_b32 v70, s10, 29
                                        ; implicit-def: $vgpr2_vgpr3
	v_writelane_b32 v70, s11, 30
	s_branch .LBB161_984
.LBB161_947:
	s_mov_b64 s[10:11], s[8:9]
	s_mov_b64 s[8:9], -1
	s_mov_b64 s[6:7], 0
	v_writelane_b32 v70, s10, 29
                                        ; implicit-def: $vgpr2_vgpr3
	v_writelane_b32 v70, s11, 30
	s_branch .LBB161_965
.LBB161_948:
	s_mov_b64 s[10:11], s[8:9]
	s_mov_b64 s[8:9], -1
	s_mov_b64 s[6:7], 0
	v_writelane_b32 v70, s10, 29
                                        ; implicit-def: $vgpr2_vgpr3
	v_writelane_b32 v70, s11, 30
	s_branch .LBB161_959
.LBB161_949:
	s_mov_b64 s[8:9], -1
	s_mov_b64 s[6:7], 0
	v_writelane_b32 v70, s94, 29
	v_writelane_b32 v70, s95, 30
                                        ; implicit-def: $vgpr2_vgpr3
	s_branch .LBB161_953
.LBB161_950:
	s_or_saveexec_b64 s[12:13], s[12:13]
                                        ; implicit-def: $sgpr14
	s_xor_b64 exec, exec, s[12:13]
	s_cbranch_execz .LBB161_715
.LBB161_951:
	s_mov_b32 s14, 0x42800000
	v_add_f32_e64 v3, |v2|, s14
	v_and_b32_e32 v3, 0xff, v3
	v_cmp_ne_u32_e32 vcc, 0, v3
	s_andn2_b64 s[10:11], s[10:11], exec
	s_and_b64 s[16:17], vcc, exec
	s_mov_b32 s14, 0
	s_or_b64 s[10:11], s[10:11], s[16:17]
	s_or_b64 exec, exec, s[12:13]
	v_mov_b32_e32 v6, s14
	s_and_saveexec_b64 s[12:13], s[10:11]
	s_cbranch_execnz .LBB161_716
	s_branch .LBB161_717
.LBB161_952:
	s_mov_b64 s[6:7], -1
	v_writelane_b32 v70, s6, 29
	v_writelane_b32 v70, s7, 30
                                        ; implicit-def: $vgpr2_vgpr3
	s_mov_b64 s[6:7], 0
.LBB161_953:
	s_and_b64 vcc, exec, s[8:9]
	s_cbranch_vccz .LBB161_958
; %bb.954:
	v_mov_b32_e32 v2, 44
	v_cmp_eq_u16_sdwa s[8:9], v44, v2 src0_sel:BYTE_0 src1_sel:DWORD
	s_and_b64 vcc, exec, s[8:9]
	s_cbranch_vccz .LBB161_956
; %bb.955:
	global_load_ubyte v6, v[4:5], off
	s_movk_i32 s8, 0xff
	v_bfrev_b32_e32 v7, 4
	v_mov_b32_e32 v8, 0x7ff80000
	v_bfrev_b32_e32 v9, 28
	s_mov_b64 s[6:7], -1
	s_waitcnt vmcnt(0)
	v_lshlrev_b32_e32 v2, 23, v6
	v_cvt_f64_f32_e32 v[2:3], v2
	v_cmp_ne_u32_e32 vcc, s8, v6
	v_cndmask_b32_e32 v2, v7, v2, vcc
	v_cndmask_b32_e32 v3, v8, v3, vcc
	v_cmp_ne_u32_e32 vcc, 0, v6
	v_cndmask_b32_e32 v3, v9, v3, vcc
	v_cndmask_b32_e32 v2, 0, v2, vcc
	s_mov_b64 s[8:9], 0
	s_branch .LBB161_957
.LBB161_956:
	s_mov_b64 s[8:9], -1
                                        ; implicit-def: $vgpr2_vgpr3
.LBB161_957:
	v_writelane_b32 v70, s8, 29
	v_writelane_b32 v70, s9, 30
.LBB161_958:
	s_mov_b64 s[8:9], 0
.LBB161_959:
	s_and_b64 vcc, exec, s[8:9]
	s_cbranch_vccz .LBB161_964
; %bb.960:
	v_mov_b32_e32 v2, 29
	v_cmp_eq_u16_sdwa s[8:9], v44, v2 src0_sel:BYTE_0 src1_sel:DWORD
	s_and_b64 vcc, exec, s[8:9]
	s_cbranch_vccz .LBB161_962
; %bb.961:
	global_load_dwordx2 v[2:3], v[4:5], off
	s_mov_b64 s[6:7], -1
	s_mov_b64 s[8:9], 0
	s_waitcnt vmcnt(0)
	v_cvt_f64_u32_e32 v[6:7], v3
	v_cvt_f64_u32_e32 v[2:3], v2
	v_ldexp_f64 v[6:7], v[6:7], 32
	v_add_f64 v[2:3], v[6:7], v[2:3]
	s_branch .LBB161_963
.LBB161_962:
	s_mov_b64 s[8:9], -1
                                        ; implicit-def: $vgpr2_vgpr3
.LBB161_963:
	v_writelane_b32 v70, s8, 29
	v_writelane_b32 v70, s9, 30
.LBB161_964:
	s_mov_b64 s[8:9], 0
.LBB161_965:
	s_and_b64 vcc, exec, s[8:9]
	s_cbranch_vccz .LBB161_983
; %bb.966:
	v_mov_b32_e32 v2, 27
	v_cmp_lt_i16_sdwa s[6:7], v44, v2 src0_sel:BYTE_0 src1_sel:DWORD
	s_and_b64 vcc, exec, s[6:7]
	s_cbranch_vccnz .LBB161_969
; %bb.967:
	v_cmp_gt_i16_sdwa s[6:7], v44, v2 src0_sel:BYTE_0 src1_sel:DWORD
	s_and_b64 vcc, exec, s[6:7]
	s_cbranch_vccz .LBB161_970
; %bb.968:
	global_load_dword v2, v[4:5], off
	s_mov_b64 s[6:7], 0
	s_waitcnt vmcnt(0)
	v_cvt_f64_u32_e32 v[2:3], v2
	s_branch .LBB161_971
.LBB161_969:
	s_mov_b64 s[6:7], -1
                                        ; implicit-def: $vgpr2_vgpr3
	s_branch .LBB161_974
.LBB161_970:
	s_mov_b64 s[6:7], -1
                                        ; implicit-def: $vgpr2_vgpr3
.LBB161_971:
	s_andn2_b64 vcc, exec, s[6:7]
	s_cbranch_vccnz .LBB161_973
; %bb.972:
	global_load_ushort v2, v[4:5], off
	s_waitcnt vmcnt(0)
	v_cvt_f64_u32_e32 v[2:3], v2
.LBB161_973:
	s_mov_b64 s[6:7], 0
.LBB161_974:
	s_andn2_b64 vcc, exec, s[6:7]
	s_cbranch_vccnz .LBB161_982
; %bb.975:
	global_load_ubyte v6, v[4:5], off
	s_movk_i32 s6, 0x7f
                                        ; implicit-def: $sgpr8_sgpr9
	s_waitcnt vmcnt(0)
	v_cmp_lt_i16_e32 vcc, s6, v6
	s_mov_b64 s[6:7], 0
	s_and_saveexec_b64 s[10:11], vcc
	s_xor_b64 s[10:11], exec, s[10:11]
	s_cbranch_execz .LBB161_996
; %bb.976:
	s_movk_i32 s6, 0x80
	v_cmp_eq_u16_e32 vcc, s6, v6
	s_mov_b64 s[12:13], -1
                                        ; implicit-def: $sgpr8_sgpr9
	s_and_saveexec_b64 s[6:7], vcc
; %bb.977:
	s_mov_b32 s9, 0x7ff80000
	s_brev_b32 s8, 4
	s_xor_b64 s[12:13], exec, -1
; %bb.978:
	s_or_b64 exec, exec, s[6:7]
	s_and_b64 s[6:7], s[12:13], exec
	s_or_saveexec_b64 s[10:11], s[10:11]
	v_pk_mov_b32 v[2:3], s[8:9], s[8:9] op_sel:[0,1]
	s_xor_b64 exec, exec, s[10:11]
	s_cbranch_execnz .LBB161_997
.LBB161_979:
	s_or_b64 exec, exec, s[10:11]
	s_and_saveexec_b64 s[8:9], s[6:7]
	s_cbranch_execz .LBB161_981
.LBB161_980:
	v_and_b32_e32 v3, 0xffff, v6
	v_lshlrev_b32_e32 v2, 24, v6
	v_and_b32_e32 v6, 7, v3
	v_ffbh_u32_e32 v8, v6
	v_min_u32_e32 v8, 32, v8
	v_subrev_u32_e32 v9, 28, v8
	v_bfe_u32 v7, v3, 3, 4
	v_lshlrev_b32_e32 v3, v9, v3
	v_sub_u32_e32 v8, 29, v8
	v_and_b32_e32 v3, 7, v3
	v_cmp_eq_u32_e32 vcc, 0, v7
	v_cndmask_b32_e32 v7, v7, v8, vcc
	v_cndmask_b32_e32 v3, v6, v3, vcc
	v_mov_b32_e32 v6, 0x3b800000
	v_lshlrev_b32_e32 v3, 20, v3
	v_and_b32_e32 v2, 0x80000000, v2
	v_lshl_add_u32 v6, v7, 23, v6
	v_or3_b32 v2, v2, v6, v3
	v_cvt_f64_f32_e32 v[2:3], v2
.LBB161_981:
	s_or_b64 exec, exec, s[8:9]
.LBB161_982:
	s_mov_b64 s[6:7], -1
.LBB161_983:
	s_mov_b64 s[8:9], 0
.LBB161_984:
	s_and_b64 vcc, exec, s[8:9]
	s_cbranch_vccz .LBB161_1020
; %bb.985:
	v_mov_b32_e32 v2, 22
	v_cmp_gt_i16_sdwa s[8:9], v44, v2 src0_sel:BYTE_0 src1_sel:DWORD
	s_and_b64 vcc, exec, s[8:9]
	s_cbranch_vccz .LBB161_995
; %bb.986:
	v_mov_b32_e32 v2, 24
	v_cmp_lt_i16_sdwa s[6:7], v44, v2 src0_sel:BYTE_0 src1_sel:DWORD
	s_and_b64 vcc, exec, s[6:7]
	s_cbranch_vccnz .LBB161_998
; %bb.987:
	v_cmp_gt_i16_sdwa s[6:7], v44, v2 src0_sel:BYTE_0 src1_sel:DWORD
	s_and_b64 vcc, exec, s[6:7]
	s_cbranch_vccz .LBB161_999
; %bb.988:
	global_load_ubyte v6, v[4:5], off
	s_movk_i32 s6, 0x7f
                                        ; implicit-def: $sgpr8_sgpr9
	s_waitcnt vmcnt(0)
	v_cmp_lt_i16_e32 vcc, s6, v6
	s_mov_b64 s[6:7], 0
	s_and_saveexec_b64 s[10:11], vcc
	s_xor_b64 s[10:11], exec, s[10:11]
	s_cbranch_execz .LBB161_1011
; %bb.989:
	s_movk_i32 s6, 0x80
	v_cmp_eq_u16_e32 vcc, s6, v6
	s_mov_b64 s[12:13], -1
                                        ; implicit-def: $sgpr8_sgpr9
	s_and_saveexec_b64 s[6:7], vcc
; %bb.990:
	s_mov_b32 s9, 0x7ff80000
	s_brev_b32 s8, 4
	s_xor_b64 s[12:13], exec, -1
; %bb.991:
	s_or_b64 exec, exec, s[6:7]
	s_and_b64 s[6:7], s[12:13], exec
	s_or_saveexec_b64 s[10:11], s[10:11]
	v_pk_mov_b32 v[2:3], s[8:9], s[8:9] op_sel:[0,1]
	s_xor_b64 exec, exec, s[10:11]
	s_cbranch_execnz .LBB161_1012
.LBB161_992:
	s_or_b64 exec, exec, s[10:11]
	s_and_saveexec_b64 s[8:9], s[6:7]
	s_cbranch_execz .LBB161_994
.LBB161_993:
	v_and_b32_e32 v3, 0xffff, v6
	v_lshlrev_b32_e32 v2, 24, v6
	v_and_b32_e32 v6, 3, v3
	v_ffbh_u32_e32 v8, v6
	v_min_u32_e32 v8, 32, v8
	v_subrev_u32_e32 v9, 29, v8
	v_bfe_u32 v7, v3, 2, 5
	v_lshlrev_b32_e32 v3, v9, v3
	v_sub_u32_e32 v8, 30, v8
	v_and_b32_e32 v3, 3, v3
	v_cmp_eq_u32_e32 vcc, 0, v7
	v_cndmask_b32_e32 v7, v7, v8, vcc
	v_cndmask_b32_e32 v3, v6, v3, vcc
	v_mov_b32_e32 v6, 0x37800000
	v_lshlrev_b32_e32 v3, 21, v3
	v_and_b32_e32 v2, 0x80000000, v2
	v_lshl_add_u32 v6, v7, 23, v6
	v_or3_b32 v2, v2, v6, v3
	v_cvt_f64_f32_e32 v[2:3], v2
.LBB161_994:
	s_or_b64 exec, exec, s[8:9]
	s_mov_b64 s[6:7], 0
	s_branch .LBB161_1000
.LBB161_995:
	s_mov_b64 s[8:9], -1
                                        ; implicit-def: $vgpr2_vgpr3
	s_branch .LBB161_1006
.LBB161_996:
	s_or_saveexec_b64 s[10:11], s[10:11]
	v_pk_mov_b32 v[2:3], s[8:9], s[8:9] op_sel:[0,1]
	s_xor_b64 exec, exec, s[10:11]
	s_cbranch_execz .LBB161_979
.LBB161_997:
	v_cmp_ne_u16_e32 vcc, 0, v6
	s_andn2_b64 s[6:7], s[6:7], exec
	s_and_b64 s[8:9], vcc, exec
	v_pk_mov_b32 v[2:3], 0, 0
	s_or_b64 s[6:7], s[6:7], s[8:9]
	s_or_b64 exec, exec, s[10:11]
	s_and_saveexec_b64 s[8:9], s[6:7]
	s_cbranch_execnz .LBB161_980
	s_branch .LBB161_981
.LBB161_998:
	s_mov_b64 s[6:7], -1
                                        ; implicit-def: $vgpr2_vgpr3
	s_branch .LBB161_1003
.LBB161_999:
	s_mov_b64 s[6:7], -1
                                        ; implicit-def: $vgpr2_vgpr3
.LBB161_1000:
	s_and_b64 vcc, exec, s[6:7]
	s_cbranch_vccz .LBB161_1002
; %bb.1001:
	global_load_ubyte v2, v[4:5], off
	s_mov_b32 s6, 0x7f800000
	s_waitcnt vmcnt(0)
	v_lshlrev_b32_e32 v2, 24, v2
	v_and_b32_e32 v3, 0x7f000000, v2
	v_ffbh_u32_e32 v6, v3
	v_min_u32_e32 v6, 32, v6
	v_sub_u32_e64 v6, v6, 4 clamp
	v_lshlrev_b32_e32 v8, v6, v3
	v_lshlrev_b32_e32 v6, 23, v6
	v_lshrrev_b32_e32 v8, 4, v8
	v_add_u32_e32 v7, 0x1000000, v3
	v_sub_u32_e32 v6, v8, v6
	v_ashrrev_i32_e32 v7, 8, v7
	v_add_u32_e32 v6, 0x3c000000, v6
	v_and_or_b32 v6, v7, s6, v6
	v_cmp_ne_u32_e32 vcc, 0, v3
	v_cndmask_b32_e32 v3, 0, v6, vcc
	s_brev_b32 s6, 1
	v_and_or_b32 v2, v2, s6, v3
	v_cvt_f64_f32_e32 v[2:3], v2
.LBB161_1002:
	s_mov_b64 s[6:7], 0
.LBB161_1003:
	s_andn2_b64 vcc, exec, s[6:7]
	s_cbranch_vccnz .LBB161_1005
; %bb.1004:
	global_load_ubyte v2, v[4:5], off
	s_movk_i32 s6, 0x7f00
	s_brev_b32 s7, 16
	s_waitcnt vmcnt(0)
	v_lshlrev_b16_e32 v3, 8, v2
	v_lshlrev_b32_e32 v2, 25, v2
	v_lshrrev_b32_e32 v6, 4, v2
	v_and_or_b32 v7, v3, s6, 0.5
	v_or_b32_e32 v6, 0x70000000, v6
	v_add_f32_e32 v7, -0.5, v7
	v_mul_f32_e32 v6, 0x7800000, v6
	v_cmp_gt_u32_e32 vcc, s7, v2
	v_bfe_i32 v3, v3, 0, 16
	v_cndmask_b32_e32 v2, v6, v7, vcc
	s_brev_b32 s6, 1
	v_and_or_b32 v2, v3, s6, v2
	v_cvt_f64_f32_e32 v[2:3], v2
.LBB161_1005:
	s_mov_b64 s[8:9], 0
	s_mov_b64 s[6:7], -1
.LBB161_1006:
	s_andn2_b64 vcc, exec, s[8:9]
	s_cbranch_vccnz .LBB161_1020
; %bb.1007:
	v_mov_b32_e32 v2, 14
	v_cmp_gt_i16_sdwa s[8:9], v44, v2 src0_sel:BYTE_0 src1_sel:DWORD
	s_and_b64 vcc, exec, s[8:9]
	s_cbranch_vccz .LBB161_1010
; %bb.1008:
	v_mov_b32_e32 v2, 15
	v_cmp_eq_u16_sdwa s[8:9], v44, v2 src0_sel:BYTE_0 src1_sel:DWORD
	s_and_b64 vcc, exec, s[8:9]
	s_cbranch_vccz .LBB161_1013
; %bb.1009:
	global_load_ushort v2, v[4:5], off
	s_mov_b64 s[8:9], 0
	v_writelane_b32 v70, s8, 29
	s_mov_b64 s[6:7], -1
	v_writelane_b32 v70, s9, 30
	s_waitcnt vmcnt(0)
	v_lshlrev_b32_e32 v2, 16, v2
	v_cvt_f64_f32_e32 v[2:3], v2
	s_branch .LBB161_1014
.LBB161_1010:
	s_mov_b64 s[8:9], -1
                                        ; implicit-def: $vgpr2_vgpr3
	s_branch .LBB161_1015
.LBB161_1011:
	s_or_saveexec_b64 s[10:11], s[10:11]
	v_pk_mov_b32 v[2:3], s[8:9], s[8:9] op_sel:[0,1]
	s_xor_b64 exec, exec, s[10:11]
	s_cbranch_execz .LBB161_992
.LBB161_1012:
	v_cmp_ne_u16_e32 vcc, 0, v6
	s_andn2_b64 s[6:7], s[6:7], exec
	s_and_b64 s[8:9], vcc, exec
	v_pk_mov_b32 v[2:3], 0, 0
	s_or_b64 s[6:7], s[6:7], s[8:9]
	s_or_b64 exec, exec, s[10:11]
	s_and_saveexec_b64 s[8:9], s[6:7]
	s_cbranch_execnz .LBB161_993
	s_branch .LBB161_994
.LBB161_1013:
	s_mov_b64 s[8:9], -1
	v_writelane_b32 v70, s8, 29
	v_writelane_b32 v70, s9, 30
                                        ; implicit-def: $vgpr2_vgpr3
.LBB161_1014:
	s_mov_b64 s[8:9], 0
.LBB161_1015:
	s_and_b64 vcc, exec, s[8:9]
	s_cbranch_vccz .LBB161_1020
; %bb.1016:
	v_mov_b32_e32 v2, 11
	v_cmp_eq_u16_sdwa s[8:9], v44, v2 src0_sel:BYTE_0 src1_sel:DWORD
	s_and_b64 vcc, exec, s[8:9]
	s_cbranch_vccz .LBB161_1018
; %bb.1017:
	global_load_ubyte v3, v[4:5], off
	v_mov_b32_e32 v6, 0x3ff00000
	v_mov_b32_e32 v2, 0
	s_mov_b64 s[6:7], -1
	s_mov_b64 s[8:9], 0
	s_waitcnt vmcnt(0)
	v_cmp_ne_u16_e32 vcc, 0, v3
	v_cndmask_b32_e32 v3, 0, v6, vcc
	s_branch .LBB161_1019
.LBB161_1018:
	s_mov_b64 s[8:9], -1
                                        ; implicit-def: $vgpr2_vgpr3
.LBB161_1019:
	v_writelane_b32 v70, s8, 29
	v_writelane_b32 v70, s9, 30
.LBB161_1020:
	s_mov_b64 s[8:9], 0
.LBB161_1021:
	s_and_b64 vcc, exec, s[8:9]
	s_cbranch_vccz .LBB161_1070
; %bb.1022:
	v_mov_b32_e32 v2, 5
	v_cmp_lt_i16_sdwa s[6:7], v44, v2 src0_sel:BYTE_0 src1_sel:DWORD
	s_and_b64 vcc, exec, s[6:7]
	s_cbranch_vccnz .LBB161_1027
; %bb.1023:
	v_mov_b32_e32 v2, 8
	v_cmp_lt_i16_sdwa s[6:7], v44, v2 src0_sel:BYTE_0 src1_sel:DWORD
	s_and_b64 vcc, exec, s[6:7]
	s_cbranch_vccnz .LBB161_1028
; %bb.1024:
	v_mov_b32_e32 v2, 9
	v_cmp_lt_i16_sdwa s[6:7], v44, v2 src0_sel:BYTE_0 src1_sel:DWORD
	s_and_b64 vcc, exec, s[6:7]
	s_cbranch_vccnz .LBB161_1029
; %bb.1025:
	v_cmp_gt_i16_sdwa s[6:7], v44, v2 src0_sel:BYTE_0 src1_sel:DWORD
	s_and_b64 vcc, exec, s[6:7]
	s_cbranch_vccz .LBB161_1030
; %bb.1026:
	global_load_dwordx2 v[2:3], v[4:5], off
	s_mov_b64 s[6:7], 0
	s_branch .LBB161_1031
.LBB161_1027:
	s_mov_b64 s[6:7], -1
                                        ; implicit-def: $vgpr2_vgpr3
	s_branch .LBB161_1049
.LBB161_1028:
	s_mov_b64 s[6:7], -1
                                        ; implicit-def: $vgpr2_vgpr3
	s_branch .LBB161_1037
.LBB161_1029:
	s_mov_b64 s[6:7], -1
                                        ; implicit-def: $vgpr2_vgpr3
	s_branch .LBB161_1034
.LBB161_1030:
	s_mov_b64 s[6:7], -1
                                        ; implicit-def: $vgpr2_vgpr3
.LBB161_1031:
	s_andn2_b64 vcc, exec, s[6:7]
	s_cbranch_vccnz .LBB161_1033
; %bb.1032:
	global_load_dword v2, v[4:5], off
	s_waitcnt vmcnt(0)
	v_cvt_f64_f32_e32 v[2:3], v2
.LBB161_1033:
	s_mov_b64 s[6:7], 0
.LBB161_1034:
	s_andn2_b64 vcc, exec, s[6:7]
	s_cbranch_vccnz .LBB161_1036
; %bb.1035:
	global_load_dword v2, v[4:5], off
	s_waitcnt vmcnt(0)
	v_cvt_f32_f16_e32 v2, v2
	v_cvt_f64_f32_e32 v[2:3], v2
.LBB161_1036:
	s_mov_b64 s[6:7], 0
.LBB161_1037:
	s_andn2_b64 vcc, exec, s[6:7]
	s_cbranch_vccnz .LBB161_1048
; %bb.1038:
	s_waitcnt vmcnt(0)
	v_mov_b32_e32 v2, 6
	v_cmp_lt_i16_sdwa s[6:7], v44, v2 src0_sel:BYTE_0 src1_sel:DWORD
	s_and_b64 vcc, exec, s[6:7]
	s_cbranch_vccnz .LBB161_1041
; %bb.1039:
	v_cmp_gt_i16_sdwa s[6:7], v44, v2 src0_sel:BYTE_0 src1_sel:DWORD
	s_and_b64 vcc, exec, s[6:7]
	s_cbranch_vccz .LBB161_1042
; %bb.1040:
	global_load_dwordx2 v[2:3], v[4:5], off
	s_mov_b64 s[6:7], 0
	s_branch .LBB161_1043
.LBB161_1041:
	s_mov_b64 s[6:7], -1
                                        ; implicit-def: $vgpr2_vgpr3
	s_branch .LBB161_1046
.LBB161_1042:
	s_mov_b64 s[6:7], -1
                                        ; implicit-def: $vgpr2_vgpr3
.LBB161_1043:
	s_andn2_b64 vcc, exec, s[6:7]
	s_cbranch_vccnz .LBB161_1045
; %bb.1044:
	global_load_dword v2, v[4:5], off
	s_waitcnt vmcnt(0)
	v_cvt_f64_f32_e32 v[2:3], v2
.LBB161_1045:
	s_mov_b64 s[6:7], 0
.LBB161_1046:
	s_andn2_b64 vcc, exec, s[6:7]
	s_cbranch_vccnz .LBB161_1048
; %bb.1047:
	global_load_ushort v2, v[4:5], off
	s_waitcnt vmcnt(0)
	v_cvt_f32_f16_e32 v2, v2
	v_cvt_f64_f32_e32 v[2:3], v2
.LBB161_1048:
	s_mov_b64 s[6:7], 0
.LBB161_1049:
	s_andn2_b64 vcc, exec, s[6:7]
	s_cbranch_vccnz .LBB161_1069
; %bb.1050:
	s_waitcnt vmcnt(0)
	v_mov_b32_e32 v2, 2
	v_cmp_lt_i16_sdwa s[6:7], v44, v2 src0_sel:BYTE_0 src1_sel:DWORD
	s_and_b64 vcc, exec, s[6:7]
	s_cbranch_vccnz .LBB161_1054
; %bb.1051:
	v_mov_b32_e32 v2, 3
	v_cmp_lt_i16_sdwa s[6:7], v44, v2 src0_sel:BYTE_0 src1_sel:DWORD
	s_and_b64 vcc, exec, s[6:7]
	s_cbranch_vccnz .LBB161_1055
; %bb.1052:
	v_cmp_gt_i16_sdwa s[6:7], v44, v2 src0_sel:BYTE_0 src1_sel:DWORD
	s_and_b64 vcc, exec, s[6:7]
	s_cbranch_vccz .LBB161_1056
; %bb.1053:
	global_load_dwordx2 v[2:3], v[4:5], off
	s_mov_b64 s[6:7], 0
	s_waitcnt vmcnt(0)
	v_cvt_f64_i32_e32 v[6:7], v3
	v_cvt_f64_u32_e32 v[2:3], v2
	v_ldexp_f64 v[6:7], v[6:7], 32
	v_add_f64 v[2:3], v[6:7], v[2:3]
	s_branch .LBB161_1057
.LBB161_1054:
	s_mov_b64 s[6:7], -1
                                        ; implicit-def: $vgpr2_vgpr3
	s_branch .LBB161_1063
.LBB161_1055:
	s_mov_b64 s[6:7], -1
                                        ; implicit-def: $vgpr2_vgpr3
	s_branch .LBB161_1060
.LBB161_1056:
	s_mov_b64 s[6:7], -1
                                        ; implicit-def: $vgpr2_vgpr3
.LBB161_1057:
	s_andn2_b64 vcc, exec, s[6:7]
	s_cbranch_vccnz .LBB161_1059
; %bb.1058:
	global_load_dword v2, v[4:5], off
	s_waitcnt vmcnt(0)
	v_cvt_f64_i32_e32 v[2:3], v2
.LBB161_1059:
	s_mov_b64 s[6:7], 0
.LBB161_1060:
	s_andn2_b64 vcc, exec, s[6:7]
	s_cbranch_vccnz .LBB161_1062
; %bb.1061:
	global_load_sshort v2, v[4:5], off
	s_waitcnt vmcnt(0)
	v_cvt_f64_i32_e32 v[2:3], v2
.LBB161_1062:
	s_mov_b64 s[6:7], 0
.LBB161_1063:
	s_andn2_b64 vcc, exec, s[6:7]
	s_cbranch_vccnz .LBB161_1069
; %bb.1064:
	v_mov_b32_e32 v2, 0
	v_cmp_gt_i16_sdwa s[6:7], v44, v2 src0_sel:BYTE_0 src1_sel:DWORD
	s_and_b64 vcc, exec, s[6:7]
	s_cbranch_vccz .LBB161_1066
; %bb.1065:
	global_load_sbyte v2, v[4:5], off
	s_mov_b64 s[6:7], 0
	s_waitcnt vmcnt(0)
	v_cvt_f64_i32_e32 v[2:3], v2
	s_branch .LBB161_1067
.LBB161_1066:
	s_mov_b64 s[6:7], -1
                                        ; implicit-def: $vgpr2_vgpr3
.LBB161_1067:
	s_andn2_b64 vcc, exec, s[6:7]
	s_cbranch_vccnz .LBB161_1069
; %bb.1068:
	global_load_ubyte v2, v[4:5], off
	s_waitcnt vmcnt(0)
	v_cvt_f64_u32_e32 v[2:3], v2
.LBB161_1069:
	s_mov_b64 s[6:7], -1
.LBB161_1070:
	s_andn2_b64 vcc, exec, s[6:7]
	s_cbranch_vccnz .LBB161_1078
; %bb.1071:
	v_writelane_b32 v70, s56, 23
	s_mov_b32 s92, s91
	s_mov_b64 s[90:91], s[42:43]
	v_writelane_b32 v70, s57, 24
	s_mov_b64 s[82:83], s[38:39]
	s_mov_b64 s[84:85], s[86:87]
	;; [unrolled: 1-line block ×5, first 2 shown]
	s_getpc_b64 s[4:5]
	s_add_u32 s4, s4, _ZZZZN2at6native33launch_standard_gamma_grad_kernelERNS_18TensorIteratorBaseEENKUlvE_clEvENKUlvE_clEvENKUlddE_clEdd@rel32@lo+4
	s_addc_u32 s5, s5, _ZZZZN2at6native33launch_standard_gamma_grad_kernelERNS_18TensorIteratorBaseEENKUlvE_clEvENKUlvE_clEvENKUlddE_clEdd@rel32@hi+12
	s_mov_b64 s[88:89], s[40:41]
	s_swappc_b64 s[30:31], s[4:5]
	s_mov_b64 s[40:41], s[88:89]
	v_mov_b32_e32 v2, s41
	v_add_co_u32_e32 v4, vcc, s40, v42
	v_addc_co_u32_e32 v5, vcc, 0, v2, vcc
	v_mov_b32_e32 v2, 11
	v_cmp_lt_i16_sdwa s[4:5], v41, v2 src0_sel:BYTE_0 src1_sel:DWORD
	s_mov_b64 s[42:43], s[90:91]
	s_and_b64 vcc, exec, s[4:5]
	s_cbranch_vccnz .LBB161_1079
; %bb.1072:
	v_mov_b32_e32 v2, 25
	v_cmp_gt_i16_sdwa s[4:5], v41, v2 src0_sel:BYTE_0 src1_sel:DWORD
	s_and_b64 vcc, exec, s[4:5]
	s_cbranch_vccz .LBB161_1080
; %bb.1073:
	v_mov_b32_e32 v2, 28
	v_cmp_gt_i16_sdwa s[4:5], v41, v2 src0_sel:BYTE_0 src1_sel:DWORD
	s_and_b64 vcc, exec, s[4:5]
	s_mov_b64 s[4:5], s[78:79]
	s_mov_b64 s[36:37], s[76:77]
	s_mov_b32 s91, s92
	s_mov_b64 s[18:19], s[84:85]
	s_cbranch_vccz .LBB161_1081
; %bb.1074:
	v_mov_b32_e32 v2, 43
	v_cmp_gt_i16_sdwa s[6:7], v41, v2 src0_sel:BYTE_0 src1_sel:DWORD
	s_and_b64 vcc, exec, s[6:7]
	s_mov_b64 s[88:89], 0
	s_mov_b64 s[52:53], s[86:87]
	s_cbranch_vccz .LBB161_1082
; %bb.1075:
	v_mov_b32_e32 v2, 45
	v_cmp_gt_i16_sdwa s[6:7], v41, v2 src0_sel:BYTE_0 src1_sel:DWORD
	s_and_b64 vcc, exec, s[6:7]
	v_readlane_b32 s6, v70, 13
	s_mov_b64 s[38:39], s[82:83]
	v_readlane_b32 s7, v70, 14
	s_cbranch_vccz .LBB161_1083
; %bb.1076:
	s_load_dwordx4 s[48:51], s[74:75], 0x4
	v_mov_b32_e32 v2, 46
	v_cmp_eq_u16_sdwa s[8:9], v41, v2 src0_sel:BYTE_0 src1_sel:DWORD
	s_mov_b64 s[10:11], 0
	s_mov_b64 s[6:7], -1
	s_and_b64 vcc, exec, s[8:9]
	s_mov_b64 s[8:9], 0
	s_cbranch_vccz .LBB161_1084
; %bb.1077:
	v_cvt_f32_f64_e32 v2, v[0:1]
	v_bfe_u32 v3, v2, 16, 1
	s_movk_i32 s6, 0x7fff
	v_add3_u32 v3, v2, v3, s6
	v_lshrrev_b32_e32 v3, 16, v3
	v_mov_b32_e32 v6, 0x7fc0
	v_cmp_o_f32_e32 vcc, v2, v2
	v_cndmask_b32_e32 v2, v6, v3, vcc
	global_store_dword v[4:5], v2, off
	s_mov_b64 s[8:9], -1
	s_mov_b64 s[6:7], 0
	s_branch .LBB161_1084
.LBB161_1078:
	v_readlane_b32 s6, v70, 13
	s_mov_b64 s[12:13], 0
                                        ; implicit-def: $vgpr45
	v_readlane_b32 s7, v70, 14
	s_branch .LBB161_1196
.LBB161_1079:
	s_mov_b64 s[52:53], s[86:87]
	s_mov_b64 s[86:87], s[84:85]
	s_load_dwordx4 s[48:51], s[74:75], 0x4
	s_load_dwordx2 s[84:85], s[74:75], 0x14
	v_readlane_b32 s6, v70, 13
	v_readlane_b32 s56, v70, 23
	s_mov_b64 s[10:11], -1
	s_mov_b64 s[8:9], 0
	v_readlane_b32 s7, v70, 14
	s_mov_b64 s[4:5], s[78:79]
	s_mov_b64 s[36:37], s[76:77]
	s_mov_b32 s91, s92
	s_mov_b64 s[88:89], 0
	s_mov_b64 s[38:39], s[82:83]
	v_readlane_b32 s57, v70, 24
	s_branch .LBB161_1154
.LBB161_1080:
	s_mov_b64 s[18:19], s[84:85]
	s_load_dwordx4 s[48:51], s[74:75], 0x4
	s_load_dwordx2 s[84:85], s[74:75], 0x14
	v_readlane_b32 s6, v70, 13
	v_readlane_b32 s56, v70, 23
	s_mov_b64 s[10:11], -1
	s_mov_b64 s[8:9], 0
	v_readlane_b32 s7, v70, 14
	s_mov_b64 s[4:5], s[78:79]
	s_mov_b64 s[36:37], s[76:77]
	s_mov_b32 s91, s92
	s_mov_b64 s[88:89], 0
	s_mov_b64 s[52:53], s[86:87]
	;; [unrolled: 1-line block ×3, first 2 shown]
	v_readlane_b32 s57, v70, 24
	s_branch .LBB161_1111
.LBB161_1081:
	s_load_dwordx4 s[48:51], s[74:75], 0x4
	s_load_dwordx2 s[84:85], s[74:75], 0x14
	v_readlane_b32 s6, v70, 13
	v_readlane_b32 s56, v70, 23
	s_mov_b64 s[10:11], -1
	s_mov_b64 s[8:9], 0
	v_readlane_b32 s7, v70, 14
	s_mov_b64 s[88:89], 0
	s_mov_b64 s[52:53], s[86:87]
	;; [unrolled: 1-line block ×3, first 2 shown]
	v_readlane_b32 s57, v70, 24
	s_branch .LBB161_1094
.LBB161_1082:
	s_load_dwordx4 s[48:51], s[74:75], 0x4
	s_load_dwordx2 s[84:85], s[74:75], 0x14
	v_readlane_b32 s6, v70, 13
	v_readlane_b32 s56, v70, 23
	s_mov_b64 s[10:11], -1
	s_mov_b64 s[8:9], 0
	v_readlane_b32 s7, v70, 14
	s_mov_b64 s[38:39], s[82:83]
	v_readlane_b32 s57, v70, 24
	s_branch .LBB161_1090
.LBB161_1083:
	s_load_dwordx4 s[48:51], s[74:75], 0x4
	s_mov_b64 s[10:11], -1
	s_mov_b64 s[8:9], 0
.LBB161_1084:
	s_load_dwordx2 s[84:85], s[74:75], 0x14
	v_readlane_b32 s56, v70, 23
	v_readlane_b32 s57, v70, 24
	s_and_b64 vcc, exec, s[10:11]
	s_cbranch_vccz .LBB161_1089
; %bb.1085:
	v_mov_b32_e32 v2, 44
	v_cmp_eq_u16_sdwa s[10:11], v41, v2 src0_sel:BYTE_0 src1_sel:DWORD
	s_mov_b64 s[6:7], -1
	s_and_b64 vcc, exec, s[10:11]
	s_cbranch_vccz .LBB161_1089
; %bb.1086:
	v_cvt_f32_f64_e32 v2, v[0:1]
	v_bfe_u32 v3, v2, 23, 8
	s_movk_i32 s6, 0xff
	v_cmp_ne_u32_e32 vcc, s6, v3
	v_mov_b32_e32 v6, 0xff
	s_and_saveexec_b64 s[8:9], vcc
; %bb.1087:
	s_mov_b32 s6, 0x3fffff
	v_lshrrev_b32_e32 v6, 23, v2
	v_and_b32_e32 v7, 0x400000, v2
	v_and_or_b32 v2, v2, s6, v3
	v_cmp_ne_u32_e32 vcc, 0, v7
	v_cmp_ne_u32_e64 s[6:7], 0, v2
	s_and_b64 s[6:7], vcc, s[6:7]
	v_cndmask_b32_e64 v2, 0, 1, s[6:7]
	v_add_u32_e32 v6, v6, v2
; %bb.1088:
	s_or_b64 exec, exec, s[8:9]
	s_mov_b64 s[8:9], -1
	s_mov_b64 s[6:7], 0
	global_store_byte v[4:5], v6, off
.LBB161_1089:
	s_mov_b64 s[10:11], 0
.LBB161_1090:
	s_and_b64 vcc, exec, s[10:11]
	s_cbranch_vccz .LBB161_1093
; %bb.1091:
	v_mov_b32_e32 v2, 29
	v_cmp_eq_u16_sdwa s[10:11], v41, v2 src0_sel:BYTE_0 src1_sel:DWORD
	s_mov_b64 s[6:7], -1
	s_and_b64 vcc, exec, s[10:11]
	s_cbranch_vccz .LBB161_1093
; %bb.1092:
	v_trunc_f64_e32 v[2:3], v[0:1]
	s_movk_i32 s6, 0xffe0
	v_ldexp_f64 v[6:7], v[2:3], s6
	v_floor_f64_e32 v[6:7], v[6:7]
	v_fmac_f64_e32 v[2:3], 0xc1f00000, v[6:7]
	v_cvt_u32_f64_e32 v9, v[6:7]
	v_cvt_u32_f64_e32 v8, v[2:3]
	global_store_dwordx2 v[4:5], v[8:9], off
	s_mov_b64 s[8:9], -1
	s_mov_b64 s[6:7], 0
.LBB161_1093:
	s_mov_b64 s[10:11], 0
.LBB161_1094:
	s_and_b64 vcc, exec, s[10:11]
	s_cbranch_vccz .LBB161_1110
; %bb.1095:
	v_mov_b32_e32 v2, 27
	v_cmp_lt_i16_sdwa s[10:11], v41, v2 src0_sel:BYTE_0 src1_sel:DWORD
	s_mov_b64 s[8:9], -1
	s_and_b64 vcc, exec, s[10:11]
	s_cbranch_vccnz .LBB161_1101
; %bb.1096:
	v_cmp_gt_i16_sdwa s[10:11], v41, v2 src0_sel:BYTE_0 src1_sel:DWORD
	s_and_b64 vcc, exec, s[10:11]
	s_cbranch_vccz .LBB161_1098
; %bb.1097:
	v_cvt_u32_f64_e32 v2, v[0:1]
	s_mov_b64 s[8:9], 0
	global_store_dword v[4:5], v2, off
.LBB161_1098:
	s_andn2_b64 vcc, exec, s[8:9]
	s_cbranch_vccnz .LBB161_1100
; %bb.1099:
	v_cvt_u32_f64_e32 v2, v[0:1]
	global_store_short v[4:5], v2, off
.LBB161_1100:
	s_mov_b64 s[8:9], 0
.LBB161_1101:
	s_andn2_b64 vcc, exec, s[8:9]
	s_cbranch_vccnz .LBB161_1109
; %bb.1102:
	v_cvt_f32_f64_e32 v2, v[0:1]
	v_and_b32_e32 v3, 0x7fffffff, v2
	s_mov_b32 s8, 0x43800000
	v_cmp_gt_u32_e32 vcc, s8, v3
	v_mov_b32_e32 v6, 0x80
	s_and_saveexec_b64 s[8:9], vcc
	s_cbranch_execz .LBB161_1108
; %bb.1103:
	s_mov_b32 s10, 0x3bffffff
	v_cmp_lt_u32_e32 vcc, s10, v3
	s_mov_b64 s[10:11], 0
                                        ; implicit-def: $vgpr3
	s_and_saveexec_b64 s[12:13], vcc
	s_xor_b64 s[12:13], exec, s[12:13]
	s_cbranch_execz .LBB161_1223
; %bb.1104:
	v_bfe_u32 v3, v2, 20, 1
	s_mov_b32 s14, 0x487ffff
	v_add3_u32 v3, v2, v3, s14
	s_mov_b64 s[10:11], exec
	v_lshrrev_b32_e32 v3, 20, v3
	s_or_saveexec_b64 s[12:13], s[12:13]
                                        ; implicit-def: $sgpr14
	s_xor_b64 exec, exec, s[12:13]
	s_cbranch_execnz .LBB161_1224
.LBB161_1105:
	s_or_b64 exec, exec, s[12:13]
	v_mov_b32_e32 v6, s14
	s_and_saveexec_b64 s[12:13], s[10:11]
.LBB161_1106:
	v_lshrrev_b32_e32 v2, 24, v2
	s_movk_i32 s10, 0x80
	v_and_or_b32 v6, v2, s10, v3
.LBB161_1107:
	s_or_b64 exec, exec, s[12:13]
.LBB161_1108:
	s_or_b64 exec, exec, s[8:9]
	global_store_byte v[4:5], v6, off
.LBB161_1109:
	s_mov_b64 s[8:9], -1
.LBB161_1110:
	s_mov_b64 s[10:11], 0
.LBB161_1111:
	s_and_b64 vcc, exec, s[10:11]
	s_cbranch_vccz .LBB161_1152
; %bb.1112:
	v_mov_b32_e32 v2, 22
	v_cmp_gt_i16_sdwa s[12:13], v41, v2 src0_sel:BYTE_0 src1_sel:DWORD
	s_mov_b64 s[10:11], -1
	s_and_b64 vcc, exec, s[12:13]
	s_mov_b64 s[86:87], s[18:19]
	s_cbranch_vccz .LBB161_1144
; %bb.1113:
	v_mov_b32_e32 v2, 24
	v_cmp_lt_i16_sdwa s[10:11], v41, v2 src0_sel:BYTE_0 src1_sel:DWORD
	s_mov_b64 s[8:9], -1
	s_and_b64 vcc, exec, s[10:11]
	s_cbranch_vccnz .LBB161_1133
; %bb.1114:
	v_cmp_gt_i16_sdwa s[10:11], v41, v2 src0_sel:BYTE_0 src1_sel:DWORD
	s_and_b64 vcc, exec, s[10:11]
	s_cbranch_vccz .LBB161_1122
; %bb.1115:
	v_cvt_f32_f64_e32 v2, v[0:1]
	v_and_b32_e32 v3, 0x7fffffff, v2
	s_mov_b32 s8, 0x47800000
	v_cmp_gt_u32_e32 vcc, s8, v3
	v_mov_b32_e32 v6, 0x80
	s_and_saveexec_b64 s[8:9], vcc
	s_cbranch_execz .LBB161_1121
; %bb.1116:
	s_mov_b32 s10, 0x37ffffff
	v_cmp_lt_u32_e32 vcc, s10, v3
	s_mov_b64 s[10:11], 0
                                        ; implicit-def: $vgpr3
	s_and_saveexec_b64 s[12:13], vcc
	s_xor_b64 s[12:13], exec, s[12:13]
	s_cbranch_execz .LBB161_2289
; %bb.1117:
	v_bfe_u32 v3, v2, 21, 1
	s_mov_b32 s14, 0x88fffff
	v_add3_u32 v3, v2, v3, s14
	s_mov_b64 s[10:11], exec
	v_lshrrev_b32_e32 v3, 21, v3
	s_or_saveexec_b64 s[12:13], s[12:13]
                                        ; implicit-def: $sgpr14
	s_xor_b64 exec, exec, s[12:13]
	s_cbranch_execnz .LBB161_2290
.LBB161_1118:
	s_or_b64 exec, exec, s[12:13]
	v_mov_b32_e32 v6, s14
	s_and_saveexec_b64 s[12:13], s[10:11]
.LBB161_1119:
	v_lshrrev_b32_e32 v2, 24, v2
	s_movk_i32 s10, 0x80
	v_and_or_b32 v6, v2, s10, v3
.LBB161_1120:
	s_or_b64 exec, exec, s[12:13]
.LBB161_1121:
	s_or_b64 exec, exec, s[8:9]
	s_mov_b64 s[8:9], 0
	global_store_byte v[4:5], v6, off
.LBB161_1122:
	s_and_b64 vcc, exec, s[8:9]
	s_cbranch_vccz .LBB161_1132
; %bb.1123:
	v_cvt_f32_f64_e32 v2, v[0:1]
	v_and_b32_e32 v6, 0x7fffffff, v2
	s_mov_b32 s8, 0x43f00000
	v_cmp_gt_u32_e32 vcc, s8, v6
                                        ; implicit-def: $vgpr3
	s_and_saveexec_b64 s[8:9], vcc
	s_xor_b64 s[8:9], exec, s[8:9]
	s_cbranch_execz .LBB161_1129
; %bb.1124:
	s_mov_b32 s10, 0x3c7fffff
	v_cmp_lt_u32_e32 vcc, s10, v6
                                        ; implicit-def: $vgpr3
	s_and_saveexec_b64 s[10:11], vcc
	s_xor_b64 s[10:11], exec, s[10:11]
; %bb.1125:
	v_bfe_u32 v3, v2, 20, 1
	s_mov_b32 s12, 0x407ffff
	v_add3_u32 v3, v2, v3, s12
	v_lshrrev_b32_e32 v6, 20, v3
	v_and_b32_e32 v3, 0xff00000, v3
	s_mov_b32 s12, 0x7f00000
	v_mov_b32_e32 v7, 0x7e
	v_cmp_ne_u32_e32 vcc, s12, v3
	v_cndmask_b32_e32 v3, v7, v6, vcc
; %bb.1126:
	s_andn2_saveexec_b64 s[10:11], s[10:11]
; %bb.1127:
	s_mov_b32 s12, 0x46800000
	v_add_f32_e64 v3, |v2|, s12
; %bb.1128:
	s_or_b64 exec, exec, s[10:11]
                                        ; implicit-def: $vgpr6
.LBB161_1129:
	s_andn2_saveexec_b64 s[8:9], s[8:9]
; %bb.1130:
	s_mov_b32 s10, 0x7f800000
	v_mov_b32_e32 v3, 0x7e
	v_mov_b32_e32 v7, 0x7f
	v_cmp_lt_u32_e32 vcc, s10, v6
	v_cndmask_b32_e32 v3, v3, v7, vcc
; %bb.1131:
	s_or_b64 exec, exec, s[8:9]
	v_lshrrev_b32_e32 v2, 24, v2
	s_movk_i32 s8, 0x80
	v_and_or_b32 v2, v2, s8, v3
	global_store_byte v[4:5], v2, off
.LBB161_1132:
	s_mov_b64 s[8:9], 0
.LBB161_1133:
	s_andn2_b64 vcc, exec, s[8:9]
	s_cbranch_vccnz .LBB161_1143
; %bb.1134:
	v_cvt_f32_f64_e32 v2, v[0:1]
	v_and_b32_e32 v6, 0x7fffffff, v2
	s_mov_b32 s8, 0x47800000
	v_cmp_gt_u32_e32 vcc, s8, v6
                                        ; implicit-def: $vgpr3
	s_and_saveexec_b64 s[8:9], vcc
	s_xor_b64 s[8:9], exec, s[8:9]
	s_cbranch_execz .LBB161_1140
; %bb.1135:
	s_mov_b32 s10, 0x387fffff
	v_cmp_lt_u32_e32 vcc, s10, v6
                                        ; implicit-def: $vgpr3
	s_and_saveexec_b64 s[10:11], vcc
	s_xor_b64 s[10:11], exec, s[10:11]
; %bb.1136:
	v_bfe_u32 v3, v2, 21, 1
	s_mov_b32 s12, 0x80fffff
	v_add3_u32 v3, v2, v3, s12
	v_lshrrev_b32_e32 v3, 21, v3
; %bb.1137:
	s_andn2_saveexec_b64 s[10:11], s[10:11]
; %bb.1138:
	s_mov_b32 s12, 0x43000000
	v_add_f32_e64 v3, |v2|, s12
; %bb.1139:
	s_or_b64 exec, exec, s[10:11]
                                        ; implicit-def: $vgpr6
.LBB161_1140:
	s_andn2_saveexec_b64 s[8:9], s[8:9]
; %bb.1141:
	s_mov_b32 s10, 0x7f800000
	v_mov_b32_e32 v3, 0x7c
	v_mov_b32_e32 v7, 0x7f
	v_cmp_lt_u32_e32 vcc, s10, v6
	v_cndmask_b32_e32 v3, v3, v7, vcc
; %bb.1142:
	s_or_b64 exec, exec, s[8:9]
	v_lshrrev_b32_e32 v2, 24, v2
	s_movk_i32 s8, 0x80
	v_and_or_b32 v2, v2, s8, v3
	global_store_byte v[4:5], v2, off
.LBB161_1143:
	s_mov_b64 s[10:11], 0
	s_mov_b64 s[8:9], -1
.LBB161_1144:
	s_andn2_b64 vcc, exec, s[10:11]
	s_cbranch_vccnz .LBB161_1153
; %bb.1145:
	v_mov_b32_e32 v2, 14
	v_cmp_gt_i16_sdwa s[12:13], v41, v2 src0_sel:BYTE_0 src1_sel:DWORD
	s_mov_b64 s[10:11], -1
	s_and_b64 vcc, exec, s[12:13]
	s_cbranch_vccz .LBB161_1149
; %bb.1146:
	v_mov_b32_e32 v2, 15
	v_cmp_eq_u16_sdwa s[10:11], v41, v2 src0_sel:BYTE_0 src1_sel:DWORD
	s_mov_b64 s[6:7], -1
	s_and_b64 vcc, exec, s[10:11]
	s_cbranch_vccz .LBB161_1148
; %bb.1147:
	v_cvt_f32_f64_e32 v2, v[0:1]
	v_bfe_u32 v3, v2, 16, 1
	s_movk_i32 s6, 0x7fff
	v_add3_u32 v3, v2, v3, s6
	v_lshrrev_b32_e32 v3, 16, v3
	v_mov_b32_e32 v6, 0x7fc0
	v_cmp_o_f32_e32 vcc, v2, v2
	v_cndmask_b32_e32 v2, v6, v3, vcc
	global_store_short v[4:5], v2, off
	s_mov_b64 s[8:9], -1
	s_mov_b64 s[6:7], 0
.LBB161_1148:
	s_mov_b64 s[10:11], 0
.LBB161_1149:
	s_and_b64 vcc, exec, s[10:11]
	s_cbranch_vccz .LBB161_1153
; %bb.1150:
	v_mov_b32_e32 v2, 11
	v_cmp_eq_u16_sdwa s[10:11], v41, v2 src0_sel:BYTE_0 src1_sel:DWORD
	s_mov_b64 s[6:7], -1
	s_and_b64 vcc, exec, s[10:11]
	s_cbranch_vccz .LBB161_1153
; %bb.1151:
	v_cmp_neq_f64_e32 vcc, 0, v[0:1]
	v_cndmask_b32_e64 v2, 0, 1, vcc
	s_mov_b64 s[6:7], 0
	global_store_byte v[4:5], v2, off
	s_mov_b64 s[8:9], -1
	s_branch .LBB161_1153
.LBB161_1152:
	s_mov_b64 s[86:87], s[18:19]
.LBB161_1153:
	s_mov_b64 s[10:11], 0
.LBB161_1154:
	s_and_b64 vcc, exec, s[10:11]
	s_cbranch_vccz .LBB161_1193
; %bb.1155:
	v_mov_b32_e32 v2, 5
	v_cmp_lt_i16_sdwa s[10:11], v41, v2 src0_sel:BYTE_0 src1_sel:DWORD
	s_mov_b64 s[8:9], -1
	s_and_b64 vcc, exec, s[10:11]
	s_cbranch_vccnz .LBB161_1176
; %bb.1156:
	v_mov_b32_e32 v2, 8
	v_cmp_lt_i16_sdwa s[10:11], v41, v2 src0_sel:BYTE_0 src1_sel:DWORD
	s_and_b64 vcc, exec, s[10:11]
	s_cbranch_vccnz .LBB161_1166
; %bb.1157:
	v_mov_b32_e32 v2, 9
	v_cmp_lt_i16_sdwa s[10:11], v41, v2 src0_sel:BYTE_0 src1_sel:DWORD
	s_and_b64 vcc, exec, s[10:11]
	s_cbranch_vccnz .LBB161_1163
; %bb.1158:
	v_cmp_gt_i16_sdwa s[10:11], v41, v2 src0_sel:BYTE_0 src1_sel:DWORD
	s_and_b64 vcc, exec, s[10:11]
	s_cbranch_vccz .LBB161_1160
; %bb.1159:
	v_mov_b32_e32 v2, 0
	v_mov_b32_e32 v3, v2
	s_mov_b64 s[8:9], 0
	global_store_dwordx4 v[4:5], v[0:3], off
.LBB161_1160:
	s_andn2_b64 vcc, exec, s[8:9]
	s_cbranch_vccnz .LBB161_1162
; %bb.1161:
	v_cvt_f32_f64_e32 v2, v[0:1]
	v_mov_b32_e32 v3, 0
	global_store_dwordx2 v[4:5], v[2:3], off
.LBB161_1162:
	s_mov_b64 s[8:9], 0
.LBB161_1163:
	s_andn2_b64 vcc, exec, s[8:9]
	s_cbranch_vccnz .LBB161_1165
; %bb.1164:
	v_cvt_f32_f64_e32 v2, v[0:1]
	v_cvt_f16_f32_e32 v2, v2
	global_store_dword v[4:5], v2, off
.LBB161_1165:
	s_mov_b64 s[8:9], 0
.LBB161_1166:
	s_andn2_b64 vcc, exec, s[8:9]
	s_cbranch_vccnz .LBB161_1175
; %bb.1167:
	v_mov_b32_e32 v2, 6
	v_cmp_lt_i16_sdwa s[10:11], v41, v2 src0_sel:BYTE_0 src1_sel:DWORD
	s_mov_b64 s[8:9], -1
	s_and_b64 vcc, exec, s[10:11]
	s_cbranch_vccnz .LBB161_1173
; %bb.1168:
	v_cmp_gt_i16_sdwa s[10:11], v41, v2 src0_sel:BYTE_0 src1_sel:DWORD
	s_and_b64 vcc, exec, s[10:11]
	s_cbranch_vccz .LBB161_1170
; %bb.1169:
	s_mov_b64 s[8:9], 0
	global_store_dwordx2 v[4:5], v[0:1], off
.LBB161_1170:
	s_andn2_b64 vcc, exec, s[8:9]
	s_cbranch_vccnz .LBB161_1172
; %bb.1171:
	v_cvt_f32_f64_e32 v2, v[0:1]
	global_store_dword v[4:5], v2, off
.LBB161_1172:
	s_mov_b64 s[8:9], 0
.LBB161_1173:
	s_andn2_b64 vcc, exec, s[8:9]
	s_cbranch_vccnz .LBB161_1175
; %bb.1174:
	v_cvt_f32_f64_e32 v2, v[0:1]
	v_cvt_f16_f32_e32 v2, v2
	global_store_short v[4:5], v2, off
.LBB161_1175:
	s_mov_b64 s[8:9], 0
.LBB161_1176:
	s_andn2_b64 vcc, exec, s[8:9]
	s_cbranch_vccnz .LBB161_1192
; %bb.1177:
	v_mov_b32_e32 v2, 2
	v_cmp_lt_i16_sdwa s[10:11], v41, v2 src0_sel:BYTE_0 src1_sel:DWORD
	s_mov_b64 s[8:9], -1
	s_and_b64 vcc, exec, s[10:11]
	s_cbranch_vccnz .LBB161_1187
; %bb.1178:
	v_mov_b32_e32 v2, 3
	v_cmp_lt_i16_sdwa s[10:11], v41, v2 src0_sel:BYTE_0 src1_sel:DWORD
	s_and_b64 vcc, exec, s[10:11]
	s_cbranch_vccnz .LBB161_1184
; %bb.1179:
	v_cmp_gt_i16_sdwa s[10:11], v41, v2 src0_sel:BYTE_0 src1_sel:DWORD
	s_and_b64 vcc, exec, s[10:11]
	s_cbranch_vccz .LBB161_1181
; %bb.1180:
	v_trunc_f64_e32 v[2:3], v[0:1]
	s_movk_i32 s8, 0xffe0
	v_ldexp_f64 v[6:7], v[2:3], s8
	v_floor_f64_e32 v[6:7], v[6:7]
	v_fmac_f64_e32 v[2:3], 0xc1f00000, v[6:7]
	v_cvt_i32_f64_e32 v9, v[6:7]
	v_cvt_u32_f64_e32 v8, v[2:3]
	s_mov_b64 s[8:9], 0
	global_store_dwordx2 v[4:5], v[8:9], off
.LBB161_1181:
	s_andn2_b64 vcc, exec, s[8:9]
	s_cbranch_vccnz .LBB161_1183
; %bb.1182:
	v_cvt_i32_f64_e32 v2, v[0:1]
	global_store_dword v[4:5], v2, off
.LBB161_1183:
	s_mov_b64 s[8:9], 0
.LBB161_1184:
	s_andn2_b64 vcc, exec, s[8:9]
	s_cbranch_vccnz .LBB161_1186
; %bb.1185:
	v_cvt_i32_f64_e32 v2, v[0:1]
	global_store_short v[4:5], v2, off
.LBB161_1186:
	s_mov_b64 s[8:9], 0
.LBB161_1187:
	s_andn2_b64 vcc, exec, s[8:9]
	s_cbranch_vccnz .LBB161_1192
; %bb.1188:
	v_mov_b32_e32 v2, 0
	v_cmp_gt_i16_sdwa s[10:11], v41, v2 src0_sel:BYTE_0 src1_sel:DWORD
	s_mov_b64 s[8:9], -1
	s_and_b64 vcc, exec, s[10:11]
	s_cbranch_vccz .LBB161_1190
; %bb.1189:
	v_cvt_i32_f64_e32 v2, v[0:1]
	s_mov_b64 s[8:9], 0
	global_store_byte v[4:5], v2, off
.LBB161_1190:
	s_andn2_b64 vcc, exec, s[8:9]
	s_cbranch_vccnz .LBB161_1192
; %bb.1191:
	v_trunc_f64_e32 v[0:1], v[0:1]
	s_movk_i32 s8, 0xffe0
	v_ldexp_f64 v[2:3], v[0:1], s8
	v_floor_f64_e32 v[2:3], v[2:3]
	v_fmac_f64_e32 v[0:1], 0xc1f00000, v[2:3]
	v_cvt_u32_f64_e32 v0, v[0:1]
	global_store_byte v[4:5], v0, off
.LBB161_1192:
	s_mov_b64 s[8:9], -1
.LBB161_1193:
	s_andn2_b64 vcc, exec, s[8:9]
	s_cbranch_vccnz .LBB161_1195
; %bb.1194:
	v_add_u32_e32 v45, 0x80, v45
	s_mov_b64 s[12:13], -1
	s_branch .LBB161_1196
.LBB161_1195:
	s_mov_b64 s[12:13], 0
                                        ; implicit-def: $vgpr45
.LBB161_1196:
	v_readlane_b32 s10, v70, 13
	v_readlane_b32 s16, v70, 29
	s_mov_b64 s[14:15], s[94:95]
	v_readlane_b32 s11, v70, 14
	v_readlane_b32 s17, v70, 30
.LBB161_1197:
	s_andn2_b64 s[8:9], s[10:11], exec
	s_and_b64 s[6:7], s[6:7], exec
	s_or_b64 s[10:11], s[8:9], s[6:7]
	s_andn2_b64 s[6:7], s[14:15], exec
	v_readlane_b32 s14, v70, 27
	s_and_b64 s[8:9], s[16:17], exec
	v_readlane_b32 s15, v70, 28
	s_or_b64 s[8:9], s[6:7], s[8:9]
	s_andn2_b64 s[6:7], s[80:81], exec
	s_and_b64 s[14:15], s[14:15], exec
	s_or_b64 s[6:7], s[6:7], s[14:15]
	s_orn2_b64 s[20:21], s[12:13], exec
.LBB161_1198:
	v_readlane_b32 s12, v70, 25
	v_readlane_b32 s13, v70, 26
	s_or_b64 exec, exec, s[12:13]
	s_mov_b64 s[14:15], 0
	s_mov_b64 s[16:17], 0
	;; [unrolled: 1-line block ×3, first 2 shown]
                                        ; implicit-def: $vgpr1
                                        ; implicit-def: $vgpr2_vgpr3
                                        ; implicit-def: $vgpr0
                                        ; implicit-def: $vgpr42
                                        ; implicit-def: $vgpr4_vgpr5
	s_and_saveexec_b64 s[12:13], s[20:21]
	s_cbranch_execz .LBB161_1291
; %bb.1199:
	v_readlane_b32 s14, v70, 0
	v_cmp_gt_i32_e32 vcc, s14, v45
	s_mov_b64 s[20:21], 0
	s_mov_b64 s[22:23], s[6:7]
	;; [unrolled: 1-line block ×4, first 2 shown]
                                        ; implicit-def: $vgpr1
                                        ; implicit-def: $vgpr2_vgpr3
                                        ; implicit-def: $vgpr0
                                        ; implicit-def: $vgpr42
                                        ; implicit-def: $vgpr4_vgpr5
	s_and_saveexec_b64 s[14:15], vcc
	s_cbranch_execz .LBB161_1290
; %bb.1200:
	s_andn2_b64 vcc, exec, s[86:87]
	s_cbranch_vccnz .LBB161_1207
; %bb.1201:
	v_readlane_b32 s16, v70, 5
	v_readlane_b32 s17, v70, 6
	s_andn2_b64 vcc, exec, s[16:17]
	s_waitcnt vmcnt(0)
	v_mov_b32_e32 v0, 0
	v_mov_b32_e32 v2, 0
	;; [unrolled: 1-line block ×3, first 2 shown]
	s_cbranch_vccnz .LBB161_1206
; %bb.1202:
	v_readlane_b32 s19, v70, 7
	s_add_i32 s16, s19, 1
	s_and_b32 s18, s16, 30
	s_add_u32 s16, s74, 0xffffffec
	s_addc_u32 s17, s75, -1
	v_mov_b32_e32 v42, 0
	v_mov_b32_e32 v1, v45
	v_mov_b32_e32 v2, 0
	v_mov_b32_e32 v0, 0
.LBB161_1203:                           ; =>This Inner Loop Header: Depth=1
	s_mov_b64 s[28:29], s[16:17]
	s_load_dwordx4 s[20:23], s[28:29], 0x18
	s_load_dwordx2 s[30:31], s[28:29], 0x28
	s_load_dwordx2 s[34:35], s[28:29], 0xe8
	s_load_dwordx4 s[24:27], s[28:29], 0xd8
	s_add_u32 s16, s28, 24
	s_waitcnt lgkmcnt(0)
	v_mul_hi_u32 v3, s21, v1
	v_add_u32_e32 v3, v1, v3
	v_lshrrev_b32_e32 v3, s22, v3
	v_mul_lo_u32 v4, v3, s20
	v_mul_hi_u32 v5, s30, v3
	v_sub_u32_e32 v1, v1, v4
	v_add_u32_e32 v4, v3, v5
	v_mul_lo_u32 v5, v1, s24
	v_mul_lo_u32 v6, v1, s25
	;; [unrolled: 1-line block ×3, first 2 shown]
	v_lshrrev_b32_e32 v1, s31, v4
	v_mul_lo_u32 v4, v1, s23
	v_sub_u32_e32 v3, v3, v4
	s_addc_u32 s17, s29, 0
	s_add_i32 s18, s18, -2
	v_mul_lo_u32 v4, v3, s27
	v_mul_lo_u32 v8, v3, s34
	;; [unrolled: 1-line block ×3, first 2 shown]
	s_cmp_eq_u32 s18, 0
	v_add3_u32 v42, v5, v42, v4
	v_add3_u32 v0, v7, v0, v3
	;; [unrolled: 1-line block ×3, first 2 shown]
	s_cbranch_scc0 .LBB161_1203
; %bb.1204:
	s_bitcmp1_b32 s19, 0
	s_cselect_b64 s[18:19], -1, 0
	s_and_b64 vcc, exec, s[18:19]
	s_cbranch_vccnz .LBB161_1206
; %bb.1205:
	s_load_dwordx2 s[18:19], s[16:17], 0x18
	s_load_dword s20, s[16:17], 0x20
	s_load_dword s21, s[16:17], 0xe0
	s_nop 0
	s_load_dwordx2 s[16:17], s[16:17], 0xd8
	s_waitcnt lgkmcnt(0)
	v_mul_hi_u32 v3, s19, v1
	v_add_u32_e32 v3, v1, v3
	v_lshrrev_b32_e32 v3, s20, v3
	v_mul_lo_u32 v3, v3, s18
	v_sub_u32_e32 v1, v1, v3
	v_mad_u64_u32 v[42:43], s[18:19], v1, s16, v[42:43]
	v_mad_u64_u32 v[2:3], s[16:17], v1, s17, v[2:3]
	;; [unrolled: 1-line block ×3, first 2 shown]
.LBB161_1206:
	s_mov_b64 s[16:17], 0
	s_branch .LBB161_1208
.LBB161_1207:
	s_mov_b64 s[16:17], -1
                                        ; implicit-def: $vgpr0
                                        ; implicit-def: $vgpr2
                                        ; implicit-def: $vgpr42
.LBB161_1208:
	s_andn2_b64 vcc, exec, s[16:17]
	s_cbranch_vccnz .LBB161_1211
; %bb.1209:
	s_waitcnt vmcnt(0) lgkmcnt(0)
	v_mul_hi_u32 v0, s49, v45
	v_add_u32_e32 v0, v45, v0
	v_lshrrev_b32_e32 v1, s50, v0
	v_mul_lo_u32 v0, v1, s48
	v_sub_u32_e32 v2, v45, v0
	v_mul_lo_u32 v42, v2, s96
	v_mul_lo_u32 v0, v2, s98
	s_andn2_b64 vcc, exec, s[56:57]
	v_mul_lo_u32 v2, v2, s97
	s_cbranch_vccnz .LBB161_1211
; %bb.1210:
	v_mul_hi_u32 v3, s84, v1
	v_add_u32_e32 v3, v1, v3
	v_lshrrev_b32_e32 v3, s85, v3
	v_mul_lo_u32 v3, v3, s51
	v_sub_u32_e32 v1, v1, v3
	v_mad_u64_u32 v[42:43], s[16:17], v1, s99, v[42:43]
	v_mad_u64_u32 v[2:3], s[16:17], v1, s38, v[2:3]
	;; [unrolled: 1-line block ×3, first 2 shown]
.LBB161_1211:
	s_waitcnt vmcnt(0) lgkmcnt(0)
	v_mov_b32_e32 v1, s43
	v_add_co_u32_e32 v2, vcc, s42, v2
	v_addc_co_u32_e32 v3, vcc, 0, v1, vcc
	v_and_b32_e32 v1, 0xff, v46
	v_cmp_gt_i16_e32 vcc, 11, v1
	s_cbranch_vccnz .LBB161_1218
; %bb.1212:
	v_cmp_lt_i16_e32 vcc, 25, v1
	s_mov_b64 s[18:19], 0
	s_cbranch_vccz .LBB161_1219
; %bb.1213:
	v_cmp_lt_i16_e32 vcc, 28, v1
	s_cbranch_vccz .LBB161_1220
; %bb.1214:
	v_cmp_lt_i16_e32 vcc, 43, v1
	;; [unrolled: 3-line block ×3, first 2 shown]
	s_cbranch_vccz .LBB161_1222
; %bb.1216:
	v_cmp_eq_u16_e32 vcc, 46, v1
	s_mov_b64 s[22:23], 0
	s_cbranch_vccz .LBB161_1225
; %bb.1217:
	global_load_dword v4, v[2:3], off
	s_mov_b64 s[16:17], 0
	s_mov_b64 s[20:21], -1
	s_waitcnt vmcnt(0)
	v_lshlrev_b32_e32 v4, 16, v4
	v_cvt_f64_f32_e32 v[4:5], v4
	s_branch .LBB161_1226
.LBB161_1218:
	s_mov_b64 s[22:23], -1
	s_mov_b64 s[20:21], 0
	s_mov_b64 s[18:19], 0
	;; [unrolled: 1-line block ×3, first 2 shown]
                                        ; implicit-def: $vgpr4_vgpr5
	s_branch .LBB161_1289
.LBB161_1219:
	s_mov_b64 s[22:23], -1
	s_mov_b64 s[20:21], 0
	s_mov_b64 s[16:17], s[6:7]
                                        ; implicit-def: $vgpr4_vgpr5
	s_branch .LBB161_1255
.LBB161_1220:
	s_mov_b64 s[22:23], -1
	s_mov_b64 s[20:21], 0
	s_mov_b64 s[16:17], s[6:7]
                                        ; implicit-def: $vgpr4_vgpr5
	s_branch .LBB161_1236
.LBB161_1221:
	s_mov_b64 s[22:23], -1
	s_mov_b64 s[20:21], 0
	s_mov_b64 s[16:17], s[6:7]
                                        ; implicit-def: $vgpr4_vgpr5
	s_branch .LBB161_1231
.LBB161_1222:
	s_mov_b64 s[22:23], -1
	s_mov_b64 s[20:21], 0
	s_mov_b64 s[16:17], s[6:7]
                                        ; implicit-def: $vgpr4_vgpr5
	s_branch .LBB161_1226
.LBB161_1223:
	s_or_saveexec_b64 s[12:13], s[12:13]
                                        ; implicit-def: $sgpr14
	s_xor_b64 exec, exec, s[12:13]
	s_cbranch_execz .LBB161_1105
.LBB161_1224:
	s_mov_b32 s14, 0x46000000
	v_add_f32_e64 v3, |v2|, s14
	v_and_b32_e32 v3, 0xff, v3
	v_cmp_ne_u32_e32 vcc, 0, v3
	s_andn2_b64 s[10:11], s[10:11], exec
	s_and_b64 s[16:17], vcc, exec
	s_mov_b32 s14, 0
	s_or_b64 s[10:11], s[10:11], s[16:17]
	s_or_b64 exec, exec, s[12:13]
	v_mov_b32_e32 v6, s14
	s_and_saveexec_b64 s[12:13], s[10:11]
	s_cbranch_execnz .LBB161_1106
	s_branch .LBB161_1107
.LBB161_1225:
	s_mov_b64 s[16:17], -1
                                        ; implicit-def: $vgpr4_vgpr5
	s_mov_b64 s[20:21], 0
.LBB161_1226:
	s_and_b64 vcc, exec, s[22:23]
	s_cbranch_vccz .LBB161_1230
; %bb.1227:
	v_cmp_eq_u16_e32 vcc, 44, v1
	s_cbranch_vccz .LBB161_1229
; %bb.1228:
	global_load_ubyte v6, v[2:3], off
	s_movk_i32 s20, 0xff
	v_bfrev_b32_e32 v7, 4
	v_mov_b32_e32 v8, 0x7ff80000
	v_bfrev_b32_e32 v9, 28
	s_mov_b64 s[16:17], 0
	s_waitcnt vmcnt(0)
	v_lshlrev_b32_e32 v4, 23, v6
	v_cvt_f64_f32_e32 v[4:5], v4
	v_cmp_ne_u32_e32 vcc, s20, v6
	v_cndmask_b32_e32 v4, v7, v4, vcc
	v_cndmask_b32_e32 v5, v8, v5, vcc
	v_cmp_ne_u32_e32 vcc, 0, v6
	v_cndmask_b32_e32 v5, v9, v5, vcc
	v_cndmask_b32_e32 v4, 0, v4, vcc
	s_mov_b64 s[20:21], -1
	s_branch .LBB161_1230
.LBB161_1229:
	s_mov_b64 s[16:17], -1
                                        ; implicit-def: $vgpr4_vgpr5
.LBB161_1230:
	s_mov_b64 s[22:23], 0
.LBB161_1231:
	s_and_b64 vcc, exec, s[22:23]
	s_cbranch_vccz .LBB161_1235
; %bb.1232:
	v_cmp_eq_u16_e32 vcc, 29, v1
	s_cbranch_vccz .LBB161_1234
; %bb.1233:
	global_load_dwordx2 v[4:5], v[2:3], off
	s_mov_b64 s[16:17], 0
	s_mov_b64 s[20:21], -1
	s_mov_b64 s[22:23], 0
	s_waitcnt vmcnt(0)
	v_cvt_f64_u32_e32 v[6:7], v5
	v_cvt_f64_u32_e32 v[4:5], v4
	v_ldexp_f64 v[6:7], v[6:7], 32
	v_add_f64 v[4:5], v[6:7], v[4:5]
	s_branch .LBB161_1236
.LBB161_1234:
	s_mov_b64 s[16:17], -1
                                        ; implicit-def: $vgpr4_vgpr5
.LBB161_1235:
	s_mov_b64 s[22:23], 0
.LBB161_1236:
	s_and_b64 vcc, exec, s[22:23]
	s_cbranch_vccz .LBB161_1254
; %bb.1237:
	v_cmp_gt_i16_e32 vcc, 27, v1
	s_cbranch_vccnz .LBB161_1240
; %bb.1238:
	v_cmp_lt_i16_e32 vcc, 27, v1
	s_cbranch_vccz .LBB161_1241
; %bb.1239:
	global_load_dword v4, v[2:3], off
	s_mov_b64 s[20:21], 0
	s_waitcnt vmcnt(0)
	v_cvt_f64_u32_e32 v[4:5], v4
	s_branch .LBB161_1242
.LBB161_1240:
	s_mov_b64 s[20:21], -1
                                        ; implicit-def: $vgpr4_vgpr5
	s_branch .LBB161_1245
.LBB161_1241:
	s_mov_b64 s[20:21], -1
                                        ; implicit-def: $vgpr4_vgpr5
.LBB161_1242:
	s_andn2_b64 vcc, exec, s[20:21]
	s_cbranch_vccnz .LBB161_1244
; %bb.1243:
	global_load_ushort v4, v[2:3], off
	s_waitcnt vmcnt(0)
	v_cvt_f64_u32_e32 v[4:5], v4
.LBB161_1244:
	s_mov_b64 s[20:21], 0
.LBB161_1245:
	s_andn2_b64 vcc, exec, s[20:21]
	s_cbranch_vccnz .LBB161_1253
; %bb.1246:
	global_load_ubyte v6, v[2:3], off
	s_movk_i32 s20, 0x7f
                                        ; implicit-def: $sgpr22_sgpr23
	s_waitcnt vmcnt(0)
	v_cmp_lt_i16_e32 vcc, s20, v6
	s_mov_b64 s[20:21], 0
	s_and_saveexec_b64 s[24:25], vcc
	s_xor_b64 s[24:25], exec, s[24:25]
	s_cbranch_execz .LBB161_1267
; %bb.1247:
	s_movk_i32 s20, 0x80
	v_cmp_eq_u16_e32 vcc, s20, v6
	s_mov_b64 s[26:27], -1
                                        ; implicit-def: $sgpr22_sgpr23
	s_and_saveexec_b64 s[20:21], vcc
; %bb.1248:
	s_mov_b32 s23, 0x7ff80000
	s_brev_b32 s22, 4
	s_xor_b64 s[26:27], exec, -1
; %bb.1249:
	s_or_b64 exec, exec, s[20:21]
	s_and_b64 s[20:21], s[26:27], exec
	s_or_saveexec_b64 s[24:25], s[24:25]
	v_pk_mov_b32 v[4:5], s[22:23], s[22:23] op_sel:[0,1]
	s_xor_b64 exec, exec, s[24:25]
	s_cbranch_execnz .LBB161_1268
.LBB161_1250:
	s_or_b64 exec, exec, s[24:25]
	s_and_saveexec_b64 s[22:23], s[20:21]
	s_cbranch_execz .LBB161_1252
.LBB161_1251:
	v_and_b32_e32 v5, 0xffff, v6
	v_lshlrev_b32_e32 v4, 24, v6
	v_and_b32_e32 v6, 7, v5
	v_ffbh_u32_e32 v8, v6
	v_min_u32_e32 v8, 32, v8
	v_subrev_u32_e32 v9, 28, v8
	v_bfe_u32 v7, v5, 3, 4
	v_lshlrev_b32_e32 v5, v9, v5
	v_sub_u32_e32 v8, 29, v8
	v_and_b32_e32 v5, 7, v5
	v_cmp_eq_u32_e32 vcc, 0, v7
	v_cndmask_b32_e32 v7, v7, v8, vcc
	v_cndmask_b32_e32 v5, v6, v5, vcc
	v_mov_b32_e32 v6, 0x3b800000
	v_lshlrev_b32_e32 v5, 20, v5
	v_and_b32_e32 v4, 0x80000000, v4
	v_lshl_add_u32 v6, v7, 23, v6
	v_or3_b32 v4, v4, v6, v5
	v_cvt_f64_f32_e32 v[4:5], v4
.LBB161_1252:
	s_or_b64 exec, exec, s[22:23]
.LBB161_1253:
	s_mov_b64 s[20:21], -1
.LBB161_1254:
	s_mov_b64 s[22:23], 0
.LBB161_1255:
	s_and_b64 vcc, exec, s[22:23]
	s_cbranch_vccz .LBB161_1288
; %bb.1256:
	v_cmp_lt_i16_e32 vcc, 22, v1
	s_cbranch_vccz .LBB161_1266
; %bb.1257:
	v_cmp_gt_i16_e32 vcc, 24, v1
	s_cbranch_vccnz .LBB161_1269
; %bb.1258:
	v_cmp_lt_i16_e32 vcc, 24, v1
	s_cbranch_vccz .LBB161_1270
; %bb.1259:
	global_load_ubyte v6, v[2:3], off
	s_movk_i32 s18, 0x7f
                                        ; implicit-def: $sgpr20_sgpr21
	s_waitcnt vmcnt(0)
	v_cmp_lt_i16_e32 vcc, s18, v6
	s_mov_b64 s[18:19], 0
	s_and_saveexec_b64 s[22:23], vcc
	s_xor_b64 s[22:23], exec, s[22:23]
	s_cbranch_execz .LBB161_1282
; %bb.1260:
	s_movk_i32 s18, 0x80
	v_cmp_eq_u16_e32 vcc, s18, v6
	s_mov_b64 s[24:25], -1
                                        ; implicit-def: $sgpr20_sgpr21
	s_and_saveexec_b64 s[18:19], vcc
; %bb.1261:
	s_mov_b32 s21, 0x7ff80000
	s_brev_b32 s20, 4
	s_xor_b64 s[24:25], exec, -1
; %bb.1262:
	s_or_b64 exec, exec, s[18:19]
	s_and_b64 s[18:19], s[24:25], exec
	s_or_saveexec_b64 s[22:23], s[22:23]
	v_pk_mov_b32 v[4:5], s[20:21], s[20:21] op_sel:[0,1]
	s_xor_b64 exec, exec, s[22:23]
	s_cbranch_execnz .LBB161_1283
.LBB161_1263:
	s_or_b64 exec, exec, s[22:23]
	s_and_saveexec_b64 s[20:21], s[18:19]
	s_cbranch_execz .LBB161_1265
.LBB161_1264:
	v_and_b32_e32 v5, 0xffff, v6
	v_lshlrev_b32_e32 v4, 24, v6
	v_and_b32_e32 v6, 3, v5
	v_ffbh_u32_e32 v8, v6
	v_min_u32_e32 v8, 32, v8
	v_subrev_u32_e32 v9, 29, v8
	v_bfe_u32 v7, v5, 2, 5
	v_lshlrev_b32_e32 v5, v9, v5
	v_sub_u32_e32 v8, 30, v8
	v_and_b32_e32 v5, 3, v5
	v_cmp_eq_u32_e32 vcc, 0, v7
	v_cndmask_b32_e32 v7, v7, v8, vcc
	v_cndmask_b32_e32 v5, v6, v5, vcc
	v_mov_b32_e32 v6, 0x37800000
	v_lshlrev_b32_e32 v5, 21, v5
	v_and_b32_e32 v4, 0x80000000, v4
	v_lshl_add_u32 v6, v7, 23, v6
	v_or3_b32 v4, v4, v6, v5
	v_cvt_f64_f32_e32 v[4:5], v4
.LBB161_1265:
	s_or_b64 exec, exec, s[20:21]
	s_mov_b64 s[18:19], 0
	s_branch .LBB161_1271
.LBB161_1266:
	s_mov_b64 s[18:19], -1
                                        ; implicit-def: $vgpr4_vgpr5
	s_branch .LBB161_1277
.LBB161_1267:
	s_or_saveexec_b64 s[24:25], s[24:25]
	v_pk_mov_b32 v[4:5], s[22:23], s[22:23] op_sel:[0,1]
	s_xor_b64 exec, exec, s[24:25]
	s_cbranch_execz .LBB161_1250
.LBB161_1268:
	v_cmp_ne_u16_e32 vcc, 0, v6
	s_andn2_b64 s[20:21], s[20:21], exec
	s_and_b64 s[22:23], vcc, exec
	v_pk_mov_b32 v[4:5], 0, 0
	s_or_b64 s[20:21], s[20:21], s[22:23]
	s_or_b64 exec, exec, s[24:25]
	s_and_saveexec_b64 s[22:23], s[20:21]
	s_cbranch_execnz .LBB161_1251
	s_branch .LBB161_1252
.LBB161_1269:
	s_mov_b64 s[18:19], -1
                                        ; implicit-def: $vgpr4_vgpr5
	s_branch .LBB161_1274
.LBB161_1270:
	s_mov_b64 s[18:19], -1
                                        ; implicit-def: $vgpr4_vgpr5
.LBB161_1271:
	s_and_b64 vcc, exec, s[18:19]
	s_cbranch_vccz .LBB161_1273
; %bb.1272:
	global_load_ubyte v4, v[2:3], off
	s_mov_b32 s18, 0x7f800000
	s_waitcnt vmcnt(0)
	v_lshlrev_b32_e32 v4, 24, v4
	v_and_b32_e32 v5, 0x7f000000, v4
	v_ffbh_u32_e32 v6, v5
	v_min_u32_e32 v6, 32, v6
	v_sub_u32_e64 v6, v6, 4 clamp
	v_lshlrev_b32_e32 v8, v6, v5
	v_lshlrev_b32_e32 v6, 23, v6
	v_lshrrev_b32_e32 v8, 4, v8
	v_add_u32_e32 v7, 0x1000000, v5
	v_sub_u32_e32 v6, v8, v6
	v_ashrrev_i32_e32 v7, 8, v7
	v_add_u32_e32 v6, 0x3c000000, v6
	v_and_or_b32 v6, v7, s18, v6
	v_cmp_ne_u32_e32 vcc, 0, v5
	v_cndmask_b32_e32 v5, 0, v6, vcc
	s_brev_b32 s18, 1
	v_and_or_b32 v4, v4, s18, v5
	v_cvt_f64_f32_e32 v[4:5], v4
.LBB161_1273:
	s_mov_b64 s[18:19], 0
.LBB161_1274:
	s_andn2_b64 vcc, exec, s[18:19]
	s_cbranch_vccnz .LBB161_1276
; %bb.1275:
	global_load_ubyte v4, v[2:3], off
	s_movk_i32 s18, 0x7f00
	s_brev_b32 s19, 16
	s_waitcnt vmcnt(0)
	v_lshlrev_b16_e32 v5, 8, v4
	v_lshlrev_b32_e32 v4, 25, v4
	v_lshrrev_b32_e32 v6, 4, v4
	v_and_or_b32 v7, v5, s18, 0.5
	v_or_b32_e32 v6, 0x70000000, v6
	v_add_f32_e32 v7, -0.5, v7
	v_mul_f32_e32 v6, 0x7800000, v6
	v_cmp_gt_u32_e32 vcc, s19, v4
	v_bfe_i32 v5, v5, 0, 16
	v_cndmask_b32_e32 v4, v6, v7, vcc
	s_brev_b32 s18, 1
	v_and_or_b32 v4, v5, s18, v4
	v_cvt_f64_f32_e32 v[4:5], v4
.LBB161_1276:
	s_mov_b64 s[18:19], 0
	s_mov_b64 s[20:21], -1
.LBB161_1277:
	s_andn2_b64 vcc, exec, s[18:19]
	s_mov_b64 s[18:19], 0
	s_cbranch_vccnz .LBB161_1288
; %bb.1278:
	v_cmp_lt_i16_e32 vcc, 14, v1
	s_cbranch_vccz .LBB161_1281
; %bb.1279:
	v_cmp_eq_u16_e32 vcc, 15, v1
	s_cbranch_vccz .LBB161_1284
; %bb.1280:
	global_load_ushort v4, v[2:3], off
	s_mov_b64 s[16:17], 0
	s_mov_b64 s[20:21], -1
	s_waitcnt vmcnt(0)
	v_lshlrev_b32_e32 v4, 16, v4
	v_cvt_f64_f32_e32 v[4:5], v4
	s_branch .LBB161_1285
.LBB161_1281:
	s_mov_b64 s[22:23], -1
                                        ; implicit-def: $vgpr4_vgpr5
	s_branch .LBB161_1286
.LBB161_1282:
	s_or_saveexec_b64 s[22:23], s[22:23]
	v_pk_mov_b32 v[4:5], s[20:21], s[20:21] op_sel:[0,1]
	s_xor_b64 exec, exec, s[22:23]
	s_cbranch_execz .LBB161_1263
.LBB161_1283:
	v_cmp_ne_u16_e32 vcc, 0, v6
	s_andn2_b64 s[18:19], s[18:19], exec
	s_and_b64 s[20:21], vcc, exec
	v_pk_mov_b32 v[4:5], 0, 0
	s_or_b64 s[18:19], s[18:19], s[20:21]
	s_or_b64 exec, exec, s[22:23]
	s_and_saveexec_b64 s[20:21], s[18:19]
	s_cbranch_execnz .LBB161_1264
	s_branch .LBB161_1265
.LBB161_1284:
	s_mov_b64 s[16:17], -1
                                        ; implicit-def: $vgpr4_vgpr5
.LBB161_1285:
	s_mov_b64 s[22:23], 0
.LBB161_1286:
	s_and_b64 vcc, exec, s[22:23]
	s_cbranch_vccz .LBB161_1288
; %bb.1287:
	v_cmp_ne_u16_e32 vcc, 11, v1
	s_andn2_b64 s[16:17], s[16:17], exec
	s_and_b64 s[22:23], vcc, exec
	s_mov_b64 s[18:19], -1
	s_or_b64 s[16:17], s[16:17], s[22:23]
                                        ; implicit-def: $vgpr4_vgpr5
.LBB161_1288:
	s_mov_b64 s[22:23], 0
.LBB161_1289:
	s_and_b64 s[26:27], s[20:21], exec
	s_and_b64 s[20:21], s[18:19], exec
	s_andn2_b64 s[18:19], s[6:7], exec
	s_and_b64 s[16:17], s[16:17], exec
	s_and_b64 s[24:25], s[22:23], exec
	s_or_b64 s[22:23], s[18:19], s[16:17]
.LBB161_1290:
	s_or_b64 exec, exec, s[14:15]
	s_and_b64 s[14:15], s[20:21], exec
	s_andn2_b64 s[6:7], s[6:7], exec
	s_and_b64 s[20:21], s[22:23], exec
	s_and_b64 s[18:19], s[26:27], exec
	;; [unrolled: 1-line block ×3, first 2 shown]
	s_or_b64 s[6:7], s[6:7], s[20:21]
.LBB161_1291:
	s_or_b64 exec, exec, s[12:13]
	v_readlane_b32 s12, v70, 13
	v_readlane_b32 s13, v70, 14
	s_andn2_b64 s[12:13], s[12:13], exec
	s_and_b64 s[10:11], s[10:11], exec
	s_or_b64 s[10:11], s[12:13], s[10:11]
	v_writelane_b32 v70, s10, 13
	v_writelane_b32 v70, s11, 14
	s_andn2_b64 s[10:11], s[94:95], exec
	s_and_b64 s[8:9], s[8:9], exec
	s_and_b64 s[12:13], s[14:15], exec
	s_andn2_b64 s[14:15], s[80:81], exec
	s_and_b64 s[6:7], s[6:7], exec
	s_or_b64 s[94:95], s[10:11], s[8:9]
	s_and_b64 s[8:9], s[18:19], exec
	s_and_b64 s[10:11], s[16:17], exec
	s_or_b64 s[80:81], s[14:15], s[6:7]
.LBB161_1292:
	v_readlane_b32 s6, v70, 17
	v_readlane_b32 s7, v70, 18
	s_or_b64 exec, exec, s[6:7]
	v_readlane_b32 s6, v70, 8
	v_readlane_b32 s14, v70, 13
	;; [unrolled: 1-line block ×4, first 2 shown]
	s_andn2_b64 s[6:7], s[6:7], exec
	s_and_b64 s[14:15], s[14:15], exec
	s_or_b64 s[6:7], s[6:7], s[14:15]
	v_writelane_b32 v70, s6, 8
	v_writelane_b32 v70, s7, 9
	v_readlane_b32 s6, v70, 3
	v_readlane_b32 s7, v70, 4
	s_andn2_b64 s[6:7], s[6:7], exec
	s_and_b64 s[14:15], s[94:95], exec
	s_or_b64 s[6:7], s[6:7], s[14:15]
	v_writelane_b32 v70, s6, 3
	v_writelane_b32 v70, s7, 4
	v_readlane_b32 s6, v70, 1
	v_readlane_b32 s7, v70, 2
	s_and_b64 s[24:25], s[12:13], exec
	s_andn2_b64 s[6:7], s[6:7], exec
	s_and_b64 s[12:13], s[80:81], exec
	s_or_b64 s[6:7], s[6:7], s[12:13]
	v_writelane_b32 v70, s6, 1
	s_and_b64 s[8:9], s[8:9], exec
	s_and_b64 s[10:11], s[10:11], exec
	v_writelane_b32 v70, s7, 2
.LBB161_1293:
	v_readlane_b32 s6, v70, 10
	v_readlane_b32 s7, v70, 11
	s_or_b64 exec, exec, s[6:7]
	s_mov_b64 s[78:79], 0
	s_mov_b64 s[6:7], exec
	v_readlane_b32 s12, v70, 1
	v_readlane_b32 s13, v70, 2
	s_and_b64 s[12:13], s[6:7], s[12:13]
	s_mov_b64 exec, s[12:13]
	s_cbranch_execnz .LBB161_1296
; %bb.1294:
	s_or_b64 exec, exec, s[6:7]
	s_and_saveexec_b64 s[6:7], s[24:25]
	s_xor_b64 s[6:7], exec, s[6:7]
	s_cbranch_execz .LBB161_1297
.LBB161_1295:
	s_waitcnt vmcnt(0)
	global_load_ubyte v5, v[2:3], off
	v_mov_b32_e32 v6, 0x3ff00000
	v_mov_b32_e32 v4, 0
	s_or_b64 s[8:9], s[8:9], exec
	s_waitcnt vmcnt(0)
	v_cmp_ne_u16_e32 vcc, 0, v5
	v_cndmask_b32_e32 v5, 0, v6, vcc
	s_or_b64 exec, exec, s[6:7]
	s_and_saveexec_b64 s[6:7], s[10:11]
	s_cbranch_execz .LBB161_1343
	s_branch .LBB161_1298
.LBB161_1296:
	s_mov_b64 s[78:79], exec
	s_andn2_b64 s[24:25], s[24:25], exec
	s_trap 2
                                        ; implicit-def: $vgpr4_vgpr5
	s_or_b64 exec, exec, s[6:7]
	s_and_saveexec_b64 s[6:7], s[24:25]
	s_xor_b64 s[6:7], exec, s[6:7]
	s_cbranch_execnz .LBB161_1295
.LBB161_1297:
	s_or_b64 exec, exec, s[6:7]
	s_and_saveexec_b64 s[6:7], s[10:11]
	s_cbranch_execz .LBB161_1343
.LBB161_1298:
	s_waitcnt vmcnt(0)
	v_cmp_gt_i16_e32 vcc, 5, v1
	s_cbranch_vccnz .LBB161_1303
; %bb.1299:
	v_cmp_gt_i16_e32 vcc, 8, v1
	s_cbranch_vccnz .LBB161_1304
; %bb.1300:
	;; [unrolled: 3-line block ×3, first 2 shown]
	v_cmp_lt_i16_e32 vcc, 9, v1
	s_cbranch_vccz .LBB161_1306
; %bb.1302:
	global_load_dwordx2 v[4:5], v[2:3], off
	s_mov_b64 s[10:11], 0
	s_branch .LBB161_1307
.LBB161_1303:
                                        ; implicit-def: $vgpr4_vgpr5
	s_branch .LBB161_1324
.LBB161_1304:
                                        ; implicit-def: $vgpr4_vgpr5
	s_branch .LBB161_1313
.LBB161_1305:
	s_mov_b64 s[10:11], -1
                                        ; implicit-def: $vgpr4_vgpr5
	s_branch .LBB161_1310
.LBB161_1306:
	s_mov_b64 s[10:11], -1
                                        ; implicit-def: $vgpr4_vgpr5
.LBB161_1307:
	s_andn2_b64 vcc, exec, s[10:11]
	s_cbranch_vccnz .LBB161_1309
; %bb.1308:
	global_load_dword v4, v[2:3], off
	s_waitcnt vmcnt(0)
	v_cvt_f64_f32_e32 v[4:5], v4
.LBB161_1309:
	s_mov_b64 s[10:11], 0
.LBB161_1310:
	s_andn2_b64 vcc, exec, s[10:11]
	s_cbranch_vccnz .LBB161_1312
; %bb.1311:
	global_load_dword v4, v[2:3], off
	s_waitcnt vmcnt(0)
	v_cvt_f32_f16_e32 v4, v4
	v_cvt_f64_f32_e32 v[4:5], v4
.LBB161_1312:
	s_cbranch_execnz .LBB161_1323
.LBB161_1313:
	v_cmp_gt_i16_e32 vcc, 6, v1
	s_cbranch_vccnz .LBB161_1316
; %bb.1314:
	v_cmp_lt_i16_e32 vcc, 6, v1
	s_cbranch_vccz .LBB161_1317
; %bb.1315:
	global_load_dwordx2 v[4:5], v[2:3], off
	s_mov_b64 s[10:11], 0
	s_branch .LBB161_1318
.LBB161_1316:
	s_mov_b64 s[10:11], -1
                                        ; implicit-def: $vgpr4_vgpr5
	s_branch .LBB161_1321
.LBB161_1317:
	s_mov_b64 s[10:11], -1
                                        ; implicit-def: $vgpr4_vgpr5
.LBB161_1318:
	s_andn2_b64 vcc, exec, s[10:11]
	s_cbranch_vccnz .LBB161_1320
; %bb.1319:
	global_load_dword v4, v[2:3], off
	s_waitcnt vmcnt(0)
	v_cvt_f64_f32_e32 v[4:5], v4
.LBB161_1320:
	s_mov_b64 s[10:11], 0
.LBB161_1321:
	s_andn2_b64 vcc, exec, s[10:11]
	s_cbranch_vccnz .LBB161_1323
; %bb.1322:
	global_load_ushort v4, v[2:3], off
	s_waitcnt vmcnt(0)
	v_cvt_f32_f16_e32 v4, v4
	v_cvt_f64_f32_e32 v[4:5], v4
.LBB161_1323:
	s_cbranch_execnz .LBB161_1342
.LBB161_1324:
	v_cmp_gt_i16_e32 vcc, 2, v1
	s_cbranch_vccnz .LBB161_1328
; %bb.1325:
	v_cmp_gt_i16_e32 vcc, 3, v1
	s_cbranch_vccnz .LBB161_1329
; %bb.1326:
	v_cmp_lt_i16_e32 vcc, 3, v1
	s_cbranch_vccz .LBB161_1330
; %bb.1327:
	global_load_dwordx2 v[4:5], v[2:3], off
	s_mov_b64 s[10:11], 0
	s_waitcnt vmcnt(0)
	v_cvt_f64_i32_e32 v[6:7], v5
	v_cvt_f64_u32_e32 v[4:5], v4
	v_ldexp_f64 v[6:7], v[6:7], 32
	v_add_f64 v[4:5], v[6:7], v[4:5]
	s_branch .LBB161_1331
.LBB161_1328:
                                        ; implicit-def: $vgpr4_vgpr5
	s_branch .LBB161_1337
.LBB161_1329:
	s_mov_b64 s[10:11], -1
                                        ; implicit-def: $vgpr4_vgpr5
	s_branch .LBB161_1334
.LBB161_1330:
	s_mov_b64 s[10:11], -1
                                        ; implicit-def: $vgpr4_vgpr5
.LBB161_1331:
	s_andn2_b64 vcc, exec, s[10:11]
	s_cbranch_vccnz .LBB161_1333
; %bb.1332:
	global_load_dword v4, v[2:3], off
	s_waitcnt vmcnt(0)
	v_cvt_f64_i32_e32 v[4:5], v4
.LBB161_1333:
	s_mov_b64 s[10:11], 0
.LBB161_1334:
	s_andn2_b64 vcc, exec, s[10:11]
	s_cbranch_vccnz .LBB161_1336
; %bb.1335:
	global_load_sshort v4, v[2:3], off
	s_waitcnt vmcnt(0)
	v_cvt_f64_i32_e32 v[4:5], v4
.LBB161_1336:
	s_cbranch_execnz .LBB161_1342
.LBB161_1337:
	v_cmp_lt_i16_e32 vcc, 0, v1
	s_cbranch_vccz .LBB161_1339
; %bb.1338:
	global_load_sbyte v1, v[2:3], off
	s_mov_b64 s[10:11], 0
	s_waitcnt vmcnt(0)
	v_cvt_f64_i32_e32 v[4:5], v1
	s_branch .LBB161_1340
.LBB161_1339:
	s_mov_b64 s[10:11], -1
                                        ; implicit-def: $vgpr4_vgpr5
.LBB161_1340:
	s_andn2_b64 vcc, exec, s[10:11]
	s_cbranch_vccnz .LBB161_1342
; %bb.1341:
	global_load_ubyte v1, v[2:3], off
	s_waitcnt vmcnt(0)
	v_cvt_f64_u32_e32 v[4:5], v1
.LBB161_1342:
	s_or_b64 s[8:9], s[8:9], exec
.LBB161_1343:
	s_or_b64 exec, exec, s[6:7]
	s_mov_b64 s[10:11], 0
	s_mov_b64 s[14:15], 0
	;; [unrolled: 1-line block ×3, first 2 shown]
                                        ; implicit-def: $vgpr1
                                        ; implicit-def: $vgpr6_vgpr7
                                        ; implicit-def: $vgpr2_vgpr3
	s_and_saveexec_b64 s[6:7], s[8:9]
	s_cbranch_execz .LBB161_1421
; %bb.1344:
	s_waitcnt vmcnt(0) lgkmcnt(0)
	v_mov_b32_e32 v1, s53
	v_add_co_u32_e32 v6, vcc, s52, v0
	v_addc_co_u32_e32 v7, vcc, 0, v1, vcc
	v_and_b32_e32 v1, 0xff, v44
	v_cmp_gt_i16_e32 vcc, 11, v1
	s_cbranch_vccnz .LBB161_1351
; %bb.1345:
	v_cmp_lt_i16_e32 vcc, 25, v1
	s_cbranch_vccz .LBB161_1352
; %bb.1346:
	v_cmp_lt_i16_e32 vcc, 28, v1
	s_cbranch_vccz .LBB161_1353
	;; [unrolled: 3-line block ×4, first 2 shown]
; %bb.1349:
	v_cmp_eq_u16_e32 vcc, 46, v1
	s_cbranch_vccz .LBB161_1356
; %bb.1350:
	global_load_dword v0, v[6:7], off
	s_mov_b64 s[8:9], 0
	s_mov_b64 s[12:13], -1
	s_waitcnt vmcnt(0)
	v_lshlrev_b32_e32 v0, 16, v0
	v_cvt_f64_f32_e32 v[2:3], v0
	s_branch .LBB161_1358
.LBB161_1351:
	v_readlane_b32 s16, v70, 3
	v_readlane_b32 s17, v70, 4
	s_mov_b64 s[14:15], -1
                                        ; implicit-def: $vgpr2_vgpr3
	s_mov_b64 s[8:9], s[16:17]
	s_branch .LBB161_1420
.LBB161_1352:
	v_readlane_b32 s8, v70, 3
	v_readlane_b32 s9, v70, 4
                                        ; implicit-def: $vgpr2_vgpr3
	s_cbranch_execnz .LBB161_1387
	s_branch .LBB161_1419
.LBB161_1353:
	v_readlane_b32 s8, v70, 3
	s_mov_b64 s[14:15], -1
	v_readlane_b32 s9, v70, 4
                                        ; implicit-def: $vgpr2_vgpr3
	s_branch .LBB161_1368
.LBB161_1354:
	v_readlane_b32 s8, v70, 3
	s_mov_b64 s[14:15], -1
	v_readlane_b32 s9, v70, 4
                                        ; implicit-def: $vgpr2_vgpr3
	s_branch .LBB161_1363
.LBB161_1355:
	v_readlane_b32 s8, v70, 3
	s_mov_b64 s[14:15], -1
	v_readlane_b32 s9, v70, 4
	s_branch .LBB161_1357
.LBB161_1356:
	s_mov_b64 s[8:9], -1
.LBB161_1357:
                                        ; implicit-def: $vgpr2_vgpr3
.LBB161_1358:
	s_and_b64 vcc, exec, s[14:15]
	s_cbranch_vccz .LBB161_1362
; %bb.1359:
	v_cmp_eq_u16_e32 vcc, 44, v1
	s_cbranch_vccz .LBB161_1361
; %bb.1360:
	global_load_ubyte v0, v[6:7], off
	s_movk_i32 s12, 0xff
	v_bfrev_b32_e32 v8, 4
	v_mov_b32_e32 v9, 0x7ff80000
	v_bfrev_b32_e32 v10, 28
	s_mov_b64 s[8:9], 0
	s_waitcnt vmcnt(0)
	v_lshlrev_b32_e32 v2, 23, v0
	v_cvt_f64_f32_e32 v[2:3], v2
	v_cmp_ne_u32_e32 vcc, s12, v0
	v_cndmask_b32_e32 v2, v8, v2, vcc
	v_cndmask_b32_e32 v3, v9, v3, vcc
	v_cmp_ne_u32_e32 vcc, 0, v0
	v_cndmask_b32_e32 v3, v10, v3, vcc
	v_cndmask_b32_e32 v2, 0, v2, vcc
	s_mov_b64 s[12:13], -1
	s_branch .LBB161_1362
.LBB161_1361:
	s_mov_b64 s[8:9], -1
                                        ; implicit-def: $vgpr2_vgpr3
.LBB161_1362:
	s_mov_b64 s[14:15], 0
.LBB161_1363:
	s_and_b64 vcc, exec, s[14:15]
	s_cbranch_vccz .LBB161_1367
; %bb.1364:
	v_cmp_eq_u16_e32 vcc, 29, v1
	s_cbranch_vccz .LBB161_1366
; %bb.1365:
	global_load_dwordx2 v[2:3], v[6:7], off
	s_mov_b64 s[8:9], 0
	s_mov_b64 s[12:13], -1
	s_mov_b64 s[14:15], 0
	s_waitcnt vmcnt(0)
	v_cvt_f64_u32_e32 v[8:9], v3
	v_cvt_f64_u32_e32 v[2:3], v2
	v_ldexp_f64 v[8:9], v[8:9], 32
	v_add_f64 v[2:3], v[8:9], v[2:3]
	s_branch .LBB161_1368
.LBB161_1366:
	s_mov_b64 s[8:9], -1
                                        ; implicit-def: $vgpr2_vgpr3
.LBB161_1367:
	s_mov_b64 s[14:15], 0
.LBB161_1368:
	s_and_b64 vcc, exec, s[14:15]
	s_cbranch_vccz .LBB161_1386
; %bb.1369:
	v_cmp_gt_i16_e32 vcc, 27, v1
	s_cbranch_vccnz .LBB161_1372
; %bb.1370:
	v_cmp_lt_i16_e32 vcc, 27, v1
	s_cbranch_vccz .LBB161_1373
; %bb.1371:
	global_load_dword v0, v[6:7], off
	s_mov_b64 s[12:13], 0
	s_waitcnt vmcnt(0)
	v_cvt_f64_u32_e32 v[2:3], v0
	s_branch .LBB161_1374
.LBB161_1372:
	s_mov_b64 s[12:13], -1
                                        ; implicit-def: $vgpr2_vgpr3
	s_branch .LBB161_1377
.LBB161_1373:
	s_mov_b64 s[12:13], -1
                                        ; implicit-def: $vgpr2_vgpr3
.LBB161_1374:
	s_andn2_b64 vcc, exec, s[12:13]
	s_cbranch_vccnz .LBB161_1376
; %bb.1375:
	global_load_ushort v0, v[6:7], off
	s_waitcnt vmcnt(0)
	v_cvt_f64_u32_e32 v[2:3], v0
.LBB161_1376:
	s_mov_b64 s[12:13], 0
.LBB161_1377:
	s_andn2_b64 vcc, exec, s[12:13]
	s_cbranch_vccnz .LBB161_1385
; %bb.1378:
	global_load_ubyte v0, v[6:7], off
	s_movk_i32 s12, 0x7f
                                        ; implicit-def: $sgpr14_sgpr15
	s_waitcnt vmcnt(0)
	v_cmp_lt_i16_e32 vcc, s12, v0
	s_mov_b64 s[12:13], 0
	s_and_saveexec_b64 s[16:17], vcc
	s_xor_b64 s[16:17], exec, s[16:17]
	s_cbranch_execz .LBB161_1398
; %bb.1379:
	s_movk_i32 s12, 0x80
	v_cmp_eq_u16_e32 vcc, s12, v0
	s_mov_b64 s[18:19], -1
                                        ; implicit-def: $sgpr14_sgpr15
	s_and_saveexec_b64 s[12:13], vcc
; %bb.1380:
	s_mov_b32 s15, 0x7ff80000
	s_brev_b32 s14, 4
	s_xor_b64 s[18:19], exec, -1
; %bb.1381:
	s_or_b64 exec, exec, s[12:13]
	s_and_b64 s[12:13], s[18:19], exec
	s_or_saveexec_b64 s[16:17], s[16:17]
	v_pk_mov_b32 v[2:3], s[14:15], s[14:15] op_sel:[0,1]
	s_xor_b64 exec, exec, s[16:17]
	s_cbranch_execnz .LBB161_1399
.LBB161_1382:
	s_or_b64 exec, exec, s[16:17]
	s_and_saveexec_b64 s[14:15], s[12:13]
	s_cbranch_execz .LBB161_1384
.LBB161_1383:
	v_lshlrev_b32_e32 v2, 24, v0
	v_and_b32_e32 v0, 0xffff, v0
	v_and_b32_e32 v3, 7, v0
	v_ffbh_u32_e32 v9, v3
	v_min_u32_e32 v9, 32, v9
	v_subrev_u32_e32 v10, 28, v9
	v_bfe_u32 v8, v0, 3, 4
	v_lshlrev_b32_e32 v0, v10, v0
	v_sub_u32_e32 v9, 29, v9
	v_and_b32_e32 v0, 7, v0
	v_cmp_eq_u32_e32 vcc, 0, v8
	v_cndmask_b32_e32 v8, v8, v9, vcc
	v_cndmask_b32_e32 v0, v3, v0, vcc
	v_mov_b32_e32 v3, 0x3b800000
	v_lshlrev_b32_e32 v0, 20, v0
	v_and_b32_e32 v2, 0x80000000, v2
	v_lshl_add_u32 v3, v8, 23, v3
	v_or3_b32 v0, v2, v3, v0
	v_cvt_f64_f32_e32 v[2:3], v0
.LBB161_1384:
	s_or_b64 exec, exec, s[14:15]
.LBB161_1385:
	s_mov_b64 s[12:13], -1
.LBB161_1386:
	s_branch .LBB161_1419
.LBB161_1387:
	v_cmp_lt_i16_e32 vcc, 22, v1
	s_cbranch_vccz .LBB161_1397
; %bb.1388:
	v_cmp_gt_i16_e32 vcc, 24, v1
	s_cbranch_vccnz .LBB161_1400
; %bb.1389:
	v_cmp_lt_i16_e32 vcc, 24, v1
	s_cbranch_vccz .LBB161_1401
; %bb.1390:
	global_load_ubyte v0, v[6:7], off
	s_movk_i32 s10, 0x7f
                                        ; implicit-def: $sgpr12_sgpr13
	s_waitcnt vmcnt(0)
	v_cmp_lt_i16_e32 vcc, s10, v0
	s_mov_b64 s[10:11], 0
	s_and_saveexec_b64 s[14:15], vcc
	s_xor_b64 s[14:15], exec, s[14:15]
	s_cbranch_execz .LBB161_1413
; %bb.1391:
	s_movk_i32 s10, 0x80
	v_cmp_eq_u16_e32 vcc, s10, v0
	s_mov_b64 s[16:17], -1
                                        ; implicit-def: $sgpr12_sgpr13
	s_and_saveexec_b64 s[10:11], vcc
; %bb.1392:
	s_mov_b32 s13, 0x7ff80000
	s_brev_b32 s12, 4
	s_xor_b64 s[16:17], exec, -1
; %bb.1393:
	s_or_b64 exec, exec, s[10:11]
	s_and_b64 s[10:11], s[16:17], exec
	s_or_saveexec_b64 s[14:15], s[14:15]
	v_pk_mov_b32 v[2:3], s[12:13], s[12:13] op_sel:[0,1]
	s_xor_b64 exec, exec, s[14:15]
	s_cbranch_execnz .LBB161_1414
.LBB161_1394:
	s_or_b64 exec, exec, s[14:15]
	s_and_saveexec_b64 s[12:13], s[10:11]
	s_cbranch_execz .LBB161_1396
.LBB161_1395:
	v_lshlrev_b32_e32 v2, 24, v0
	v_and_b32_e32 v0, 0xffff, v0
	v_and_b32_e32 v3, 3, v0
	v_ffbh_u32_e32 v9, v3
	v_min_u32_e32 v9, 32, v9
	v_subrev_u32_e32 v10, 29, v9
	v_bfe_u32 v8, v0, 2, 5
	v_lshlrev_b32_e32 v0, v10, v0
	v_sub_u32_e32 v9, 30, v9
	v_and_b32_e32 v0, 3, v0
	v_cmp_eq_u32_e32 vcc, 0, v8
	v_cndmask_b32_e32 v8, v8, v9, vcc
	v_cndmask_b32_e32 v0, v3, v0, vcc
	v_mov_b32_e32 v3, 0x37800000
	v_lshlrev_b32_e32 v0, 21, v0
	v_and_b32_e32 v2, 0x80000000, v2
	v_lshl_add_u32 v3, v8, 23, v3
	v_or3_b32 v0, v2, v3, v0
	v_cvt_f64_f32_e32 v[2:3], v0
.LBB161_1396:
	s_or_b64 exec, exec, s[12:13]
	s_mov_b64 s[10:11], 0
	s_branch .LBB161_1402
.LBB161_1397:
	s_mov_b64 s[10:11], -1
                                        ; implicit-def: $vgpr2_vgpr3
	s_branch .LBB161_1408
.LBB161_1398:
	s_or_saveexec_b64 s[16:17], s[16:17]
	v_pk_mov_b32 v[2:3], s[14:15], s[14:15] op_sel:[0,1]
	s_xor_b64 exec, exec, s[16:17]
	s_cbranch_execz .LBB161_1382
.LBB161_1399:
	v_cmp_ne_u16_e32 vcc, 0, v0
	s_andn2_b64 s[12:13], s[12:13], exec
	s_and_b64 s[14:15], vcc, exec
	v_pk_mov_b32 v[2:3], 0, 0
	s_or_b64 s[12:13], s[12:13], s[14:15]
	s_or_b64 exec, exec, s[16:17]
	s_and_saveexec_b64 s[14:15], s[12:13]
	s_cbranch_execnz .LBB161_1383
	s_branch .LBB161_1384
.LBB161_1400:
	s_mov_b64 s[10:11], -1
                                        ; implicit-def: $vgpr2_vgpr3
	s_branch .LBB161_1405
.LBB161_1401:
	s_mov_b64 s[10:11], -1
                                        ; implicit-def: $vgpr2_vgpr3
.LBB161_1402:
	s_and_b64 vcc, exec, s[10:11]
	s_cbranch_vccz .LBB161_1404
; %bb.1403:
	global_load_ubyte v0, v[6:7], off
	s_mov_b32 s10, 0x7f800000
	s_waitcnt vmcnt(0)
	v_lshlrev_b32_e32 v0, 24, v0
	v_and_b32_e32 v2, 0x7f000000, v0
	v_ffbh_u32_e32 v3, v2
	v_min_u32_e32 v3, 32, v3
	v_sub_u32_e64 v3, v3, 4 clamp
	v_lshlrev_b32_e32 v9, v3, v2
	v_lshlrev_b32_e32 v3, 23, v3
	v_lshrrev_b32_e32 v9, 4, v9
	v_add_u32_e32 v8, 0x1000000, v2
	v_sub_u32_e32 v3, v9, v3
	v_ashrrev_i32_e32 v8, 8, v8
	v_add_u32_e32 v3, 0x3c000000, v3
	v_and_or_b32 v3, v8, s10, v3
	v_cmp_ne_u32_e32 vcc, 0, v2
	v_cndmask_b32_e32 v2, 0, v3, vcc
	s_brev_b32 s10, 1
	v_and_or_b32 v0, v0, s10, v2
	v_cvt_f64_f32_e32 v[2:3], v0
.LBB161_1404:
	s_mov_b64 s[10:11], 0
.LBB161_1405:
	s_andn2_b64 vcc, exec, s[10:11]
	s_cbranch_vccnz .LBB161_1407
; %bb.1406:
	global_load_ubyte v0, v[6:7], off
	s_movk_i32 s10, 0x7f00
	s_brev_b32 s11, 16
	s_waitcnt vmcnt(0)
	v_lshlrev_b16_e32 v2, 8, v0
	v_lshlrev_b32_e32 v0, 25, v0
	v_lshrrev_b32_e32 v3, 4, v0
	v_and_or_b32 v8, v2, s10, 0.5
	v_or_b32_e32 v3, 0x70000000, v3
	v_add_f32_e32 v8, -0.5, v8
	v_mul_f32_e32 v3, 0x7800000, v3
	v_cmp_gt_u32_e32 vcc, s11, v0
	v_bfe_i32 v2, v2, 0, 16
	v_cndmask_b32_e32 v0, v3, v8, vcc
	s_brev_b32 s10, 1
	v_and_or_b32 v0, v2, s10, v0
	v_cvt_f64_f32_e32 v[2:3], v0
.LBB161_1407:
	s_mov_b64 s[10:11], 0
	s_mov_b64 s[12:13], -1
.LBB161_1408:
	s_andn2_b64 vcc, exec, s[10:11]
	s_mov_b64 s[10:11], 0
	s_cbranch_vccnz .LBB161_1419
; %bb.1409:
	v_cmp_lt_i16_e32 vcc, 14, v1
	s_cbranch_vccz .LBB161_1412
; %bb.1410:
	v_cmp_eq_u16_e32 vcc, 15, v1
	s_cbranch_vccz .LBB161_1415
; %bb.1411:
	global_load_ushort v0, v[6:7], off
	s_mov_b64 s[8:9], 0
	s_mov_b64 s[12:13], -1
	s_waitcnt vmcnt(0)
	v_lshlrev_b32_e32 v0, 16, v0
	v_cvt_f64_f32_e32 v[2:3], v0
	s_branch .LBB161_1416
.LBB161_1412:
	s_mov_b64 s[14:15], -1
                                        ; implicit-def: $vgpr2_vgpr3
	s_branch .LBB161_1417
.LBB161_1413:
	s_or_saveexec_b64 s[14:15], s[14:15]
	v_pk_mov_b32 v[2:3], s[12:13], s[12:13] op_sel:[0,1]
	s_xor_b64 exec, exec, s[14:15]
	s_cbranch_execz .LBB161_1394
.LBB161_1414:
	v_cmp_ne_u16_e32 vcc, 0, v0
	s_andn2_b64 s[10:11], s[10:11], exec
	s_and_b64 s[12:13], vcc, exec
	v_pk_mov_b32 v[2:3], 0, 0
	s_or_b64 s[10:11], s[10:11], s[12:13]
	s_or_b64 exec, exec, s[14:15]
	s_and_saveexec_b64 s[12:13], s[10:11]
	s_cbranch_execnz .LBB161_1395
	s_branch .LBB161_1396
.LBB161_1415:
	s_mov_b64 s[8:9], -1
                                        ; implicit-def: $vgpr2_vgpr3
.LBB161_1416:
	s_mov_b64 s[14:15], 0
.LBB161_1417:
	s_and_b64 vcc, exec, s[14:15]
	s_cbranch_vccz .LBB161_1419
; %bb.1418:
	v_cmp_ne_u16_e32 vcc, 11, v1
	s_andn2_b64 s[8:9], s[8:9], exec
	s_and_b64 s[14:15], vcc, exec
	s_mov_b64 s[10:11], -1
	s_or_b64 s[8:9], s[8:9], s[14:15]
                                        ; implicit-def: $vgpr2_vgpr3
.LBB161_1419:
	v_readlane_b32 s16, v70, 3
	s_mov_b64 s[14:15], 0
	v_readlane_b32 s17, v70, 4
.LBB161_1420:
	s_andn2_b64 s[16:17], s[16:17], exec
	s_and_b64 s[8:9], s[8:9], exec
	s_or_b64 s[8:9], s[16:17], s[8:9]
	v_writelane_b32 v70, s8, 3
	s_and_b64 s[12:13], s[12:13], exec
	s_and_b64 s[14:15], s[14:15], exec
	;; [unrolled: 1-line block ×3, first 2 shown]
	v_writelane_b32 v70, s9, 4
.LBB161_1421:
	s_or_b64 exec, exec, s[6:7]
	s_mov_b64 s[6:7], exec
	v_readlane_b32 s8, v70, 3
	v_readlane_b32 s9, v70, 4
	s_and_b64 s[8:9], s[6:7], s[8:9]
	s_mov_b64 exec, s[8:9]
	s_cbranch_execnz .LBB161_1424
; %bb.1422:
	s_or_b64 exec, exec, s[6:7]
	s_and_saveexec_b64 s[6:7], s[10:11]
	s_xor_b64 s[6:7], exec, s[6:7]
	s_cbranch_execz .LBB161_1425
.LBB161_1423:
	global_load_ubyte v0, v[6:7], off
	s_waitcnt vmcnt(1)
	v_mov_b32_e32 v3, 0x3ff00000
	v_mov_b32_e32 v2, 0
	s_or_b64 s[12:13], s[12:13], exec
	s_waitcnt vmcnt(0)
	v_cmp_ne_u16_e32 vcc, 0, v0
	v_cndmask_b32_e32 v3, 0, v3, vcc
	s_or_b64 exec, exec, s[6:7]
	s_and_saveexec_b64 s[6:7], s[14:15]
	s_cbranch_execz .LBB161_1471
	s_branch .LBB161_1426
.LBB161_1424:
	s_or_b64 s[78:79], s[78:79], exec
	s_andn2_b64 s[10:11], s[10:11], exec
	s_trap 2
                                        ; implicit-def: $vgpr2_vgpr3
	s_or_b64 exec, exec, s[6:7]
	s_and_saveexec_b64 s[6:7], s[10:11]
	s_xor_b64 s[6:7], exec, s[6:7]
	s_cbranch_execnz .LBB161_1423
.LBB161_1425:
	s_or_b64 exec, exec, s[6:7]
	s_and_saveexec_b64 s[6:7], s[14:15]
	s_cbranch_execz .LBB161_1471
.LBB161_1426:
	s_waitcnt vmcnt(0)
	v_cmp_gt_i16_e32 vcc, 5, v1
	s_cbranch_vccnz .LBB161_1431
; %bb.1427:
	v_cmp_gt_i16_e32 vcc, 8, v1
	s_cbranch_vccnz .LBB161_1432
; %bb.1428:
	;; [unrolled: 3-line block ×3, first 2 shown]
	v_cmp_lt_i16_e32 vcc, 9, v1
	s_cbranch_vccz .LBB161_1434
; %bb.1430:
	global_load_dwordx2 v[2:3], v[6:7], off
	s_mov_b64 s[8:9], 0
	s_branch .LBB161_1435
.LBB161_1431:
                                        ; implicit-def: $vgpr2_vgpr3
	s_branch .LBB161_1452
.LBB161_1432:
                                        ; implicit-def: $vgpr2_vgpr3
	s_branch .LBB161_1441
.LBB161_1433:
	s_mov_b64 s[8:9], -1
                                        ; implicit-def: $vgpr2_vgpr3
	s_branch .LBB161_1438
.LBB161_1434:
	s_mov_b64 s[8:9], -1
                                        ; implicit-def: $vgpr2_vgpr3
.LBB161_1435:
	s_andn2_b64 vcc, exec, s[8:9]
	s_cbranch_vccnz .LBB161_1437
; %bb.1436:
	global_load_dword v0, v[6:7], off
	s_waitcnt vmcnt(0)
	v_cvt_f64_f32_e32 v[2:3], v0
.LBB161_1437:
	s_mov_b64 s[8:9], 0
.LBB161_1438:
	s_andn2_b64 vcc, exec, s[8:9]
	s_cbranch_vccnz .LBB161_1440
; %bb.1439:
	global_load_dword v0, v[6:7], off
	s_waitcnt vmcnt(0)
	v_cvt_f32_f16_e32 v0, v0
	v_cvt_f64_f32_e32 v[2:3], v0
.LBB161_1440:
	s_cbranch_execnz .LBB161_1451
.LBB161_1441:
	v_cmp_gt_i16_e32 vcc, 6, v1
	s_cbranch_vccnz .LBB161_1444
; %bb.1442:
	v_cmp_lt_i16_e32 vcc, 6, v1
	s_cbranch_vccz .LBB161_1445
; %bb.1443:
	global_load_dwordx2 v[2:3], v[6:7], off
	s_mov_b64 s[8:9], 0
	s_branch .LBB161_1446
.LBB161_1444:
	s_mov_b64 s[8:9], -1
                                        ; implicit-def: $vgpr2_vgpr3
	s_branch .LBB161_1449
.LBB161_1445:
	s_mov_b64 s[8:9], -1
                                        ; implicit-def: $vgpr2_vgpr3
.LBB161_1446:
	s_andn2_b64 vcc, exec, s[8:9]
	s_cbranch_vccnz .LBB161_1448
; %bb.1447:
	global_load_dword v0, v[6:7], off
	s_waitcnt vmcnt(0)
	v_cvt_f64_f32_e32 v[2:3], v0
.LBB161_1448:
	s_mov_b64 s[8:9], 0
.LBB161_1449:
	s_andn2_b64 vcc, exec, s[8:9]
	s_cbranch_vccnz .LBB161_1451
; %bb.1450:
	global_load_ushort v0, v[6:7], off
	s_waitcnt vmcnt(0)
	v_cvt_f32_f16_e32 v0, v0
	v_cvt_f64_f32_e32 v[2:3], v0
.LBB161_1451:
	s_cbranch_execnz .LBB161_1470
.LBB161_1452:
	v_cmp_gt_i16_e32 vcc, 2, v1
	s_cbranch_vccnz .LBB161_1456
; %bb.1453:
	v_cmp_gt_i16_e32 vcc, 3, v1
	s_cbranch_vccnz .LBB161_1457
; %bb.1454:
	v_cmp_lt_i16_e32 vcc, 3, v1
	s_cbranch_vccz .LBB161_1458
; %bb.1455:
	global_load_dwordx2 v[2:3], v[6:7], off
	s_mov_b64 s[8:9], 0
	s_waitcnt vmcnt(0)
	v_cvt_f64_i32_e32 v[8:9], v3
	v_cvt_f64_u32_e32 v[2:3], v2
	v_ldexp_f64 v[8:9], v[8:9], 32
	v_add_f64 v[2:3], v[8:9], v[2:3]
	s_branch .LBB161_1459
.LBB161_1456:
                                        ; implicit-def: $vgpr2_vgpr3
	s_branch .LBB161_1465
.LBB161_1457:
	s_mov_b64 s[8:9], -1
                                        ; implicit-def: $vgpr2_vgpr3
	s_branch .LBB161_1462
.LBB161_1458:
	s_mov_b64 s[8:9], -1
                                        ; implicit-def: $vgpr2_vgpr3
.LBB161_1459:
	s_andn2_b64 vcc, exec, s[8:9]
	s_cbranch_vccnz .LBB161_1461
; %bb.1460:
	global_load_dword v0, v[6:7], off
	s_waitcnt vmcnt(0)
	v_cvt_f64_i32_e32 v[2:3], v0
.LBB161_1461:
	s_mov_b64 s[8:9], 0
.LBB161_1462:
	s_andn2_b64 vcc, exec, s[8:9]
	s_cbranch_vccnz .LBB161_1464
; %bb.1463:
	global_load_sshort v0, v[6:7], off
	s_waitcnt vmcnt(0)
	v_cvt_f64_i32_e32 v[2:3], v0
.LBB161_1464:
	s_cbranch_execnz .LBB161_1470
.LBB161_1465:
	v_cmp_lt_i16_e32 vcc, 0, v1
	s_cbranch_vccz .LBB161_1467
; %bb.1466:
	global_load_sbyte v0, v[6:7], off
	s_mov_b64 s[8:9], 0
	s_waitcnt vmcnt(0)
	v_cvt_f64_i32_e32 v[2:3], v0
	s_branch .LBB161_1468
.LBB161_1467:
	s_mov_b64 s[8:9], -1
                                        ; implicit-def: $vgpr2_vgpr3
.LBB161_1468:
	s_andn2_b64 vcc, exec, s[8:9]
	s_cbranch_vccnz .LBB161_1470
; %bb.1469:
	global_load_ubyte v0, v[6:7], off
	s_waitcnt vmcnt(0)
	v_cvt_f64_u32_e32 v[2:3], v0
.LBB161_1470:
	s_or_b64 s[12:13], s[12:13], exec
.LBB161_1471:
	s_or_b64 exec, exec, s[6:7]
	s_mov_b64 s[10:11], 0
	s_mov_b64 s[8:9], 0
                                        ; implicit-def: $vgpr8
                                        ; implicit-def: $vgpr6_vgpr7
                                        ; implicit-def: $vgpr0_vgpr1
	s_and_saveexec_b64 s[76:77], s[12:13]
	s_cbranch_execz .LBB161_1550
; %bb.1472:
	s_waitcnt vmcnt(0)
	v_mov_b32_e32 v0, v4
	v_mov_b32_e32 v1, v5
	s_waitcnt lgkmcnt(0)
	s_mov_b64 s[84:85], s[40:41]
	s_mov_b64 s[82:83], s[36:37]
	;; [unrolled: 1-line block ×3, first 2 shown]
	s_getpc_b64 s[4:5]
	s_add_u32 s4, s4, _ZZZZN2at6native33launch_standard_gamma_grad_kernelERNS_18TensorIteratorBaseEENKUlvE_clEvENKUlvE_clEvENKUlddE_clEdd@rel32@lo+4
	s_addc_u32 s5, s5, _ZZZZN2at6native33launch_standard_gamma_grad_kernelERNS_18TensorIteratorBaseEENKUlvE_clEvENKUlvE_clEvENKUlddE_clEdd@rel32@hi+12
	s_swappc_b64 s[30:31], s[4:5]
	v_mov_b32_e32 v2, s85
	v_add_co_u32_e32 v6, vcc, s84, v42
	v_addc_co_u32_e32 v7, vcc, 0, v2, vcc
	v_and_b32_e32 v8, 0xff, v41
	v_cmp_gt_i16_e32 vcc, 11, v8
	s_cbranch_vccnz .LBB161_1546
; %bb.1473:
	v_cmp_lt_i16_e32 vcc, 25, v8
	v_readlane_b32 s6, v70, 8
	s_mov_b64 s[10:11], -1
	v_readlane_b32 s7, v70, 9
	s_mov_b64 s[4:5], s[80:81]
	s_mov_b64 s[36:37], s[82:83]
	s_cbranch_vccz .LBB161_1506
; %bb.1474:
	v_cmp_lt_i16_e32 vcc, 28, v8
	v_readlane_b32 s6, v70, 8
	s_mov_b64 s[8:9], -1
	v_readlane_b32 s7, v70, 9
	s_cbranch_vccz .LBB161_1490
; %bb.1475:
	v_cmp_lt_i16_e32 vcc, 43, v8
	v_readlane_b32 s6, v70, 8
	v_readlane_b32 s7, v70, 9
	s_cbranch_vccz .LBB161_1486
; %bb.1476:
	v_cmp_lt_i16_e32 vcc, 45, v8
	v_readlane_b32 s6, v70, 8
	v_readlane_b32 s7, v70, 9
	s_cbranch_vccz .LBB161_1480
; %bb.1477:
	v_cmp_eq_u16_e32 vcc, 46, v8
	s_mov_b64 s[6:7], -1
	s_cbranch_vccz .LBB161_1479
; %bb.1478:
	v_cvt_f32_f64_e32 v2, v[0:1]
	v_bfe_u32 v3, v2, 16, 1
	s_movk_i32 s6, 0x7fff
	v_add3_u32 v3, v2, v3, s6
	v_lshrrev_b32_e32 v3, 16, v3
	v_mov_b32_e32 v4, 0x7fc0
	v_cmp_o_f32_e32 vcc, v2, v2
	v_cndmask_b32_e32 v2, v4, v3, vcc
	global_store_dword v[6:7], v2, off
	s_mov_b64 s[6:7], 0
.LBB161_1479:
	s_mov_b64 s[8:9], 0
.LBB161_1480:
	s_and_b64 vcc, exec, s[8:9]
	s_cbranch_vccz .LBB161_1485
; %bb.1481:
	v_cmp_eq_u16_e32 vcc, 44, v8
	s_mov_b64 s[6:7], -1
	s_cbranch_vccz .LBB161_1485
; %bb.1482:
	v_cvt_f32_f64_e32 v2, v[0:1]
	v_bfe_u32 v3, v2, 23, 8
	s_movk_i32 s6, 0xff
	v_cmp_ne_u32_e32 vcc, s6, v3
	v_mov_b32_e32 v4, 0xff
	s_and_saveexec_b64 s[8:9], vcc
; %bb.1483:
	s_mov_b32 s6, 0x3fffff
	v_lshrrev_b32_e32 v4, 23, v2
	v_and_b32_e32 v5, 0x400000, v2
	v_and_or_b32 v2, v2, s6, v3
	v_cmp_ne_u32_e32 vcc, 0, v5
	v_cmp_ne_u32_e64 s[6:7], 0, v2
	s_and_b64 s[6:7], vcc, s[6:7]
	v_cndmask_b32_e64 v2, 0, 1, s[6:7]
	v_add_u32_e32 v4, v4, v2
; %bb.1484:
	s_or_b64 exec, exec, s[8:9]
	s_mov_b64 s[6:7], 0
	global_store_byte v[6:7], v4, off
.LBB161_1485:
	s_mov_b64 s[8:9], 0
.LBB161_1486:
	s_and_b64 vcc, exec, s[8:9]
	s_cbranch_vccz .LBB161_1489
; %bb.1487:
	v_cmp_eq_u16_e32 vcc, 29, v8
	s_mov_b64 s[6:7], -1
	s_cbranch_vccz .LBB161_1489
; %bb.1488:
	v_trunc_f64_e32 v[2:3], v[0:1]
	s_movk_i32 s6, 0xffe0
	v_ldexp_f64 v[4:5], v[2:3], s6
	v_floor_f64_e32 v[4:5], v[4:5]
	v_fmac_f64_e32 v[2:3], 0xc1f00000, v[4:5]
	v_cvt_u32_f64_e32 v11, v[4:5]
	v_cvt_u32_f64_e32 v10, v[2:3]
	global_store_dwordx2 v[6:7], v[10:11], off
	s_mov_b64 s[6:7], 0
.LBB161_1489:
	s_mov_b64 s[8:9], 0
.LBB161_1490:
	s_and_b64 vcc, exec, s[8:9]
	s_cbranch_vccz .LBB161_1505
; %bb.1491:
	v_cmp_gt_i16_e32 vcc, 27, v8
	s_mov_b64 s[8:9], -1
	s_cbranch_vccnz .LBB161_1497
; %bb.1492:
	v_cmp_lt_i16_e32 vcc, 27, v8
	s_cbranch_vccz .LBB161_1494
; %bb.1493:
	v_cvt_u32_f64_e32 v2, v[0:1]
	s_mov_b64 s[8:9], 0
	global_store_dword v[6:7], v2, off
.LBB161_1494:
	s_andn2_b64 vcc, exec, s[8:9]
	s_cbranch_vccnz .LBB161_1496
; %bb.1495:
	v_cvt_u32_f64_e32 v2, v[0:1]
	global_store_short v[6:7], v2, off
.LBB161_1496:
	s_mov_b64 s[8:9], 0
.LBB161_1497:
	s_andn2_b64 vcc, exec, s[8:9]
	s_cbranch_vccnz .LBB161_1505
; %bb.1498:
	v_cvt_f32_f64_e32 v2, v[0:1]
	v_and_b32_e32 v3, 0x7fffffff, v2
	s_mov_b32 s8, 0x43800000
	v_cmp_gt_u32_e32 vcc, s8, v3
	v_mov_b32_e32 v4, 0x80
	s_and_saveexec_b64 s[8:9], vcc
	s_cbranch_execz .LBB161_1504
; %bb.1499:
	s_mov_b32 s10, 0x3bffffff
	v_cmp_lt_u32_e32 vcc, s10, v3
	s_mov_b64 s[10:11], 0
                                        ; implicit-def: $vgpr3
	s_and_saveexec_b64 s[12:13], vcc
	s_xor_b64 s[12:13], exec, s[12:13]
	s_cbranch_execz .LBB161_1647
; %bb.1500:
	v_bfe_u32 v3, v2, 20, 1
	s_mov_b32 s14, 0x487ffff
	v_add3_u32 v3, v2, v3, s14
	s_mov_b64 s[10:11], exec
	v_lshrrev_b32_e32 v3, 20, v3
	s_or_saveexec_b64 s[12:13], s[12:13]
                                        ; implicit-def: $sgpr14
	s_xor_b64 exec, exec, s[12:13]
	s_cbranch_execnz .LBB161_1648
.LBB161_1501:
	s_or_b64 exec, exec, s[12:13]
	v_mov_b32_e32 v4, s14
	s_and_saveexec_b64 s[12:13], s[10:11]
.LBB161_1502:
	v_lshrrev_b32_e32 v2, 24, v2
	s_movk_i32 s10, 0x80
	v_and_or_b32 v4, v2, s10, v3
.LBB161_1503:
	s_or_b64 exec, exec, s[12:13]
.LBB161_1504:
	s_or_b64 exec, exec, s[8:9]
	global_store_byte v[6:7], v4, off
.LBB161_1505:
	s_mov_b64 s[10:11], 0
.LBB161_1506:
	s_mov_b64 s[8:9], 0
	s_and_b64 vcc, exec, s[10:11]
	s_cbranch_vccz .LBB161_1547
; %bb.1507:
	v_cmp_lt_i16_e32 vcc, 22, v8
	s_mov_b64 s[10:11], -1
	s_cbranch_vccz .LBB161_1539
; %bb.1508:
	v_cmp_gt_i16_e32 vcc, 24, v8
	s_cbranch_vccnz .LBB161_1528
; %bb.1509:
	v_cmp_lt_i16_e32 vcc, 24, v8
	s_cbranch_vccz .LBB161_1517
; %bb.1510:
	v_cvt_f32_f64_e32 v2, v[0:1]
	v_and_b32_e32 v3, 0x7fffffff, v2
	s_mov_b32 s10, 0x47800000
	v_cmp_gt_u32_e32 vcc, s10, v3
	v_mov_b32_e32 v4, 0x80
	s_and_saveexec_b64 s[10:11], vcc
	s_cbranch_execz .LBB161_1516
; %bb.1511:
	s_mov_b32 s12, 0x37ffffff
	v_cmp_lt_u32_e32 vcc, s12, v3
	s_mov_b64 s[12:13], 0
                                        ; implicit-def: $vgpr3
	s_and_saveexec_b64 s[14:15], vcc
	s_xor_b64 s[14:15], exec, s[14:15]
	s_cbranch_execz .LBB161_1772
; %bb.1512:
	v_bfe_u32 v3, v2, 21, 1
	s_mov_b32 s16, 0x88fffff
	v_add3_u32 v3, v2, v3, s16
	s_mov_b64 s[12:13], exec
	v_lshrrev_b32_e32 v3, 21, v3
	s_or_saveexec_b64 s[14:15], s[14:15]
                                        ; implicit-def: $sgpr16
	s_xor_b64 exec, exec, s[14:15]
	s_cbranch_execnz .LBB161_1773
.LBB161_1513:
	s_or_b64 exec, exec, s[14:15]
	v_mov_b32_e32 v4, s16
	s_and_saveexec_b64 s[14:15], s[12:13]
.LBB161_1514:
	v_lshrrev_b32_e32 v2, 24, v2
	s_movk_i32 s12, 0x80
	v_and_or_b32 v4, v2, s12, v3
.LBB161_1515:
	s_or_b64 exec, exec, s[14:15]
.LBB161_1516:
	s_or_b64 exec, exec, s[10:11]
	s_mov_b64 s[10:11], 0
	global_store_byte v[6:7], v4, off
.LBB161_1517:
	s_and_b64 vcc, exec, s[10:11]
	s_cbranch_vccz .LBB161_1527
; %bb.1518:
	v_cvt_f32_f64_e32 v2, v[0:1]
	v_and_b32_e32 v4, 0x7fffffff, v2
	s_mov_b32 s10, 0x43f00000
	v_cmp_gt_u32_e32 vcc, s10, v4
                                        ; implicit-def: $vgpr3
	s_and_saveexec_b64 s[10:11], vcc
	s_xor_b64 s[10:11], exec, s[10:11]
	s_cbranch_execz .LBB161_1524
; %bb.1519:
	s_mov_b32 s12, 0x3c7fffff
	v_cmp_lt_u32_e32 vcc, s12, v4
                                        ; implicit-def: $vgpr3
	s_and_saveexec_b64 s[12:13], vcc
	s_xor_b64 s[12:13], exec, s[12:13]
; %bb.1520:
	v_bfe_u32 v3, v2, 20, 1
	s_mov_b32 s14, 0x407ffff
	v_add3_u32 v3, v2, v3, s14
	v_lshrrev_b32_e32 v4, 20, v3
	v_and_b32_e32 v3, 0xff00000, v3
	s_mov_b32 s14, 0x7f00000
	v_mov_b32_e32 v5, 0x7e
	v_cmp_ne_u32_e32 vcc, s14, v3
	v_cndmask_b32_e32 v3, v5, v4, vcc
; %bb.1521:
	s_andn2_saveexec_b64 s[12:13], s[12:13]
; %bb.1522:
	s_mov_b32 s14, 0x46800000
	v_add_f32_e64 v3, |v2|, s14
; %bb.1523:
	s_or_b64 exec, exec, s[12:13]
                                        ; implicit-def: $vgpr4
.LBB161_1524:
	s_andn2_saveexec_b64 s[10:11], s[10:11]
; %bb.1525:
	s_mov_b32 s12, 0x7f800000
	v_mov_b32_e32 v3, 0x7e
	v_mov_b32_e32 v5, 0x7f
	v_cmp_lt_u32_e32 vcc, s12, v4
	v_cndmask_b32_e32 v3, v3, v5, vcc
; %bb.1526:
	s_or_b64 exec, exec, s[10:11]
	v_lshrrev_b32_e32 v2, 24, v2
	s_movk_i32 s10, 0x80
	v_and_or_b32 v2, v2, s10, v3
	global_store_byte v[6:7], v2, off
.LBB161_1527:
	s_mov_b64 s[10:11], 0
.LBB161_1528:
	s_andn2_b64 vcc, exec, s[10:11]
	s_cbranch_vccnz .LBB161_1538
; %bb.1529:
	v_cvt_f32_f64_e32 v2, v[0:1]
	v_and_b32_e32 v4, 0x7fffffff, v2
	s_mov_b32 s10, 0x47800000
	v_cmp_gt_u32_e32 vcc, s10, v4
                                        ; implicit-def: $vgpr3
	s_and_saveexec_b64 s[10:11], vcc
	s_xor_b64 s[10:11], exec, s[10:11]
	s_cbranch_execz .LBB161_1535
; %bb.1530:
	s_mov_b32 s12, 0x387fffff
	v_cmp_lt_u32_e32 vcc, s12, v4
                                        ; implicit-def: $vgpr3
	s_and_saveexec_b64 s[12:13], vcc
	s_xor_b64 s[12:13], exec, s[12:13]
; %bb.1531:
	v_bfe_u32 v3, v2, 21, 1
	s_mov_b32 s14, 0x80fffff
	v_add3_u32 v3, v2, v3, s14
	v_lshrrev_b32_e32 v3, 21, v3
; %bb.1532:
	s_andn2_saveexec_b64 s[12:13], s[12:13]
; %bb.1533:
	s_mov_b32 s14, 0x43000000
	v_add_f32_e64 v3, |v2|, s14
; %bb.1534:
	s_or_b64 exec, exec, s[12:13]
                                        ; implicit-def: $vgpr4
.LBB161_1535:
	s_andn2_saveexec_b64 s[10:11], s[10:11]
; %bb.1536:
	s_mov_b32 s12, 0x7f800000
	v_mov_b32_e32 v3, 0x7c
	v_mov_b32_e32 v5, 0x7f
	v_cmp_lt_u32_e32 vcc, s12, v4
	v_cndmask_b32_e32 v3, v3, v5, vcc
; %bb.1537:
	s_or_b64 exec, exec, s[10:11]
	v_lshrrev_b32_e32 v2, 24, v2
	s_movk_i32 s10, 0x80
	v_and_or_b32 v2, v2, s10, v3
	global_store_byte v[6:7], v2, off
.LBB161_1538:
	s_mov_b64 s[10:11], 0
.LBB161_1539:
	s_andn2_b64 vcc, exec, s[10:11]
	s_mov_b64 s[10:11], 0
	s_cbranch_vccnz .LBB161_1548
; %bb.1540:
	v_cmp_lt_i16_e32 vcc, 14, v8
	s_mov_b64 s[12:13], -1
	s_cbranch_vccz .LBB161_1544
; %bb.1541:
	v_cmp_eq_u16_e32 vcc, 15, v8
	s_mov_b64 s[6:7], -1
	s_cbranch_vccz .LBB161_1543
; %bb.1542:
	v_cvt_f32_f64_e32 v2, v[0:1]
	v_bfe_u32 v3, v2, 16, 1
	s_movk_i32 s6, 0x7fff
	v_add3_u32 v3, v2, v3, s6
	v_lshrrev_b32_e32 v3, 16, v3
	v_mov_b32_e32 v4, 0x7fc0
	v_cmp_o_f32_e32 vcc, v2, v2
	v_cndmask_b32_e32 v2, v4, v3, vcc
	global_store_short v[6:7], v2, off
	s_mov_b64 s[6:7], 0
.LBB161_1543:
	s_mov_b64 s[12:13], 0
.LBB161_1544:
	s_and_b64 vcc, exec, s[12:13]
	s_cbranch_vccz .LBB161_1548
; %bb.1545:
	v_cmp_ne_u16_e32 vcc, 11, v8
	s_andn2_b64 s[6:7], s[6:7], exec
	s_and_b64 s[12:13], vcc, exec
	s_mov_b64 s[10:11], -1
	s_or_b64 s[6:7], s[6:7], s[12:13]
	s_branch .LBB161_1548
.LBB161_1546:
	v_readlane_b32 s12, v70, 8
	v_readlane_b32 s13, v70, 9
	s_mov_b64 s[10:11], 0
	s_mov_b64 s[8:9], -1
	s_mov_b64 s[6:7], s[12:13]
	s_mov_b64 s[4:5], s[80:81]
	;; [unrolled: 1-line block ×3, first 2 shown]
	s_branch .LBB161_1549
.LBB161_1547:
	s_mov_b64 s[10:11], 0
.LBB161_1548:
	v_readlane_b32 s12, v70, 8
	v_readlane_b32 s13, v70, 9
.LBB161_1549:
	s_andn2_b64 s[12:13], s[12:13], exec
	s_and_b64 s[6:7], s[6:7], exec
	s_or_b64 s[6:7], s[12:13], s[6:7]
	v_writelane_b32 v70, s6, 8
	s_and_b64 s[8:9], s[8:9], exec
	s_and_b64 s[10:11], s[10:11], exec
	v_writelane_b32 v70, s7, 9
.LBB161_1550:
	s_or_b64 exec, exec, s[76:77]
	s_mov_b64 s[6:7], exec
	v_readlane_b32 s12, v70, 8
	v_readlane_b32 s13, v70, 9
	s_and_b64 s[12:13], s[6:7], s[12:13]
	s_mov_b64 exec, s[12:13]
	s_cbranch_execnz .LBB161_1553
; %bb.1551:
	s_or_b64 exec, exec, s[6:7]
	s_and_saveexec_b64 s[6:7], s[10:11]
	s_xor_b64 s[6:7], exec, s[6:7]
	s_cbranch_execz .LBB161_1554
.LBB161_1552:
	s_waitcnt vmcnt(0)
	v_cmp_neq_f64_e32 vcc, 0, v[0:1]
	v_cndmask_b32_e64 v2, 0, 1, vcc
	global_store_byte v[6:7], v2, off
	s_or_b64 exec, exec, s[6:7]
	s_and_saveexec_b64 s[6:7], s[8:9]
	s_xor_b64 s[6:7], exec, s[6:7]
	s_cbranch_execz .LBB161_1592
	s_branch .LBB161_1555
.LBB161_1553:
	s_or_b64 s[78:79], s[78:79], exec
	s_andn2_b64 s[10:11], s[10:11], exec
	s_trap 2
	s_or_b64 exec, exec, s[6:7]
	s_and_saveexec_b64 s[6:7], s[10:11]
	s_xor_b64 s[6:7], exec, s[6:7]
	s_cbranch_execnz .LBB161_1552
.LBB161_1554:
	s_or_b64 exec, exec, s[6:7]
	s_and_saveexec_b64 s[6:7], s[8:9]
	s_xor_b64 s[6:7], exec, s[6:7]
	s_cbranch_execz .LBB161_1592
.LBB161_1555:
	v_cmp_gt_i16_e32 vcc, 5, v8
	s_mov_b64 s[8:9], -1
	s_cbranch_vccnz .LBB161_1576
; %bb.1556:
	v_cmp_gt_i16_e32 vcc, 8, v8
	s_cbranch_vccnz .LBB161_1566
; %bb.1557:
	v_cmp_gt_i16_e32 vcc, 9, v8
	s_cbranch_vccnz .LBB161_1563
; %bb.1558:
	v_cmp_lt_i16_e32 vcc, 9, v8
	s_cbranch_vccz .LBB161_1560
; %bb.1559:
	s_waitcnt vmcnt(0)
	v_mov_b32_e32 v2, 0
	v_mov_b32_e32 v3, v2
	s_mov_b64 s[8:9], 0
	global_store_dwordx4 v[6:7], v[0:3], off
.LBB161_1560:
	s_andn2_b64 vcc, exec, s[8:9]
	s_cbranch_vccnz .LBB161_1562
; %bb.1561:
	s_waitcnt vmcnt(0)
	v_cvt_f32_f64_e32 v2, v[0:1]
	v_mov_b32_e32 v3, 0
	global_store_dwordx2 v[6:7], v[2:3], off
.LBB161_1562:
	s_mov_b64 s[8:9], 0
.LBB161_1563:
	s_andn2_b64 vcc, exec, s[8:9]
	s_cbranch_vccnz .LBB161_1565
; %bb.1564:
	s_waitcnt vmcnt(0)
	v_cvt_f32_f64_e32 v2, v[0:1]
	v_cvt_f16_f32_e32 v2, v2
	global_store_dword v[6:7], v2, off
.LBB161_1565:
	s_mov_b64 s[8:9], 0
.LBB161_1566:
	s_andn2_b64 vcc, exec, s[8:9]
	s_cbranch_vccnz .LBB161_1575
; %bb.1567:
	v_cmp_gt_i16_e32 vcc, 6, v8
	s_mov_b64 s[8:9], -1
	s_cbranch_vccnz .LBB161_1573
; %bb.1568:
	v_cmp_lt_i16_e32 vcc, 6, v8
	s_cbranch_vccz .LBB161_1570
; %bb.1569:
	s_mov_b64 s[8:9], 0
	s_waitcnt vmcnt(0)
	global_store_dwordx2 v[6:7], v[0:1], off
.LBB161_1570:
	s_andn2_b64 vcc, exec, s[8:9]
	s_cbranch_vccnz .LBB161_1572
; %bb.1571:
	s_waitcnt vmcnt(0)
	v_cvt_f32_f64_e32 v2, v[0:1]
	global_store_dword v[6:7], v2, off
.LBB161_1572:
	s_mov_b64 s[8:9], 0
.LBB161_1573:
	s_andn2_b64 vcc, exec, s[8:9]
	s_cbranch_vccnz .LBB161_1575
; %bb.1574:
	s_waitcnt vmcnt(0)
	v_cvt_f32_f64_e32 v2, v[0:1]
	v_cvt_f16_f32_e32 v2, v2
	global_store_short v[6:7], v2, off
.LBB161_1575:
	s_mov_b64 s[8:9], 0
.LBB161_1576:
	s_andn2_b64 vcc, exec, s[8:9]
	s_cbranch_vccnz .LBB161_1592
; %bb.1577:
	v_cmp_gt_i16_e32 vcc, 2, v8
	s_mov_b64 s[8:9], -1
	s_cbranch_vccnz .LBB161_1587
; %bb.1578:
	v_cmp_gt_i16_e32 vcc, 3, v8
	s_cbranch_vccnz .LBB161_1584
; %bb.1579:
	v_cmp_lt_i16_e32 vcc, 3, v8
	s_cbranch_vccz .LBB161_1581
; %bb.1580:
	s_waitcnt vmcnt(0)
	v_trunc_f64_e32 v[2:3], v[0:1]
	s_movk_i32 s8, 0xffe0
	v_ldexp_f64 v[4:5], v[2:3], s8
	v_floor_f64_e32 v[4:5], v[4:5]
	v_fmac_f64_e32 v[2:3], 0xc1f00000, v[4:5]
	v_cvt_i32_f64_e32 v11, v[4:5]
	v_cvt_u32_f64_e32 v10, v[2:3]
	s_mov_b64 s[8:9], 0
	global_store_dwordx2 v[6:7], v[10:11], off
.LBB161_1581:
	s_andn2_b64 vcc, exec, s[8:9]
	s_cbranch_vccnz .LBB161_1583
; %bb.1582:
	s_waitcnt vmcnt(0)
	v_cvt_i32_f64_e32 v2, v[0:1]
	global_store_dword v[6:7], v2, off
.LBB161_1583:
	s_mov_b64 s[8:9], 0
.LBB161_1584:
	s_andn2_b64 vcc, exec, s[8:9]
	s_cbranch_vccnz .LBB161_1586
; %bb.1585:
	s_waitcnt vmcnt(0)
	v_cvt_i32_f64_e32 v2, v[0:1]
	global_store_short v[6:7], v2, off
.LBB161_1586:
	s_mov_b64 s[8:9], 0
.LBB161_1587:
	s_andn2_b64 vcc, exec, s[8:9]
	s_cbranch_vccnz .LBB161_1592
; %bb.1588:
	v_cmp_lt_i16_e32 vcc, 0, v8
	s_mov_b64 s[8:9], -1
	s_cbranch_vccz .LBB161_1590
; %bb.1589:
	s_waitcnt vmcnt(0)
	v_cvt_i32_f64_e32 v2, v[0:1]
	s_mov_b64 s[8:9], 0
	global_store_byte v[6:7], v2, off
.LBB161_1590:
	s_andn2_b64 vcc, exec, s[8:9]
	s_cbranch_vccnz .LBB161_1592
; %bb.1591:
	s_waitcnt vmcnt(0)
	v_trunc_f64_e32 v[0:1], v[0:1]
	s_movk_i32 s8, 0xffe0
	v_ldexp_f64 v[2:3], v[0:1], s8
	v_floor_f64_e32 v[2:3], v[2:3]
	v_fmac_f64_e32 v[0:1], 0xc1f00000, v[2:3]
	v_cvt_u32_f64_e32 v0, v[0:1]
	global_store_byte v[6:7], v0, off
.LBB161_1592:
	s_or_b64 exec, exec, s[6:7]
	s_and_b64 s[80:81], s[78:79], exec
                                        ; implicit-def: $vgpr16
                                        ; implicit-def: $vgpr45
.LBB161_1593:
	s_or_saveexec_b64 s[82:83], s[36:37]
	s_mov_b64 s[8:9], 0
                                        ; implicit-def: $vgpr4_vgpr5
                                        ; implicit-def: $vgpr6
                                        ; implicit-def: $vgpr0_vgpr1
	s_xor_b64 exec, exec, s[82:83]
	s_cbranch_execz .LBB161_3123
; %bb.1594:
	s_waitcnt vmcnt(0)
	v_cndmask_b32_e64 v0, 0, 1, s[86:87]
	v_cmp_ne_u32_e64 s[6:7], 1, v0
	s_andn2_b64 vcc, exec, s[86:87]
	s_cbranch_vccnz .LBB161_1600
; %bb.1595:
	s_cmp_lg_u32 s91, 0
	v_mov_b32_e32 v2, 0
	v_mov_b32_e32 v0, 0
	;; [unrolled: 1-line block ×3, first 2 shown]
	s_cbranch_scc0 .LBB161_1601
; %bb.1596:
	s_min_u32 s10, s33, 15
	s_add_i32 s8, s10, 1
	s_and_b32 s11, s8, 30
	s_add_u32 s8, s74, 0xffffffec
	s_addc_u32 s9, s75, -1
	v_mov_b32_e32 v68, 0
	v_mov_b32_e32 v1, v45
	;; [unrolled: 1-line block ×4, first 2 shown]
.LBB161_1597:                           ; =>This Inner Loop Header: Depth=1
	s_mov_b64 s[20:21], s[8:9]
	s_load_dwordx4 s[12:15], s[20:21], 0x18
	s_load_dwordx2 s[22:23], s[20:21], 0x28
	s_load_dwordx2 s[24:25], s[20:21], 0xe8
	s_load_dwordx4 s[16:19], s[20:21], 0xd8
	s_add_u32 s8, s20, 24
	s_waitcnt lgkmcnt(0)
	v_mul_hi_u32 v3, s13, v1
	v_add_u32_e32 v3, v1, v3
	v_lshrrev_b32_e32 v3, s14, v3
	v_mul_lo_u32 v4, v3, s12
	v_mul_hi_u32 v5, s22, v3
	v_sub_u32_e32 v1, v1, v4
	v_add_u32_e32 v4, v3, v5
	v_mul_lo_u32 v5, v1, s16
	v_mul_lo_u32 v6, v1, s17
	;; [unrolled: 1-line block ×3, first 2 shown]
	v_lshrrev_b32_e32 v1, s23, v4
	v_mul_lo_u32 v4, v1, s15
	v_sub_u32_e32 v3, v3, v4
	s_addc_u32 s9, s21, 0
	s_add_i32 s11, s11, -2
	v_mul_lo_u32 v4, v3, s19
	v_mul_lo_u32 v8, v3, s24
	;; [unrolled: 1-line block ×3, first 2 shown]
	s_cmp_lg_u32 s11, 0
	v_add3_u32 v68, v5, v68, v4
	v_add3_u32 v2, v7, v2, v3
	v_add3_u32 v0, v6, v0, v8
	s_cbranch_scc1 .LBB161_1597
; %bb.1598:
	s_bitcmp1_b32 s10, 0
	s_cselect_b64 s[10:11], -1, 0
	s_and_b64 vcc, exec, s[10:11]
	s_cbranch_vccnz .LBB161_1601
; %bb.1599:
	s_load_dwordx2 s[10:11], s[8:9], 0x18
	s_load_dword s14, s[8:9], 0x20
	s_load_dword s15, s[8:9], 0xe0
	s_load_dwordx2 s[12:13], s[8:9], 0xd8
	s_waitcnt lgkmcnt(0)
	v_mul_hi_u32 v3, s11, v1
	v_add_u32_e32 v3, v1, v3
	v_lshrrev_b32_e32 v3, s14, v3
	v_mul_lo_u32 v3, v3, s10
	v_sub_u32_e32 v3, v1, v3
	v_mad_u64_u32 v[68:69], s[8:9], v3, s12, v[68:69]
	v_mad_u64_u32 v[0:1], s[8:9], v3, s13, v[0:1]
	;; [unrolled: 1-line block ×3, first 2 shown]
	s_cbranch_execz .LBB161_1602
	s_branch .LBB161_1604
.LBB161_1600:
                                        ; implicit-def: $vgpr2
                                        ; implicit-def: $vgpr0
                                        ; implicit-def: $vgpr68
	s_branch .LBB161_1602
.LBB161_1601:
	s_cbranch_execnz .LBB161_1604
.LBB161_1602:
	s_load_dwordx4 s[8:11], s[74:75], 0x4
	s_load_dwordx4 s[12:15], s[74:75], 0xc4
	s_cmp_lt_u32 s91, 2
	s_waitcnt lgkmcnt(0)
	v_mul_hi_u32 v0, s9, v45
	v_add_u32_e32 v0, v45, v0
	v_lshrrev_b32_e32 v1, s10, v0
	v_mul_lo_u32 v0, v1, s8
	v_sub_u32_e32 v0, v45, v0
	v_mul_lo_u32 v68, v0, s12
	v_mul_lo_u32 v2, v0, s14
	;; [unrolled: 1-line block ×3, first 2 shown]
	s_cbranch_scc1 .LBB161_1604
; %bb.1603:
	s_load_dwordx4 s[8:11], s[74:75], 0x10
	s_load_dwordx4 s[12:15], s[74:75], 0xd0
	s_waitcnt lgkmcnt(0)
	v_mul_hi_u32 v3, s9, v1
	v_add_u32_e32 v3, v1, v3
	v_lshrrev_b32_e32 v3, s10, v3
	v_mul_lo_u32 v3, v3, s8
	v_sub_u32_e32 v3, v1, v3
	v_mad_u64_u32 v[68:69], s[8:9], v3, s12, v[68:69]
	v_mad_u64_u32 v[0:1], s[8:9], v3, s13, v[0:1]
	;; [unrolled: 1-line block ×3, first 2 shown]
.LBB161_1604:
	s_and_b64 vcc, exec, s[6:7]
	v_add_u32_e32 v1, 0x80, v45
	s_cbranch_vccnz .LBB161_1610
; %bb.1605:
	s_cmp_lg_u32 s91, 0
	v_mov_b32_e32 v12, 0
	v_mov_b32_e32 v14, 0
	v_mov_b32_e32 v66, 0
	s_cbranch_scc0 .LBB161_1611
; %bb.1606:
	s_min_u32 s10, s33, 15
	s_add_i32 s8, s10, 1
	s_and_b32 s11, s8, 30
	s_add_u32 s8, s74, 0xffffffec
	s_addc_u32 s9, s75, -1
	v_mov_b32_e32 v66, 0
	v_mov_b32_e32 v3, v1
	;; [unrolled: 1-line block ×4, first 2 shown]
.LBB161_1607:                           ; =>This Inner Loop Header: Depth=1
	s_mov_b64 s[20:21], s[8:9]
	s_load_dwordx4 s[12:15], s[20:21], 0x18
	s_load_dwordx2 s[22:23], s[20:21], 0x28
	s_load_dwordx2 s[24:25], s[20:21], 0xe8
	s_load_dwordx4 s[16:19], s[20:21], 0xd8
	s_add_u32 s8, s20, 24
	s_waitcnt lgkmcnt(0)
	v_mul_hi_u32 v4, s13, v3
	v_add_u32_e32 v4, v3, v4
	v_lshrrev_b32_e32 v4, s14, v4
	v_mul_lo_u32 v5, v4, s12
	v_mul_hi_u32 v6, s22, v4
	v_sub_u32_e32 v3, v3, v5
	v_add_u32_e32 v5, v4, v6
	v_mul_lo_u32 v6, v3, s16
	v_mul_lo_u32 v7, v3, s17
	;; [unrolled: 1-line block ×3, first 2 shown]
	v_lshrrev_b32_e32 v3, s23, v5
	v_mul_lo_u32 v5, v3, s15
	v_sub_u32_e32 v4, v4, v5
	s_addc_u32 s9, s21, 0
	s_add_i32 s11, s11, -2
	v_mul_lo_u32 v5, v4, s19
	v_mul_lo_u32 v9, v4, s24
	;; [unrolled: 1-line block ×3, first 2 shown]
	s_cmp_lg_u32 s11, 0
	v_add3_u32 v66, v6, v66, v5
	v_add3_u32 v12, v8, v12, v4
	;; [unrolled: 1-line block ×3, first 2 shown]
	s_cbranch_scc1 .LBB161_1607
; %bb.1608:
	s_bitcmp1_b32 s10, 0
	s_cselect_b64 s[10:11], -1, 0
	s_and_b64 vcc, exec, s[10:11]
	s_cbranch_vccnz .LBB161_1611
; %bb.1609:
	s_load_dwordx2 s[10:11], s[8:9], 0x18
	s_load_dword s14, s[8:9], 0x20
	s_load_dword s15, s[8:9], 0xe0
	s_load_dwordx2 s[12:13], s[8:9], 0xd8
	s_waitcnt lgkmcnt(0)
	v_mul_hi_u32 v4, s11, v3
	v_add_u32_e32 v4, v3, v4
	v_lshrrev_b32_e32 v4, s14, v4
	v_mul_lo_u32 v4, v4, s10
	v_sub_u32_e32 v3, v3, v4
	v_mad_u64_u32 v[66:67], s[8:9], v3, s12, v[66:67]
	v_mad_u64_u32 v[14:15], s[8:9], v3, s13, v[14:15]
	;; [unrolled: 1-line block ×3, first 2 shown]
	s_cbranch_execz .LBB161_1612
	s_branch .LBB161_1614
.LBB161_1610:
                                        ; implicit-def: $vgpr12
                                        ; implicit-def: $vgpr14
                                        ; implicit-def: $vgpr66
	s_branch .LBB161_1612
.LBB161_1611:
	s_cbranch_execnz .LBB161_1614
.LBB161_1612:
	s_load_dwordx4 s[8:11], s[74:75], 0x4
	s_load_dwordx4 s[12:15], s[74:75], 0xc4
	s_cmp_lt_u32 s91, 2
	s_waitcnt lgkmcnt(0)
	v_mul_hi_u32 v3, s9, v1
	v_add_u32_e32 v3, v1, v3
	v_lshrrev_b32_e32 v3, s10, v3
	v_mul_lo_u32 v4, v3, s8
	v_sub_u32_e32 v1, v1, v4
	v_mul_lo_u32 v66, v1, s12
	v_mul_lo_u32 v12, v1, s14
	;; [unrolled: 1-line block ×3, first 2 shown]
	s_cbranch_scc1 .LBB161_1614
; %bb.1613:
	s_load_dwordx4 s[8:11], s[74:75], 0x10
	s_load_dwordx4 s[12:15], s[74:75], 0xd0
	s_waitcnt lgkmcnt(0)
	v_mul_hi_u32 v1, s9, v3
	v_add_u32_e32 v1, v3, v1
	v_lshrrev_b32_e32 v1, s10, v1
	v_mul_lo_u32 v1, v1, s8
	v_sub_u32_e32 v1, v3, v1
	v_mad_u64_u32 v[66:67], s[8:9], v1, s12, v[66:67]
	v_mad_u64_u32 v[14:15], s[8:9], v1, s13, v[14:15]
	v_mad_u64_u32 v[12:13], s[8:9], v1, s14, v[12:13]
.LBB161_1614:
	s_and_b64 vcc, exec, s[6:7]
	v_add_u32_e32 v1, 0x100, v45
	s_cbranch_vccnz .LBB161_1620
; %bb.1615:
	s_cmp_lg_u32 s91, 0
	v_mov_b32_e32 v8, 0
	v_mov_b32_e32 v10, 0
	;; [unrolled: 1-line block ×3, first 2 shown]
	s_cbranch_scc0 .LBB161_1621
; %bb.1616:
	s_min_u32 s10, s33, 15
	s_add_i32 s8, s10, 1
	s_and_b32 s11, s8, 30
	s_add_u32 s8, s74, 0xffffffec
	s_addc_u32 s9, s75, -1
	v_mov_b32_e32 v64, 0
	v_mov_b32_e32 v3, v1
	;; [unrolled: 1-line block ×4, first 2 shown]
.LBB161_1617:                           ; =>This Inner Loop Header: Depth=1
	s_mov_b64 s[20:21], s[8:9]
	s_load_dwordx4 s[12:15], s[20:21], 0x18
	s_load_dwordx2 s[22:23], s[20:21], 0x28
	s_load_dwordx2 s[24:25], s[20:21], 0xe8
	s_load_dwordx4 s[16:19], s[20:21], 0xd8
	s_add_u32 s8, s20, 24
	s_waitcnt lgkmcnt(0)
	v_mul_hi_u32 v4, s13, v3
	v_add_u32_e32 v4, v3, v4
	v_lshrrev_b32_e32 v4, s14, v4
	v_mul_lo_u32 v5, v4, s12
	v_mul_hi_u32 v6, s22, v4
	v_sub_u32_e32 v3, v3, v5
	v_add_u32_e32 v5, v4, v6
	v_mul_lo_u32 v6, v3, s16
	v_mul_lo_u32 v7, v3, s17
	;; [unrolled: 1-line block ×3, first 2 shown]
	v_lshrrev_b32_e32 v3, s23, v5
	v_mul_lo_u32 v5, v3, s15
	v_sub_u32_e32 v4, v4, v5
	s_addc_u32 s9, s21, 0
	s_add_i32 s11, s11, -2
	v_mul_lo_u32 v5, v4, s19
	v_mul_lo_u32 v11, v4, s24
	;; [unrolled: 1-line block ×3, first 2 shown]
	s_cmp_lg_u32 s11, 0
	v_add3_u32 v64, v6, v64, v5
	v_add3_u32 v8, v9, v8, v4
	;; [unrolled: 1-line block ×3, first 2 shown]
	s_cbranch_scc1 .LBB161_1617
; %bb.1618:
	s_bitcmp1_b32 s10, 0
	s_cselect_b64 s[10:11], -1, 0
	s_and_b64 vcc, exec, s[10:11]
	s_cbranch_vccnz .LBB161_1621
; %bb.1619:
	s_load_dwordx2 s[10:11], s[8:9], 0x18
	s_load_dword s14, s[8:9], 0x20
	s_load_dword s15, s[8:9], 0xe0
	s_load_dwordx2 s[12:13], s[8:9], 0xd8
	s_waitcnt lgkmcnt(0)
	v_mul_hi_u32 v4, s11, v3
	v_add_u32_e32 v4, v3, v4
	v_lshrrev_b32_e32 v4, s14, v4
	v_mul_lo_u32 v4, v4, s10
	v_sub_u32_e32 v3, v3, v4
	v_mad_u64_u32 v[64:65], s[8:9], v3, s12, v[64:65]
	v_mad_u64_u32 v[10:11], s[8:9], v3, s13, v[10:11]
	v_mad_u64_u32 v[8:9], s[8:9], v3, s15, v[8:9]
	s_cbranch_execz .LBB161_1622
	s_branch .LBB161_1624
.LBB161_1620:
                                        ; implicit-def: $vgpr8
                                        ; implicit-def: $vgpr10
                                        ; implicit-def: $vgpr64
	s_branch .LBB161_1622
.LBB161_1621:
	s_cbranch_execnz .LBB161_1624
.LBB161_1622:
	s_load_dwordx4 s[8:11], s[74:75], 0x4
	s_load_dwordx4 s[12:15], s[74:75], 0xc4
	s_cmp_lt_u32 s91, 2
	s_waitcnt lgkmcnt(0)
	v_mul_hi_u32 v3, s9, v1
	v_add_u32_e32 v3, v1, v3
	v_lshrrev_b32_e32 v3, s10, v3
	v_mul_lo_u32 v4, v3, s8
	v_sub_u32_e32 v1, v1, v4
	v_mul_lo_u32 v64, v1, s12
	v_mul_lo_u32 v8, v1, s14
	;; [unrolled: 1-line block ×3, first 2 shown]
	s_cbranch_scc1 .LBB161_1624
; %bb.1623:
	s_load_dwordx4 s[8:11], s[74:75], 0x10
	s_load_dwordx4 s[12:15], s[74:75], 0xd0
	s_waitcnt lgkmcnt(0)
	v_mul_hi_u32 v1, s9, v3
	v_add_u32_e32 v1, v3, v1
	v_lshrrev_b32_e32 v1, s10, v1
	v_mul_lo_u32 v1, v1, s8
	v_sub_u32_e32 v1, v3, v1
	v_mad_u64_u32 v[64:65], s[8:9], v1, s12, v[64:65]
	v_mad_u64_u32 v[10:11], s[8:9], v1, s13, v[10:11]
	;; [unrolled: 1-line block ×3, first 2 shown]
.LBB161_1624:
	s_and_b64 vcc, exec, s[6:7]
	s_cbranch_vccnz .LBB161_1630
; %bb.1625:
	s_cmp_lg_u32 s91, 0
	v_mov_b32_e32 v4, 0
	v_mov_b32_e32 v6, 0
	;; [unrolled: 1-line block ×3, first 2 shown]
	s_cbranch_scc0 .LBB161_1631
; %bb.1626:
	s_min_u32 s8, s33, 15
	s_add_i32 s6, s8, 1
	s_and_b32 s9, s6, 30
	s_add_u32 s6, s74, 0xffffffec
	s_addc_u32 s7, s75, -1
	v_mov_b32_e32 v62, 0
	v_mov_b32_e32 v1, v16
	;; [unrolled: 1-line block ×4, first 2 shown]
.LBB161_1627:                           ; =>This Inner Loop Header: Depth=1
	s_mov_b64 s[10:11], s[6:7]
	s_load_dwordx4 s[12:15], s[10:11], 0x18
	s_load_dwordx2 s[20:21], s[10:11], 0x28
	s_load_dwordx2 s[22:23], s[10:11], 0xe8
	s_load_dwordx4 s[16:19], s[10:11], 0xd8
	s_add_u32 s6, s10, 24
	s_waitcnt lgkmcnt(0)
	v_mul_hi_u32 v3, s13, v1
	v_add_u32_e32 v3, v1, v3
	v_lshrrev_b32_e32 v3, s14, v3
	v_mul_lo_u32 v5, v3, s12
	v_mul_hi_u32 v7, s20, v3
	v_sub_u32_e32 v1, v1, v5
	v_add_u32_e32 v5, v3, v7
	v_mul_lo_u32 v7, v1, s16
	v_mul_lo_u32 v9, v1, s17
	;; [unrolled: 1-line block ×3, first 2 shown]
	v_lshrrev_b32_e32 v1, s21, v5
	v_mul_lo_u32 v5, v1, s15
	v_sub_u32_e32 v3, v3, v5
	s_addc_u32 s7, s11, 0
	s_add_i32 s9, s9, -2
	v_mul_lo_u32 v5, v3, s19
	v_mul_lo_u32 v13, v3, s22
	;; [unrolled: 1-line block ×3, first 2 shown]
	s_cmp_lg_u32 s9, 0
	v_add3_u32 v62, v7, v62, v5
	v_add3_u32 v4, v11, v4, v3
	;; [unrolled: 1-line block ×3, first 2 shown]
	s_cbranch_scc1 .LBB161_1627
; %bb.1628:
	s_bitcmp1_b32 s8, 0
	s_cselect_b64 s[8:9], -1, 0
	s_and_b64 vcc, exec, s[8:9]
	s_cbranch_vccnz .LBB161_1631
; %bb.1629:
	s_load_dwordx2 s[8:9], s[6:7], 0x18
	s_load_dword s12, s[6:7], 0x20
	s_load_dword s13, s[6:7], 0xe0
	s_load_dwordx2 s[10:11], s[6:7], 0xd8
	s_waitcnt lgkmcnt(0)
	v_mul_hi_u32 v3, s9, v1
	v_add_u32_e32 v3, v1, v3
	v_lshrrev_b32_e32 v3, s12, v3
	v_mul_lo_u32 v3, v3, s8
	v_sub_u32_e32 v1, v1, v3
	v_mad_u64_u32 v[62:63], s[6:7], v1, s10, v[62:63]
	v_mad_u64_u32 v[6:7], s[6:7], v1, s11, v[6:7]
	;; [unrolled: 1-line block ×3, first 2 shown]
	s_cbranch_execz .LBB161_1632
	s_branch .LBB161_1634
.LBB161_1630:
                                        ; implicit-def: $vgpr4
                                        ; implicit-def: $vgpr6
                                        ; implicit-def: $vgpr62
	s_branch .LBB161_1632
.LBB161_1631:
	s_cbranch_execnz .LBB161_1634
.LBB161_1632:
	s_load_dwordx4 s[8:11], s[74:75], 0x4
	s_load_dwordx4 s[12:15], s[74:75], 0xc4
	s_cmp_lt_u32 s91, 2
	s_waitcnt lgkmcnt(0)
	v_mul_hi_u32 v1, s9, v16
	v_add_u32_e32 v1, v16, v1
	v_lshrrev_b32_e32 v1, s10, v1
	v_mul_lo_u32 v3, v1, s8
	v_sub_u32_e32 v3, v16, v3
	v_mul_lo_u32 v62, v3, s12
	v_mul_lo_u32 v4, v3, s14
	;; [unrolled: 1-line block ×3, first 2 shown]
	s_cbranch_scc1 .LBB161_1634
; %bb.1633:
	s_load_dwordx4 s[8:11], s[74:75], 0x10
	s_load_dwordx4 s[12:15], s[74:75], 0xd0
	s_waitcnt lgkmcnt(0)
	v_mul_hi_u32 v3, s9, v1
	v_add_u32_e32 v3, v1, v3
	v_lshrrev_b32_e32 v3, s10, v3
	v_mul_lo_u32 v3, v3, s8
	v_sub_u32_e32 v1, v1, v3
	v_mad_u64_u32 v[62:63], s[6:7], v1, s12, v[62:63]
	v_mad_u64_u32 v[6:7], s[6:7], v1, s13, v[6:7]
	;; [unrolled: 1-line block ×3, first 2 shown]
.LBB161_1634:
	s_load_dword s20, s[4:5], 0x1a8
	s_load_dwordx4 s[76:79], s[74:75], 0x188
	s_waitcnt lgkmcnt(0)
	s_lshr_b32 s21, s20, 16
	v_mov_b32_e32 v1, s79
	v_add_co_u32_e32 v16, vcc, s78, v0
	v_mov_b32_e32 v0, 11
	v_addc_co_u32_e32 v17, vcc, 0, v1, vcc
	v_cmp_lt_i16_sdwa s[4:5], s21, v0 src0_sel:BYTE_0 src1_sel:DWORD
	s_and_b64 vcc, exec, s[4:5]
	s_cbranch_vccnz .LBB161_1641
; %bb.1635:
	v_mov_b32_e32 v0, 25
	v_cmp_gt_i16_sdwa s[4:5], s21, v0 src0_sel:BYTE_0 src1_sel:DWORD
	s_mov_b64 s[6:7], 0
	s_and_b64 vcc, exec, s[4:5]
	s_cbranch_vccz .LBB161_1643
; %bb.1636:
	v_mov_b32_e32 v0, 28
	v_cmp_gt_i16_sdwa s[4:5], s21, v0 src0_sel:BYTE_0 src1_sel:DWORD
	s_and_b64 vcc, exec, s[4:5]
	s_cbranch_vccz .LBB161_1644
; %bb.1637:
	v_mov_b32_e32 v0, 43
	v_cmp_gt_i16_sdwa s[4:5], s21, v0 src0_sel:BYTE_0 src1_sel:DWORD
	;; [unrolled: 5-line block ×3, first 2 shown]
	s_and_b64 vcc, exec, s[4:5]
	s_cbranch_vccz .LBB161_1646
; %bb.1639:
	v_mov_b32_e32 v0, 46
	v_cmp_eq_u16_sdwa s[4:5], s21, v0 src0_sel:BYTE_0 src1_sel:DWORD
	s_mov_b64 s[10:11], 0
	s_and_b64 vcc, exec, s[4:5]
	s_cbranch_vccz .LBB161_1649
; %bb.1640:
	global_load_dword v0, v[16:17], off
	s_mov_b64 s[4:5], 0
	s_mov_b64 s[8:9], -1
	s_waitcnt vmcnt(0)
	v_lshlrev_b32_e32 v0, 16, v0
	v_cvt_f64_f32_e32 v[0:1], v0
	s_branch .LBB161_1650
.LBB161_1641:
	s_mov_b64 s[8:9], 0
                                        ; implicit-def: $vgpr0_vgpr1
	s_mov_b64 s[84:85], s[80:81]
	s_cbranch_execnz .LBB161_1713
.LBB161_1642:
	s_andn2_b64 vcc, exec, s[8:9]
	s_cbranch_vccz .LBB161_1758
	s_branch .LBB161_3121
.LBB161_1643:
	s_mov_b64 s[8:9], 0
	s_mov_b64 s[4:5], 0
                                        ; implicit-def: $vgpr0_vgpr1
	s_cbranch_execnz .LBB161_1678
	s_branch .LBB161_1709
.LBB161_1644:
	s_mov_b64 s[10:11], -1
	s_mov_b64 s[8:9], 0
	s_mov_b64 s[4:5], 0
                                        ; implicit-def: $vgpr0_vgpr1
	s_branch .LBB161_1659
.LBB161_1645:
	s_mov_b64 s[8:9], 0
	s_mov_b64 s[4:5], 0
                                        ; implicit-def: $vgpr0_vgpr1
	s_cbranch_execnz .LBB161_1655
	s_branch .LBB161_1658
.LBB161_1646:
	s_mov_b64 s[10:11], -1
	s_mov_b64 s[8:9], 0
	s_mov_b64 s[4:5], 0
                                        ; implicit-def: $vgpr0_vgpr1
	s_branch .LBB161_1650
.LBB161_1647:
	s_or_saveexec_b64 s[12:13], s[12:13]
                                        ; implicit-def: $sgpr14
	s_xor_b64 exec, exec, s[12:13]
	s_cbranch_execz .LBB161_1501
.LBB161_1648:
	s_mov_b32 s14, 0x46000000
	v_add_f32_e64 v3, |v2|, s14
	v_and_b32_e32 v3, 0xff, v3
	v_cmp_ne_u32_e32 vcc, 0, v3
	s_andn2_b64 s[10:11], s[10:11], exec
	s_and_b64 s[16:17], vcc, exec
	s_mov_b32 s14, 0
	s_or_b64 s[10:11], s[10:11], s[16:17]
	s_or_b64 exec, exec, s[12:13]
	v_mov_b32_e32 v4, s14
	s_and_saveexec_b64 s[12:13], s[10:11]
	s_cbranch_execnz .LBB161_1502
	s_branch .LBB161_1503
.LBB161_1649:
	s_mov_b64 s[4:5], -1
                                        ; implicit-def: $vgpr0_vgpr1
	s_mov_b64 s[8:9], 0
.LBB161_1650:
	s_and_b64 vcc, exec, s[10:11]
	s_cbranch_vccz .LBB161_1653
; %bb.1651:
	v_mov_b32_e32 v0, 44
	v_cmp_eq_u16_sdwa s[4:5], s21, v0 src0_sel:BYTE_0 src1_sel:DWORD
	s_and_b64 vcc, exec, s[4:5]
	s_cbranch_vccz .LBB161_1654
; %bb.1652:
	global_load_ubyte v3, v[16:17], off
	s_movk_i32 s8, 0xff
	v_bfrev_b32_e32 v5, 4
	v_mov_b32_e32 v7, 0x7ff80000
	v_bfrev_b32_e32 v9, 28
	s_mov_b64 s[4:5], 0
	s_waitcnt vmcnt(0)
	v_lshlrev_b32_e32 v0, 23, v3
	v_cvt_f64_f32_e32 v[0:1], v0
	v_cmp_ne_u32_e32 vcc, s8, v3
	v_cndmask_b32_e32 v0, v5, v0, vcc
	v_cndmask_b32_e32 v1, v7, v1, vcc
	v_cmp_ne_u32_e32 vcc, 0, v3
	v_cndmask_b32_e32 v1, v9, v1, vcc
	v_cndmask_b32_e32 v0, 0, v0, vcc
	s_mov_b64 s[8:9], -1
.LBB161_1653:
	s_branch .LBB161_1658
.LBB161_1654:
	s_mov_b64 s[4:5], -1
                                        ; implicit-def: $vgpr0_vgpr1
	s_branch .LBB161_1658
.LBB161_1655:
	v_mov_b32_e32 v0, 29
	v_cmp_eq_u16_sdwa s[4:5], s21, v0 src0_sel:BYTE_0 src1_sel:DWORD
	s_and_b64 vcc, exec, s[4:5]
	s_cbranch_vccz .LBB161_1657
; %bb.1656:
	global_load_dwordx2 v[0:1], v[16:17], off
	s_mov_b64 s[4:5], 0
	s_mov_b64 s[8:9], -1
	s_mov_b64 s[10:11], 0
	s_waitcnt vmcnt(0)
	v_cvt_f64_u32_e32 v[18:19], v1
	v_cvt_f64_u32_e32 v[0:1], v0
	v_ldexp_f64 v[18:19], v[18:19], 32
	v_add_f64 v[0:1], v[18:19], v[0:1]
	s_branch .LBB161_1659
.LBB161_1657:
	s_mov_b64 s[4:5], -1
                                        ; implicit-def: $vgpr0_vgpr1
.LBB161_1658:
	s_mov_b64 s[10:11], 0
.LBB161_1659:
	s_and_b64 vcc, exec, s[10:11]
	s_cbranch_vccz .LBB161_1677
; %bb.1660:
	v_mov_b32_e32 v0, 27
	v_cmp_lt_i16_sdwa s[8:9], s21, v0 src0_sel:BYTE_0 src1_sel:DWORD
	s_and_b64 vcc, exec, s[8:9]
	s_cbranch_vccnz .LBB161_1663
; %bb.1661:
	v_cmp_gt_i16_sdwa s[8:9], s21, v0 src0_sel:BYTE_0 src1_sel:DWORD
	s_and_b64 vcc, exec, s[8:9]
	s_cbranch_vccz .LBB161_1664
; %bb.1662:
	global_load_dword v0, v[16:17], off
	s_mov_b64 s[8:9], 0
	s_waitcnt vmcnt(0)
	v_cvt_f64_u32_e32 v[0:1], v0
	s_branch .LBB161_1665
.LBB161_1663:
	s_mov_b64 s[8:9], -1
                                        ; implicit-def: $vgpr0_vgpr1
	s_branch .LBB161_1668
.LBB161_1664:
	s_mov_b64 s[8:9], -1
                                        ; implicit-def: $vgpr0_vgpr1
.LBB161_1665:
	s_andn2_b64 vcc, exec, s[8:9]
	s_cbranch_vccnz .LBB161_1667
; %bb.1666:
	global_load_ushort v0, v[16:17], off
	s_waitcnt vmcnt(0)
	v_cvt_f64_u32_e32 v[0:1], v0
.LBB161_1667:
	s_mov_b64 s[8:9], 0
.LBB161_1668:
	s_andn2_b64 vcc, exec, s[8:9]
	s_cbranch_vccnz .LBB161_1676
; %bb.1669:
	global_load_ubyte v3, v[16:17], off
	s_movk_i32 s8, 0x7f
                                        ; implicit-def: $sgpr10_sgpr11
	s_waitcnt vmcnt(0)
	v_cmp_lt_i16_e32 vcc, s8, v3
	s_mov_b64 s[8:9], 0
	s_and_saveexec_b64 s[12:13], vcc
	s_xor_b64 s[12:13], exec, s[12:13]
	s_cbranch_execz .LBB161_1689
; %bb.1670:
	s_movk_i32 s8, 0x80
	v_cmp_eq_u16_e32 vcc, s8, v3
	s_mov_b64 s[14:15], -1
                                        ; implicit-def: $sgpr10_sgpr11
	s_and_saveexec_b64 s[8:9], vcc
; %bb.1671:
	s_mov_b32 s11, 0x7ff80000
	s_brev_b32 s10, 4
	s_xor_b64 s[14:15], exec, -1
; %bb.1672:
	s_or_b64 exec, exec, s[8:9]
	s_and_b64 s[8:9], s[14:15], exec
	s_or_saveexec_b64 s[12:13], s[12:13]
	v_pk_mov_b32 v[0:1], s[10:11], s[10:11] op_sel:[0,1]
	s_xor_b64 exec, exec, s[12:13]
	s_cbranch_execnz .LBB161_1690
.LBB161_1673:
	s_or_b64 exec, exec, s[12:13]
	s_and_saveexec_b64 s[10:11], s[8:9]
	s_cbranch_execz .LBB161_1675
.LBB161_1674:
	v_and_b32_e32 v1, 0xffff, v3
	v_lshlrev_b32_e32 v0, 24, v3
	v_and_b32_e32 v3, 7, v1
	v_ffbh_u32_e32 v7, v3
	v_min_u32_e32 v7, 32, v7
	v_subrev_u32_e32 v9, 28, v7
	v_bfe_u32 v5, v1, 3, 4
	v_lshlrev_b32_e32 v1, v9, v1
	v_sub_u32_e32 v7, 29, v7
	v_and_b32_e32 v1, 7, v1
	v_cmp_eq_u32_e32 vcc, 0, v5
	v_cndmask_b32_e32 v5, v5, v7, vcc
	v_cndmask_b32_e32 v1, v3, v1, vcc
	v_mov_b32_e32 v3, 0x3b800000
	v_lshlrev_b32_e32 v1, 20, v1
	v_and_b32_e32 v0, 0x80000000, v0
	v_lshl_add_u32 v3, v5, 23, v3
	v_or3_b32 v0, v0, v3, v1
	v_cvt_f64_f32_e32 v[0:1], v0
.LBB161_1675:
	s_or_b64 exec, exec, s[10:11]
.LBB161_1676:
	s_mov_b64 s[8:9], -1
.LBB161_1677:
	s_branch .LBB161_1709
.LBB161_1678:
	v_mov_b32_e32 v0, 22
	v_cmp_gt_i16_sdwa s[6:7], s21, v0 src0_sel:BYTE_0 src1_sel:DWORD
	s_and_b64 vcc, exec, s[6:7]
	s_cbranch_vccz .LBB161_1688
; %bb.1679:
	v_mov_b32_e32 v0, 24
	v_cmp_lt_i16_sdwa s[6:7], s21, v0 src0_sel:BYTE_0 src1_sel:DWORD
	s_and_b64 vcc, exec, s[6:7]
	s_cbranch_vccnz .LBB161_1691
; %bb.1680:
	v_cmp_gt_i16_sdwa s[6:7], s21, v0 src0_sel:BYTE_0 src1_sel:DWORD
	s_and_b64 vcc, exec, s[6:7]
	s_cbranch_vccz .LBB161_1692
; %bb.1681:
	global_load_ubyte v3, v[16:17], off
	s_movk_i32 s6, 0x7f
                                        ; implicit-def: $sgpr8_sgpr9
	s_waitcnt vmcnt(0)
	v_cmp_lt_i16_e32 vcc, s6, v3
	s_mov_b64 s[6:7], 0
	s_and_saveexec_b64 s[10:11], vcc
	s_xor_b64 s[10:11], exec, s[10:11]
	s_cbranch_execz .LBB161_1703
; %bb.1682:
	s_movk_i32 s6, 0x80
	v_cmp_eq_u16_e32 vcc, s6, v3
	s_mov_b64 s[12:13], -1
                                        ; implicit-def: $sgpr8_sgpr9
	s_and_saveexec_b64 s[6:7], vcc
; %bb.1683:
	s_mov_b32 s9, 0x7ff80000
	s_brev_b32 s8, 4
	s_xor_b64 s[12:13], exec, -1
; %bb.1684:
	s_or_b64 exec, exec, s[6:7]
	s_and_b64 s[6:7], s[12:13], exec
	s_or_saveexec_b64 s[10:11], s[10:11]
	v_pk_mov_b32 v[0:1], s[8:9], s[8:9] op_sel:[0,1]
	s_xor_b64 exec, exec, s[10:11]
	s_cbranch_execnz .LBB161_1704
.LBB161_1685:
	s_or_b64 exec, exec, s[10:11]
	s_and_saveexec_b64 s[8:9], s[6:7]
	s_cbranch_execz .LBB161_1687
.LBB161_1686:
	v_and_b32_e32 v1, 0xffff, v3
	v_lshlrev_b32_e32 v0, 24, v3
	v_and_b32_e32 v3, 3, v1
	v_ffbh_u32_e32 v7, v3
	v_min_u32_e32 v7, 32, v7
	v_subrev_u32_e32 v9, 29, v7
	v_bfe_u32 v5, v1, 2, 5
	v_lshlrev_b32_e32 v1, v9, v1
	v_sub_u32_e32 v7, 30, v7
	v_and_b32_e32 v1, 3, v1
	v_cmp_eq_u32_e32 vcc, 0, v5
	v_cndmask_b32_e32 v5, v5, v7, vcc
	v_cndmask_b32_e32 v1, v3, v1, vcc
	v_mov_b32_e32 v3, 0x37800000
	v_lshlrev_b32_e32 v1, 21, v1
	v_and_b32_e32 v0, 0x80000000, v0
	v_lshl_add_u32 v3, v5, 23, v3
	v_or3_b32 v0, v0, v3, v1
	v_cvt_f64_f32_e32 v[0:1], v0
.LBB161_1687:
	s_or_b64 exec, exec, s[8:9]
	s_mov_b64 s[6:7], 0
	s_branch .LBB161_1693
.LBB161_1688:
                                        ; implicit-def: $vgpr0_vgpr1
	s_mov_b64 s[6:7], 0
	s_branch .LBB161_1699
.LBB161_1689:
	s_or_saveexec_b64 s[12:13], s[12:13]
	v_pk_mov_b32 v[0:1], s[10:11], s[10:11] op_sel:[0,1]
	s_xor_b64 exec, exec, s[12:13]
	s_cbranch_execz .LBB161_1673
.LBB161_1690:
	v_cmp_ne_u16_e32 vcc, 0, v3
	s_andn2_b64 s[8:9], s[8:9], exec
	s_and_b64 s[10:11], vcc, exec
	v_pk_mov_b32 v[0:1], 0, 0
	s_or_b64 s[8:9], s[8:9], s[10:11]
	s_or_b64 exec, exec, s[12:13]
	s_and_saveexec_b64 s[10:11], s[8:9]
	s_cbranch_execnz .LBB161_1674
	s_branch .LBB161_1675
.LBB161_1691:
	s_mov_b64 s[6:7], -1
                                        ; implicit-def: $vgpr0_vgpr1
	s_branch .LBB161_1696
.LBB161_1692:
	s_mov_b64 s[6:7], -1
                                        ; implicit-def: $vgpr0_vgpr1
.LBB161_1693:
	s_and_b64 vcc, exec, s[6:7]
	s_cbranch_vccz .LBB161_1695
; %bb.1694:
	global_load_ubyte v0, v[16:17], off
	s_mov_b32 s6, 0x7f800000
	s_waitcnt vmcnt(0)
	v_lshlrev_b32_e32 v0, 24, v0
	v_and_b32_e32 v1, 0x7f000000, v0
	v_ffbh_u32_e32 v3, v1
	v_min_u32_e32 v3, 32, v3
	v_sub_u32_e64 v3, v3, 4 clamp
	v_lshlrev_b32_e32 v7, v3, v1
	v_lshlrev_b32_e32 v3, 23, v3
	v_lshrrev_b32_e32 v7, 4, v7
	v_add_u32_e32 v5, 0x1000000, v1
	v_sub_u32_e32 v3, v7, v3
	v_ashrrev_i32_e32 v5, 8, v5
	v_add_u32_e32 v3, 0x3c000000, v3
	v_and_or_b32 v3, v5, s6, v3
	v_cmp_ne_u32_e32 vcc, 0, v1
	v_cndmask_b32_e32 v1, 0, v3, vcc
	s_brev_b32 s6, 1
	v_and_or_b32 v0, v0, s6, v1
	v_cvt_f64_f32_e32 v[0:1], v0
.LBB161_1695:
	s_mov_b64 s[6:7], 0
.LBB161_1696:
	s_andn2_b64 vcc, exec, s[6:7]
	s_cbranch_vccnz .LBB161_1698
; %bb.1697:
	global_load_ubyte v0, v[16:17], off
	s_movk_i32 s6, 0x7f00
	s_brev_b32 s7, 16
	s_waitcnt vmcnt(0)
	v_lshlrev_b16_e32 v1, 8, v0
	v_lshlrev_b32_e32 v0, 25, v0
	v_lshrrev_b32_e32 v3, 4, v0
	v_and_or_b32 v5, v1, s6, 0.5
	v_or_b32_e32 v3, 0x70000000, v3
	v_add_f32_e32 v5, -0.5, v5
	v_mul_f32_e32 v3, 0x7800000, v3
	v_cmp_gt_u32_e32 vcc, s7, v0
	v_bfe_i32 v1, v1, 0, 16
	v_cndmask_b32_e32 v0, v3, v5, vcc
	s_brev_b32 s6, 1
	v_and_or_b32 v0, v1, s6, v0
	v_cvt_f64_f32_e32 v[0:1], v0
.LBB161_1698:
	s_mov_b64 s[8:9], -1
	s_mov_b64 s[6:7], 0
	s_cbranch_execnz .LBB161_1709
.LBB161_1699:
	v_mov_b32_e32 v0, 14
	v_cmp_gt_i16_sdwa s[6:7], s21, v0 src0_sel:BYTE_0 src1_sel:DWORD
	s_and_b64 vcc, exec, s[6:7]
	s_cbranch_vccz .LBB161_1702
; %bb.1700:
	v_mov_b32_e32 v0, 15
	v_cmp_eq_u16_sdwa s[4:5], s21, v0 src0_sel:BYTE_0 src1_sel:DWORD
	s_and_b64 vcc, exec, s[4:5]
	s_cbranch_vccz .LBB161_1705
; %bb.1701:
	global_load_ushort v0, v[16:17], off
	s_mov_b64 s[4:5], 0
	s_mov_b64 s[8:9], -1
	s_waitcnt vmcnt(0)
	v_lshlrev_b32_e32 v0, 16, v0
	v_cvt_f64_f32_e32 v[0:1], v0
	s_branch .LBB161_1706
.LBB161_1702:
	s_mov_b64 s[10:11], -1
                                        ; implicit-def: $vgpr0_vgpr1
	s_branch .LBB161_1707
.LBB161_1703:
	s_or_saveexec_b64 s[10:11], s[10:11]
	v_pk_mov_b32 v[0:1], s[8:9], s[8:9] op_sel:[0,1]
	s_xor_b64 exec, exec, s[10:11]
	s_cbranch_execz .LBB161_1685
.LBB161_1704:
	v_cmp_ne_u16_e32 vcc, 0, v3
	s_andn2_b64 s[6:7], s[6:7], exec
	s_and_b64 s[8:9], vcc, exec
	v_pk_mov_b32 v[0:1], 0, 0
	s_or_b64 s[6:7], s[6:7], s[8:9]
	s_or_b64 exec, exec, s[10:11]
	s_and_saveexec_b64 s[8:9], s[6:7]
	s_cbranch_execnz .LBB161_1686
	s_branch .LBB161_1687
.LBB161_1705:
	s_mov_b64 s[4:5], -1
                                        ; implicit-def: $vgpr0_vgpr1
.LBB161_1706:
	s_mov_b64 s[10:11], 0
.LBB161_1707:
	s_mov_b64 s[6:7], 0
	s_and_b64 vcc, exec, s[10:11]
	s_cbranch_vccz .LBB161_1709
; %bb.1708:
	v_mov_b32_e32 v0, 11
	v_cmp_ne_u16_sdwa s[4:5], s21, v0 src0_sel:BYTE_0 src1_sel:DWORD
	s_mov_b64 s[6:7], -1
                                        ; implicit-def: $vgpr0_vgpr1
.LBB161_1709:
	s_and_b64 vcc, exec, s[4:5]
	s_mov_b64 s[84:85], s[80:81]
	s_cbranch_vccnz .LBB161_1770
; %bb.1710:
	s_andn2_b64 vcc, exec, s[6:7]
	s_cbranch_vccnz .LBB161_1712
.LBB161_1711:
	global_load_ubyte v1, v[16:17], off
	v_mov_b32_e32 v3, 0x3ff00000
	v_mov_b32_e32 v0, 0
	s_mov_b64 s[8:9], -1
	s_waitcnt vmcnt(0)
	v_cmp_ne_u16_e32 vcc, 0, v1
	v_cndmask_b32_e32 v1, 0, v3, vcc
.LBB161_1712:
	s_branch .LBB161_1642
.LBB161_1713:
	v_mov_b32_e32 v0, 5
	v_cmp_lt_i16_sdwa s[4:5], s21, v0 src0_sel:BYTE_0 src1_sel:DWORD
	s_and_b64 vcc, exec, s[4:5]
	s_cbranch_vccnz .LBB161_1718
; %bb.1714:
	v_mov_b32_e32 v0, 8
	v_cmp_lt_i16_sdwa s[4:5], s21, v0 src0_sel:BYTE_0 src1_sel:DWORD
	s_and_b64 vcc, exec, s[4:5]
	s_cbranch_vccnz .LBB161_1719
; %bb.1715:
	;; [unrolled: 5-line block ×3, first 2 shown]
	v_cmp_gt_i16_sdwa s[4:5], s21, v0 src0_sel:BYTE_0 src1_sel:DWORD
	s_and_b64 vcc, exec, s[4:5]
	s_cbranch_vccz .LBB161_1721
; %bb.1717:
	global_load_dwordx2 v[0:1], v[16:17], off
	s_mov_b64 s[4:5], 0
	s_branch .LBB161_1722
.LBB161_1718:
                                        ; implicit-def: $vgpr0_vgpr1
	s_branch .LBB161_1739
.LBB161_1719:
                                        ; implicit-def: $vgpr0_vgpr1
	s_branch .LBB161_1728
.LBB161_1720:
	s_mov_b64 s[4:5], -1
                                        ; implicit-def: $vgpr0_vgpr1
	s_branch .LBB161_1725
.LBB161_1721:
	s_mov_b64 s[4:5], -1
                                        ; implicit-def: $vgpr0_vgpr1
.LBB161_1722:
	s_andn2_b64 vcc, exec, s[4:5]
	s_cbranch_vccnz .LBB161_1724
; %bb.1723:
	global_load_dword v0, v[16:17], off
	s_waitcnt vmcnt(0)
	v_cvt_f64_f32_e32 v[0:1], v0
.LBB161_1724:
	s_mov_b64 s[4:5], 0
.LBB161_1725:
	s_andn2_b64 vcc, exec, s[4:5]
	s_cbranch_vccnz .LBB161_1727
; %bb.1726:
	global_load_dword v0, v[16:17], off
	s_waitcnt vmcnt(0)
	v_cvt_f32_f16_e32 v0, v0
	v_cvt_f64_f32_e32 v[0:1], v0
.LBB161_1727:
	s_cbranch_execnz .LBB161_1738
.LBB161_1728:
	s_waitcnt vmcnt(0)
	v_mov_b32_e32 v0, 6
	v_cmp_lt_i16_sdwa s[4:5], s21, v0 src0_sel:BYTE_0 src1_sel:DWORD
	s_and_b64 vcc, exec, s[4:5]
	s_cbranch_vccnz .LBB161_1731
; %bb.1729:
	v_cmp_gt_i16_sdwa s[4:5], s21, v0 src0_sel:BYTE_0 src1_sel:DWORD
	s_and_b64 vcc, exec, s[4:5]
	s_cbranch_vccz .LBB161_1732
; %bb.1730:
	global_load_dwordx2 v[0:1], v[16:17], off
	s_mov_b64 s[4:5], 0
	s_branch .LBB161_1733
.LBB161_1731:
	s_mov_b64 s[4:5], -1
                                        ; implicit-def: $vgpr0_vgpr1
	s_branch .LBB161_1736
.LBB161_1732:
	s_mov_b64 s[4:5], -1
                                        ; implicit-def: $vgpr0_vgpr1
.LBB161_1733:
	s_andn2_b64 vcc, exec, s[4:5]
	s_cbranch_vccnz .LBB161_1735
; %bb.1734:
	global_load_dword v0, v[16:17], off
	s_waitcnt vmcnt(0)
	v_cvt_f64_f32_e32 v[0:1], v0
.LBB161_1735:
	s_mov_b64 s[4:5], 0
.LBB161_1736:
	s_andn2_b64 vcc, exec, s[4:5]
	s_cbranch_vccnz .LBB161_1738
; %bb.1737:
	global_load_ushort v0, v[16:17], off
	s_waitcnt vmcnt(0)
	v_cvt_f32_f16_e32 v0, v0
	v_cvt_f64_f32_e32 v[0:1], v0
.LBB161_1738:
	s_cbranch_execnz .LBB161_1757
.LBB161_1739:
	s_waitcnt vmcnt(0)
	v_mov_b32_e32 v0, 2
	v_cmp_lt_i16_sdwa s[4:5], s21, v0 src0_sel:BYTE_0 src1_sel:DWORD
	s_and_b64 vcc, exec, s[4:5]
	s_cbranch_vccnz .LBB161_1743
; %bb.1740:
	v_mov_b32_e32 v0, 3
	v_cmp_lt_i16_sdwa s[4:5], s21, v0 src0_sel:BYTE_0 src1_sel:DWORD
	s_and_b64 vcc, exec, s[4:5]
	s_cbranch_vccnz .LBB161_1744
; %bb.1741:
	v_cmp_gt_i16_sdwa s[4:5], s21, v0 src0_sel:BYTE_0 src1_sel:DWORD
	s_and_b64 vcc, exec, s[4:5]
	s_cbranch_vccz .LBB161_1745
; %bb.1742:
	global_load_dwordx2 v[0:1], v[16:17], off
	s_mov_b64 s[4:5], 0
	s_waitcnt vmcnt(0)
	v_cvt_f64_i32_e32 v[18:19], v1
	v_cvt_f64_u32_e32 v[0:1], v0
	v_ldexp_f64 v[18:19], v[18:19], 32
	v_add_f64 v[0:1], v[18:19], v[0:1]
	s_branch .LBB161_1746
.LBB161_1743:
                                        ; implicit-def: $vgpr0_vgpr1
	s_branch .LBB161_1752
.LBB161_1744:
	s_mov_b64 s[4:5], -1
                                        ; implicit-def: $vgpr0_vgpr1
	s_branch .LBB161_1749
.LBB161_1745:
	s_mov_b64 s[4:5], -1
                                        ; implicit-def: $vgpr0_vgpr1
.LBB161_1746:
	s_andn2_b64 vcc, exec, s[4:5]
	s_cbranch_vccnz .LBB161_1748
; %bb.1747:
	global_load_dword v0, v[16:17], off
	s_waitcnt vmcnt(0)
	v_cvt_f64_i32_e32 v[0:1], v0
.LBB161_1748:
	s_mov_b64 s[4:5], 0
.LBB161_1749:
	s_andn2_b64 vcc, exec, s[4:5]
	s_cbranch_vccnz .LBB161_1751
; %bb.1750:
	global_load_sshort v0, v[16:17], off
	s_waitcnt vmcnt(0)
	v_cvt_f64_i32_e32 v[0:1], v0
.LBB161_1751:
	s_cbranch_execnz .LBB161_1757
.LBB161_1752:
	v_mov_b32_e32 v0, 0
	v_cmp_gt_i16_sdwa s[4:5], s21, v0 src0_sel:BYTE_0 src1_sel:DWORD
	s_and_b64 vcc, exec, s[4:5]
	s_cbranch_vccz .LBB161_1754
; %bb.1753:
	global_load_sbyte v0, v[16:17], off
	s_mov_b64 s[4:5], 0
	s_waitcnt vmcnt(0)
	v_cvt_f64_i32_e32 v[0:1], v0
	s_branch .LBB161_1755
.LBB161_1754:
	s_mov_b64 s[4:5], -1
                                        ; implicit-def: $vgpr0_vgpr1
.LBB161_1755:
	s_andn2_b64 vcc, exec, s[4:5]
	s_cbranch_vccnz .LBB161_1757
; %bb.1756:
	global_load_ubyte v0, v[16:17], off
	s_waitcnt vmcnt(0)
	v_cvt_f64_u32_e32 v[0:1], v0
.LBB161_1757:
.LBB161_1758:
	s_load_dwordx2 s[4:5], s[74:75], 0x198
	s_lshr_b32 s22, s20, 24
	v_cmp_lt_i16_e64 s[6:7], s22, 11
	s_waitcnt lgkmcnt(0)
	v_mov_b32_e32 v3, s5
	v_add_co_u32_e32 v16, vcc, s4, v2
	v_addc_co_u32_e32 v17, vcc, 0, v3, vcc
	s_and_b64 vcc, exec, s[6:7]
	s_cbranch_vccnz .LBB161_1765
; %bb.1759:
	v_cmp_gt_i16_e64 s[8:9], s22, 25
	s_mov_b64 s[10:11], 0
	s_and_b64 vcc, exec, s[8:9]
	s_cbranch_vccz .LBB161_1767
; %bb.1760:
	v_cmp_gt_i16_e64 s[8:9], s22, 28
	s_and_b64 vcc, exec, s[8:9]
	s_cbranch_vccz .LBB161_1768
; %bb.1761:
	v_cmp_gt_i16_e64 s[8:9], s22, 43
	;; [unrolled: 4-line block ×3, first 2 shown]
	s_and_b64 vcc, exec, s[8:9]
	s_cbranch_vccz .LBB161_1771
; %bb.1763:
	v_cmp_eq_u16_e64 s[8:9], s22, 46
	s_mov_b64 s[14:15], 0
	s_and_b64 vcc, exec, s[8:9]
	s_cbranch_vccz .LBB161_1774
; %bb.1764:
	global_load_dword v2, v[16:17], off
	s_mov_b64 s[8:9], 0
	s_mov_b64 s[12:13], -1
	s_waitcnt vmcnt(0)
	v_lshlrev_b32_e32 v2, 16, v2
	v_cvt_f64_f32_e32 v[2:3], v2
	s_branch .LBB161_1775
.LBB161_1765:
	s_mov_b64 s[12:13], 0
                                        ; implicit-def: $vgpr2_vgpr3
	s_cbranch_execnz .LBB161_1840
.LBB161_1766:
	s_andn2_b64 vcc, exec, s[12:13]
	s_cbranch_vccnz .LBB161_3121
	s_branch .LBB161_1887
.LBB161_1767:
	s_mov_b64 s[12:13], 0
	s_mov_b64 s[8:9], 0
                                        ; implicit-def: $vgpr2_vgpr3
	s_cbranch_execnz .LBB161_1804
	s_branch .LBB161_1836
.LBB161_1768:
	s_mov_b64 s[14:15], -1
	s_mov_b64 s[12:13], 0
	s_mov_b64 s[8:9], 0
                                        ; implicit-def: $vgpr2_vgpr3
	s_branch .LBB161_1785
.LBB161_1769:
	s_mov_b64 s[14:15], -1
	s_mov_b64 s[12:13], 0
	s_mov_b64 s[8:9], 0
                                        ; implicit-def: $vgpr2_vgpr3
	s_branch .LBB161_1780
.LBB161_1770:
	s_or_b64 s[84:85], s[80:81], exec
	s_trap 2
                                        ; implicit-def: $vgpr0_vgpr1
	s_cbranch_execz .LBB161_1711
	s_branch .LBB161_1712
.LBB161_1771:
	s_mov_b64 s[14:15], -1
	s_mov_b64 s[12:13], 0
	s_mov_b64 s[8:9], 0
                                        ; implicit-def: $vgpr2_vgpr3
	s_branch .LBB161_1775
.LBB161_1772:
	s_or_saveexec_b64 s[14:15], s[14:15]
                                        ; implicit-def: $sgpr16
	s_xor_b64 exec, exec, s[14:15]
	s_cbranch_execz .LBB161_1513
.LBB161_1773:
	s_mov_b32 s16, 0x42800000
	v_add_f32_e64 v3, |v2|, s16
	v_and_b32_e32 v3, 0xff, v3
	v_cmp_ne_u32_e32 vcc, 0, v3
	s_andn2_b64 s[12:13], s[12:13], exec
	s_and_b64 s[18:19], vcc, exec
	s_mov_b32 s16, 0
	s_or_b64 s[12:13], s[12:13], s[18:19]
	s_or_b64 exec, exec, s[14:15]
	v_mov_b32_e32 v4, s16
	s_and_saveexec_b64 s[14:15], s[12:13]
	s_cbranch_execnz .LBB161_1514
	s_branch .LBB161_1515
.LBB161_1774:
	s_mov_b64 s[8:9], -1
                                        ; implicit-def: $vgpr2_vgpr3
	s_mov_b64 s[12:13], 0
.LBB161_1775:
	s_and_b64 vcc, exec, s[14:15]
	s_cbranch_vccz .LBB161_1779
; %bb.1776:
	v_cmp_eq_u16_e64 s[8:9], s22, 44
	s_and_b64 vcc, exec, s[8:9]
	s_cbranch_vccz .LBB161_1778
; %bb.1777:
	global_load_ubyte v5, v[16:17], off
	s_movk_i32 s12, 0xff
	v_bfrev_b32_e32 v7, 4
	v_mov_b32_e32 v9, 0x7ff80000
	v_bfrev_b32_e32 v11, 28
	s_mov_b64 s[8:9], 0
	s_waitcnt vmcnt(0)
	v_lshlrev_b32_e32 v2, 23, v5
	v_cvt_f64_f32_e32 v[2:3], v2
	v_cmp_ne_u32_e32 vcc, s12, v5
	v_cndmask_b32_e32 v2, v7, v2, vcc
	v_cndmask_b32_e32 v3, v9, v3, vcc
	v_cmp_ne_u32_e32 vcc, 0, v5
	v_cndmask_b32_e32 v3, v11, v3, vcc
	v_cndmask_b32_e32 v2, 0, v2, vcc
	s_mov_b64 s[12:13], -1
	s_branch .LBB161_1779
.LBB161_1778:
	s_mov_b64 s[8:9], -1
                                        ; implicit-def: $vgpr2_vgpr3
.LBB161_1779:
	s_mov_b64 s[14:15], 0
.LBB161_1780:
	s_and_b64 vcc, exec, s[14:15]
	s_cbranch_vccz .LBB161_1784
; %bb.1781:
	v_cmp_eq_u16_e64 s[8:9], s22, 29
	s_and_b64 vcc, exec, s[8:9]
	s_cbranch_vccz .LBB161_1783
; %bb.1782:
	global_load_dwordx2 v[2:3], v[16:17], off
	s_mov_b64 s[8:9], 0
	s_mov_b64 s[12:13], -1
	s_mov_b64 s[14:15], 0
	s_waitcnt vmcnt(0)
	v_cvt_f64_u32_e32 v[18:19], v3
	v_cvt_f64_u32_e32 v[2:3], v2
	v_ldexp_f64 v[18:19], v[18:19], 32
	v_add_f64 v[2:3], v[18:19], v[2:3]
	s_branch .LBB161_1785
.LBB161_1783:
	s_mov_b64 s[8:9], -1
                                        ; implicit-def: $vgpr2_vgpr3
.LBB161_1784:
	s_mov_b64 s[14:15], 0
.LBB161_1785:
	s_and_b64 vcc, exec, s[14:15]
	s_cbranch_vccz .LBB161_1803
; %bb.1786:
	v_cmp_lt_i16_e64 s[12:13], s22, 27
	s_and_b64 vcc, exec, s[12:13]
	s_cbranch_vccnz .LBB161_1789
; %bb.1787:
	v_cmp_gt_i16_e64 s[12:13], s22, 27
	s_and_b64 vcc, exec, s[12:13]
	s_cbranch_vccz .LBB161_1790
; %bb.1788:
	global_load_dword v2, v[16:17], off
	s_mov_b64 s[12:13], 0
	s_waitcnt vmcnt(0)
	v_cvt_f64_u32_e32 v[2:3], v2
	s_branch .LBB161_1791
.LBB161_1789:
	s_mov_b64 s[12:13], -1
                                        ; implicit-def: $vgpr2_vgpr3
	s_branch .LBB161_1794
.LBB161_1790:
	s_mov_b64 s[12:13], -1
                                        ; implicit-def: $vgpr2_vgpr3
.LBB161_1791:
	s_andn2_b64 vcc, exec, s[12:13]
	s_cbranch_vccnz .LBB161_1793
; %bb.1792:
	global_load_ushort v2, v[16:17], off
	s_waitcnt vmcnt(0)
	v_cvt_f64_u32_e32 v[2:3], v2
.LBB161_1793:
	s_mov_b64 s[12:13], 0
.LBB161_1794:
	s_andn2_b64 vcc, exec, s[12:13]
	s_cbranch_vccnz .LBB161_1802
; %bb.1795:
	global_load_ubyte v5, v[16:17], off
	s_movk_i32 s12, 0x7f
                                        ; implicit-def: $sgpr14_sgpr15
	s_waitcnt vmcnt(0)
	v_cmp_lt_i16_e32 vcc, s12, v5
	s_mov_b64 s[12:13], 0
	s_and_saveexec_b64 s[16:17], vcc
	s_xor_b64 s[16:17], exec, s[16:17]
	s_cbranch_execz .LBB161_1815
; %bb.1796:
	s_movk_i32 s12, 0x80
	v_cmp_eq_u16_e32 vcc, s12, v5
	s_mov_b64 s[18:19], -1
                                        ; implicit-def: $sgpr14_sgpr15
	s_and_saveexec_b64 s[12:13], vcc
; %bb.1797:
	s_mov_b32 s15, 0x7ff80000
	s_brev_b32 s14, 4
	s_xor_b64 s[18:19], exec, -1
; %bb.1798:
	s_or_b64 exec, exec, s[12:13]
	s_and_b64 s[12:13], s[18:19], exec
	s_or_saveexec_b64 s[16:17], s[16:17]
	v_pk_mov_b32 v[2:3], s[14:15], s[14:15] op_sel:[0,1]
	s_xor_b64 exec, exec, s[16:17]
	s_cbranch_execnz .LBB161_1816
.LBB161_1799:
	s_or_b64 exec, exec, s[16:17]
	s_and_saveexec_b64 s[14:15], s[12:13]
	s_cbranch_execz .LBB161_1801
.LBB161_1800:
	v_and_b32_e32 v3, 0xffff, v5
	v_lshlrev_b32_e32 v2, 24, v5
	v_and_b32_e32 v5, 7, v3
	v_ffbh_u32_e32 v9, v5
	v_min_u32_e32 v9, 32, v9
	v_subrev_u32_e32 v11, 28, v9
	v_bfe_u32 v7, v3, 3, 4
	v_lshlrev_b32_e32 v3, v11, v3
	v_sub_u32_e32 v9, 29, v9
	v_and_b32_e32 v3, 7, v3
	v_cmp_eq_u32_e32 vcc, 0, v7
	v_cndmask_b32_e32 v7, v7, v9, vcc
	v_cndmask_b32_e32 v3, v5, v3, vcc
	v_mov_b32_e32 v5, 0x3b800000
	v_lshlrev_b32_e32 v3, 20, v3
	v_and_b32_e32 v2, 0x80000000, v2
	v_lshl_add_u32 v5, v7, 23, v5
	v_or3_b32 v2, v2, v5, v3
	v_cvt_f64_f32_e32 v[2:3], v2
.LBB161_1801:
	s_or_b64 exec, exec, s[14:15]
.LBB161_1802:
	s_mov_b64 s[12:13], -1
.LBB161_1803:
	s_branch .LBB161_1836
.LBB161_1804:
	v_cmp_gt_i16_e64 s[10:11], s22, 22
	s_and_b64 vcc, exec, s[10:11]
	s_cbranch_vccz .LBB161_1814
; %bb.1805:
	v_cmp_lt_i16_e64 s[10:11], s22, 24
	s_and_b64 vcc, exec, s[10:11]
	s_cbranch_vccnz .LBB161_1817
; %bb.1806:
	v_cmp_gt_i16_e64 s[10:11], s22, 24
	s_and_b64 vcc, exec, s[10:11]
	s_cbranch_vccz .LBB161_1818
; %bb.1807:
	global_load_ubyte v5, v[16:17], off
	s_movk_i32 s10, 0x7f
                                        ; implicit-def: $sgpr12_sgpr13
	s_waitcnt vmcnt(0)
	v_cmp_lt_i16_e32 vcc, s10, v5
	s_mov_b64 s[10:11], 0
	s_and_saveexec_b64 s[14:15], vcc
	s_xor_b64 s[14:15], exec, s[14:15]
	s_cbranch_execz .LBB161_1830
; %bb.1808:
	s_movk_i32 s10, 0x80
	v_cmp_eq_u16_e32 vcc, s10, v5
	s_mov_b64 s[16:17], -1
                                        ; implicit-def: $sgpr12_sgpr13
	s_and_saveexec_b64 s[10:11], vcc
; %bb.1809:
	s_mov_b32 s13, 0x7ff80000
	s_brev_b32 s12, 4
	s_xor_b64 s[16:17], exec, -1
; %bb.1810:
	s_or_b64 exec, exec, s[10:11]
	s_and_b64 s[10:11], s[16:17], exec
	s_or_saveexec_b64 s[14:15], s[14:15]
	v_pk_mov_b32 v[2:3], s[12:13], s[12:13] op_sel:[0,1]
	s_xor_b64 exec, exec, s[14:15]
	s_cbranch_execnz .LBB161_1831
.LBB161_1811:
	s_or_b64 exec, exec, s[14:15]
	s_and_saveexec_b64 s[12:13], s[10:11]
	s_cbranch_execz .LBB161_1813
.LBB161_1812:
	v_and_b32_e32 v3, 0xffff, v5
	v_lshlrev_b32_e32 v2, 24, v5
	v_and_b32_e32 v5, 3, v3
	v_ffbh_u32_e32 v9, v5
	v_min_u32_e32 v9, 32, v9
	v_subrev_u32_e32 v11, 29, v9
	v_bfe_u32 v7, v3, 2, 5
	v_lshlrev_b32_e32 v3, v11, v3
	v_sub_u32_e32 v9, 30, v9
	v_and_b32_e32 v3, 3, v3
	v_cmp_eq_u32_e32 vcc, 0, v7
	v_cndmask_b32_e32 v7, v7, v9, vcc
	v_cndmask_b32_e32 v3, v5, v3, vcc
	v_mov_b32_e32 v5, 0x37800000
	v_lshlrev_b32_e32 v3, 21, v3
	v_and_b32_e32 v2, 0x80000000, v2
	v_lshl_add_u32 v5, v7, 23, v5
	v_or3_b32 v2, v2, v5, v3
	v_cvt_f64_f32_e32 v[2:3], v2
.LBB161_1813:
	s_or_b64 exec, exec, s[12:13]
	s_mov_b64 s[10:11], 0
	s_branch .LBB161_1819
.LBB161_1814:
	s_mov_b64 s[10:11], -1
                                        ; implicit-def: $vgpr2_vgpr3
	s_branch .LBB161_1825
.LBB161_1815:
	s_or_saveexec_b64 s[16:17], s[16:17]
	v_pk_mov_b32 v[2:3], s[14:15], s[14:15] op_sel:[0,1]
	s_xor_b64 exec, exec, s[16:17]
	s_cbranch_execz .LBB161_1799
.LBB161_1816:
	v_cmp_ne_u16_e32 vcc, 0, v5
	s_andn2_b64 s[12:13], s[12:13], exec
	s_and_b64 s[14:15], vcc, exec
	v_pk_mov_b32 v[2:3], 0, 0
	s_or_b64 s[12:13], s[12:13], s[14:15]
	s_or_b64 exec, exec, s[16:17]
	s_and_saveexec_b64 s[14:15], s[12:13]
	s_cbranch_execnz .LBB161_1800
	s_branch .LBB161_1801
.LBB161_1817:
	s_mov_b64 s[10:11], -1
                                        ; implicit-def: $vgpr2_vgpr3
	s_branch .LBB161_1822
.LBB161_1818:
	s_mov_b64 s[10:11], -1
                                        ; implicit-def: $vgpr2_vgpr3
.LBB161_1819:
	s_and_b64 vcc, exec, s[10:11]
	s_cbranch_vccz .LBB161_1821
; %bb.1820:
	global_load_ubyte v2, v[16:17], off
	s_mov_b32 s10, 0x7f800000
	s_waitcnt vmcnt(0)
	v_lshlrev_b32_e32 v2, 24, v2
	v_and_b32_e32 v3, 0x7f000000, v2
	v_ffbh_u32_e32 v5, v3
	v_min_u32_e32 v5, 32, v5
	v_sub_u32_e64 v5, v5, 4 clamp
	v_lshlrev_b32_e32 v9, v5, v3
	v_lshlrev_b32_e32 v5, 23, v5
	v_lshrrev_b32_e32 v9, 4, v9
	v_add_u32_e32 v7, 0x1000000, v3
	v_sub_u32_e32 v5, v9, v5
	v_ashrrev_i32_e32 v7, 8, v7
	v_add_u32_e32 v5, 0x3c000000, v5
	v_and_or_b32 v5, v7, s10, v5
	v_cmp_ne_u32_e32 vcc, 0, v3
	v_cndmask_b32_e32 v3, 0, v5, vcc
	s_brev_b32 s10, 1
	v_and_or_b32 v2, v2, s10, v3
	v_cvt_f64_f32_e32 v[2:3], v2
.LBB161_1821:
	s_mov_b64 s[10:11], 0
.LBB161_1822:
	s_andn2_b64 vcc, exec, s[10:11]
	s_cbranch_vccnz .LBB161_1824
; %bb.1823:
	global_load_ubyte v2, v[16:17], off
	s_movk_i32 s10, 0x7f00
	s_brev_b32 s11, 16
	s_waitcnt vmcnt(0)
	v_lshlrev_b16_e32 v3, 8, v2
	v_lshlrev_b32_e32 v2, 25, v2
	v_lshrrev_b32_e32 v5, 4, v2
	v_and_or_b32 v7, v3, s10, 0.5
	v_or_b32_e32 v5, 0x70000000, v5
	v_add_f32_e32 v7, -0.5, v7
	v_mul_f32_e32 v5, 0x7800000, v5
	v_cmp_gt_u32_e32 vcc, s11, v2
	v_bfe_i32 v3, v3, 0, 16
	v_cndmask_b32_e32 v2, v5, v7, vcc
	s_brev_b32 s10, 1
	v_and_or_b32 v2, v3, s10, v2
	v_cvt_f64_f32_e32 v[2:3], v2
.LBB161_1824:
	s_mov_b64 s[10:11], 0
	s_mov_b64 s[12:13], -1
.LBB161_1825:
	s_andn2_b64 vcc, exec, s[10:11]
	s_mov_b64 s[10:11], 0
	s_cbranch_vccnz .LBB161_1836
; %bb.1826:
	v_cmp_gt_i16_e64 s[10:11], s22, 14
	s_and_b64 vcc, exec, s[10:11]
	s_cbranch_vccz .LBB161_1829
; %bb.1827:
	v_cmp_eq_u16_e64 s[8:9], s22, 15
	s_and_b64 vcc, exec, s[8:9]
	s_cbranch_vccz .LBB161_1832
; %bb.1828:
	global_load_ushort v2, v[16:17], off
	s_mov_b64 s[8:9], 0
	s_mov_b64 s[12:13], -1
	s_waitcnt vmcnt(0)
	v_lshlrev_b32_e32 v2, 16, v2
	v_cvt_f64_f32_e32 v[2:3], v2
	s_branch .LBB161_1833
.LBB161_1829:
	s_mov_b64 s[14:15], -1
                                        ; implicit-def: $vgpr2_vgpr3
	s_branch .LBB161_1834
.LBB161_1830:
	s_or_saveexec_b64 s[14:15], s[14:15]
	v_pk_mov_b32 v[2:3], s[12:13], s[12:13] op_sel:[0,1]
	s_xor_b64 exec, exec, s[14:15]
	s_cbranch_execz .LBB161_1811
.LBB161_1831:
	v_cmp_ne_u16_e32 vcc, 0, v5
	s_andn2_b64 s[10:11], s[10:11], exec
	s_and_b64 s[12:13], vcc, exec
	v_pk_mov_b32 v[2:3], 0, 0
	s_or_b64 s[10:11], s[10:11], s[12:13]
	s_or_b64 exec, exec, s[14:15]
	s_and_saveexec_b64 s[12:13], s[10:11]
	s_cbranch_execnz .LBB161_1812
	s_branch .LBB161_1813
.LBB161_1832:
	s_mov_b64 s[8:9], -1
                                        ; implicit-def: $vgpr2_vgpr3
.LBB161_1833:
	s_mov_b64 s[14:15], 0
.LBB161_1834:
	s_mov_b64 s[10:11], 0
	s_and_b64 vcc, exec, s[14:15]
	s_cbranch_vccz .LBB161_1836
; %bb.1835:
	v_cmp_ne_u16_e64 s[8:9], s22, 11
	s_mov_b64 s[10:11], -1
                                        ; implicit-def: $vgpr2_vgpr3
.LBB161_1836:
	s_and_b64 vcc, exec, s[8:9]
	s_cbranch_vccnz .LBB161_1899
; %bb.1837:
	s_andn2_b64 vcc, exec, s[10:11]
	s_cbranch_vccnz .LBB161_1839
.LBB161_1838:
	global_load_ubyte v3, v[16:17], off
	v_mov_b32_e32 v5, 0x3ff00000
	v_mov_b32_e32 v2, 0
	s_mov_b64 s[12:13], -1
	s_waitcnt vmcnt(0)
	v_cmp_ne_u16_e32 vcc, 0, v3
	v_cndmask_b32_e32 v3, 0, v5, vcc
.LBB161_1839:
	s_branch .LBB161_1766
.LBB161_1840:
	v_cmp_lt_i16_e64 s[8:9], s22, 5
	s_and_b64 vcc, exec, s[8:9]
	s_cbranch_vccnz .LBB161_1845
; %bb.1841:
	v_cmp_lt_i16_e64 s[8:9], s22, 8
	s_and_b64 vcc, exec, s[8:9]
	s_cbranch_vccnz .LBB161_1846
; %bb.1842:
	;; [unrolled: 4-line block ×3, first 2 shown]
	v_cmp_gt_i16_e64 s[8:9], s22, 9
	s_and_b64 vcc, exec, s[8:9]
	s_cbranch_vccz .LBB161_1848
; %bb.1844:
	global_load_dwordx2 v[2:3], v[16:17], off
	s_mov_b64 s[8:9], 0
	s_branch .LBB161_1849
.LBB161_1845:
                                        ; implicit-def: $vgpr2_vgpr3
	s_branch .LBB161_1867
.LBB161_1846:
	s_mov_b64 s[8:9], -1
                                        ; implicit-def: $vgpr2_vgpr3
	s_branch .LBB161_1855
.LBB161_1847:
	s_mov_b64 s[8:9], -1
                                        ; implicit-def: $vgpr2_vgpr3
	s_branch .LBB161_1852
.LBB161_1848:
	s_mov_b64 s[8:9], -1
                                        ; implicit-def: $vgpr2_vgpr3
.LBB161_1849:
	s_andn2_b64 vcc, exec, s[8:9]
	s_cbranch_vccnz .LBB161_1851
; %bb.1850:
	global_load_dword v2, v[16:17], off
	s_waitcnt vmcnt(0)
	v_cvt_f64_f32_e32 v[2:3], v2
.LBB161_1851:
	s_mov_b64 s[8:9], 0
.LBB161_1852:
	s_andn2_b64 vcc, exec, s[8:9]
	s_cbranch_vccnz .LBB161_1854
; %bb.1853:
	global_load_dword v2, v[16:17], off
	s_waitcnt vmcnt(0)
	v_cvt_f32_f16_e32 v2, v2
	v_cvt_f64_f32_e32 v[2:3], v2
.LBB161_1854:
	s_mov_b64 s[8:9], 0
.LBB161_1855:
	s_andn2_b64 vcc, exec, s[8:9]
	s_cbranch_vccnz .LBB161_1866
; %bb.1856:
	v_cmp_lt_i16_e64 s[8:9], s22, 6
	s_and_b64 vcc, exec, s[8:9]
	s_cbranch_vccnz .LBB161_1859
; %bb.1857:
	v_cmp_gt_i16_e64 s[8:9], s22, 6
	s_and_b64 vcc, exec, s[8:9]
	s_cbranch_vccz .LBB161_1860
; %bb.1858:
	global_load_dwordx2 v[2:3], v[16:17], off
	s_mov_b64 s[8:9], 0
	s_branch .LBB161_1861
.LBB161_1859:
	s_mov_b64 s[8:9], -1
                                        ; implicit-def: $vgpr2_vgpr3
	s_branch .LBB161_1864
.LBB161_1860:
	s_mov_b64 s[8:9], -1
                                        ; implicit-def: $vgpr2_vgpr3
.LBB161_1861:
	s_andn2_b64 vcc, exec, s[8:9]
	s_cbranch_vccnz .LBB161_1863
; %bb.1862:
	global_load_dword v2, v[16:17], off
	s_waitcnt vmcnt(0)
	v_cvt_f64_f32_e32 v[2:3], v2
.LBB161_1863:
	s_mov_b64 s[8:9], 0
.LBB161_1864:
	s_andn2_b64 vcc, exec, s[8:9]
	s_cbranch_vccnz .LBB161_1866
; %bb.1865:
	global_load_ushort v2, v[16:17], off
	s_waitcnt vmcnt(0)
	v_cvt_f32_f16_e32 v2, v2
	v_cvt_f64_f32_e32 v[2:3], v2
.LBB161_1866:
	s_cbranch_execnz .LBB161_1886
.LBB161_1867:
	v_cmp_lt_i16_e64 s[8:9], s22, 2
	s_and_b64 vcc, exec, s[8:9]
	s_cbranch_vccnz .LBB161_1871
; %bb.1868:
	v_cmp_lt_i16_e64 s[8:9], s22, 3
	s_and_b64 vcc, exec, s[8:9]
	s_cbranch_vccnz .LBB161_1872
; %bb.1869:
	v_cmp_gt_i16_e64 s[8:9], s22, 3
	s_and_b64 vcc, exec, s[8:9]
	s_cbranch_vccz .LBB161_1873
; %bb.1870:
	global_load_dwordx2 v[2:3], v[16:17], off
	s_mov_b64 s[8:9], 0
	s_waitcnt vmcnt(0)
	v_cvt_f64_i32_e32 v[18:19], v3
	v_cvt_f64_u32_e32 v[2:3], v2
	v_ldexp_f64 v[18:19], v[18:19], 32
	v_add_f64 v[2:3], v[18:19], v[2:3]
	s_branch .LBB161_1874
.LBB161_1871:
	s_mov_b64 s[8:9], -1
                                        ; implicit-def: $vgpr2_vgpr3
	s_branch .LBB161_1880
.LBB161_1872:
	s_mov_b64 s[8:9], -1
                                        ; implicit-def: $vgpr2_vgpr3
	s_branch .LBB161_1877
.LBB161_1873:
	s_mov_b64 s[8:9], -1
                                        ; implicit-def: $vgpr2_vgpr3
.LBB161_1874:
	s_andn2_b64 vcc, exec, s[8:9]
	s_cbranch_vccnz .LBB161_1876
; %bb.1875:
	global_load_dword v2, v[16:17], off
	s_waitcnt vmcnt(0)
	v_cvt_f64_i32_e32 v[2:3], v2
.LBB161_1876:
	s_mov_b64 s[8:9], 0
.LBB161_1877:
	s_andn2_b64 vcc, exec, s[8:9]
	s_cbranch_vccnz .LBB161_1879
; %bb.1878:
	global_load_sshort v2, v[16:17], off
	s_waitcnt vmcnt(0)
	v_cvt_f64_i32_e32 v[2:3], v2
.LBB161_1879:
	s_mov_b64 s[8:9], 0
.LBB161_1880:
	s_andn2_b64 vcc, exec, s[8:9]
	s_cbranch_vccnz .LBB161_1886
; %bb.1881:
	v_cmp_gt_i16_e64 s[8:9], s22, 0
	s_and_b64 vcc, exec, s[8:9]
	s_cbranch_vccz .LBB161_1883
; %bb.1882:
	global_load_sbyte v2, v[16:17], off
	s_mov_b64 s[8:9], 0
	s_waitcnt vmcnt(0)
	v_cvt_f64_i32_e32 v[2:3], v2
	s_branch .LBB161_1884
.LBB161_1883:
	s_mov_b64 s[8:9], -1
                                        ; implicit-def: $vgpr2_vgpr3
.LBB161_1884:
	s_andn2_b64 vcc, exec, s[8:9]
	s_cbranch_vccnz .LBB161_1886
; %bb.1885:
	global_load_ubyte v2, v[16:17], off
	s_waitcnt vmcnt(0)
	v_cvt_f64_u32_e32 v[2:3], v2
.LBB161_1886:
.LBB161_1887:
	v_mov_b32_e32 v5, s79
	v_add_co_u32_e32 v14, vcc, s78, v14
	v_addc_co_u32_e32 v15, vcc, 0, v5, vcc
	v_mov_b32_e32 v5, 11
	v_cmp_lt_i16_sdwa s[8:9], s21, v5 src0_sel:BYTE_0 src1_sel:DWORD
	s_and_b64 vcc, exec, s[8:9]
	s_cbranch_vccnz .LBB161_1894
; %bb.1888:
	v_mov_b32_e32 v5, 25
	v_cmp_gt_i16_sdwa s[8:9], s21, v5 src0_sel:BYTE_0 src1_sel:DWORD
	s_mov_b64 s[10:11], 0
	s_and_b64 vcc, exec, s[8:9]
	s_cbranch_vccz .LBB161_1896
; %bb.1889:
	v_mov_b32_e32 v5, 28
	v_cmp_gt_i16_sdwa s[8:9], s21, v5 src0_sel:BYTE_0 src1_sel:DWORD
	s_and_b64 vcc, exec, s[8:9]
	s_cbranch_vccz .LBB161_1897
; %bb.1890:
	v_mov_b32_e32 v5, 43
	v_cmp_gt_i16_sdwa s[8:9], s21, v5 src0_sel:BYTE_0 src1_sel:DWORD
	s_and_b64 vcc, exec, s[8:9]
	s_cbranch_vccz .LBB161_1898
; %bb.1891:
	v_mov_b32_e32 v5, 45
	v_cmp_gt_i16_sdwa s[8:9], s21, v5 src0_sel:BYTE_0 src1_sel:DWORD
	s_and_b64 vcc, exec, s[8:9]
	s_cbranch_vccz .LBB161_1900
; %bb.1892:
	v_mov_b32_e32 v5, 46
	v_cmp_eq_u16_sdwa s[8:9], s21, v5 src0_sel:BYTE_0 src1_sel:DWORD
	s_mov_b64 s[14:15], 0
	s_and_b64 vcc, exec, s[8:9]
	s_cbranch_vccz .LBB161_1901
; %bb.1893:
	global_load_dword v5, v[14:15], off
	s_mov_b64 s[8:9], 0
	s_mov_b64 s[12:13], -1
	s_waitcnt vmcnt(0)
	v_lshlrev_b32_e32 v5, 16, v5
	v_cvt_f64_f32_e32 v[42:43], v5
	s_branch .LBB161_1902
.LBB161_1894:
	s_mov_b64 s[12:13], 0
                                        ; implicit-def: $vgpr42_vgpr43
	s_cbranch_execnz .LBB161_1968
.LBB161_1895:
	s_andn2_b64 vcc, exec, s[12:13]
	s_cbranch_vccnz .LBB161_3121
	s_branch .LBB161_2016
.LBB161_1896:
	s_mov_b64 s[14:15], -1
	s_mov_b64 s[12:13], 0
	s_mov_b64 s[8:9], 0
                                        ; implicit-def: $vgpr42_vgpr43
	s_branch .LBB161_1931
.LBB161_1897:
	s_mov_b64 s[14:15], -1
	s_mov_b64 s[12:13], 0
	s_mov_b64 s[8:9], 0
                                        ; implicit-def: $vgpr42_vgpr43
	s_branch .LBB161_1912
.LBB161_1898:
	s_mov_b64 s[14:15], -1
	s_mov_b64 s[12:13], 0
	s_mov_b64 s[8:9], 0
                                        ; implicit-def: $vgpr42_vgpr43
	s_branch .LBB161_1907
.LBB161_1899:
	s_trap 2
	s_or_b64 s[84:85], s[84:85], exec
                                        ; implicit-def: $vgpr2_vgpr3
	s_cbranch_execz .LBB161_1838
	s_branch .LBB161_1839
.LBB161_1900:
	s_mov_b64 s[14:15], -1
	s_mov_b64 s[12:13], 0
	s_mov_b64 s[8:9], 0
                                        ; implicit-def: $vgpr42_vgpr43
	s_branch .LBB161_1902
.LBB161_1901:
	s_mov_b64 s[8:9], -1
                                        ; implicit-def: $vgpr42_vgpr43
	s_mov_b64 s[12:13], 0
.LBB161_1902:
	s_and_b64 vcc, exec, s[14:15]
	s_cbranch_vccz .LBB161_1906
; %bb.1903:
	v_mov_b32_e32 v5, 44
	v_cmp_eq_u16_sdwa s[8:9], s21, v5 src0_sel:BYTE_0 src1_sel:DWORD
	s_and_b64 vcc, exec, s[8:9]
	s_cbranch_vccz .LBB161_1905
; %bb.1904:
	global_load_ubyte v5, v[14:15], off
	s_movk_i32 s12, 0xff
	v_bfrev_b32_e32 v7, 4
	v_mov_b32_e32 v9, 0x7ff80000
	v_bfrev_b32_e32 v11, 28
	s_mov_b64 s[8:9], 0
	s_waitcnt vmcnt(0)
	v_lshlrev_b32_e32 v13, 23, v5
	v_cvt_f64_f32_e32 v[16:17], v13
	v_cmp_ne_u32_e32 vcc, s12, v5
	v_cndmask_b32_e32 v7, v7, v16, vcc
	v_cndmask_b32_e32 v9, v9, v17, vcc
	v_cmp_ne_u32_e32 vcc, 0, v5
	v_cndmask_b32_e32 v43, v11, v9, vcc
	v_cndmask_b32_e32 v42, 0, v7, vcc
	s_mov_b64 s[12:13], -1
	s_branch .LBB161_1906
.LBB161_1905:
	s_mov_b64 s[8:9], -1
                                        ; implicit-def: $vgpr42_vgpr43
.LBB161_1906:
	s_mov_b64 s[14:15], 0
.LBB161_1907:
	s_and_b64 vcc, exec, s[14:15]
	s_cbranch_vccz .LBB161_1911
; %bb.1908:
	v_mov_b32_e32 v5, 29
	v_cmp_eq_u16_sdwa s[8:9], s21, v5 src0_sel:BYTE_0 src1_sel:DWORD
	s_and_b64 vcc, exec, s[8:9]
	s_cbranch_vccz .LBB161_1910
; %bb.1909:
	global_load_dwordx2 v[16:17], v[14:15], off
	s_mov_b64 s[8:9], 0
	s_mov_b64 s[12:13], -1
	s_mov_b64 s[14:15], 0
	s_waitcnt vmcnt(0)
	v_cvt_f64_u32_e32 v[18:19], v17
	v_cvt_f64_u32_e32 v[16:17], v16
	v_ldexp_f64 v[18:19], v[18:19], 32
	v_add_f64 v[42:43], v[18:19], v[16:17]
	s_branch .LBB161_1912
.LBB161_1910:
	s_mov_b64 s[8:9], -1
                                        ; implicit-def: $vgpr42_vgpr43
.LBB161_1911:
	s_mov_b64 s[14:15], 0
.LBB161_1912:
	s_and_b64 vcc, exec, s[14:15]
	s_cbranch_vccz .LBB161_1930
; %bb.1913:
	v_mov_b32_e32 v5, 27
	v_cmp_lt_i16_sdwa s[12:13], s21, v5 src0_sel:BYTE_0 src1_sel:DWORD
	s_and_b64 vcc, exec, s[12:13]
	s_cbranch_vccnz .LBB161_1916
; %bb.1914:
	v_cmp_gt_i16_sdwa s[12:13], s21, v5 src0_sel:BYTE_0 src1_sel:DWORD
	s_and_b64 vcc, exec, s[12:13]
	s_cbranch_vccz .LBB161_1917
; %bb.1915:
	global_load_dword v5, v[14:15], off
	s_mov_b64 s[12:13], 0
	s_waitcnt vmcnt(0)
	v_cvt_f64_u32_e32 v[42:43], v5
	s_branch .LBB161_1918
.LBB161_1916:
	s_mov_b64 s[12:13], -1
                                        ; implicit-def: $vgpr42_vgpr43
	s_branch .LBB161_1921
.LBB161_1917:
	s_mov_b64 s[12:13], -1
                                        ; implicit-def: $vgpr42_vgpr43
.LBB161_1918:
	s_andn2_b64 vcc, exec, s[12:13]
	s_cbranch_vccnz .LBB161_1920
; %bb.1919:
	global_load_ushort v5, v[14:15], off
	s_waitcnt vmcnt(0)
	v_cvt_f64_u32_e32 v[42:43], v5
.LBB161_1920:
	s_mov_b64 s[12:13], 0
.LBB161_1921:
	s_andn2_b64 vcc, exec, s[12:13]
	s_cbranch_vccnz .LBB161_1929
; %bb.1922:
	global_load_ubyte v5, v[14:15], off
	s_movk_i32 s12, 0x7f
                                        ; implicit-def: $sgpr14_sgpr15
	s_waitcnt vmcnt(0)
	v_cmp_lt_i16_e32 vcc, s12, v5
	s_mov_b64 s[12:13], 0
	s_and_saveexec_b64 s[16:17], vcc
	s_xor_b64 s[16:17], exec, s[16:17]
	s_cbranch_execz .LBB161_1943
; %bb.1923:
	s_movk_i32 s12, 0x80
	v_cmp_eq_u16_e32 vcc, s12, v5
	s_mov_b64 s[18:19], -1
                                        ; implicit-def: $sgpr14_sgpr15
	s_and_saveexec_b64 s[12:13], vcc
; %bb.1924:
	s_mov_b32 s15, 0x7ff80000
	s_brev_b32 s14, 4
	s_xor_b64 s[18:19], exec, -1
; %bb.1925:
	s_or_b64 exec, exec, s[12:13]
	s_and_b64 s[12:13], s[18:19], exec
	s_or_saveexec_b64 s[16:17], s[16:17]
	v_pk_mov_b32 v[42:43], s[14:15], s[14:15] op_sel:[0,1]
	s_xor_b64 exec, exec, s[16:17]
	s_cbranch_execnz .LBB161_1944
.LBB161_1926:
	s_or_b64 exec, exec, s[16:17]
	s_and_saveexec_b64 s[14:15], s[12:13]
	s_cbranch_execz .LBB161_1928
.LBB161_1927:
	v_lshlrev_b32_e32 v7, 24, v5
	v_and_b32_e32 v5, 0xffff, v5
	v_and_b32_e32 v9, 7, v5
	v_ffbh_u32_e32 v13, v9
	v_min_u32_e32 v13, 32, v13
	v_subrev_u32_e32 v16, 28, v13
	v_bfe_u32 v11, v5, 3, 4
	v_lshlrev_b32_e32 v5, v16, v5
	v_sub_u32_e32 v13, 29, v13
	v_and_b32_e32 v5, 7, v5
	v_cmp_eq_u32_e32 vcc, 0, v11
	v_cndmask_b32_e32 v11, v11, v13, vcc
	v_cndmask_b32_e32 v5, v9, v5, vcc
	v_mov_b32_e32 v9, 0x3b800000
	v_lshlrev_b32_e32 v5, 20, v5
	v_and_b32_e32 v7, 0x80000000, v7
	v_lshl_add_u32 v9, v11, 23, v9
	v_or3_b32 v5, v7, v9, v5
	v_cvt_f64_f32_e32 v[42:43], v5
.LBB161_1928:
	s_or_b64 exec, exec, s[14:15]
.LBB161_1929:
	s_mov_b64 s[12:13], -1
.LBB161_1930:
	s_mov_b64 s[14:15], 0
.LBB161_1931:
	s_and_b64 vcc, exec, s[14:15]
	s_cbranch_vccz .LBB161_1964
; %bb.1932:
	v_mov_b32_e32 v5, 22
	v_cmp_gt_i16_sdwa s[10:11], s21, v5 src0_sel:BYTE_0 src1_sel:DWORD
	s_and_b64 vcc, exec, s[10:11]
	s_cbranch_vccz .LBB161_1942
; %bb.1933:
	v_mov_b32_e32 v5, 24
	v_cmp_lt_i16_sdwa s[10:11], s21, v5 src0_sel:BYTE_0 src1_sel:DWORD
	s_and_b64 vcc, exec, s[10:11]
	s_cbranch_vccnz .LBB161_1945
; %bb.1934:
	v_cmp_gt_i16_sdwa s[10:11], s21, v5 src0_sel:BYTE_0 src1_sel:DWORD
	s_and_b64 vcc, exec, s[10:11]
	s_cbranch_vccz .LBB161_1946
; %bb.1935:
	global_load_ubyte v5, v[14:15], off
	s_movk_i32 s10, 0x7f
                                        ; implicit-def: $sgpr12_sgpr13
	s_waitcnt vmcnt(0)
	v_cmp_lt_i16_e32 vcc, s10, v5
	s_mov_b64 s[10:11], 0
	s_and_saveexec_b64 s[14:15], vcc
	s_xor_b64 s[14:15], exec, s[14:15]
	s_cbranch_execz .LBB161_1958
; %bb.1936:
	s_movk_i32 s10, 0x80
	v_cmp_eq_u16_e32 vcc, s10, v5
	s_mov_b64 s[16:17], -1
                                        ; implicit-def: $sgpr12_sgpr13
	s_and_saveexec_b64 s[10:11], vcc
; %bb.1937:
	s_mov_b32 s13, 0x7ff80000
	s_brev_b32 s12, 4
	s_xor_b64 s[16:17], exec, -1
; %bb.1938:
	s_or_b64 exec, exec, s[10:11]
	s_and_b64 s[10:11], s[16:17], exec
	s_or_saveexec_b64 s[14:15], s[14:15]
	v_pk_mov_b32 v[42:43], s[12:13], s[12:13] op_sel:[0,1]
	s_xor_b64 exec, exec, s[14:15]
	s_cbranch_execnz .LBB161_1959
.LBB161_1939:
	s_or_b64 exec, exec, s[14:15]
	s_and_saveexec_b64 s[12:13], s[10:11]
	s_cbranch_execz .LBB161_1941
.LBB161_1940:
	v_lshlrev_b32_e32 v7, 24, v5
	v_and_b32_e32 v5, 0xffff, v5
	v_and_b32_e32 v9, 3, v5
	v_ffbh_u32_e32 v13, v9
	v_min_u32_e32 v13, 32, v13
	v_subrev_u32_e32 v16, 29, v13
	v_bfe_u32 v11, v5, 2, 5
	v_lshlrev_b32_e32 v5, v16, v5
	v_sub_u32_e32 v13, 30, v13
	v_and_b32_e32 v5, 3, v5
	v_cmp_eq_u32_e32 vcc, 0, v11
	v_cndmask_b32_e32 v11, v11, v13, vcc
	v_cndmask_b32_e32 v5, v9, v5, vcc
	v_mov_b32_e32 v9, 0x37800000
	v_lshlrev_b32_e32 v5, 21, v5
	v_and_b32_e32 v7, 0x80000000, v7
	v_lshl_add_u32 v9, v11, 23, v9
	v_or3_b32 v5, v7, v9, v5
	v_cvt_f64_f32_e32 v[42:43], v5
.LBB161_1941:
	s_or_b64 exec, exec, s[12:13]
	s_mov_b64 s[10:11], 0
	s_branch .LBB161_1947
.LBB161_1942:
	s_mov_b64 s[10:11], -1
                                        ; implicit-def: $vgpr42_vgpr43
	s_branch .LBB161_1953
.LBB161_1943:
	s_or_saveexec_b64 s[16:17], s[16:17]
	v_pk_mov_b32 v[42:43], s[14:15], s[14:15] op_sel:[0,1]
	s_xor_b64 exec, exec, s[16:17]
	s_cbranch_execz .LBB161_1926
.LBB161_1944:
	v_cmp_ne_u16_e32 vcc, 0, v5
	s_andn2_b64 s[12:13], s[12:13], exec
	s_and_b64 s[14:15], vcc, exec
	v_pk_mov_b32 v[42:43], 0, 0
	s_or_b64 s[12:13], s[12:13], s[14:15]
	s_or_b64 exec, exec, s[16:17]
	s_and_saveexec_b64 s[14:15], s[12:13]
	s_cbranch_execnz .LBB161_1927
	s_branch .LBB161_1928
.LBB161_1945:
	s_mov_b64 s[10:11], -1
                                        ; implicit-def: $vgpr42_vgpr43
	s_branch .LBB161_1950
.LBB161_1946:
	s_mov_b64 s[10:11], -1
                                        ; implicit-def: $vgpr42_vgpr43
.LBB161_1947:
	s_and_b64 vcc, exec, s[10:11]
	s_cbranch_vccz .LBB161_1949
; %bb.1948:
	global_load_ubyte v5, v[14:15], off
	s_mov_b32 s10, 0x7f800000
	s_waitcnt vmcnt(0)
	v_lshlrev_b32_e32 v5, 24, v5
	v_and_b32_e32 v7, 0x7f000000, v5
	v_ffbh_u32_e32 v9, v7
	v_min_u32_e32 v9, 32, v9
	v_sub_u32_e64 v9, v9, 4 clamp
	v_lshlrev_b32_e32 v13, v9, v7
	v_lshlrev_b32_e32 v9, 23, v9
	v_lshrrev_b32_e32 v13, 4, v13
	v_add_u32_e32 v11, 0x1000000, v7
	v_sub_u32_e32 v9, v13, v9
	v_ashrrev_i32_e32 v11, 8, v11
	v_add_u32_e32 v9, 0x3c000000, v9
	v_and_or_b32 v9, v11, s10, v9
	v_cmp_ne_u32_e32 vcc, 0, v7
	v_cndmask_b32_e32 v7, 0, v9, vcc
	s_brev_b32 s10, 1
	v_and_or_b32 v5, v5, s10, v7
	v_cvt_f64_f32_e32 v[42:43], v5
.LBB161_1949:
	s_mov_b64 s[10:11], 0
.LBB161_1950:
	s_andn2_b64 vcc, exec, s[10:11]
	s_cbranch_vccnz .LBB161_1952
; %bb.1951:
	global_load_ubyte v5, v[14:15], off
	s_movk_i32 s10, 0x7f00
	s_brev_b32 s11, 16
	s_waitcnt vmcnt(0)
	v_lshlrev_b16_e32 v7, 8, v5
	v_lshlrev_b32_e32 v5, 25, v5
	v_lshrrev_b32_e32 v9, 4, v5
	v_and_or_b32 v11, v7, s10, 0.5
	v_or_b32_e32 v9, 0x70000000, v9
	v_add_f32_e32 v11, -0.5, v11
	v_mul_f32_e32 v9, 0x7800000, v9
	v_cmp_gt_u32_e32 vcc, s11, v5
	v_bfe_i32 v7, v7, 0, 16
	v_cndmask_b32_e32 v5, v9, v11, vcc
	s_brev_b32 s10, 1
	v_and_or_b32 v5, v7, s10, v5
	v_cvt_f64_f32_e32 v[42:43], v5
.LBB161_1952:
	s_mov_b64 s[10:11], 0
	s_mov_b64 s[12:13], -1
.LBB161_1953:
	s_andn2_b64 vcc, exec, s[10:11]
	s_mov_b64 s[10:11], 0
	s_cbranch_vccnz .LBB161_1964
; %bb.1954:
	v_mov_b32_e32 v5, 14
	v_cmp_gt_i16_sdwa s[10:11], s21, v5 src0_sel:BYTE_0 src1_sel:DWORD
	s_and_b64 vcc, exec, s[10:11]
	s_cbranch_vccz .LBB161_1957
; %bb.1955:
	v_mov_b32_e32 v5, 15
	v_cmp_eq_u16_sdwa s[8:9], s21, v5 src0_sel:BYTE_0 src1_sel:DWORD
	s_and_b64 vcc, exec, s[8:9]
	s_cbranch_vccz .LBB161_1960
; %bb.1956:
	global_load_ushort v5, v[14:15], off
	s_mov_b64 s[8:9], 0
	s_mov_b64 s[12:13], -1
	s_waitcnt vmcnt(0)
	v_lshlrev_b32_e32 v5, 16, v5
	v_cvt_f64_f32_e32 v[42:43], v5
	s_branch .LBB161_1961
.LBB161_1957:
	s_mov_b64 s[14:15], -1
                                        ; implicit-def: $vgpr42_vgpr43
	s_branch .LBB161_1962
.LBB161_1958:
	s_or_saveexec_b64 s[14:15], s[14:15]
	v_pk_mov_b32 v[42:43], s[12:13], s[12:13] op_sel:[0,1]
	s_xor_b64 exec, exec, s[14:15]
	s_cbranch_execz .LBB161_1939
.LBB161_1959:
	v_cmp_ne_u16_e32 vcc, 0, v5
	s_andn2_b64 s[10:11], s[10:11], exec
	s_and_b64 s[12:13], vcc, exec
	v_pk_mov_b32 v[42:43], 0, 0
	s_or_b64 s[10:11], s[10:11], s[12:13]
	s_or_b64 exec, exec, s[14:15]
	s_and_saveexec_b64 s[12:13], s[10:11]
	s_cbranch_execnz .LBB161_1940
	s_branch .LBB161_1941
.LBB161_1960:
	s_mov_b64 s[8:9], -1
                                        ; implicit-def: $vgpr42_vgpr43
.LBB161_1961:
	s_mov_b64 s[14:15], 0
.LBB161_1962:
	s_mov_b64 s[10:11], 0
	s_and_b64 vcc, exec, s[14:15]
	s_cbranch_vccz .LBB161_1964
; %bb.1963:
	v_mov_b32_e32 v5, 11
	v_cmp_ne_u16_sdwa s[8:9], s21, v5 src0_sel:BYTE_0 src1_sel:DWORD
	s_mov_b64 s[10:11], -1
                                        ; implicit-def: $vgpr42_vgpr43
.LBB161_1964:
	s_and_b64 vcc, exec, s[8:9]
	s_cbranch_vccnz .LBB161_2027
; %bb.1965:
	s_andn2_b64 vcc, exec, s[10:11]
	s_cbranch_vccnz .LBB161_1967
.LBB161_1966:
	global_load_ubyte v5, v[14:15], off
	v_mov_b32_e32 v7, 0x3ff00000
	v_mov_b32_e32 v42, 0
	s_mov_b64 s[12:13], -1
	s_waitcnt vmcnt(0)
	v_cmp_ne_u16_e32 vcc, 0, v5
	v_cndmask_b32_e32 v43, 0, v7, vcc
.LBB161_1967:
	s_branch .LBB161_1895
.LBB161_1968:
	v_mov_b32_e32 v5, 5
	v_cmp_lt_i16_sdwa s[8:9], s21, v5 src0_sel:BYTE_0 src1_sel:DWORD
	s_and_b64 vcc, exec, s[8:9]
	s_cbranch_vccnz .LBB161_1973
; %bb.1969:
	v_mov_b32_e32 v5, 8
	v_cmp_lt_i16_sdwa s[8:9], s21, v5 src0_sel:BYTE_0 src1_sel:DWORD
	s_and_b64 vcc, exec, s[8:9]
	s_cbranch_vccnz .LBB161_1974
; %bb.1970:
	;; [unrolled: 5-line block ×3, first 2 shown]
	v_cmp_gt_i16_sdwa s[8:9], s21, v5 src0_sel:BYTE_0 src1_sel:DWORD
	s_and_b64 vcc, exec, s[8:9]
	s_cbranch_vccz .LBB161_1976
; %bb.1972:
	global_load_dwordx2 v[42:43], v[14:15], off
	s_mov_b64 s[8:9], 0
	s_branch .LBB161_1977
.LBB161_1973:
	s_mov_b64 s[8:9], -1
                                        ; implicit-def: $vgpr42_vgpr43
	s_branch .LBB161_1995
.LBB161_1974:
	s_mov_b64 s[8:9], -1
                                        ; implicit-def: $vgpr42_vgpr43
	s_branch .LBB161_1983
.LBB161_1975:
	s_mov_b64 s[8:9], -1
                                        ; implicit-def: $vgpr42_vgpr43
	s_branch .LBB161_1980
.LBB161_1976:
	s_mov_b64 s[8:9], -1
                                        ; implicit-def: $vgpr42_vgpr43
.LBB161_1977:
	s_andn2_b64 vcc, exec, s[8:9]
	s_cbranch_vccnz .LBB161_1979
; %bb.1978:
	global_load_dword v5, v[14:15], off
	s_waitcnt vmcnt(0)
	v_cvt_f64_f32_e32 v[42:43], v5
.LBB161_1979:
	s_mov_b64 s[8:9], 0
.LBB161_1980:
	s_andn2_b64 vcc, exec, s[8:9]
	s_cbranch_vccnz .LBB161_1982
; %bb.1981:
	global_load_dword v5, v[14:15], off
	s_waitcnt vmcnt(0)
	v_cvt_f32_f16_e32 v5, v5
	v_cvt_f64_f32_e32 v[42:43], v5
.LBB161_1982:
	s_mov_b64 s[8:9], 0
.LBB161_1983:
	s_andn2_b64 vcc, exec, s[8:9]
	s_cbranch_vccnz .LBB161_1994
; %bb.1984:
	v_mov_b32_e32 v5, 6
	v_cmp_lt_i16_sdwa s[8:9], s21, v5 src0_sel:BYTE_0 src1_sel:DWORD
	s_and_b64 vcc, exec, s[8:9]
	s_cbranch_vccnz .LBB161_1987
; %bb.1985:
	v_cmp_gt_i16_sdwa s[8:9], s21, v5 src0_sel:BYTE_0 src1_sel:DWORD
	s_and_b64 vcc, exec, s[8:9]
	s_cbranch_vccz .LBB161_1988
; %bb.1986:
	global_load_dwordx2 v[42:43], v[14:15], off
	s_mov_b64 s[8:9], 0
	s_branch .LBB161_1989
.LBB161_1987:
	s_mov_b64 s[8:9], -1
                                        ; implicit-def: $vgpr42_vgpr43
	s_branch .LBB161_1992
.LBB161_1988:
	s_mov_b64 s[8:9], -1
                                        ; implicit-def: $vgpr42_vgpr43
.LBB161_1989:
	s_andn2_b64 vcc, exec, s[8:9]
	s_cbranch_vccnz .LBB161_1991
; %bb.1990:
	global_load_dword v5, v[14:15], off
	s_waitcnt vmcnt(0)
	v_cvt_f64_f32_e32 v[42:43], v5
.LBB161_1991:
	s_mov_b64 s[8:9], 0
.LBB161_1992:
	s_andn2_b64 vcc, exec, s[8:9]
	s_cbranch_vccnz .LBB161_1994
; %bb.1993:
	global_load_ushort v5, v[14:15], off
	s_waitcnt vmcnt(0)
	v_cvt_f32_f16_e32 v5, v5
	v_cvt_f64_f32_e32 v[42:43], v5
.LBB161_1994:
	s_mov_b64 s[8:9], 0
.LBB161_1995:
	s_andn2_b64 vcc, exec, s[8:9]
	s_cbranch_vccnz .LBB161_2015
; %bb.1996:
	v_mov_b32_e32 v5, 2
	v_cmp_lt_i16_sdwa s[8:9], s21, v5 src0_sel:BYTE_0 src1_sel:DWORD
	s_and_b64 vcc, exec, s[8:9]
	s_cbranch_vccnz .LBB161_2000
; %bb.1997:
	v_mov_b32_e32 v5, 3
	v_cmp_lt_i16_sdwa s[8:9], s21, v5 src0_sel:BYTE_0 src1_sel:DWORD
	s_and_b64 vcc, exec, s[8:9]
	s_cbranch_vccnz .LBB161_2001
; %bb.1998:
	v_cmp_gt_i16_sdwa s[8:9], s21, v5 src0_sel:BYTE_0 src1_sel:DWORD
	s_and_b64 vcc, exec, s[8:9]
	s_cbranch_vccz .LBB161_2002
; %bb.1999:
	global_load_dwordx2 v[16:17], v[14:15], off
	s_mov_b64 s[8:9], 0
	s_waitcnt vmcnt(0)
	v_cvt_f64_i32_e32 v[18:19], v17
	v_cvt_f64_u32_e32 v[16:17], v16
	v_ldexp_f64 v[18:19], v[18:19], 32
	v_add_f64 v[42:43], v[18:19], v[16:17]
	s_branch .LBB161_2003
.LBB161_2000:
	s_mov_b64 s[8:9], -1
                                        ; implicit-def: $vgpr42_vgpr43
	s_branch .LBB161_2009
.LBB161_2001:
	s_mov_b64 s[8:9], -1
                                        ; implicit-def: $vgpr42_vgpr43
	s_branch .LBB161_2006
.LBB161_2002:
	s_mov_b64 s[8:9], -1
                                        ; implicit-def: $vgpr42_vgpr43
.LBB161_2003:
	s_andn2_b64 vcc, exec, s[8:9]
	s_cbranch_vccnz .LBB161_2005
; %bb.2004:
	global_load_dword v5, v[14:15], off
	s_waitcnt vmcnt(0)
	v_cvt_f64_i32_e32 v[42:43], v5
.LBB161_2005:
	s_mov_b64 s[8:9], 0
.LBB161_2006:
	s_andn2_b64 vcc, exec, s[8:9]
	s_cbranch_vccnz .LBB161_2008
; %bb.2007:
	global_load_sshort v5, v[14:15], off
	s_waitcnt vmcnt(0)
	v_cvt_f64_i32_e32 v[42:43], v5
.LBB161_2008:
	s_mov_b64 s[8:9], 0
.LBB161_2009:
	s_andn2_b64 vcc, exec, s[8:9]
	s_cbranch_vccnz .LBB161_2015
; %bb.2010:
	v_mov_b32_e32 v5, 0
	v_cmp_gt_i16_sdwa s[8:9], s21, v5 src0_sel:BYTE_0 src1_sel:DWORD
	s_and_b64 vcc, exec, s[8:9]
	s_cbranch_vccz .LBB161_2012
; %bb.2011:
	global_load_sbyte v5, v[14:15], off
	s_mov_b64 s[8:9], 0
	s_waitcnt vmcnt(0)
	v_cvt_f64_i32_e32 v[42:43], v5
	s_branch .LBB161_2013
.LBB161_2012:
	s_mov_b64 s[8:9], -1
                                        ; implicit-def: $vgpr42_vgpr43
.LBB161_2013:
	s_andn2_b64 vcc, exec, s[8:9]
	s_cbranch_vccnz .LBB161_2015
; %bb.2014:
	global_load_ubyte v5, v[14:15], off
	s_waitcnt vmcnt(0)
	v_cvt_f64_u32_e32 v[42:43], v5
.LBB161_2015:
.LBB161_2016:
	v_mov_b32_e32 v5, s5
	v_add_co_u32_e32 v12, vcc, s4, v12
	v_addc_co_u32_e32 v13, vcc, 0, v5, vcc
	s_and_b64 vcc, exec, s[6:7]
	s_cbranch_vccnz .LBB161_2023
; %bb.2017:
	v_cmp_gt_i16_e64 s[8:9], s22, 25
	s_mov_b64 s[10:11], 0
	s_and_b64 vcc, exec, s[8:9]
	s_cbranch_vccz .LBB161_2024
; %bb.2018:
	v_cmp_gt_i16_e64 s[8:9], s22, 28
	s_and_b64 vcc, exec, s[8:9]
	s_cbranch_vccz .LBB161_2025
; %bb.2019:
	v_cmp_gt_i16_e64 s[8:9], s22, 43
	;; [unrolled: 4-line block ×3, first 2 shown]
	s_and_b64 vcc, exec, s[8:9]
	s_cbranch_vccz .LBB161_2028
; %bb.2021:
	v_cmp_eq_u16_e64 s[8:9], s22, 46
	s_mov_b64 s[14:15], 0
	s_and_b64 vcc, exec, s[8:9]
	s_cbranch_vccz .LBB161_2029
; %bb.2022:
	global_load_dword v5, v[12:13], off
	s_mov_b64 s[8:9], 0
	s_mov_b64 s[12:13], -1
	s_waitcnt vmcnt(0)
	v_lshlrev_b32_e32 v5, 16, v5
	v_cvt_f64_f32_e32 v[44:45], v5
	s_branch .LBB161_2030
.LBB161_2023:
	s_mov_b64 s[8:9], -1
	s_mov_b64 s[12:13], 0
                                        ; implicit-def: $vgpr44_vgpr45
	s_branch .LBB161_2096
.LBB161_2024:
	s_mov_b64 s[14:15], -1
	s_mov_b64 s[12:13], 0
	s_mov_b64 s[8:9], 0
                                        ; implicit-def: $vgpr44_vgpr45
	s_branch .LBB161_2059
.LBB161_2025:
	s_mov_b64 s[14:15], -1
	s_mov_b64 s[12:13], 0
	s_mov_b64 s[8:9], 0
                                        ; implicit-def: $vgpr44_vgpr45
	s_branch .LBB161_2040
.LBB161_2026:
	s_mov_b64 s[14:15], -1
	s_mov_b64 s[12:13], 0
	s_mov_b64 s[8:9], 0
                                        ; implicit-def: $vgpr44_vgpr45
	s_branch .LBB161_2035
.LBB161_2027:
	s_trap 2
	s_or_b64 s[84:85], s[84:85], exec
                                        ; implicit-def: $vgpr42_vgpr43
	s_cbranch_execz .LBB161_1966
	s_branch .LBB161_1967
.LBB161_2028:
	s_mov_b64 s[14:15], -1
	s_mov_b64 s[12:13], 0
	s_mov_b64 s[8:9], 0
                                        ; implicit-def: $vgpr44_vgpr45
	s_branch .LBB161_2030
.LBB161_2029:
	s_mov_b64 s[8:9], -1
                                        ; implicit-def: $vgpr44_vgpr45
	s_mov_b64 s[12:13], 0
.LBB161_2030:
	s_and_b64 vcc, exec, s[14:15]
	s_cbranch_vccz .LBB161_2034
; %bb.2031:
	v_cmp_eq_u16_e64 s[8:9], s22, 44
	s_and_b64 vcc, exec, s[8:9]
	s_cbranch_vccz .LBB161_2033
; %bb.2032:
	global_load_ubyte v5, v[12:13], off
	s_movk_i32 s12, 0xff
	v_bfrev_b32_e32 v7, 4
	v_mov_b32_e32 v9, 0x7ff80000
	v_bfrev_b32_e32 v11, 28
	s_mov_b64 s[8:9], 0
	s_waitcnt vmcnt(0)
	v_lshlrev_b32_e32 v14, 23, v5
	v_cvt_f64_f32_e32 v[14:15], v14
	v_cmp_ne_u32_e32 vcc, s12, v5
	v_cndmask_b32_e32 v7, v7, v14, vcc
	v_cndmask_b32_e32 v9, v9, v15, vcc
	v_cmp_ne_u32_e32 vcc, 0, v5
	v_cndmask_b32_e32 v45, v11, v9, vcc
	v_cndmask_b32_e32 v44, 0, v7, vcc
	s_mov_b64 s[12:13], -1
	s_branch .LBB161_2034
.LBB161_2033:
	s_mov_b64 s[8:9], -1
                                        ; implicit-def: $vgpr44_vgpr45
.LBB161_2034:
	s_mov_b64 s[14:15], 0
.LBB161_2035:
	s_and_b64 vcc, exec, s[14:15]
	s_cbranch_vccz .LBB161_2039
; %bb.2036:
	v_cmp_eq_u16_e64 s[8:9], s22, 29
	s_and_b64 vcc, exec, s[8:9]
	s_cbranch_vccz .LBB161_2038
; %bb.2037:
	global_load_dwordx2 v[14:15], v[12:13], off
	s_mov_b64 s[8:9], 0
	s_mov_b64 s[12:13], -1
	s_mov_b64 s[14:15], 0
	s_waitcnt vmcnt(0)
	v_cvt_f64_u32_e32 v[16:17], v15
	v_cvt_f64_u32_e32 v[14:15], v14
	v_ldexp_f64 v[16:17], v[16:17], 32
	v_add_f64 v[44:45], v[16:17], v[14:15]
	s_branch .LBB161_2040
.LBB161_2038:
	s_mov_b64 s[8:9], -1
                                        ; implicit-def: $vgpr44_vgpr45
.LBB161_2039:
	s_mov_b64 s[14:15], 0
.LBB161_2040:
	s_and_b64 vcc, exec, s[14:15]
	s_cbranch_vccz .LBB161_2058
; %bb.2041:
	v_cmp_lt_i16_e64 s[12:13], s22, 27
	s_and_b64 vcc, exec, s[12:13]
	s_cbranch_vccnz .LBB161_2044
; %bb.2042:
	v_cmp_gt_i16_e64 s[12:13], s22, 27
	s_and_b64 vcc, exec, s[12:13]
	s_cbranch_vccz .LBB161_2045
; %bb.2043:
	global_load_dword v5, v[12:13], off
	s_mov_b64 s[12:13], 0
	s_waitcnt vmcnt(0)
	v_cvt_f64_u32_e32 v[44:45], v5
	s_branch .LBB161_2046
.LBB161_2044:
	s_mov_b64 s[12:13], -1
                                        ; implicit-def: $vgpr44_vgpr45
	s_branch .LBB161_2049
.LBB161_2045:
	s_mov_b64 s[12:13], -1
                                        ; implicit-def: $vgpr44_vgpr45
.LBB161_2046:
	s_andn2_b64 vcc, exec, s[12:13]
	s_cbranch_vccnz .LBB161_2048
; %bb.2047:
	global_load_ushort v5, v[12:13], off
	s_waitcnt vmcnt(0)
	v_cvt_f64_u32_e32 v[44:45], v5
.LBB161_2048:
	s_mov_b64 s[12:13], 0
.LBB161_2049:
	s_andn2_b64 vcc, exec, s[12:13]
	s_cbranch_vccnz .LBB161_2057
; %bb.2050:
	global_load_ubyte v5, v[12:13], off
	s_movk_i32 s12, 0x7f
                                        ; implicit-def: $sgpr14_sgpr15
	s_waitcnt vmcnt(0)
	v_cmp_lt_i16_e32 vcc, s12, v5
	s_mov_b64 s[12:13], 0
	s_and_saveexec_b64 s[16:17], vcc
	s_xor_b64 s[16:17], exec, s[16:17]
	s_cbranch_execz .LBB161_2071
; %bb.2051:
	s_movk_i32 s12, 0x80
	v_cmp_eq_u16_e32 vcc, s12, v5
	s_mov_b64 s[18:19], -1
                                        ; implicit-def: $sgpr14_sgpr15
	s_and_saveexec_b64 s[12:13], vcc
; %bb.2052:
	s_mov_b32 s15, 0x7ff80000
	s_brev_b32 s14, 4
	s_xor_b64 s[18:19], exec, -1
; %bb.2053:
	s_or_b64 exec, exec, s[12:13]
	s_and_b64 s[12:13], s[18:19], exec
	s_or_saveexec_b64 s[16:17], s[16:17]
	v_pk_mov_b32 v[44:45], s[14:15], s[14:15] op_sel:[0,1]
	s_xor_b64 exec, exec, s[16:17]
	s_cbranch_execnz .LBB161_2072
.LBB161_2054:
	s_or_b64 exec, exec, s[16:17]
	s_and_saveexec_b64 s[14:15], s[12:13]
	s_cbranch_execz .LBB161_2056
.LBB161_2055:
	v_lshlrev_b32_e32 v7, 24, v5
	v_and_b32_e32 v5, 0xffff, v5
	v_and_b32_e32 v9, 7, v5
	v_ffbh_u32_e32 v14, v9
	v_min_u32_e32 v14, 32, v14
	v_subrev_u32_e32 v15, 28, v14
	v_bfe_u32 v11, v5, 3, 4
	v_lshlrev_b32_e32 v5, v15, v5
	v_sub_u32_e32 v14, 29, v14
	v_and_b32_e32 v5, 7, v5
	v_cmp_eq_u32_e32 vcc, 0, v11
	v_cndmask_b32_e32 v11, v11, v14, vcc
	v_cndmask_b32_e32 v5, v9, v5, vcc
	v_mov_b32_e32 v9, 0x3b800000
	v_lshlrev_b32_e32 v5, 20, v5
	v_and_b32_e32 v7, 0x80000000, v7
	v_lshl_add_u32 v9, v11, 23, v9
	v_or3_b32 v5, v7, v9, v5
	v_cvt_f64_f32_e32 v[44:45], v5
.LBB161_2056:
	s_or_b64 exec, exec, s[14:15]
.LBB161_2057:
	s_mov_b64 s[12:13], -1
.LBB161_2058:
	s_mov_b64 s[14:15], 0
.LBB161_2059:
	s_and_b64 vcc, exec, s[14:15]
	s_cbranch_vccz .LBB161_2092
; %bb.2060:
	v_cmp_gt_i16_e64 s[10:11], s22, 22
	s_and_b64 vcc, exec, s[10:11]
	s_cbranch_vccz .LBB161_2070
; %bb.2061:
	v_cmp_lt_i16_e64 s[10:11], s22, 24
	s_and_b64 vcc, exec, s[10:11]
	s_cbranch_vccnz .LBB161_2073
; %bb.2062:
	v_cmp_gt_i16_e64 s[10:11], s22, 24
	s_and_b64 vcc, exec, s[10:11]
	s_cbranch_vccz .LBB161_2074
; %bb.2063:
	global_load_ubyte v5, v[12:13], off
	s_movk_i32 s10, 0x7f
                                        ; implicit-def: $sgpr12_sgpr13
	s_waitcnt vmcnt(0)
	v_cmp_lt_i16_e32 vcc, s10, v5
	s_mov_b64 s[10:11], 0
	s_and_saveexec_b64 s[14:15], vcc
	s_xor_b64 s[14:15], exec, s[14:15]
	s_cbranch_execz .LBB161_2086
; %bb.2064:
	s_movk_i32 s10, 0x80
	v_cmp_eq_u16_e32 vcc, s10, v5
	s_mov_b64 s[16:17], -1
                                        ; implicit-def: $sgpr12_sgpr13
	s_and_saveexec_b64 s[10:11], vcc
; %bb.2065:
	s_mov_b32 s13, 0x7ff80000
	s_brev_b32 s12, 4
	s_xor_b64 s[16:17], exec, -1
; %bb.2066:
	s_or_b64 exec, exec, s[10:11]
	s_and_b64 s[10:11], s[16:17], exec
	s_or_saveexec_b64 s[14:15], s[14:15]
	v_pk_mov_b32 v[44:45], s[12:13], s[12:13] op_sel:[0,1]
	s_xor_b64 exec, exec, s[14:15]
	s_cbranch_execnz .LBB161_2087
.LBB161_2067:
	s_or_b64 exec, exec, s[14:15]
	s_and_saveexec_b64 s[12:13], s[10:11]
	s_cbranch_execz .LBB161_2069
.LBB161_2068:
	v_lshlrev_b32_e32 v7, 24, v5
	v_and_b32_e32 v5, 0xffff, v5
	v_and_b32_e32 v9, 3, v5
	v_ffbh_u32_e32 v14, v9
	v_min_u32_e32 v14, 32, v14
	v_subrev_u32_e32 v15, 29, v14
	v_bfe_u32 v11, v5, 2, 5
	v_lshlrev_b32_e32 v5, v15, v5
	v_sub_u32_e32 v14, 30, v14
	v_and_b32_e32 v5, 3, v5
	v_cmp_eq_u32_e32 vcc, 0, v11
	v_cndmask_b32_e32 v11, v11, v14, vcc
	v_cndmask_b32_e32 v5, v9, v5, vcc
	v_mov_b32_e32 v9, 0x37800000
	v_lshlrev_b32_e32 v5, 21, v5
	v_and_b32_e32 v7, 0x80000000, v7
	v_lshl_add_u32 v9, v11, 23, v9
	v_or3_b32 v5, v7, v9, v5
	v_cvt_f64_f32_e32 v[44:45], v5
.LBB161_2069:
	s_or_b64 exec, exec, s[12:13]
	s_mov_b64 s[10:11], 0
	s_branch .LBB161_2075
.LBB161_2070:
	s_mov_b64 s[10:11], -1
                                        ; implicit-def: $vgpr44_vgpr45
	s_branch .LBB161_2081
.LBB161_2071:
	s_or_saveexec_b64 s[16:17], s[16:17]
	v_pk_mov_b32 v[44:45], s[14:15], s[14:15] op_sel:[0,1]
	s_xor_b64 exec, exec, s[16:17]
	s_cbranch_execz .LBB161_2054
.LBB161_2072:
	v_cmp_ne_u16_e32 vcc, 0, v5
	s_andn2_b64 s[12:13], s[12:13], exec
	s_and_b64 s[14:15], vcc, exec
	v_pk_mov_b32 v[44:45], 0, 0
	s_or_b64 s[12:13], s[12:13], s[14:15]
	s_or_b64 exec, exec, s[16:17]
	s_and_saveexec_b64 s[14:15], s[12:13]
	s_cbranch_execnz .LBB161_2055
	s_branch .LBB161_2056
.LBB161_2073:
	s_mov_b64 s[10:11], -1
                                        ; implicit-def: $vgpr44_vgpr45
	s_branch .LBB161_2078
.LBB161_2074:
	s_mov_b64 s[10:11], -1
                                        ; implicit-def: $vgpr44_vgpr45
.LBB161_2075:
	s_and_b64 vcc, exec, s[10:11]
	s_cbranch_vccz .LBB161_2077
; %bb.2076:
	global_load_ubyte v5, v[12:13], off
	s_mov_b32 s10, 0x7f800000
	s_waitcnt vmcnt(0)
	v_lshlrev_b32_e32 v5, 24, v5
	v_and_b32_e32 v7, 0x7f000000, v5
	v_ffbh_u32_e32 v9, v7
	v_min_u32_e32 v9, 32, v9
	v_sub_u32_e64 v9, v9, 4 clamp
	v_lshlrev_b32_e32 v14, v9, v7
	v_lshlrev_b32_e32 v9, 23, v9
	v_lshrrev_b32_e32 v14, 4, v14
	v_add_u32_e32 v11, 0x1000000, v7
	v_sub_u32_e32 v9, v14, v9
	v_ashrrev_i32_e32 v11, 8, v11
	v_add_u32_e32 v9, 0x3c000000, v9
	v_and_or_b32 v9, v11, s10, v9
	v_cmp_ne_u32_e32 vcc, 0, v7
	v_cndmask_b32_e32 v7, 0, v9, vcc
	s_brev_b32 s10, 1
	v_and_or_b32 v5, v5, s10, v7
	v_cvt_f64_f32_e32 v[44:45], v5
.LBB161_2077:
	s_mov_b64 s[10:11], 0
.LBB161_2078:
	s_andn2_b64 vcc, exec, s[10:11]
	s_cbranch_vccnz .LBB161_2080
; %bb.2079:
	global_load_ubyte v5, v[12:13], off
	s_movk_i32 s10, 0x7f00
	s_brev_b32 s11, 16
	s_waitcnt vmcnt(0)
	v_lshlrev_b16_e32 v7, 8, v5
	v_lshlrev_b32_e32 v5, 25, v5
	v_lshrrev_b32_e32 v9, 4, v5
	v_and_or_b32 v11, v7, s10, 0.5
	v_or_b32_e32 v9, 0x70000000, v9
	v_add_f32_e32 v11, -0.5, v11
	v_mul_f32_e32 v9, 0x7800000, v9
	v_cmp_gt_u32_e32 vcc, s11, v5
	v_bfe_i32 v7, v7, 0, 16
	v_cndmask_b32_e32 v5, v9, v11, vcc
	s_brev_b32 s10, 1
	v_and_or_b32 v5, v7, s10, v5
	v_cvt_f64_f32_e32 v[44:45], v5
.LBB161_2080:
	s_mov_b64 s[10:11], 0
	s_mov_b64 s[12:13], -1
.LBB161_2081:
	s_andn2_b64 vcc, exec, s[10:11]
	s_mov_b64 s[10:11], 0
	s_cbranch_vccnz .LBB161_2092
; %bb.2082:
	v_cmp_gt_i16_e64 s[10:11], s22, 14
	s_and_b64 vcc, exec, s[10:11]
	s_cbranch_vccz .LBB161_2085
; %bb.2083:
	v_cmp_eq_u16_e64 s[8:9], s22, 15
	s_and_b64 vcc, exec, s[8:9]
	s_cbranch_vccz .LBB161_2088
; %bb.2084:
	global_load_ushort v5, v[12:13], off
	s_mov_b64 s[8:9], 0
	s_mov_b64 s[12:13], -1
	s_waitcnt vmcnt(0)
	v_lshlrev_b32_e32 v5, 16, v5
	v_cvt_f64_f32_e32 v[44:45], v5
	s_branch .LBB161_2089
.LBB161_2085:
	s_mov_b64 s[14:15], -1
                                        ; implicit-def: $vgpr44_vgpr45
	s_branch .LBB161_2090
.LBB161_2086:
	s_or_saveexec_b64 s[14:15], s[14:15]
	v_pk_mov_b32 v[44:45], s[12:13], s[12:13] op_sel:[0,1]
	s_xor_b64 exec, exec, s[14:15]
	s_cbranch_execz .LBB161_2067
.LBB161_2087:
	v_cmp_ne_u16_e32 vcc, 0, v5
	s_andn2_b64 s[10:11], s[10:11], exec
	s_and_b64 s[12:13], vcc, exec
	v_pk_mov_b32 v[44:45], 0, 0
	s_or_b64 s[10:11], s[10:11], s[12:13]
	s_or_b64 exec, exec, s[14:15]
	s_and_saveexec_b64 s[12:13], s[10:11]
	s_cbranch_execnz .LBB161_2068
	s_branch .LBB161_2069
.LBB161_2088:
	s_mov_b64 s[8:9], -1
                                        ; implicit-def: $vgpr44_vgpr45
.LBB161_2089:
	s_mov_b64 s[14:15], 0
.LBB161_2090:
	s_mov_b64 s[10:11], 0
	s_and_b64 vcc, exec, s[14:15]
	s_cbranch_vccz .LBB161_2092
; %bb.2091:
	v_cmp_ne_u16_e64 s[8:9], s22, 11
	s_mov_b64 s[10:11], -1
                                        ; implicit-def: $vgpr44_vgpr45
.LBB161_2092:
	s_and_b64 vcc, exec, s[8:9]
	s_cbranch_vccnz .LBB161_2157
; %bb.2093:
	s_andn2_b64 vcc, exec, s[10:11]
	s_cbranch_vccnz .LBB161_2095
.LBB161_2094:
	global_load_ubyte v5, v[12:13], off
	v_mov_b32_e32 v7, 0x3ff00000
	v_mov_b32_e32 v44, 0
	s_mov_b64 s[12:13], -1
	s_waitcnt vmcnt(0)
	v_cmp_ne_u16_e32 vcc, 0, v5
	v_cndmask_b32_e32 v45, 0, v7, vcc
.LBB161_2095:
	s_mov_b64 s[8:9], 0
.LBB161_2096:
	s_and_b64 vcc, exec, s[8:9]
	s_cbranch_vccz .LBB161_2145
; %bb.2097:
	v_cmp_lt_i16_e64 s[8:9], s22, 5
	s_and_b64 vcc, exec, s[8:9]
	s_cbranch_vccnz .LBB161_2102
; %bb.2098:
	v_cmp_lt_i16_e64 s[8:9], s22, 8
	s_and_b64 vcc, exec, s[8:9]
	s_cbranch_vccnz .LBB161_2103
	;; [unrolled: 4-line block ×3, first 2 shown]
; %bb.2100:
	v_cmp_gt_i16_e64 s[8:9], s22, 9
	s_and_b64 vcc, exec, s[8:9]
	s_cbranch_vccz .LBB161_2105
; %bb.2101:
	global_load_dwordx2 v[44:45], v[12:13], off
	s_mov_b64 s[8:9], 0
	s_branch .LBB161_2106
.LBB161_2102:
	s_mov_b64 s[8:9], -1
                                        ; implicit-def: $vgpr44_vgpr45
	s_branch .LBB161_2124
.LBB161_2103:
	s_mov_b64 s[8:9], -1
                                        ; implicit-def: $vgpr44_vgpr45
	s_branch .LBB161_2112
.LBB161_2104:
	s_mov_b64 s[8:9], -1
                                        ; implicit-def: $vgpr44_vgpr45
	s_branch .LBB161_2109
.LBB161_2105:
	s_mov_b64 s[8:9], -1
                                        ; implicit-def: $vgpr44_vgpr45
.LBB161_2106:
	s_andn2_b64 vcc, exec, s[8:9]
	s_cbranch_vccnz .LBB161_2108
; %bb.2107:
	global_load_dword v5, v[12:13], off
	s_waitcnt vmcnt(0)
	v_cvt_f64_f32_e32 v[44:45], v5
.LBB161_2108:
	s_mov_b64 s[8:9], 0
.LBB161_2109:
	s_andn2_b64 vcc, exec, s[8:9]
	s_cbranch_vccnz .LBB161_2111
; %bb.2110:
	global_load_dword v5, v[12:13], off
	s_waitcnt vmcnt(0)
	v_cvt_f32_f16_e32 v5, v5
	v_cvt_f64_f32_e32 v[44:45], v5
.LBB161_2111:
	s_mov_b64 s[8:9], 0
.LBB161_2112:
	s_andn2_b64 vcc, exec, s[8:9]
	s_cbranch_vccnz .LBB161_2123
; %bb.2113:
	v_cmp_lt_i16_e64 s[8:9], s22, 6
	s_and_b64 vcc, exec, s[8:9]
	s_cbranch_vccnz .LBB161_2116
; %bb.2114:
	v_cmp_gt_i16_e64 s[8:9], s22, 6
	s_and_b64 vcc, exec, s[8:9]
	s_cbranch_vccz .LBB161_2117
; %bb.2115:
	global_load_dwordx2 v[44:45], v[12:13], off
	s_mov_b64 s[8:9], 0
	s_branch .LBB161_2118
.LBB161_2116:
	s_mov_b64 s[8:9], -1
                                        ; implicit-def: $vgpr44_vgpr45
	s_branch .LBB161_2121
.LBB161_2117:
	s_mov_b64 s[8:9], -1
                                        ; implicit-def: $vgpr44_vgpr45
.LBB161_2118:
	s_andn2_b64 vcc, exec, s[8:9]
	s_cbranch_vccnz .LBB161_2120
; %bb.2119:
	global_load_dword v5, v[12:13], off
	s_waitcnt vmcnt(0)
	v_cvt_f64_f32_e32 v[44:45], v5
.LBB161_2120:
	s_mov_b64 s[8:9], 0
.LBB161_2121:
	s_andn2_b64 vcc, exec, s[8:9]
	s_cbranch_vccnz .LBB161_2123
; %bb.2122:
	global_load_ushort v5, v[12:13], off
	s_waitcnt vmcnt(0)
	v_cvt_f32_f16_e32 v5, v5
	v_cvt_f64_f32_e32 v[44:45], v5
.LBB161_2123:
	s_mov_b64 s[8:9], 0
.LBB161_2124:
	s_andn2_b64 vcc, exec, s[8:9]
	s_cbranch_vccnz .LBB161_2144
; %bb.2125:
	v_cmp_lt_i16_e64 s[8:9], s22, 2
	s_and_b64 vcc, exec, s[8:9]
	s_cbranch_vccnz .LBB161_2129
; %bb.2126:
	v_cmp_lt_i16_e64 s[8:9], s22, 3
	s_and_b64 vcc, exec, s[8:9]
	s_cbranch_vccnz .LBB161_2130
; %bb.2127:
	v_cmp_gt_i16_e64 s[8:9], s22, 3
	s_and_b64 vcc, exec, s[8:9]
	s_cbranch_vccz .LBB161_2131
; %bb.2128:
	global_load_dwordx2 v[14:15], v[12:13], off
	s_mov_b64 s[8:9], 0
	s_waitcnt vmcnt(0)
	v_cvt_f64_i32_e32 v[16:17], v15
	v_cvt_f64_u32_e32 v[14:15], v14
	v_ldexp_f64 v[16:17], v[16:17], 32
	v_add_f64 v[44:45], v[16:17], v[14:15]
	s_branch .LBB161_2132
.LBB161_2129:
	s_mov_b64 s[8:9], -1
                                        ; implicit-def: $vgpr44_vgpr45
	s_branch .LBB161_2138
.LBB161_2130:
	s_mov_b64 s[8:9], -1
                                        ; implicit-def: $vgpr44_vgpr45
	s_branch .LBB161_2135
.LBB161_2131:
	s_mov_b64 s[8:9], -1
                                        ; implicit-def: $vgpr44_vgpr45
.LBB161_2132:
	s_andn2_b64 vcc, exec, s[8:9]
	s_cbranch_vccnz .LBB161_2134
; %bb.2133:
	global_load_dword v5, v[12:13], off
	s_waitcnt vmcnt(0)
	v_cvt_f64_i32_e32 v[44:45], v5
.LBB161_2134:
	s_mov_b64 s[8:9], 0
.LBB161_2135:
	s_andn2_b64 vcc, exec, s[8:9]
	s_cbranch_vccnz .LBB161_2137
; %bb.2136:
	global_load_sshort v5, v[12:13], off
	s_waitcnt vmcnt(0)
	v_cvt_f64_i32_e32 v[44:45], v5
.LBB161_2137:
	s_mov_b64 s[8:9], 0
.LBB161_2138:
	s_andn2_b64 vcc, exec, s[8:9]
	s_cbranch_vccnz .LBB161_2144
; %bb.2139:
	v_cmp_gt_i16_e64 s[8:9], s22, 0
	s_and_b64 vcc, exec, s[8:9]
	s_cbranch_vccz .LBB161_2141
; %bb.2140:
	global_load_sbyte v5, v[12:13], off
	s_mov_b64 s[8:9], 0
	s_waitcnt vmcnt(0)
	v_cvt_f64_i32_e32 v[44:45], v5
	s_branch .LBB161_2142
.LBB161_2141:
	s_mov_b64 s[8:9], -1
                                        ; implicit-def: $vgpr44_vgpr45
.LBB161_2142:
	s_andn2_b64 vcc, exec, s[8:9]
	s_cbranch_vccnz .LBB161_2144
; %bb.2143:
	global_load_ubyte v5, v[12:13], off
	s_waitcnt vmcnt(0)
	v_cvt_f64_u32_e32 v[44:45], v5
.LBB161_2144:
	s_mov_b64 s[12:13], -1
.LBB161_2145:
	s_andn2_b64 vcc, exec, s[12:13]
	s_cbranch_vccnz .LBB161_3121
; %bb.2146:
	v_mov_b32_e32 v5, s79
	v_add_co_u32_e32 v10, vcc, s78, v10
	v_addc_co_u32_e32 v11, vcc, 0, v5, vcc
	v_mov_b32_e32 v5, 11
	v_cmp_lt_i16_sdwa s[8:9], s21, v5 src0_sel:BYTE_0 src1_sel:DWORD
	s_and_b64 vcc, exec, s[8:9]
	s_cbranch_vccnz .LBB161_2153
; %bb.2147:
	v_mov_b32_e32 v5, 25
	v_cmp_gt_i16_sdwa s[8:9], s21, v5 src0_sel:BYTE_0 src1_sel:DWORD
	s_mov_b64 s[10:11], 0
	s_and_b64 vcc, exec, s[8:9]
	s_cbranch_vccz .LBB161_2154
; %bb.2148:
	v_mov_b32_e32 v5, 28
	v_cmp_gt_i16_sdwa s[8:9], s21, v5 src0_sel:BYTE_0 src1_sel:DWORD
	s_and_b64 vcc, exec, s[8:9]
	s_cbranch_vccz .LBB161_2155
; %bb.2149:
	v_mov_b32_e32 v5, 43
	v_cmp_gt_i16_sdwa s[8:9], s21, v5 src0_sel:BYTE_0 src1_sel:DWORD
	;; [unrolled: 5-line block ×3, first 2 shown]
	s_and_b64 vcc, exec, s[8:9]
	s_cbranch_vccz .LBB161_2158
; %bb.2151:
	v_mov_b32_e32 v5, 46
	v_cmp_eq_u16_sdwa s[8:9], s21, v5 src0_sel:BYTE_0 src1_sel:DWORD
	s_mov_b64 s[14:15], 0
	s_and_b64 vcc, exec, s[8:9]
	s_cbranch_vccz .LBB161_2159
; %bb.2152:
	global_load_dword v5, v[10:11], off
	s_mov_b64 s[8:9], 0
	s_mov_b64 s[12:13], -1
	s_waitcnt vmcnt(0)
	v_lshlrev_b32_e32 v5, 16, v5
	v_cvt_f64_f32_e32 v[46:47], v5
	s_branch .LBB161_2160
.LBB161_2153:
	s_mov_b64 s[8:9], -1
	s_mov_b64 s[12:13], 0
                                        ; implicit-def: $vgpr46_vgpr47
	s_branch .LBB161_2226
.LBB161_2154:
	s_mov_b64 s[14:15], -1
	s_mov_b64 s[12:13], 0
	s_mov_b64 s[8:9], 0
                                        ; implicit-def: $vgpr46_vgpr47
	s_branch .LBB161_2189
.LBB161_2155:
	s_mov_b64 s[14:15], -1
	s_mov_b64 s[12:13], 0
	s_mov_b64 s[8:9], 0
                                        ; implicit-def: $vgpr46_vgpr47
	s_branch .LBB161_2170
.LBB161_2156:
	s_mov_b64 s[14:15], -1
	s_mov_b64 s[12:13], 0
	s_mov_b64 s[8:9], 0
                                        ; implicit-def: $vgpr46_vgpr47
	s_branch .LBB161_2165
.LBB161_2157:
	s_trap 2
	s_or_b64 s[84:85], s[84:85], exec
                                        ; implicit-def: $vgpr44_vgpr45
	s_cbranch_execz .LBB161_2094
	s_branch .LBB161_2095
.LBB161_2158:
	s_mov_b64 s[14:15], -1
	s_mov_b64 s[12:13], 0
	s_mov_b64 s[8:9], 0
                                        ; implicit-def: $vgpr46_vgpr47
	s_branch .LBB161_2160
.LBB161_2159:
	s_mov_b64 s[8:9], -1
                                        ; implicit-def: $vgpr46_vgpr47
	s_mov_b64 s[12:13], 0
.LBB161_2160:
	s_and_b64 vcc, exec, s[14:15]
	s_cbranch_vccz .LBB161_2164
; %bb.2161:
	v_mov_b32_e32 v5, 44
	v_cmp_eq_u16_sdwa s[8:9], s21, v5 src0_sel:BYTE_0 src1_sel:DWORD
	s_and_b64 vcc, exec, s[8:9]
	s_cbranch_vccz .LBB161_2163
; %bb.2162:
	global_load_ubyte v5, v[10:11], off
	s_movk_i32 s12, 0xff
	v_bfrev_b32_e32 v7, 4
	v_mov_b32_e32 v9, 0x7ff80000
	v_bfrev_b32_e32 v14, 28
	s_mov_b64 s[8:9], 0
	s_waitcnt vmcnt(0)
	v_lshlrev_b32_e32 v12, 23, v5
	v_cvt_f64_f32_e32 v[12:13], v12
	v_cmp_ne_u32_e32 vcc, s12, v5
	v_cndmask_b32_e32 v7, v7, v12, vcc
	v_cndmask_b32_e32 v9, v9, v13, vcc
	v_cmp_ne_u32_e32 vcc, 0, v5
	v_cndmask_b32_e32 v47, v14, v9, vcc
	v_cndmask_b32_e32 v46, 0, v7, vcc
	s_mov_b64 s[12:13], -1
	s_branch .LBB161_2164
.LBB161_2163:
	s_mov_b64 s[8:9], -1
                                        ; implicit-def: $vgpr46_vgpr47
.LBB161_2164:
	s_mov_b64 s[14:15], 0
.LBB161_2165:
	s_and_b64 vcc, exec, s[14:15]
	s_cbranch_vccz .LBB161_2169
; %bb.2166:
	v_mov_b32_e32 v5, 29
	v_cmp_eq_u16_sdwa s[8:9], s21, v5 src0_sel:BYTE_0 src1_sel:DWORD
	s_and_b64 vcc, exec, s[8:9]
	s_cbranch_vccz .LBB161_2168
; %bb.2167:
	global_load_dwordx2 v[12:13], v[10:11], off
	s_mov_b64 s[8:9], 0
	s_mov_b64 s[12:13], -1
	s_mov_b64 s[14:15], 0
	s_waitcnt vmcnt(0)
	v_cvt_f64_u32_e32 v[14:15], v13
	v_cvt_f64_u32_e32 v[12:13], v12
	v_ldexp_f64 v[14:15], v[14:15], 32
	v_add_f64 v[46:47], v[14:15], v[12:13]
	s_branch .LBB161_2170
.LBB161_2168:
	s_mov_b64 s[8:9], -1
                                        ; implicit-def: $vgpr46_vgpr47
.LBB161_2169:
	s_mov_b64 s[14:15], 0
.LBB161_2170:
	s_and_b64 vcc, exec, s[14:15]
	s_cbranch_vccz .LBB161_2188
; %bb.2171:
	v_mov_b32_e32 v5, 27
	v_cmp_lt_i16_sdwa s[12:13], s21, v5 src0_sel:BYTE_0 src1_sel:DWORD
	s_and_b64 vcc, exec, s[12:13]
	s_cbranch_vccnz .LBB161_2174
; %bb.2172:
	v_cmp_gt_i16_sdwa s[12:13], s21, v5 src0_sel:BYTE_0 src1_sel:DWORD
	s_and_b64 vcc, exec, s[12:13]
	s_cbranch_vccz .LBB161_2175
; %bb.2173:
	global_load_dword v5, v[10:11], off
	s_mov_b64 s[12:13], 0
	s_waitcnt vmcnt(0)
	v_cvt_f64_u32_e32 v[46:47], v5
	s_branch .LBB161_2176
.LBB161_2174:
	s_mov_b64 s[12:13], -1
                                        ; implicit-def: $vgpr46_vgpr47
	s_branch .LBB161_2179
.LBB161_2175:
	s_mov_b64 s[12:13], -1
                                        ; implicit-def: $vgpr46_vgpr47
.LBB161_2176:
	s_andn2_b64 vcc, exec, s[12:13]
	s_cbranch_vccnz .LBB161_2178
; %bb.2177:
	global_load_ushort v5, v[10:11], off
	s_waitcnt vmcnt(0)
	v_cvt_f64_u32_e32 v[46:47], v5
.LBB161_2178:
	s_mov_b64 s[12:13], 0
.LBB161_2179:
	s_andn2_b64 vcc, exec, s[12:13]
	s_cbranch_vccnz .LBB161_2187
; %bb.2180:
	global_load_ubyte v5, v[10:11], off
	s_movk_i32 s12, 0x7f
                                        ; implicit-def: $sgpr14_sgpr15
	s_waitcnt vmcnt(0)
	v_cmp_lt_i16_e32 vcc, s12, v5
	s_mov_b64 s[12:13], 0
	s_and_saveexec_b64 s[16:17], vcc
	s_xor_b64 s[16:17], exec, s[16:17]
	s_cbranch_execz .LBB161_2201
; %bb.2181:
	s_movk_i32 s12, 0x80
	v_cmp_eq_u16_e32 vcc, s12, v5
	s_mov_b64 s[18:19], -1
                                        ; implicit-def: $sgpr14_sgpr15
	s_and_saveexec_b64 s[12:13], vcc
; %bb.2182:
	s_mov_b32 s15, 0x7ff80000
	s_brev_b32 s14, 4
	s_xor_b64 s[18:19], exec, -1
; %bb.2183:
	s_or_b64 exec, exec, s[12:13]
	s_and_b64 s[12:13], s[18:19], exec
	s_or_saveexec_b64 s[16:17], s[16:17]
	v_pk_mov_b32 v[46:47], s[14:15], s[14:15] op_sel:[0,1]
	s_xor_b64 exec, exec, s[16:17]
	s_cbranch_execnz .LBB161_2202
.LBB161_2184:
	s_or_b64 exec, exec, s[16:17]
	s_and_saveexec_b64 s[14:15], s[12:13]
	s_cbranch_execz .LBB161_2186
.LBB161_2185:
	v_lshlrev_b32_e32 v7, 24, v5
	v_and_b32_e32 v5, 0xffff, v5
	v_and_b32_e32 v9, 7, v5
	v_ffbh_u32_e32 v13, v9
	v_min_u32_e32 v13, 32, v13
	v_subrev_u32_e32 v14, 28, v13
	v_bfe_u32 v12, v5, 3, 4
	v_lshlrev_b32_e32 v5, v14, v5
	v_sub_u32_e32 v13, 29, v13
	v_and_b32_e32 v5, 7, v5
	v_cmp_eq_u32_e32 vcc, 0, v12
	v_cndmask_b32_e32 v12, v12, v13, vcc
	v_cndmask_b32_e32 v5, v9, v5, vcc
	v_mov_b32_e32 v9, 0x3b800000
	v_lshlrev_b32_e32 v5, 20, v5
	v_and_b32_e32 v7, 0x80000000, v7
	v_lshl_add_u32 v9, v12, 23, v9
	v_or3_b32 v5, v7, v9, v5
	v_cvt_f64_f32_e32 v[46:47], v5
.LBB161_2186:
	s_or_b64 exec, exec, s[14:15]
.LBB161_2187:
	s_mov_b64 s[12:13], -1
.LBB161_2188:
	s_mov_b64 s[14:15], 0
.LBB161_2189:
	s_and_b64 vcc, exec, s[14:15]
	s_cbranch_vccz .LBB161_2222
; %bb.2190:
	v_mov_b32_e32 v5, 22
	v_cmp_gt_i16_sdwa s[10:11], s21, v5 src0_sel:BYTE_0 src1_sel:DWORD
	s_and_b64 vcc, exec, s[10:11]
	s_cbranch_vccz .LBB161_2200
; %bb.2191:
	v_mov_b32_e32 v5, 24
	v_cmp_lt_i16_sdwa s[10:11], s21, v5 src0_sel:BYTE_0 src1_sel:DWORD
	s_and_b64 vcc, exec, s[10:11]
	s_cbranch_vccnz .LBB161_2203
; %bb.2192:
	v_cmp_gt_i16_sdwa s[10:11], s21, v5 src0_sel:BYTE_0 src1_sel:DWORD
	s_and_b64 vcc, exec, s[10:11]
	s_cbranch_vccz .LBB161_2204
; %bb.2193:
	global_load_ubyte v5, v[10:11], off
	s_movk_i32 s10, 0x7f
                                        ; implicit-def: $sgpr12_sgpr13
	s_waitcnt vmcnt(0)
	v_cmp_lt_i16_e32 vcc, s10, v5
	s_mov_b64 s[10:11], 0
	s_and_saveexec_b64 s[14:15], vcc
	s_xor_b64 s[14:15], exec, s[14:15]
	s_cbranch_execz .LBB161_2216
; %bb.2194:
	s_movk_i32 s10, 0x80
	v_cmp_eq_u16_e32 vcc, s10, v5
	s_mov_b64 s[16:17], -1
                                        ; implicit-def: $sgpr12_sgpr13
	s_and_saveexec_b64 s[10:11], vcc
; %bb.2195:
	s_mov_b32 s13, 0x7ff80000
	s_brev_b32 s12, 4
	s_xor_b64 s[16:17], exec, -1
; %bb.2196:
	s_or_b64 exec, exec, s[10:11]
	s_and_b64 s[10:11], s[16:17], exec
	s_or_saveexec_b64 s[14:15], s[14:15]
	v_pk_mov_b32 v[46:47], s[12:13], s[12:13] op_sel:[0,1]
	s_xor_b64 exec, exec, s[14:15]
	s_cbranch_execnz .LBB161_2217
.LBB161_2197:
	s_or_b64 exec, exec, s[14:15]
	s_and_saveexec_b64 s[12:13], s[10:11]
	s_cbranch_execz .LBB161_2199
.LBB161_2198:
	v_lshlrev_b32_e32 v7, 24, v5
	v_and_b32_e32 v5, 0xffff, v5
	v_and_b32_e32 v9, 3, v5
	v_ffbh_u32_e32 v13, v9
	v_min_u32_e32 v13, 32, v13
	v_subrev_u32_e32 v14, 29, v13
	v_bfe_u32 v12, v5, 2, 5
	v_lshlrev_b32_e32 v5, v14, v5
	v_sub_u32_e32 v13, 30, v13
	v_and_b32_e32 v5, 3, v5
	v_cmp_eq_u32_e32 vcc, 0, v12
	v_cndmask_b32_e32 v12, v12, v13, vcc
	v_cndmask_b32_e32 v5, v9, v5, vcc
	v_mov_b32_e32 v9, 0x37800000
	v_lshlrev_b32_e32 v5, 21, v5
	v_and_b32_e32 v7, 0x80000000, v7
	v_lshl_add_u32 v9, v12, 23, v9
	v_or3_b32 v5, v7, v9, v5
	v_cvt_f64_f32_e32 v[46:47], v5
.LBB161_2199:
	s_or_b64 exec, exec, s[12:13]
	s_mov_b64 s[10:11], 0
	s_branch .LBB161_2205
.LBB161_2200:
	s_mov_b64 s[10:11], -1
                                        ; implicit-def: $vgpr46_vgpr47
	s_branch .LBB161_2211
.LBB161_2201:
	s_or_saveexec_b64 s[16:17], s[16:17]
	v_pk_mov_b32 v[46:47], s[14:15], s[14:15] op_sel:[0,1]
	s_xor_b64 exec, exec, s[16:17]
	s_cbranch_execz .LBB161_2184
.LBB161_2202:
	v_cmp_ne_u16_e32 vcc, 0, v5
	s_andn2_b64 s[12:13], s[12:13], exec
	s_and_b64 s[14:15], vcc, exec
	v_pk_mov_b32 v[46:47], 0, 0
	s_or_b64 s[12:13], s[12:13], s[14:15]
	s_or_b64 exec, exec, s[16:17]
	s_and_saveexec_b64 s[14:15], s[12:13]
	s_cbranch_execnz .LBB161_2185
	s_branch .LBB161_2186
.LBB161_2203:
	s_mov_b64 s[10:11], -1
                                        ; implicit-def: $vgpr46_vgpr47
	s_branch .LBB161_2208
.LBB161_2204:
	s_mov_b64 s[10:11], -1
                                        ; implicit-def: $vgpr46_vgpr47
.LBB161_2205:
	s_and_b64 vcc, exec, s[10:11]
	s_cbranch_vccz .LBB161_2207
; %bb.2206:
	global_load_ubyte v5, v[10:11], off
	s_mov_b32 s10, 0x7f800000
	s_waitcnt vmcnt(0)
	v_lshlrev_b32_e32 v5, 24, v5
	v_and_b32_e32 v7, 0x7f000000, v5
	v_ffbh_u32_e32 v9, v7
	v_min_u32_e32 v9, 32, v9
	v_sub_u32_e64 v9, v9, 4 clamp
	v_lshlrev_b32_e32 v13, v9, v7
	v_lshlrev_b32_e32 v9, 23, v9
	v_lshrrev_b32_e32 v13, 4, v13
	v_add_u32_e32 v12, 0x1000000, v7
	v_sub_u32_e32 v9, v13, v9
	v_ashrrev_i32_e32 v12, 8, v12
	v_add_u32_e32 v9, 0x3c000000, v9
	v_and_or_b32 v9, v12, s10, v9
	v_cmp_ne_u32_e32 vcc, 0, v7
	v_cndmask_b32_e32 v7, 0, v9, vcc
	s_brev_b32 s10, 1
	v_and_or_b32 v5, v5, s10, v7
	v_cvt_f64_f32_e32 v[46:47], v5
.LBB161_2207:
	s_mov_b64 s[10:11], 0
.LBB161_2208:
	s_andn2_b64 vcc, exec, s[10:11]
	s_cbranch_vccnz .LBB161_2210
; %bb.2209:
	global_load_ubyte v5, v[10:11], off
	s_movk_i32 s10, 0x7f00
	s_brev_b32 s11, 16
	s_waitcnt vmcnt(0)
	v_lshlrev_b16_e32 v7, 8, v5
	v_lshlrev_b32_e32 v5, 25, v5
	v_lshrrev_b32_e32 v9, 4, v5
	v_and_or_b32 v12, v7, s10, 0.5
	v_or_b32_e32 v9, 0x70000000, v9
	v_add_f32_e32 v12, -0.5, v12
	v_mul_f32_e32 v9, 0x7800000, v9
	v_cmp_gt_u32_e32 vcc, s11, v5
	v_bfe_i32 v7, v7, 0, 16
	v_cndmask_b32_e32 v5, v9, v12, vcc
	s_brev_b32 s10, 1
	v_and_or_b32 v5, v7, s10, v5
	v_cvt_f64_f32_e32 v[46:47], v5
.LBB161_2210:
	s_mov_b64 s[10:11], 0
	s_mov_b64 s[12:13], -1
.LBB161_2211:
	s_andn2_b64 vcc, exec, s[10:11]
	s_mov_b64 s[10:11], 0
	s_cbranch_vccnz .LBB161_2222
; %bb.2212:
	v_mov_b32_e32 v5, 14
	v_cmp_gt_i16_sdwa s[10:11], s21, v5 src0_sel:BYTE_0 src1_sel:DWORD
	s_and_b64 vcc, exec, s[10:11]
	s_cbranch_vccz .LBB161_2215
; %bb.2213:
	v_mov_b32_e32 v5, 15
	v_cmp_eq_u16_sdwa s[8:9], s21, v5 src0_sel:BYTE_0 src1_sel:DWORD
	s_and_b64 vcc, exec, s[8:9]
	s_cbranch_vccz .LBB161_2218
; %bb.2214:
	global_load_ushort v5, v[10:11], off
	s_mov_b64 s[8:9], 0
	s_mov_b64 s[12:13], -1
	s_waitcnt vmcnt(0)
	v_lshlrev_b32_e32 v5, 16, v5
	v_cvt_f64_f32_e32 v[46:47], v5
	s_branch .LBB161_2219
.LBB161_2215:
	s_mov_b64 s[14:15], -1
                                        ; implicit-def: $vgpr46_vgpr47
	s_branch .LBB161_2220
.LBB161_2216:
	s_or_saveexec_b64 s[14:15], s[14:15]
	v_pk_mov_b32 v[46:47], s[12:13], s[12:13] op_sel:[0,1]
	s_xor_b64 exec, exec, s[14:15]
	s_cbranch_execz .LBB161_2197
.LBB161_2217:
	v_cmp_ne_u16_e32 vcc, 0, v5
	s_andn2_b64 s[10:11], s[10:11], exec
	s_and_b64 s[12:13], vcc, exec
	v_pk_mov_b32 v[46:47], 0, 0
	s_or_b64 s[10:11], s[10:11], s[12:13]
	s_or_b64 exec, exec, s[14:15]
	s_and_saveexec_b64 s[12:13], s[10:11]
	s_cbranch_execnz .LBB161_2198
	s_branch .LBB161_2199
.LBB161_2218:
	s_mov_b64 s[8:9], -1
                                        ; implicit-def: $vgpr46_vgpr47
.LBB161_2219:
	s_mov_b64 s[14:15], 0
.LBB161_2220:
	s_mov_b64 s[10:11], 0
	s_and_b64 vcc, exec, s[14:15]
	s_cbranch_vccz .LBB161_2222
; %bb.2221:
	v_mov_b32_e32 v5, 11
	v_cmp_ne_u16_sdwa s[8:9], s21, v5 src0_sel:BYTE_0 src1_sel:DWORD
	s_mov_b64 s[10:11], -1
                                        ; implicit-def: $vgpr46_vgpr47
.LBB161_2222:
	s_and_b64 vcc, exec, s[8:9]
	s_cbranch_vccnz .LBB161_2287
; %bb.2223:
	s_andn2_b64 vcc, exec, s[10:11]
	s_cbranch_vccnz .LBB161_2225
.LBB161_2224:
	global_load_ubyte v5, v[10:11], off
	v_mov_b32_e32 v7, 0x3ff00000
	v_mov_b32_e32 v46, 0
	s_mov_b64 s[12:13], -1
	s_waitcnt vmcnt(0)
	v_cmp_ne_u16_e32 vcc, 0, v5
	v_cndmask_b32_e32 v47, 0, v7, vcc
.LBB161_2225:
	s_mov_b64 s[8:9], 0
.LBB161_2226:
	s_and_b64 vcc, exec, s[8:9]
	s_cbranch_vccz .LBB161_2275
; %bb.2227:
	v_mov_b32_e32 v5, 5
	v_cmp_lt_i16_sdwa s[8:9], s21, v5 src0_sel:BYTE_0 src1_sel:DWORD
	s_and_b64 vcc, exec, s[8:9]
	s_cbranch_vccnz .LBB161_2232
; %bb.2228:
	v_mov_b32_e32 v5, 8
	v_cmp_lt_i16_sdwa s[8:9], s21, v5 src0_sel:BYTE_0 src1_sel:DWORD
	s_and_b64 vcc, exec, s[8:9]
	s_cbranch_vccnz .LBB161_2233
; %bb.2229:
	v_mov_b32_e32 v5, 9
	v_cmp_lt_i16_sdwa s[8:9], s21, v5 src0_sel:BYTE_0 src1_sel:DWORD
	s_and_b64 vcc, exec, s[8:9]
	s_cbranch_vccnz .LBB161_2234
; %bb.2230:
	v_cmp_gt_i16_sdwa s[8:9], s21, v5 src0_sel:BYTE_0 src1_sel:DWORD
	s_and_b64 vcc, exec, s[8:9]
	s_cbranch_vccz .LBB161_2235
; %bb.2231:
	global_load_dwordx2 v[46:47], v[10:11], off
	s_mov_b64 s[8:9], 0
	s_branch .LBB161_2236
.LBB161_2232:
	s_mov_b64 s[8:9], -1
                                        ; implicit-def: $vgpr46_vgpr47
	s_branch .LBB161_2254
.LBB161_2233:
	s_mov_b64 s[8:9], -1
                                        ; implicit-def: $vgpr46_vgpr47
	s_branch .LBB161_2242
.LBB161_2234:
	s_mov_b64 s[8:9], -1
                                        ; implicit-def: $vgpr46_vgpr47
	s_branch .LBB161_2239
.LBB161_2235:
	s_mov_b64 s[8:9], -1
                                        ; implicit-def: $vgpr46_vgpr47
.LBB161_2236:
	s_andn2_b64 vcc, exec, s[8:9]
	s_cbranch_vccnz .LBB161_2238
; %bb.2237:
	global_load_dword v5, v[10:11], off
	s_waitcnt vmcnt(0)
	v_cvt_f64_f32_e32 v[46:47], v5
.LBB161_2238:
	s_mov_b64 s[8:9], 0
.LBB161_2239:
	s_andn2_b64 vcc, exec, s[8:9]
	s_cbranch_vccnz .LBB161_2241
; %bb.2240:
	global_load_dword v5, v[10:11], off
	s_waitcnt vmcnt(0)
	v_cvt_f32_f16_e32 v5, v5
	v_cvt_f64_f32_e32 v[46:47], v5
.LBB161_2241:
	s_mov_b64 s[8:9], 0
.LBB161_2242:
	s_andn2_b64 vcc, exec, s[8:9]
	s_cbranch_vccnz .LBB161_2253
; %bb.2243:
	v_mov_b32_e32 v5, 6
	v_cmp_lt_i16_sdwa s[8:9], s21, v5 src0_sel:BYTE_0 src1_sel:DWORD
	s_and_b64 vcc, exec, s[8:9]
	s_cbranch_vccnz .LBB161_2246
; %bb.2244:
	v_cmp_gt_i16_sdwa s[8:9], s21, v5 src0_sel:BYTE_0 src1_sel:DWORD
	s_and_b64 vcc, exec, s[8:9]
	s_cbranch_vccz .LBB161_2247
; %bb.2245:
	global_load_dwordx2 v[46:47], v[10:11], off
	s_mov_b64 s[8:9], 0
	s_branch .LBB161_2248
.LBB161_2246:
	s_mov_b64 s[8:9], -1
                                        ; implicit-def: $vgpr46_vgpr47
	s_branch .LBB161_2251
.LBB161_2247:
	s_mov_b64 s[8:9], -1
                                        ; implicit-def: $vgpr46_vgpr47
.LBB161_2248:
	s_andn2_b64 vcc, exec, s[8:9]
	s_cbranch_vccnz .LBB161_2250
; %bb.2249:
	global_load_dword v5, v[10:11], off
	s_waitcnt vmcnt(0)
	v_cvt_f64_f32_e32 v[46:47], v5
.LBB161_2250:
	s_mov_b64 s[8:9], 0
.LBB161_2251:
	s_andn2_b64 vcc, exec, s[8:9]
	s_cbranch_vccnz .LBB161_2253
; %bb.2252:
	global_load_ushort v5, v[10:11], off
	s_waitcnt vmcnt(0)
	v_cvt_f32_f16_e32 v5, v5
	v_cvt_f64_f32_e32 v[46:47], v5
.LBB161_2253:
	s_mov_b64 s[8:9], 0
.LBB161_2254:
	s_andn2_b64 vcc, exec, s[8:9]
	s_cbranch_vccnz .LBB161_2274
; %bb.2255:
	v_mov_b32_e32 v5, 2
	v_cmp_lt_i16_sdwa s[8:9], s21, v5 src0_sel:BYTE_0 src1_sel:DWORD
	s_and_b64 vcc, exec, s[8:9]
	s_cbranch_vccnz .LBB161_2259
; %bb.2256:
	v_mov_b32_e32 v5, 3
	v_cmp_lt_i16_sdwa s[8:9], s21, v5 src0_sel:BYTE_0 src1_sel:DWORD
	s_and_b64 vcc, exec, s[8:9]
	s_cbranch_vccnz .LBB161_2260
; %bb.2257:
	v_cmp_gt_i16_sdwa s[8:9], s21, v5 src0_sel:BYTE_0 src1_sel:DWORD
	s_and_b64 vcc, exec, s[8:9]
	s_cbranch_vccz .LBB161_2261
; %bb.2258:
	global_load_dwordx2 v[12:13], v[10:11], off
	s_mov_b64 s[8:9], 0
	s_waitcnt vmcnt(0)
	v_cvt_f64_i32_e32 v[14:15], v13
	v_cvt_f64_u32_e32 v[12:13], v12
	v_ldexp_f64 v[14:15], v[14:15], 32
	v_add_f64 v[46:47], v[14:15], v[12:13]
	s_branch .LBB161_2262
.LBB161_2259:
	s_mov_b64 s[8:9], -1
                                        ; implicit-def: $vgpr46_vgpr47
	s_branch .LBB161_2268
.LBB161_2260:
	s_mov_b64 s[8:9], -1
                                        ; implicit-def: $vgpr46_vgpr47
	s_branch .LBB161_2265
.LBB161_2261:
	s_mov_b64 s[8:9], -1
                                        ; implicit-def: $vgpr46_vgpr47
.LBB161_2262:
	s_andn2_b64 vcc, exec, s[8:9]
	s_cbranch_vccnz .LBB161_2264
; %bb.2263:
	global_load_dword v5, v[10:11], off
	s_waitcnt vmcnt(0)
	v_cvt_f64_i32_e32 v[46:47], v5
.LBB161_2264:
	s_mov_b64 s[8:9], 0
.LBB161_2265:
	s_andn2_b64 vcc, exec, s[8:9]
	s_cbranch_vccnz .LBB161_2267
; %bb.2266:
	global_load_sshort v5, v[10:11], off
	s_waitcnt vmcnt(0)
	v_cvt_f64_i32_e32 v[46:47], v5
.LBB161_2267:
	s_mov_b64 s[8:9], 0
.LBB161_2268:
	s_andn2_b64 vcc, exec, s[8:9]
	s_cbranch_vccnz .LBB161_2274
; %bb.2269:
	v_mov_b32_e32 v5, 0
	v_cmp_gt_i16_sdwa s[8:9], s21, v5 src0_sel:BYTE_0 src1_sel:DWORD
	s_and_b64 vcc, exec, s[8:9]
	s_cbranch_vccz .LBB161_2271
; %bb.2270:
	global_load_sbyte v5, v[10:11], off
	s_mov_b64 s[8:9], 0
	s_waitcnt vmcnt(0)
	v_cvt_f64_i32_e32 v[46:47], v5
	s_branch .LBB161_2272
.LBB161_2271:
	s_mov_b64 s[8:9], -1
                                        ; implicit-def: $vgpr46_vgpr47
.LBB161_2272:
	s_andn2_b64 vcc, exec, s[8:9]
	s_cbranch_vccnz .LBB161_2274
; %bb.2273:
	global_load_ubyte v5, v[10:11], off
	s_waitcnt vmcnt(0)
	v_cvt_f64_u32_e32 v[46:47], v5
.LBB161_2274:
	s_mov_b64 s[12:13], -1
.LBB161_2275:
	s_andn2_b64 vcc, exec, s[12:13]
	s_cbranch_vccnz .LBB161_3121
; %bb.2276:
	v_mov_b32_e32 v5, s5
	v_add_co_u32_e32 v8, vcc, s4, v8
	v_addc_co_u32_e32 v9, vcc, 0, v5, vcc
	s_and_b64 vcc, exec, s[6:7]
	s_cbranch_vccnz .LBB161_2283
; %bb.2277:
	v_cmp_gt_i16_e64 s[8:9], s22, 25
	s_mov_b64 s[10:11], 0
	s_and_b64 vcc, exec, s[8:9]
	s_cbranch_vccz .LBB161_2284
; %bb.2278:
	v_cmp_gt_i16_e64 s[8:9], s22, 28
	s_and_b64 vcc, exec, s[8:9]
	s_cbranch_vccz .LBB161_2285
; %bb.2279:
	v_cmp_gt_i16_e64 s[8:9], s22, 43
	;; [unrolled: 4-line block ×3, first 2 shown]
	s_and_b64 vcc, exec, s[8:9]
	s_cbranch_vccz .LBB161_2288
; %bb.2281:
	v_cmp_eq_u16_e64 s[8:9], s22, 46
	s_mov_b64 s[14:15], 0
	s_and_b64 vcc, exec, s[8:9]
	s_cbranch_vccz .LBB161_2291
; %bb.2282:
	global_load_dword v5, v[8:9], off
	s_mov_b64 s[8:9], 0
	s_mov_b64 s[12:13], -1
	s_waitcnt vmcnt(0)
	v_lshlrev_b32_e32 v5, 16, v5
	v_cvt_f64_f32_e32 v[56:57], v5
	s_branch .LBB161_2292
.LBB161_2283:
	s_mov_b64 s[8:9], -1
	s_mov_b64 s[12:13], 0
                                        ; implicit-def: $vgpr56_vgpr57
	s_branch .LBB161_2358
.LBB161_2284:
	s_mov_b64 s[14:15], -1
	s_mov_b64 s[12:13], 0
	s_mov_b64 s[8:9], 0
                                        ; implicit-def: $vgpr56_vgpr57
	s_branch .LBB161_2321
.LBB161_2285:
	s_mov_b64 s[14:15], -1
	s_mov_b64 s[12:13], 0
	s_mov_b64 s[8:9], 0
                                        ; implicit-def: $vgpr56_vgpr57
	s_branch .LBB161_2302
.LBB161_2286:
	s_mov_b64 s[14:15], -1
	s_mov_b64 s[12:13], 0
	s_mov_b64 s[8:9], 0
                                        ; implicit-def: $vgpr56_vgpr57
	s_branch .LBB161_2297
.LBB161_2287:
	s_trap 2
	s_or_b64 s[84:85], s[84:85], exec
                                        ; implicit-def: $vgpr46_vgpr47
	s_cbranch_execz .LBB161_2224
	s_branch .LBB161_2225
.LBB161_2288:
	s_mov_b64 s[14:15], -1
	s_mov_b64 s[12:13], 0
	s_mov_b64 s[8:9], 0
                                        ; implicit-def: $vgpr56_vgpr57
	s_branch .LBB161_2292
.LBB161_2289:
	s_or_saveexec_b64 s[12:13], s[12:13]
                                        ; implicit-def: $sgpr14
	s_xor_b64 exec, exec, s[12:13]
	s_cbranch_execz .LBB161_1118
.LBB161_2290:
	s_mov_b32 s14, 0x42800000
	v_add_f32_e64 v3, |v2|, s14
	v_and_b32_e32 v3, 0xff, v3
	v_cmp_ne_u32_e32 vcc, 0, v3
	s_andn2_b64 s[10:11], s[10:11], exec
	s_and_b64 s[16:17], vcc, exec
	s_mov_b32 s14, 0
	s_or_b64 s[10:11], s[10:11], s[16:17]
	s_or_b64 exec, exec, s[12:13]
	v_mov_b32_e32 v6, s14
	s_and_saveexec_b64 s[12:13], s[10:11]
	s_cbranch_execnz .LBB161_1119
	s_branch .LBB161_1120
.LBB161_2291:
	s_mov_b64 s[8:9], -1
                                        ; implicit-def: $vgpr56_vgpr57
	s_mov_b64 s[12:13], 0
.LBB161_2292:
	s_and_b64 vcc, exec, s[14:15]
	s_cbranch_vccz .LBB161_2296
; %bb.2293:
	v_cmp_eq_u16_e64 s[8:9], s22, 44
	s_and_b64 vcc, exec, s[8:9]
	s_cbranch_vccz .LBB161_2295
; %bb.2294:
	global_load_ubyte v5, v[8:9], off
	s_movk_i32 s12, 0xff
	v_bfrev_b32_e32 v7, 4
	v_mov_b32_e32 v12, 0x7ff80000
	v_bfrev_b32_e32 v13, 28
	s_mov_b64 s[8:9], 0
	s_waitcnt vmcnt(0)
	v_lshlrev_b32_e32 v10, 23, v5
	v_cvt_f64_f32_e32 v[10:11], v10
	v_cmp_ne_u32_e32 vcc, s12, v5
	v_cndmask_b32_e32 v7, v7, v10, vcc
	v_cndmask_b32_e32 v10, v12, v11, vcc
	v_cmp_ne_u32_e32 vcc, 0, v5
	v_cndmask_b32_e32 v57, v13, v10, vcc
	v_cndmask_b32_e32 v56, 0, v7, vcc
	s_mov_b64 s[12:13], -1
	s_branch .LBB161_2296
.LBB161_2295:
	s_mov_b64 s[8:9], -1
                                        ; implicit-def: $vgpr56_vgpr57
.LBB161_2296:
	s_mov_b64 s[14:15], 0
.LBB161_2297:
	s_and_b64 vcc, exec, s[14:15]
	s_cbranch_vccz .LBB161_2301
; %bb.2298:
	v_cmp_eq_u16_e64 s[8:9], s22, 29
	s_and_b64 vcc, exec, s[8:9]
	s_cbranch_vccz .LBB161_2300
; %bb.2299:
	global_load_dwordx2 v[10:11], v[8:9], off
	s_mov_b64 s[8:9], 0
	s_mov_b64 s[12:13], -1
	s_mov_b64 s[14:15], 0
	s_waitcnt vmcnt(0)
	v_cvt_f64_u32_e32 v[12:13], v11
	v_cvt_f64_u32_e32 v[10:11], v10
	v_ldexp_f64 v[12:13], v[12:13], 32
	v_add_f64 v[56:57], v[12:13], v[10:11]
	s_branch .LBB161_2302
.LBB161_2300:
	s_mov_b64 s[8:9], -1
                                        ; implicit-def: $vgpr56_vgpr57
.LBB161_2301:
	s_mov_b64 s[14:15], 0
.LBB161_2302:
	s_and_b64 vcc, exec, s[14:15]
	s_cbranch_vccz .LBB161_2320
; %bb.2303:
	v_cmp_lt_i16_e64 s[12:13], s22, 27
	s_and_b64 vcc, exec, s[12:13]
	s_cbranch_vccnz .LBB161_2306
; %bb.2304:
	v_cmp_gt_i16_e64 s[12:13], s22, 27
	s_and_b64 vcc, exec, s[12:13]
	s_cbranch_vccz .LBB161_2307
; %bb.2305:
	global_load_dword v5, v[8:9], off
	s_mov_b64 s[12:13], 0
	s_waitcnt vmcnt(0)
	v_cvt_f64_u32_e32 v[56:57], v5
	s_branch .LBB161_2308
.LBB161_2306:
	s_mov_b64 s[12:13], -1
                                        ; implicit-def: $vgpr56_vgpr57
	s_branch .LBB161_2311
.LBB161_2307:
	s_mov_b64 s[12:13], -1
                                        ; implicit-def: $vgpr56_vgpr57
.LBB161_2308:
	s_andn2_b64 vcc, exec, s[12:13]
	s_cbranch_vccnz .LBB161_2310
; %bb.2309:
	global_load_ushort v5, v[8:9], off
	s_waitcnt vmcnt(0)
	v_cvt_f64_u32_e32 v[56:57], v5
.LBB161_2310:
	s_mov_b64 s[12:13], 0
.LBB161_2311:
	s_andn2_b64 vcc, exec, s[12:13]
	s_cbranch_vccnz .LBB161_2319
; %bb.2312:
	global_load_ubyte v5, v[8:9], off
	s_movk_i32 s12, 0x7f
                                        ; implicit-def: $sgpr14_sgpr15
	s_waitcnt vmcnt(0)
	v_cmp_lt_i16_e32 vcc, s12, v5
	s_mov_b64 s[12:13], 0
	s_and_saveexec_b64 s[16:17], vcc
	s_xor_b64 s[16:17], exec, s[16:17]
	s_cbranch_execz .LBB161_2333
; %bb.2313:
	s_movk_i32 s12, 0x80
	v_cmp_eq_u16_e32 vcc, s12, v5
	s_mov_b64 s[18:19], -1
                                        ; implicit-def: $sgpr14_sgpr15
	s_and_saveexec_b64 s[12:13], vcc
; %bb.2314:
	s_mov_b32 s15, 0x7ff80000
	s_brev_b32 s14, 4
	s_xor_b64 s[18:19], exec, -1
; %bb.2315:
	s_or_b64 exec, exec, s[12:13]
	s_and_b64 s[12:13], s[18:19], exec
	s_or_saveexec_b64 s[16:17], s[16:17]
	v_pk_mov_b32 v[56:57], s[14:15], s[14:15] op_sel:[0,1]
	s_xor_b64 exec, exec, s[16:17]
	s_cbranch_execnz .LBB161_2334
.LBB161_2316:
	s_or_b64 exec, exec, s[16:17]
	s_and_saveexec_b64 s[14:15], s[12:13]
	s_cbranch_execz .LBB161_2318
.LBB161_2317:
	v_lshlrev_b32_e32 v7, 24, v5
	v_and_b32_e32 v5, 0xffff, v5
	v_and_b32_e32 v10, 7, v5
	v_ffbh_u32_e32 v12, v10
	v_min_u32_e32 v12, 32, v12
	v_subrev_u32_e32 v13, 28, v12
	v_bfe_u32 v11, v5, 3, 4
	v_lshlrev_b32_e32 v5, v13, v5
	v_sub_u32_e32 v12, 29, v12
	v_and_b32_e32 v5, 7, v5
	v_cmp_eq_u32_e32 vcc, 0, v11
	v_cndmask_b32_e32 v11, v11, v12, vcc
	v_cndmask_b32_e32 v5, v10, v5, vcc
	v_mov_b32_e32 v10, 0x3b800000
	v_lshlrev_b32_e32 v5, 20, v5
	v_and_b32_e32 v7, 0x80000000, v7
	v_lshl_add_u32 v10, v11, 23, v10
	v_or3_b32 v5, v7, v10, v5
	v_cvt_f64_f32_e32 v[56:57], v5
.LBB161_2318:
	s_or_b64 exec, exec, s[14:15]
.LBB161_2319:
	s_mov_b64 s[12:13], -1
.LBB161_2320:
	s_mov_b64 s[14:15], 0
.LBB161_2321:
	s_and_b64 vcc, exec, s[14:15]
	s_cbranch_vccz .LBB161_2354
; %bb.2322:
	v_cmp_gt_i16_e64 s[10:11], s22, 22
	s_and_b64 vcc, exec, s[10:11]
	s_cbranch_vccz .LBB161_2332
; %bb.2323:
	v_cmp_lt_i16_e64 s[10:11], s22, 24
	s_and_b64 vcc, exec, s[10:11]
	s_cbranch_vccnz .LBB161_2335
; %bb.2324:
	v_cmp_gt_i16_e64 s[10:11], s22, 24
	s_and_b64 vcc, exec, s[10:11]
	s_cbranch_vccz .LBB161_2336
; %bb.2325:
	global_load_ubyte v5, v[8:9], off
	s_movk_i32 s10, 0x7f
                                        ; implicit-def: $sgpr12_sgpr13
	s_waitcnt vmcnt(0)
	v_cmp_lt_i16_e32 vcc, s10, v5
	s_mov_b64 s[10:11], 0
	s_and_saveexec_b64 s[14:15], vcc
	s_xor_b64 s[14:15], exec, s[14:15]
	s_cbranch_execz .LBB161_2348
; %bb.2326:
	s_movk_i32 s10, 0x80
	v_cmp_eq_u16_e32 vcc, s10, v5
	s_mov_b64 s[16:17], -1
                                        ; implicit-def: $sgpr12_sgpr13
	s_and_saveexec_b64 s[10:11], vcc
; %bb.2327:
	s_mov_b32 s13, 0x7ff80000
	s_brev_b32 s12, 4
	s_xor_b64 s[16:17], exec, -1
; %bb.2328:
	s_or_b64 exec, exec, s[10:11]
	s_and_b64 s[10:11], s[16:17], exec
	s_or_saveexec_b64 s[14:15], s[14:15]
	v_pk_mov_b32 v[56:57], s[12:13], s[12:13] op_sel:[0,1]
	s_xor_b64 exec, exec, s[14:15]
	s_cbranch_execnz .LBB161_2349
.LBB161_2329:
	s_or_b64 exec, exec, s[14:15]
	s_and_saveexec_b64 s[12:13], s[10:11]
	s_cbranch_execz .LBB161_2331
.LBB161_2330:
	v_lshlrev_b32_e32 v7, 24, v5
	v_and_b32_e32 v5, 0xffff, v5
	v_and_b32_e32 v10, 3, v5
	v_ffbh_u32_e32 v12, v10
	v_min_u32_e32 v12, 32, v12
	v_subrev_u32_e32 v13, 29, v12
	v_bfe_u32 v11, v5, 2, 5
	v_lshlrev_b32_e32 v5, v13, v5
	v_sub_u32_e32 v12, 30, v12
	v_and_b32_e32 v5, 3, v5
	v_cmp_eq_u32_e32 vcc, 0, v11
	v_cndmask_b32_e32 v11, v11, v12, vcc
	v_cndmask_b32_e32 v5, v10, v5, vcc
	v_mov_b32_e32 v10, 0x37800000
	v_lshlrev_b32_e32 v5, 21, v5
	v_and_b32_e32 v7, 0x80000000, v7
	v_lshl_add_u32 v10, v11, 23, v10
	v_or3_b32 v5, v7, v10, v5
	v_cvt_f64_f32_e32 v[56:57], v5
.LBB161_2331:
	s_or_b64 exec, exec, s[12:13]
	s_mov_b64 s[10:11], 0
	s_branch .LBB161_2337
.LBB161_2332:
	s_mov_b64 s[10:11], -1
                                        ; implicit-def: $vgpr56_vgpr57
	s_branch .LBB161_2343
.LBB161_2333:
	s_or_saveexec_b64 s[16:17], s[16:17]
	v_pk_mov_b32 v[56:57], s[14:15], s[14:15] op_sel:[0,1]
	s_xor_b64 exec, exec, s[16:17]
	s_cbranch_execz .LBB161_2316
.LBB161_2334:
	v_cmp_ne_u16_e32 vcc, 0, v5
	s_andn2_b64 s[12:13], s[12:13], exec
	s_and_b64 s[14:15], vcc, exec
	v_pk_mov_b32 v[56:57], 0, 0
	s_or_b64 s[12:13], s[12:13], s[14:15]
	s_or_b64 exec, exec, s[16:17]
	s_and_saveexec_b64 s[14:15], s[12:13]
	s_cbranch_execnz .LBB161_2317
	s_branch .LBB161_2318
.LBB161_2335:
	s_mov_b64 s[10:11], -1
                                        ; implicit-def: $vgpr56_vgpr57
	s_branch .LBB161_2340
.LBB161_2336:
	s_mov_b64 s[10:11], -1
                                        ; implicit-def: $vgpr56_vgpr57
.LBB161_2337:
	s_and_b64 vcc, exec, s[10:11]
	s_cbranch_vccz .LBB161_2339
; %bb.2338:
	global_load_ubyte v5, v[8:9], off
	s_mov_b32 s10, 0x7f800000
	s_waitcnt vmcnt(0)
	v_lshlrev_b32_e32 v5, 24, v5
	v_and_b32_e32 v7, 0x7f000000, v5
	v_ffbh_u32_e32 v10, v7
	v_min_u32_e32 v10, 32, v10
	v_sub_u32_e64 v10, v10, 4 clamp
	v_lshlrev_b32_e32 v12, v10, v7
	v_lshlrev_b32_e32 v10, 23, v10
	v_lshrrev_b32_e32 v12, 4, v12
	v_add_u32_e32 v11, 0x1000000, v7
	v_sub_u32_e32 v10, v12, v10
	v_ashrrev_i32_e32 v11, 8, v11
	v_add_u32_e32 v10, 0x3c000000, v10
	v_and_or_b32 v10, v11, s10, v10
	v_cmp_ne_u32_e32 vcc, 0, v7
	v_cndmask_b32_e32 v7, 0, v10, vcc
	s_brev_b32 s10, 1
	v_and_or_b32 v5, v5, s10, v7
	v_cvt_f64_f32_e32 v[56:57], v5
.LBB161_2339:
	s_mov_b64 s[10:11], 0
.LBB161_2340:
	s_andn2_b64 vcc, exec, s[10:11]
	s_cbranch_vccnz .LBB161_2342
; %bb.2341:
	global_load_ubyte v5, v[8:9], off
	s_movk_i32 s10, 0x7f00
	s_brev_b32 s11, 16
	s_waitcnt vmcnt(0)
	v_lshlrev_b16_e32 v7, 8, v5
	v_lshlrev_b32_e32 v5, 25, v5
	v_lshrrev_b32_e32 v10, 4, v5
	v_and_or_b32 v11, v7, s10, 0.5
	v_or_b32_e32 v10, 0x70000000, v10
	v_add_f32_e32 v11, -0.5, v11
	v_mul_f32_e32 v10, 0x7800000, v10
	v_cmp_gt_u32_e32 vcc, s11, v5
	v_bfe_i32 v7, v7, 0, 16
	v_cndmask_b32_e32 v5, v10, v11, vcc
	s_brev_b32 s10, 1
	v_and_or_b32 v5, v7, s10, v5
	v_cvt_f64_f32_e32 v[56:57], v5
.LBB161_2342:
	s_mov_b64 s[10:11], 0
	s_mov_b64 s[12:13], -1
.LBB161_2343:
	s_andn2_b64 vcc, exec, s[10:11]
	s_mov_b64 s[10:11], 0
	s_cbranch_vccnz .LBB161_2354
; %bb.2344:
	v_cmp_gt_i16_e64 s[10:11], s22, 14
	s_and_b64 vcc, exec, s[10:11]
	s_cbranch_vccz .LBB161_2347
; %bb.2345:
	v_cmp_eq_u16_e64 s[8:9], s22, 15
	s_and_b64 vcc, exec, s[8:9]
	s_cbranch_vccz .LBB161_2350
; %bb.2346:
	global_load_ushort v5, v[8:9], off
	s_mov_b64 s[8:9], 0
	s_mov_b64 s[12:13], -1
	s_waitcnt vmcnt(0)
	v_lshlrev_b32_e32 v5, 16, v5
	v_cvt_f64_f32_e32 v[56:57], v5
	s_branch .LBB161_2351
.LBB161_2347:
	s_mov_b64 s[14:15], -1
                                        ; implicit-def: $vgpr56_vgpr57
	s_branch .LBB161_2352
.LBB161_2348:
	s_or_saveexec_b64 s[14:15], s[14:15]
	v_pk_mov_b32 v[56:57], s[12:13], s[12:13] op_sel:[0,1]
	s_xor_b64 exec, exec, s[14:15]
	s_cbranch_execz .LBB161_2329
.LBB161_2349:
	v_cmp_ne_u16_e32 vcc, 0, v5
	s_andn2_b64 s[10:11], s[10:11], exec
	s_and_b64 s[12:13], vcc, exec
	v_pk_mov_b32 v[56:57], 0, 0
	s_or_b64 s[10:11], s[10:11], s[12:13]
	s_or_b64 exec, exec, s[14:15]
	s_and_saveexec_b64 s[12:13], s[10:11]
	s_cbranch_execnz .LBB161_2330
	s_branch .LBB161_2331
.LBB161_2350:
	s_mov_b64 s[8:9], -1
                                        ; implicit-def: $vgpr56_vgpr57
.LBB161_2351:
	s_mov_b64 s[14:15], 0
.LBB161_2352:
	s_mov_b64 s[10:11], 0
	s_and_b64 vcc, exec, s[14:15]
	s_cbranch_vccz .LBB161_2354
; %bb.2353:
	v_cmp_ne_u16_e64 s[8:9], s22, 11
	s_mov_b64 s[10:11], -1
                                        ; implicit-def: $vgpr56_vgpr57
.LBB161_2354:
	s_and_b64 vcc, exec, s[8:9]
	s_cbranch_vccnz .LBB161_2419
; %bb.2355:
	s_andn2_b64 vcc, exec, s[10:11]
	s_cbranch_vccnz .LBB161_2357
.LBB161_2356:
	global_load_ubyte v5, v[8:9], off
	v_mov_b32_e32 v7, 0x3ff00000
	v_mov_b32_e32 v56, 0
	s_mov_b64 s[12:13], -1
	s_waitcnt vmcnt(0)
	v_cmp_ne_u16_e32 vcc, 0, v5
	v_cndmask_b32_e32 v57, 0, v7, vcc
.LBB161_2357:
	s_mov_b64 s[8:9], 0
.LBB161_2358:
	s_and_b64 vcc, exec, s[8:9]
	s_cbranch_vccz .LBB161_2407
; %bb.2359:
	v_cmp_lt_i16_e64 s[8:9], s22, 5
	s_and_b64 vcc, exec, s[8:9]
	s_cbranch_vccnz .LBB161_2364
; %bb.2360:
	v_cmp_lt_i16_e64 s[8:9], s22, 8
	s_and_b64 vcc, exec, s[8:9]
	s_cbranch_vccnz .LBB161_2365
	;; [unrolled: 4-line block ×3, first 2 shown]
; %bb.2362:
	v_cmp_gt_i16_e64 s[8:9], s22, 9
	s_and_b64 vcc, exec, s[8:9]
	s_cbranch_vccz .LBB161_2367
; %bb.2363:
	global_load_dwordx2 v[56:57], v[8:9], off
	s_mov_b64 s[8:9], 0
	s_branch .LBB161_2368
.LBB161_2364:
	s_mov_b64 s[8:9], -1
                                        ; implicit-def: $vgpr56_vgpr57
	s_branch .LBB161_2386
.LBB161_2365:
	s_mov_b64 s[8:9], -1
                                        ; implicit-def: $vgpr56_vgpr57
	s_branch .LBB161_2374
.LBB161_2366:
	s_mov_b64 s[8:9], -1
                                        ; implicit-def: $vgpr56_vgpr57
	s_branch .LBB161_2371
.LBB161_2367:
	s_mov_b64 s[8:9], -1
                                        ; implicit-def: $vgpr56_vgpr57
.LBB161_2368:
	s_andn2_b64 vcc, exec, s[8:9]
	s_cbranch_vccnz .LBB161_2370
; %bb.2369:
	global_load_dword v5, v[8:9], off
	s_waitcnt vmcnt(0)
	v_cvt_f64_f32_e32 v[56:57], v5
.LBB161_2370:
	s_mov_b64 s[8:9], 0
.LBB161_2371:
	s_andn2_b64 vcc, exec, s[8:9]
	s_cbranch_vccnz .LBB161_2373
; %bb.2372:
	global_load_dword v5, v[8:9], off
	s_waitcnt vmcnt(0)
	v_cvt_f32_f16_e32 v5, v5
	v_cvt_f64_f32_e32 v[56:57], v5
.LBB161_2373:
	s_mov_b64 s[8:9], 0
.LBB161_2374:
	s_andn2_b64 vcc, exec, s[8:9]
	s_cbranch_vccnz .LBB161_2385
; %bb.2375:
	v_cmp_lt_i16_e64 s[8:9], s22, 6
	s_and_b64 vcc, exec, s[8:9]
	s_cbranch_vccnz .LBB161_2378
; %bb.2376:
	v_cmp_gt_i16_e64 s[8:9], s22, 6
	s_and_b64 vcc, exec, s[8:9]
	s_cbranch_vccz .LBB161_2379
; %bb.2377:
	global_load_dwordx2 v[56:57], v[8:9], off
	s_mov_b64 s[8:9], 0
	s_branch .LBB161_2380
.LBB161_2378:
	s_mov_b64 s[8:9], -1
                                        ; implicit-def: $vgpr56_vgpr57
	s_branch .LBB161_2383
.LBB161_2379:
	s_mov_b64 s[8:9], -1
                                        ; implicit-def: $vgpr56_vgpr57
.LBB161_2380:
	s_andn2_b64 vcc, exec, s[8:9]
	s_cbranch_vccnz .LBB161_2382
; %bb.2381:
	global_load_dword v5, v[8:9], off
	s_waitcnt vmcnt(0)
	v_cvt_f64_f32_e32 v[56:57], v5
.LBB161_2382:
	s_mov_b64 s[8:9], 0
.LBB161_2383:
	s_andn2_b64 vcc, exec, s[8:9]
	s_cbranch_vccnz .LBB161_2385
; %bb.2384:
	global_load_ushort v5, v[8:9], off
	s_waitcnt vmcnt(0)
	v_cvt_f32_f16_e32 v5, v5
	v_cvt_f64_f32_e32 v[56:57], v5
.LBB161_2385:
	s_mov_b64 s[8:9], 0
.LBB161_2386:
	s_andn2_b64 vcc, exec, s[8:9]
	s_cbranch_vccnz .LBB161_2406
; %bb.2387:
	v_cmp_lt_i16_e64 s[8:9], s22, 2
	s_and_b64 vcc, exec, s[8:9]
	s_cbranch_vccnz .LBB161_2391
; %bb.2388:
	v_cmp_lt_i16_e64 s[8:9], s22, 3
	s_and_b64 vcc, exec, s[8:9]
	s_cbranch_vccnz .LBB161_2392
; %bb.2389:
	v_cmp_gt_i16_e64 s[8:9], s22, 3
	s_and_b64 vcc, exec, s[8:9]
	s_cbranch_vccz .LBB161_2393
; %bb.2390:
	global_load_dwordx2 v[10:11], v[8:9], off
	s_mov_b64 s[8:9], 0
	s_waitcnt vmcnt(0)
	v_cvt_f64_i32_e32 v[12:13], v11
	v_cvt_f64_u32_e32 v[10:11], v10
	v_ldexp_f64 v[12:13], v[12:13], 32
	v_add_f64 v[56:57], v[12:13], v[10:11]
	s_branch .LBB161_2394
.LBB161_2391:
	s_mov_b64 s[8:9], -1
                                        ; implicit-def: $vgpr56_vgpr57
	s_branch .LBB161_2400
.LBB161_2392:
	s_mov_b64 s[8:9], -1
                                        ; implicit-def: $vgpr56_vgpr57
	s_branch .LBB161_2397
.LBB161_2393:
	s_mov_b64 s[8:9], -1
                                        ; implicit-def: $vgpr56_vgpr57
.LBB161_2394:
	s_andn2_b64 vcc, exec, s[8:9]
	s_cbranch_vccnz .LBB161_2396
; %bb.2395:
	global_load_dword v5, v[8:9], off
	s_waitcnt vmcnt(0)
	v_cvt_f64_i32_e32 v[56:57], v5
.LBB161_2396:
	s_mov_b64 s[8:9], 0
.LBB161_2397:
	s_andn2_b64 vcc, exec, s[8:9]
	s_cbranch_vccnz .LBB161_2399
; %bb.2398:
	global_load_sshort v5, v[8:9], off
	s_waitcnt vmcnt(0)
	v_cvt_f64_i32_e32 v[56:57], v5
.LBB161_2399:
	s_mov_b64 s[8:9], 0
.LBB161_2400:
	s_andn2_b64 vcc, exec, s[8:9]
	s_cbranch_vccnz .LBB161_2406
; %bb.2401:
	v_cmp_gt_i16_e64 s[8:9], s22, 0
	s_and_b64 vcc, exec, s[8:9]
	s_cbranch_vccz .LBB161_2403
; %bb.2402:
	global_load_sbyte v5, v[8:9], off
	s_mov_b64 s[8:9], 0
	s_waitcnt vmcnt(0)
	v_cvt_f64_i32_e32 v[56:57], v5
	s_branch .LBB161_2404
.LBB161_2403:
	s_mov_b64 s[8:9], -1
                                        ; implicit-def: $vgpr56_vgpr57
.LBB161_2404:
	s_andn2_b64 vcc, exec, s[8:9]
	s_cbranch_vccnz .LBB161_2406
; %bb.2405:
	global_load_ubyte v5, v[8:9], off
	s_waitcnt vmcnt(0)
	v_cvt_f64_u32_e32 v[56:57], v5
.LBB161_2406:
	s_mov_b64 s[12:13], -1
.LBB161_2407:
	s_andn2_b64 vcc, exec, s[12:13]
	s_cbranch_vccnz .LBB161_3121
; %bb.2408:
	v_mov_b32_e32 v5, s79
	v_add_co_u32_e32 v6, vcc, s78, v6
	v_addc_co_u32_e32 v7, vcc, 0, v5, vcc
	v_mov_b32_e32 v5, 11
	v_cmp_lt_i16_sdwa s[8:9], s21, v5 src0_sel:BYTE_0 src1_sel:DWORD
	s_and_b64 vcc, exec, s[8:9]
	s_cbranch_vccnz .LBB161_2415
; %bb.2409:
	v_mov_b32_e32 v5, 25
	v_cmp_gt_i16_sdwa s[8:9], s21, v5 src0_sel:BYTE_0 src1_sel:DWORD
	s_mov_b64 s[10:11], 0
	s_and_b64 vcc, exec, s[8:9]
	s_cbranch_vccz .LBB161_2416
; %bb.2410:
	v_mov_b32_e32 v5, 28
	v_cmp_gt_i16_sdwa s[8:9], s21, v5 src0_sel:BYTE_0 src1_sel:DWORD
	s_and_b64 vcc, exec, s[8:9]
	s_cbranch_vccz .LBB161_2417
; %bb.2411:
	v_mov_b32_e32 v5, 43
	v_cmp_gt_i16_sdwa s[8:9], s21, v5 src0_sel:BYTE_0 src1_sel:DWORD
	;; [unrolled: 5-line block ×3, first 2 shown]
	s_and_b64 vcc, exec, s[8:9]
	s_cbranch_vccz .LBB161_2420
; %bb.2413:
	v_mov_b32_e32 v5, 46
	v_cmp_eq_u16_sdwa s[8:9], s21, v5 src0_sel:BYTE_0 src1_sel:DWORD
	s_mov_b64 s[14:15], 0
	s_and_b64 vcc, exec, s[8:9]
	s_cbranch_vccz .LBB161_2421
; %bb.2414:
	global_load_dword v5, v[6:7], off
	s_mov_b64 s[8:9], 0
	s_mov_b64 s[12:13], -1
	s_waitcnt vmcnt(0)
	v_lshlrev_b32_e32 v5, 16, v5
	v_cvt_f64_f32_e32 v[58:59], v5
	s_branch .LBB161_2422
.LBB161_2415:
	s_mov_b64 s[8:9], -1
	s_mov_b64 s[12:13], 0
                                        ; implicit-def: $vgpr58_vgpr59
	s_branch .LBB161_2488
.LBB161_2416:
	s_mov_b64 s[14:15], -1
	s_mov_b64 s[12:13], 0
	s_mov_b64 s[8:9], 0
                                        ; implicit-def: $vgpr58_vgpr59
	s_branch .LBB161_2451
.LBB161_2417:
	s_mov_b64 s[14:15], -1
	s_mov_b64 s[12:13], 0
	s_mov_b64 s[8:9], 0
                                        ; implicit-def: $vgpr58_vgpr59
	s_branch .LBB161_2432
.LBB161_2418:
	s_mov_b64 s[14:15], -1
	s_mov_b64 s[12:13], 0
	s_mov_b64 s[8:9], 0
                                        ; implicit-def: $vgpr58_vgpr59
	s_branch .LBB161_2427
.LBB161_2419:
	s_trap 2
	s_or_b64 s[84:85], s[84:85], exec
                                        ; implicit-def: $vgpr56_vgpr57
	s_cbranch_execz .LBB161_2356
	s_branch .LBB161_2357
.LBB161_2420:
	s_mov_b64 s[14:15], -1
	s_mov_b64 s[12:13], 0
	s_mov_b64 s[8:9], 0
                                        ; implicit-def: $vgpr58_vgpr59
	s_branch .LBB161_2422
.LBB161_2421:
	s_mov_b64 s[8:9], -1
                                        ; implicit-def: $vgpr58_vgpr59
	s_mov_b64 s[12:13], 0
.LBB161_2422:
	s_and_b64 vcc, exec, s[14:15]
	s_cbranch_vccz .LBB161_2426
; %bb.2423:
	v_mov_b32_e32 v5, 44
	v_cmp_eq_u16_sdwa s[8:9], s21, v5 src0_sel:BYTE_0 src1_sel:DWORD
	s_and_b64 vcc, exec, s[8:9]
	s_cbranch_vccz .LBB161_2425
; %bb.2424:
	global_load_ubyte v5, v[6:7], off
	s_movk_i32 s12, 0xff
	v_bfrev_b32_e32 v10, 4
	v_mov_b32_e32 v11, 0x7ff80000
	v_bfrev_b32_e32 v12, 28
	s_mov_b64 s[8:9], 0
	s_waitcnt vmcnt(0)
	v_lshlrev_b32_e32 v8, 23, v5
	v_cvt_f64_f32_e32 v[8:9], v8
	v_cmp_ne_u32_e32 vcc, s12, v5
	v_cndmask_b32_e32 v8, v10, v8, vcc
	v_cndmask_b32_e32 v9, v11, v9, vcc
	v_cmp_ne_u32_e32 vcc, 0, v5
	v_cndmask_b32_e32 v59, v12, v9, vcc
	v_cndmask_b32_e32 v58, 0, v8, vcc
	s_mov_b64 s[12:13], -1
	s_branch .LBB161_2426
.LBB161_2425:
	s_mov_b64 s[8:9], -1
                                        ; implicit-def: $vgpr58_vgpr59
.LBB161_2426:
	s_mov_b64 s[14:15], 0
.LBB161_2427:
	s_and_b64 vcc, exec, s[14:15]
	s_cbranch_vccz .LBB161_2431
; %bb.2428:
	v_mov_b32_e32 v5, 29
	v_cmp_eq_u16_sdwa s[8:9], s21, v5 src0_sel:BYTE_0 src1_sel:DWORD
	s_and_b64 vcc, exec, s[8:9]
	s_cbranch_vccz .LBB161_2430
; %bb.2429:
	global_load_dwordx2 v[8:9], v[6:7], off
	s_mov_b64 s[8:9], 0
	s_mov_b64 s[12:13], -1
	s_mov_b64 s[14:15], 0
	s_waitcnt vmcnt(0)
	v_cvt_f64_u32_e32 v[10:11], v9
	v_cvt_f64_u32_e32 v[8:9], v8
	v_ldexp_f64 v[10:11], v[10:11], 32
	v_add_f64 v[58:59], v[10:11], v[8:9]
	s_branch .LBB161_2432
.LBB161_2430:
	s_mov_b64 s[8:9], -1
                                        ; implicit-def: $vgpr58_vgpr59
.LBB161_2431:
	s_mov_b64 s[14:15], 0
.LBB161_2432:
	s_and_b64 vcc, exec, s[14:15]
	s_cbranch_vccz .LBB161_2450
; %bb.2433:
	v_mov_b32_e32 v5, 27
	v_cmp_lt_i16_sdwa s[12:13], s21, v5 src0_sel:BYTE_0 src1_sel:DWORD
	s_and_b64 vcc, exec, s[12:13]
	s_cbranch_vccnz .LBB161_2436
; %bb.2434:
	v_cmp_gt_i16_sdwa s[12:13], s21, v5 src0_sel:BYTE_0 src1_sel:DWORD
	s_and_b64 vcc, exec, s[12:13]
	s_cbranch_vccz .LBB161_2437
; %bb.2435:
	global_load_dword v5, v[6:7], off
	s_mov_b64 s[12:13], 0
	s_waitcnt vmcnt(0)
	v_cvt_f64_u32_e32 v[58:59], v5
	s_branch .LBB161_2438
.LBB161_2436:
	s_mov_b64 s[12:13], -1
                                        ; implicit-def: $vgpr58_vgpr59
	s_branch .LBB161_2441
.LBB161_2437:
	s_mov_b64 s[12:13], -1
                                        ; implicit-def: $vgpr58_vgpr59
.LBB161_2438:
	s_andn2_b64 vcc, exec, s[12:13]
	s_cbranch_vccnz .LBB161_2440
; %bb.2439:
	global_load_ushort v5, v[6:7], off
	s_waitcnt vmcnt(0)
	v_cvt_f64_u32_e32 v[58:59], v5
.LBB161_2440:
	s_mov_b64 s[12:13], 0
.LBB161_2441:
	s_andn2_b64 vcc, exec, s[12:13]
	s_cbranch_vccnz .LBB161_2449
; %bb.2442:
	global_load_ubyte v5, v[6:7], off
	s_movk_i32 s12, 0x7f
                                        ; implicit-def: $sgpr14_sgpr15
	s_waitcnt vmcnt(0)
	v_cmp_lt_i16_e32 vcc, s12, v5
	s_mov_b64 s[12:13], 0
	s_and_saveexec_b64 s[16:17], vcc
	s_xor_b64 s[16:17], exec, s[16:17]
	s_cbranch_execz .LBB161_2463
; %bb.2443:
	s_movk_i32 s12, 0x80
	v_cmp_eq_u16_e32 vcc, s12, v5
	s_mov_b64 s[18:19], -1
                                        ; implicit-def: $sgpr14_sgpr15
	s_and_saveexec_b64 s[12:13], vcc
; %bb.2444:
	s_mov_b32 s15, 0x7ff80000
	s_brev_b32 s14, 4
	s_xor_b64 s[18:19], exec, -1
; %bb.2445:
	s_or_b64 exec, exec, s[12:13]
	s_and_b64 s[12:13], s[18:19], exec
	s_or_saveexec_b64 s[16:17], s[16:17]
	v_pk_mov_b32 v[58:59], s[14:15], s[14:15] op_sel:[0,1]
	s_xor_b64 exec, exec, s[16:17]
	s_cbranch_execnz .LBB161_2464
.LBB161_2446:
	s_or_b64 exec, exec, s[16:17]
	s_and_saveexec_b64 s[14:15], s[12:13]
	s_cbranch_execz .LBB161_2448
.LBB161_2447:
	v_lshlrev_b32_e32 v8, 24, v5
	v_and_b32_e32 v5, 0xffff, v5
	v_and_b32_e32 v9, 7, v5
	v_ffbh_u32_e32 v11, v9
	v_min_u32_e32 v11, 32, v11
	v_subrev_u32_e32 v12, 28, v11
	v_bfe_u32 v10, v5, 3, 4
	v_lshlrev_b32_e32 v5, v12, v5
	v_sub_u32_e32 v11, 29, v11
	v_and_b32_e32 v5, 7, v5
	v_cmp_eq_u32_e32 vcc, 0, v10
	v_cndmask_b32_e32 v10, v10, v11, vcc
	v_cndmask_b32_e32 v5, v9, v5, vcc
	v_mov_b32_e32 v9, 0x3b800000
	v_lshlrev_b32_e32 v5, 20, v5
	v_and_b32_e32 v8, 0x80000000, v8
	v_lshl_add_u32 v9, v10, 23, v9
	v_or3_b32 v5, v8, v9, v5
	v_cvt_f64_f32_e32 v[58:59], v5
.LBB161_2448:
	s_or_b64 exec, exec, s[14:15]
.LBB161_2449:
	s_mov_b64 s[12:13], -1
.LBB161_2450:
	s_mov_b64 s[14:15], 0
.LBB161_2451:
	s_and_b64 vcc, exec, s[14:15]
	s_cbranch_vccz .LBB161_2484
; %bb.2452:
	v_mov_b32_e32 v5, 22
	v_cmp_gt_i16_sdwa s[10:11], s21, v5 src0_sel:BYTE_0 src1_sel:DWORD
	s_and_b64 vcc, exec, s[10:11]
	s_cbranch_vccz .LBB161_2462
; %bb.2453:
	v_mov_b32_e32 v5, 24
	v_cmp_lt_i16_sdwa s[10:11], s21, v5 src0_sel:BYTE_0 src1_sel:DWORD
	s_and_b64 vcc, exec, s[10:11]
	s_cbranch_vccnz .LBB161_2465
; %bb.2454:
	v_cmp_gt_i16_sdwa s[10:11], s21, v5 src0_sel:BYTE_0 src1_sel:DWORD
	s_and_b64 vcc, exec, s[10:11]
	s_cbranch_vccz .LBB161_2466
; %bb.2455:
	global_load_ubyte v5, v[6:7], off
	s_movk_i32 s10, 0x7f
                                        ; implicit-def: $sgpr12_sgpr13
	s_waitcnt vmcnt(0)
	v_cmp_lt_i16_e32 vcc, s10, v5
	s_mov_b64 s[10:11], 0
	s_and_saveexec_b64 s[14:15], vcc
	s_xor_b64 s[14:15], exec, s[14:15]
	s_cbranch_execz .LBB161_2478
; %bb.2456:
	s_movk_i32 s10, 0x80
	v_cmp_eq_u16_e32 vcc, s10, v5
	s_mov_b64 s[16:17], -1
                                        ; implicit-def: $sgpr12_sgpr13
	s_and_saveexec_b64 s[10:11], vcc
; %bb.2457:
	s_mov_b32 s13, 0x7ff80000
	s_brev_b32 s12, 4
	s_xor_b64 s[16:17], exec, -1
; %bb.2458:
	s_or_b64 exec, exec, s[10:11]
	s_and_b64 s[10:11], s[16:17], exec
	s_or_saveexec_b64 s[14:15], s[14:15]
	v_pk_mov_b32 v[58:59], s[12:13], s[12:13] op_sel:[0,1]
	s_xor_b64 exec, exec, s[14:15]
	s_cbranch_execnz .LBB161_2479
.LBB161_2459:
	s_or_b64 exec, exec, s[14:15]
	s_and_saveexec_b64 s[12:13], s[10:11]
	s_cbranch_execz .LBB161_2461
.LBB161_2460:
	v_lshlrev_b32_e32 v8, 24, v5
	v_and_b32_e32 v5, 0xffff, v5
	v_and_b32_e32 v9, 3, v5
	v_ffbh_u32_e32 v11, v9
	v_min_u32_e32 v11, 32, v11
	v_subrev_u32_e32 v12, 29, v11
	v_bfe_u32 v10, v5, 2, 5
	v_lshlrev_b32_e32 v5, v12, v5
	v_sub_u32_e32 v11, 30, v11
	v_and_b32_e32 v5, 3, v5
	v_cmp_eq_u32_e32 vcc, 0, v10
	v_cndmask_b32_e32 v10, v10, v11, vcc
	v_cndmask_b32_e32 v5, v9, v5, vcc
	v_mov_b32_e32 v9, 0x37800000
	v_lshlrev_b32_e32 v5, 21, v5
	v_and_b32_e32 v8, 0x80000000, v8
	v_lshl_add_u32 v9, v10, 23, v9
	v_or3_b32 v5, v8, v9, v5
	v_cvt_f64_f32_e32 v[58:59], v5
.LBB161_2461:
	s_or_b64 exec, exec, s[12:13]
	s_mov_b64 s[10:11], 0
	s_branch .LBB161_2467
.LBB161_2462:
	s_mov_b64 s[10:11], -1
                                        ; implicit-def: $vgpr58_vgpr59
	s_branch .LBB161_2473
.LBB161_2463:
	s_or_saveexec_b64 s[16:17], s[16:17]
	v_pk_mov_b32 v[58:59], s[14:15], s[14:15] op_sel:[0,1]
	s_xor_b64 exec, exec, s[16:17]
	s_cbranch_execz .LBB161_2446
.LBB161_2464:
	v_cmp_ne_u16_e32 vcc, 0, v5
	s_andn2_b64 s[12:13], s[12:13], exec
	s_and_b64 s[14:15], vcc, exec
	v_pk_mov_b32 v[58:59], 0, 0
	s_or_b64 s[12:13], s[12:13], s[14:15]
	s_or_b64 exec, exec, s[16:17]
	s_and_saveexec_b64 s[14:15], s[12:13]
	s_cbranch_execnz .LBB161_2447
	s_branch .LBB161_2448
.LBB161_2465:
	s_mov_b64 s[10:11], -1
                                        ; implicit-def: $vgpr58_vgpr59
	s_branch .LBB161_2470
.LBB161_2466:
	s_mov_b64 s[10:11], -1
                                        ; implicit-def: $vgpr58_vgpr59
.LBB161_2467:
	s_and_b64 vcc, exec, s[10:11]
	s_cbranch_vccz .LBB161_2469
; %bb.2468:
	global_load_ubyte v5, v[6:7], off
	s_mov_b32 s10, 0x7f800000
	s_waitcnt vmcnt(0)
	v_lshlrev_b32_e32 v5, 24, v5
	v_and_b32_e32 v8, 0x7f000000, v5
	v_ffbh_u32_e32 v9, v8
	v_min_u32_e32 v9, 32, v9
	v_sub_u32_e64 v9, v9, 4 clamp
	v_lshlrev_b32_e32 v11, v9, v8
	v_lshlrev_b32_e32 v9, 23, v9
	v_lshrrev_b32_e32 v11, 4, v11
	v_add_u32_e32 v10, 0x1000000, v8
	v_sub_u32_e32 v9, v11, v9
	v_ashrrev_i32_e32 v10, 8, v10
	v_add_u32_e32 v9, 0x3c000000, v9
	v_and_or_b32 v9, v10, s10, v9
	v_cmp_ne_u32_e32 vcc, 0, v8
	v_cndmask_b32_e32 v8, 0, v9, vcc
	s_brev_b32 s10, 1
	v_and_or_b32 v5, v5, s10, v8
	v_cvt_f64_f32_e32 v[58:59], v5
.LBB161_2469:
	s_mov_b64 s[10:11], 0
.LBB161_2470:
	s_andn2_b64 vcc, exec, s[10:11]
	s_cbranch_vccnz .LBB161_2472
; %bb.2471:
	global_load_ubyte v5, v[6:7], off
	s_movk_i32 s10, 0x7f00
	s_brev_b32 s11, 16
	s_waitcnt vmcnt(0)
	v_lshlrev_b16_e32 v8, 8, v5
	v_lshlrev_b32_e32 v5, 25, v5
	v_lshrrev_b32_e32 v9, 4, v5
	v_and_or_b32 v10, v8, s10, 0.5
	v_or_b32_e32 v9, 0x70000000, v9
	v_add_f32_e32 v10, -0.5, v10
	v_mul_f32_e32 v9, 0x7800000, v9
	v_cmp_gt_u32_e32 vcc, s11, v5
	v_bfe_i32 v8, v8, 0, 16
	v_cndmask_b32_e32 v5, v9, v10, vcc
	s_brev_b32 s10, 1
	v_and_or_b32 v5, v8, s10, v5
	v_cvt_f64_f32_e32 v[58:59], v5
.LBB161_2472:
	s_mov_b64 s[10:11], 0
	s_mov_b64 s[12:13], -1
.LBB161_2473:
	s_andn2_b64 vcc, exec, s[10:11]
	s_mov_b64 s[10:11], 0
	s_cbranch_vccnz .LBB161_2484
; %bb.2474:
	v_mov_b32_e32 v5, 14
	v_cmp_gt_i16_sdwa s[10:11], s21, v5 src0_sel:BYTE_0 src1_sel:DWORD
	s_and_b64 vcc, exec, s[10:11]
	s_cbranch_vccz .LBB161_2477
; %bb.2475:
	v_mov_b32_e32 v5, 15
	v_cmp_eq_u16_sdwa s[8:9], s21, v5 src0_sel:BYTE_0 src1_sel:DWORD
	s_and_b64 vcc, exec, s[8:9]
	s_cbranch_vccz .LBB161_2480
; %bb.2476:
	global_load_ushort v5, v[6:7], off
	s_mov_b64 s[8:9], 0
	s_mov_b64 s[12:13], -1
	s_waitcnt vmcnt(0)
	v_lshlrev_b32_e32 v5, 16, v5
	v_cvt_f64_f32_e32 v[58:59], v5
	s_branch .LBB161_2481
.LBB161_2477:
	s_mov_b64 s[14:15], -1
                                        ; implicit-def: $vgpr58_vgpr59
	s_branch .LBB161_2482
.LBB161_2478:
	s_or_saveexec_b64 s[14:15], s[14:15]
	v_pk_mov_b32 v[58:59], s[12:13], s[12:13] op_sel:[0,1]
	s_xor_b64 exec, exec, s[14:15]
	s_cbranch_execz .LBB161_2459
.LBB161_2479:
	v_cmp_ne_u16_e32 vcc, 0, v5
	s_andn2_b64 s[10:11], s[10:11], exec
	s_and_b64 s[12:13], vcc, exec
	v_pk_mov_b32 v[58:59], 0, 0
	s_or_b64 s[10:11], s[10:11], s[12:13]
	s_or_b64 exec, exec, s[14:15]
	s_and_saveexec_b64 s[12:13], s[10:11]
	s_cbranch_execnz .LBB161_2460
	s_branch .LBB161_2461
.LBB161_2480:
	s_mov_b64 s[8:9], -1
                                        ; implicit-def: $vgpr58_vgpr59
.LBB161_2481:
	s_mov_b64 s[14:15], 0
.LBB161_2482:
	s_mov_b64 s[10:11], 0
	s_and_b64 vcc, exec, s[14:15]
	s_cbranch_vccz .LBB161_2484
; %bb.2483:
	v_mov_b32_e32 v5, 11
	v_cmp_ne_u16_sdwa s[8:9], s21, v5 src0_sel:BYTE_0 src1_sel:DWORD
	s_mov_b64 s[10:11], -1
                                        ; implicit-def: $vgpr58_vgpr59
.LBB161_2484:
	s_and_b64 vcc, exec, s[8:9]
	s_cbranch_vccnz .LBB161_2549
; %bb.2485:
	s_andn2_b64 vcc, exec, s[10:11]
	s_cbranch_vccnz .LBB161_2487
.LBB161_2486:
	global_load_ubyte v5, v[6:7], off
	v_mov_b32_e32 v8, 0x3ff00000
	v_mov_b32_e32 v58, 0
	s_mov_b64 s[12:13], -1
	s_waitcnt vmcnt(0)
	v_cmp_ne_u16_e32 vcc, 0, v5
	v_cndmask_b32_e32 v59, 0, v8, vcc
.LBB161_2487:
	s_mov_b64 s[8:9], 0
.LBB161_2488:
	s_and_b64 vcc, exec, s[8:9]
	s_cbranch_vccz .LBB161_2537
; %bb.2489:
	v_mov_b32_e32 v5, 5
	v_cmp_lt_i16_sdwa s[8:9], s21, v5 src0_sel:BYTE_0 src1_sel:DWORD
	s_and_b64 vcc, exec, s[8:9]
	s_cbranch_vccnz .LBB161_2494
; %bb.2490:
	v_mov_b32_e32 v5, 8
	v_cmp_lt_i16_sdwa s[8:9], s21, v5 src0_sel:BYTE_0 src1_sel:DWORD
	s_and_b64 vcc, exec, s[8:9]
	s_cbranch_vccnz .LBB161_2495
	;; [unrolled: 5-line block ×3, first 2 shown]
; %bb.2492:
	v_cmp_gt_i16_sdwa s[8:9], s21, v5 src0_sel:BYTE_0 src1_sel:DWORD
	s_and_b64 vcc, exec, s[8:9]
	s_cbranch_vccz .LBB161_2497
; %bb.2493:
	global_load_dwordx2 v[58:59], v[6:7], off
	s_mov_b64 s[8:9], 0
	s_branch .LBB161_2498
.LBB161_2494:
	s_mov_b64 s[8:9], -1
                                        ; implicit-def: $vgpr58_vgpr59
	s_branch .LBB161_2516
.LBB161_2495:
	s_mov_b64 s[8:9], -1
                                        ; implicit-def: $vgpr58_vgpr59
	s_branch .LBB161_2504
.LBB161_2496:
	s_mov_b64 s[8:9], -1
                                        ; implicit-def: $vgpr58_vgpr59
	s_branch .LBB161_2501
.LBB161_2497:
	s_mov_b64 s[8:9], -1
                                        ; implicit-def: $vgpr58_vgpr59
.LBB161_2498:
	s_andn2_b64 vcc, exec, s[8:9]
	s_cbranch_vccnz .LBB161_2500
; %bb.2499:
	global_load_dword v5, v[6:7], off
	s_waitcnt vmcnt(0)
	v_cvt_f64_f32_e32 v[58:59], v5
.LBB161_2500:
	s_mov_b64 s[8:9], 0
.LBB161_2501:
	s_andn2_b64 vcc, exec, s[8:9]
	s_cbranch_vccnz .LBB161_2503
; %bb.2502:
	global_load_dword v5, v[6:7], off
	s_waitcnt vmcnt(0)
	v_cvt_f32_f16_e32 v5, v5
	v_cvt_f64_f32_e32 v[58:59], v5
.LBB161_2503:
	s_mov_b64 s[8:9], 0
.LBB161_2504:
	s_andn2_b64 vcc, exec, s[8:9]
	s_cbranch_vccnz .LBB161_2515
; %bb.2505:
	v_mov_b32_e32 v5, 6
	v_cmp_lt_i16_sdwa s[8:9], s21, v5 src0_sel:BYTE_0 src1_sel:DWORD
	s_and_b64 vcc, exec, s[8:9]
	s_cbranch_vccnz .LBB161_2508
; %bb.2506:
	v_cmp_gt_i16_sdwa s[8:9], s21, v5 src0_sel:BYTE_0 src1_sel:DWORD
	s_and_b64 vcc, exec, s[8:9]
	s_cbranch_vccz .LBB161_2509
; %bb.2507:
	global_load_dwordx2 v[58:59], v[6:7], off
	s_mov_b64 s[8:9], 0
	s_branch .LBB161_2510
.LBB161_2508:
	s_mov_b64 s[8:9], -1
                                        ; implicit-def: $vgpr58_vgpr59
	s_branch .LBB161_2513
.LBB161_2509:
	s_mov_b64 s[8:9], -1
                                        ; implicit-def: $vgpr58_vgpr59
.LBB161_2510:
	s_andn2_b64 vcc, exec, s[8:9]
	s_cbranch_vccnz .LBB161_2512
; %bb.2511:
	global_load_dword v5, v[6:7], off
	s_waitcnt vmcnt(0)
	v_cvt_f64_f32_e32 v[58:59], v5
.LBB161_2512:
	s_mov_b64 s[8:9], 0
.LBB161_2513:
	s_andn2_b64 vcc, exec, s[8:9]
	s_cbranch_vccnz .LBB161_2515
; %bb.2514:
	global_load_ushort v5, v[6:7], off
	s_waitcnt vmcnt(0)
	v_cvt_f32_f16_e32 v5, v5
	v_cvt_f64_f32_e32 v[58:59], v5
.LBB161_2515:
	s_mov_b64 s[8:9], 0
.LBB161_2516:
	s_andn2_b64 vcc, exec, s[8:9]
	s_cbranch_vccnz .LBB161_2536
; %bb.2517:
	v_mov_b32_e32 v5, 2
	v_cmp_lt_i16_sdwa s[8:9], s21, v5 src0_sel:BYTE_0 src1_sel:DWORD
	s_and_b64 vcc, exec, s[8:9]
	s_cbranch_vccnz .LBB161_2521
; %bb.2518:
	v_mov_b32_e32 v5, 3
	v_cmp_lt_i16_sdwa s[8:9], s21, v5 src0_sel:BYTE_0 src1_sel:DWORD
	s_and_b64 vcc, exec, s[8:9]
	s_cbranch_vccnz .LBB161_2522
; %bb.2519:
	v_cmp_gt_i16_sdwa s[8:9], s21, v5 src0_sel:BYTE_0 src1_sel:DWORD
	s_and_b64 vcc, exec, s[8:9]
	s_cbranch_vccz .LBB161_2523
; %bb.2520:
	global_load_dwordx2 v[8:9], v[6:7], off
	s_mov_b64 s[8:9], 0
	s_waitcnt vmcnt(0)
	v_cvt_f64_i32_e32 v[10:11], v9
	v_cvt_f64_u32_e32 v[8:9], v8
	v_ldexp_f64 v[10:11], v[10:11], 32
	v_add_f64 v[58:59], v[10:11], v[8:9]
	s_branch .LBB161_2524
.LBB161_2521:
	s_mov_b64 s[8:9], -1
                                        ; implicit-def: $vgpr58_vgpr59
	s_branch .LBB161_2530
.LBB161_2522:
	s_mov_b64 s[8:9], -1
                                        ; implicit-def: $vgpr58_vgpr59
	s_branch .LBB161_2527
.LBB161_2523:
	s_mov_b64 s[8:9], -1
                                        ; implicit-def: $vgpr58_vgpr59
.LBB161_2524:
	s_andn2_b64 vcc, exec, s[8:9]
	s_cbranch_vccnz .LBB161_2526
; %bb.2525:
	global_load_dword v5, v[6:7], off
	s_waitcnt vmcnt(0)
	v_cvt_f64_i32_e32 v[58:59], v5
.LBB161_2526:
	s_mov_b64 s[8:9], 0
.LBB161_2527:
	s_andn2_b64 vcc, exec, s[8:9]
	s_cbranch_vccnz .LBB161_2529
; %bb.2528:
	global_load_sshort v5, v[6:7], off
	s_waitcnt vmcnt(0)
	v_cvt_f64_i32_e32 v[58:59], v5
.LBB161_2529:
	s_mov_b64 s[8:9], 0
.LBB161_2530:
	s_andn2_b64 vcc, exec, s[8:9]
	s_cbranch_vccnz .LBB161_2536
; %bb.2531:
	v_mov_b32_e32 v5, 0
	v_cmp_gt_i16_sdwa s[8:9], s21, v5 src0_sel:BYTE_0 src1_sel:DWORD
	s_and_b64 vcc, exec, s[8:9]
	s_cbranch_vccz .LBB161_2533
; %bb.2532:
	global_load_sbyte v5, v[6:7], off
	s_mov_b64 s[8:9], 0
	s_waitcnt vmcnt(0)
	v_cvt_f64_i32_e32 v[58:59], v5
	s_branch .LBB161_2534
.LBB161_2533:
	s_mov_b64 s[8:9], -1
                                        ; implicit-def: $vgpr58_vgpr59
.LBB161_2534:
	s_andn2_b64 vcc, exec, s[8:9]
	s_cbranch_vccnz .LBB161_2536
; %bb.2535:
	global_load_ubyte v5, v[6:7], off
	s_waitcnt vmcnt(0)
	v_cvt_f64_u32_e32 v[58:59], v5
.LBB161_2536:
	s_mov_b64 s[12:13], -1
.LBB161_2537:
	s_andn2_b64 vcc, exec, s[12:13]
	s_cbranch_vccnz .LBB161_3121
; %bb.2538:
	v_mov_b32_e32 v5, s5
	v_add_co_u32_e32 v4, vcc, s4, v4
	v_addc_co_u32_e32 v5, vcc, 0, v5, vcc
	s_and_b64 vcc, exec, s[6:7]
	s_cbranch_vccnz .LBB161_2545
; %bb.2539:
	v_cmp_gt_i16_e64 s[4:5], s22, 25
	s_mov_b64 s[6:7], 0
	s_and_b64 vcc, exec, s[4:5]
	s_cbranch_vccz .LBB161_2546
; %bb.2540:
	v_cmp_gt_i16_e64 s[4:5], s22, 28
	s_and_b64 vcc, exec, s[4:5]
	s_cbranch_vccz .LBB161_2547
; %bb.2541:
	v_cmp_gt_i16_e64 s[4:5], s22, 43
	;; [unrolled: 4-line block ×3, first 2 shown]
	s_and_b64 vcc, exec, s[4:5]
	s_cbranch_vccz .LBB161_2550
; %bb.2543:
	v_cmp_eq_u16_e64 s[4:5], s22, 46
	s_mov_b64 s[10:11], 0
	s_and_b64 vcc, exec, s[4:5]
	s_cbranch_vccz .LBB161_2551
; %bb.2544:
	global_load_dword v6, v[4:5], off
	s_mov_b64 s[4:5], 0
	s_mov_b64 s[8:9], -1
	s_waitcnt vmcnt(0)
	v_lshlrev_b32_e32 v6, 16, v6
	v_cvt_f64_f32_e32 v[60:61], v6
	s_branch .LBB161_2552
.LBB161_2545:
	s_mov_b64 s[4:5], -1
	s_mov_b64 s[8:9], 0
                                        ; implicit-def: $vgpr60_vgpr61
	s_branch .LBB161_2618
.LBB161_2546:
	s_mov_b64 s[10:11], -1
	s_mov_b64 s[8:9], 0
	s_mov_b64 s[4:5], 0
                                        ; implicit-def: $vgpr60_vgpr61
	s_branch .LBB161_2581
.LBB161_2547:
	s_mov_b64 s[10:11], -1
	s_mov_b64 s[8:9], 0
	s_mov_b64 s[4:5], 0
                                        ; implicit-def: $vgpr60_vgpr61
	s_branch .LBB161_2562
.LBB161_2548:
	s_mov_b64 s[10:11], -1
	s_mov_b64 s[8:9], 0
	s_mov_b64 s[4:5], 0
                                        ; implicit-def: $vgpr60_vgpr61
	s_branch .LBB161_2557
.LBB161_2549:
	s_trap 2
	s_or_b64 s[84:85], s[84:85], exec
                                        ; implicit-def: $vgpr58_vgpr59
	s_cbranch_execz .LBB161_2486
	s_branch .LBB161_2487
.LBB161_2550:
	s_mov_b64 s[10:11], -1
	s_mov_b64 s[8:9], 0
	s_mov_b64 s[4:5], 0
                                        ; implicit-def: $vgpr60_vgpr61
	s_branch .LBB161_2552
.LBB161_2551:
	s_mov_b64 s[4:5], -1
                                        ; implicit-def: $vgpr60_vgpr61
	s_mov_b64 s[8:9], 0
.LBB161_2552:
	s_and_b64 vcc, exec, s[10:11]
	s_cbranch_vccz .LBB161_2556
; %bb.2553:
	v_cmp_eq_u16_e64 s[4:5], s22, 44
	s_and_b64 vcc, exec, s[4:5]
	s_cbranch_vccz .LBB161_2555
; %bb.2554:
	global_load_ubyte v8, v[4:5], off
	s_movk_i32 s8, 0xff
	v_bfrev_b32_e32 v9, 4
	v_mov_b32_e32 v10, 0x7ff80000
	v_bfrev_b32_e32 v11, 28
	s_mov_b64 s[4:5], 0
	s_waitcnt vmcnt(0)
	v_lshlrev_b32_e32 v6, 23, v8
	v_cvt_f64_f32_e32 v[6:7], v6
	v_cmp_ne_u32_e32 vcc, s8, v8
	v_cndmask_b32_e32 v6, v9, v6, vcc
	v_cndmask_b32_e32 v7, v10, v7, vcc
	v_cmp_ne_u32_e32 vcc, 0, v8
	v_cndmask_b32_e32 v61, v11, v7, vcc
	v_cndmask_b32_e32 v60, 0, v6, vcc
	s_mov_b64 s[8:9], -1
	s_branch .LBB161_2556
.LBB161_2555:
	s_mov_b64 s[4:5], -1
                                        ; implicit-def: $vgpr60_vgpr61
.LBB161_2556:
	s_mov_b64 s[10:11], 0
.LBB161_2557:
	s_and_b64 vcc, exec, s[10:11]
	s_cbranch_vccz .LBB161_2561
; %bb.2558:
	v_cmp_eq_u16_e64 s[4:5], s22, 29
	s_and_b64 vcc, exec, s[4:5]
	s_cbranch_vccz .LBB161_2560
; %bb.2559:
	global_load_dwordx2 v[6:7], v[4:5], off
	s_mov_b64 s[4:5], 0
	s_mov_b64 s[8:9], -1
	s_mov_b64 s[10:11], 0
	s_waitcnt vmcnt(0)
	v_cvt_f64_u32_e32 v[8:9], v7
	v_cvt_f64_u32_e32 v[6:7], v6
	v_ldexp_f64 v[8:9], v[8:9], 32
	v_add_f64 v[60:61], v[8:9], v[6:7]
	s_branch .LBB161_2562
.LBB161_2560:
	s_mov_b64 s[4:5], -1
                                        ; implicit-def: $vgpr60_vgpr61
.LBB161_2561:
	s_mov_b64 s[10:11], 0
.LBB161_2562:
	s_and_b64 vcc, exec, s[10:11]
	s_cbranch_vccz .LBB161_2580
; %bb.2563:
	v_cmp_lt_i16_e64 s[8:9], s22, 27
	s_and_b64 vcc, exec, s[8:9]
	s_cbranch_vccnz .LBB161_2566
; %bb.2564:
	v_cmp_gt_i16_e64 s[8:9], s22, 27
	s_and_b64 vcc, exec, s[8:9]
	s_cbranch_vccz .LBB161_2567
; %bb.2565:
	global_load_dword v6, v[4:5], off
	s_mov_b64 s[8:9], 0
	s_waitcnt vmcnt(0)
	v_cvt_f64_u32_e32 v[60:61], v6
	s_branch .LBB161_2568
.LBB161_2566:
	s_mov_b64 s[8:9], -1
                                        ; implicit-def: $vgpr60_vgpr61
	s_branch .LBB161_2571
.LBB161_2567:
	s_mov_b64 s[8:9], -1
                                        ; implicit-def: $vgpr60_vgpr61
.LBB161_2568:
	s_andn2_b64 vcc, exec, s[8:9]
	s_cbranch_vccnz .LBB161_2570
; %bb.2569:
	global_load_ushort v6, v[4:5], off
	s_waitcnt vmcnt(0)
	v_cvt_f64_u32_e32 v[60:61], v6
.LBB161_2570:
	s_mov_b64 s[8:9], 0
.LBB161_2571:
	s_andn2_b64 vcc, exec, s[8:9]
	s_cbranch_vccnz .LBB161_2579
; %bb.2572:
	global_load_ubyte v6, v[4:5], off
	s_movk_i32 s8, 0x7f
                                        ; implicit-def: $sgpr10_sgpr11
	s_waitcnt vmcnt(0)
	v_cmp_lt_i16_e32 vcc, s8, v6
	s_mov_b64 s[8:9], 0
	s_and_saveexec_b64 s[12:13], vcc
	s_xor_b64 s[12:13], exec, s[12:13]
	s_cbranch_execz .LBB161_2593
; %bb.2573:
	s_movk_i32 s8, 0x80
	v_cmp_eq_u16_e32 vcc, s8, v6
	s_mov_b64 s[14:15], -1
                                        ; implicit-def: $sgpr10_sgpr11
	s_and_saveexec_b64 s[8:9], vcc
; %bb.2574:
	s_mov_b32 s11, 0x7ff80000
	s_brev_b32 s10, 4
	s_xor_b64 s[14:15], exec, -1
; %bb.2575:
	s_or_b64 exec, exec, s[8:9]
	s_and_b64 s[8:9], s[14:15], exec
	s_or_saveexec_b64 s[12:13], s[12:13]
	v_pk_mov_b32 v[60:61], s[10:11], s[10:11] op_sel:[0,1]
	s_xor_b64 exec, exec, s[12:13]
	s_cbranch_execnz .LBB161_2594
.LBB161_2576:
	s_or_b64 exec, exec, s[12:13]
	s_and_saveexec_b64 s[10:11], s[8:9]
	s_cbranch_execz .LBB161_2578
.LBB161_2577:
	v_lshlrev_b32_e32 v7, 24, v6
	v_and_b32_e32 v6, 0xffff, v6
	v_and_b32_e32 v8, 7, v6
	v_ffbh_u32_e32 v10, v8
	v_min_u32_e32 v10, 32, v10
	v_subrev_u32_e32 v11, 28, v10
	v_bfe_u32 v9, v6, 3, 4
	v_lshlrev_b32_e32 v6, v11, v6
	v_sub_u32_e32 v10, 29, v10
	v_and_b32_e32 v6, 7, v6
	v_cmp_eq_u32_e32 vcc, 0, v9
	v_cndmask_b32_e32 v9, v9, v10, vcc
	v_cndmask_b32_e32 v6, v8, v6, vcc
	v_mov_b32_e32 v8, 0x3b800000
	v_lshlrev_b32_e32 v6, 20, v6
	v_and_b32_e32 v7, 0x80000000, v7
	v_lshl_add_u32 v8, v9, 23, v8
	v_or3_b32 v6, v7, v8, v6
	v_cvt_f64_f32_e32 v[60:61], v6
.LBB161_2578:
	s_or_b64 exec, exec, s[10:11]
.LBB161_2579:
	s_mov_b64 s[8:9], -1
.LBB161_2580:
	s_mov_b64 s[10:11], 0
.LBB161_2581:
	s_and_b64 vcc, exec, s[10:11]
	s_cbranch_vccz .LBB161_2614
; %bb.2582:
	v_cmp_gt_i16_e64 s[6:7], s22, 22
	s_and_b64 vcc, exec, s[6:7]
	s_cbranch_vccz .LBB161_2592
; %bb.2583:
	v_cmp_lt_i16_e64 s[6:7], s22, 24
	s_and_b64 vcc, exec, s[6:7]
	s_cbranch_vccnz .LBB161_2595
; %bb.2584:
	v_cmp_gt_i16_e64 s[6:7], s22, 24
	s_and_b64 vcc, exec, s[6:7]
	s_cbranch_vccz .LBB161_2596
; %bb.2585:
	global_load_ubyte v6, v[4:5], off
	s_movk_i32 s6, 0x7f
                                        ; implicit-def: $sgpr8_sgpr9
	s_waitcnt vmcnt(0)
	v_cmp_lt_i16_e32 vcc, s6, v6
	s_mov_b64 s[6:7], 0
	s_and_saveexec_b64 s[10:11], vcc
	s_xor_b64 s[10:11], exec, s[10:11]
	s_cbranch_execz .LBB161_2608
; %bb.2586:
	s_movk_i32 s6, 0x80
	v_cmp_eq_u16_e32 vcc, s6, v6
	s_mov_b64 s[12:13], -1
                                        ; implicit-def: $sgpr8_sgpr9
	s_and_saveexec_b64 s[6:7], vcc
; %bb.2587:
	s_mov_b32 s9, 0x7ff80000
	s_brev_b32 s8, 4
	s_xor_b64 s[12:13], exec, -1
; %bb.2588:
	s_or_b64 exec, exec, s[6:7]
	s_and_b64 s[6:7], s[12:13], exec
	s_or_saveexec_b64 s[10:11], s[10:11]
	v_pk_mov_b32 v[60:61], s[8:9], s[8:9] op_sel:[0,1]
	s_xor_b64 exec, exec, s[10:11]
	s_cbranch_execnz .LBB161_2609
.LBB161_2589:
	s_or_b64 exec, exec, s[10:11]
	s_and_saveexec_b64 s[8:9], s[6:7]
	s_cbranch_execz .LBB161_2591
.LBB161_2590:
	v_lshlrev_b32_e32 v7, 24, v6
	v_and_b32_e32 v6, 0xffff, v6
	v_and_b32_e32 v8, 3, v6
	v_ffbh_u32_e32 v10, v8
	v_min_u32_e32 v10, 32, v10
	v_subrev_u32_e32 v11, 29, v10
	v_bfe_u32 v9, v6, 2, 5
	v_lshlrev_b32_e32 v6, v11, v6
	v_sub_u32_e32 v10, 30, v10
	v_and_b32_e32 v6, 3, v6
	v_cmp_eq_u32_e32 vcc, 0, v9
	v_cndmask_b32_e32 v9, v9, v10, vcc
	v_cndmask_b32_e32 v6, v8, v6, vcc
	v_mov_b32_e32 v8, 0x37800000
	v_lshlrev_b32_e32 v6, 21, v6
	v_and_b32_e32 v7, 0x80000000, v7
	v_lshl_add_u32 v8, v9, 23, v8
	v_or3_b32 v6, v7, v8, v6
	v_cvt_f64_f32_e32 v[60:61], v6
.LBB161_2591:
	s_or_b64 exec, exec, s[8:9]
	s_mov_b64 s[6:7], 0
	s_branch .LBB161_2597
.LBB161_2592:
	s_mov_b64 s[6:7], -1
                                        ; implicit-def: $vgpr60_vgpr61
	s_branch .LBB161_2603
.LBB161_2593:
	s_or_saveexec_b64 s[12:13], s[12:13]
	v_pk_mov_b32 v[60:61], s[10:11], s[10:11] op_sel:[0,1]
	s_xor_b64 exec, exec, s[12:13]
	s_cbranch_execz .LBB161_2576
.LBB161_2594:
	v_cmp_ne_u16_e32 vcc, 0, v6
	s_andn2_b64 s[8:9], s[8:9], exec
	s_and_b64 s[10:11], vcc, exec
	v_pk_mov_b32 v[60:61], 0, 0
	s_or_b64 s[8:9], s[8:9], s[10:11]
	s_or_b64 exec, exec, s[12:13]
	s_and_saveexec_b64 s[10:11], s[8:9]
	s_cbranch_execnz .LBB161_2577
	s_branch .LBB161_2578
.LBB161_2595:
	s_mov_b64 s[6:7], -1
                                        ; implicit-def: $vgpr60_vgpr61
	s_branch .LBB161_2600
.LBB161_2596:
	s_mov_b64 s[6:7], -1
                                        ; implicit-def: $vgpr60_vgpr61
.LBB161_2597:
	s_and_b64 vcc, exec, s[6:7]
	s_cbranch_vccz .LBB161_2599
; %bb.2598:
	global_load_ubyte v6, v[4:5], off
	s_mov_b32 s6, 0x7f800000
	s_waitcnt vmcnt(0)
	v_lshlrev_b32_e32 v6, 24, v6
	v_and_b32_e32 v7, 0x7f000000, v6
	v_ffbh_u32_e32 v8, v7
	v_min_u32_e32 v8, 32, v8
	v_sub_u32_e64 v8, v8, 4 clamp
	v_lshlrev_b32_e32 v10, v8, v7
	v_lshlrev_b32_e32 v8, 23, v8
	v_lshrrev_b32_e32 v10, 4, v10
	v_add_u32_e32 v9, 0x1000000, v7
	v_sub_u32_e32 v8, v10, v8
	v_ashrrev_i32_e32 v9, 8, v9
	v_add_u32_e32 v8, 0x3c000000, v8
	v_and_or_b32 v8, v9, s6, v8
	v_cmp_ne_u32_e32 vcc, 0, v7
	v_cndmask_b32_e32 v7, 0, v8, vcc
	s_brev_b32 s6, 1
	v_and_or_b32 v6, v6, s6, v7
	v_cvt_f64_f32_e32 v[60:61], v6
.LBB161_2599:
	s_mov_b64 s[6:7], 0
.LBB161_2600:
	s_andn2_b64 vcc, exec, s[6:7]
	s_cbranch_vccnz .LBB161_2602
; %bb.2601:
	global_load_ubyte v6, v[4:5], off
	s_movk_i32 s6, 0x7f00
	s_brev_b32 s7, 16
	s_waitcnt vmcnt(0)
	v_lshlrev_b16_e32 v7, 8, v6
	v_lshlrev_b32_e32 v6, 25, v6
	v_lshrrev_b32_e32 v8, 4, v6
	v_and_or_b32 v9, v7, s6, 0.5
	v_or_b32_e32 v8, 0x70000000, v8
	v_add_f32_e32 v9, -0.5, v9
	v_mul_f32_e32 v8, 0x7800000, v8
	v_cmp_gt_u32_e32 vcc, s7, v6
	v_bfe_i32 v7, v7, 0, 16
	v_cndmask_b32_e32 v6, v8, v9, vcc
	s_brev_b32 s6, 1
	v_and_or_b32 v6, v7, s6, v6
	v_cvt_f64_f32_e32 v[60:61], v6
.LBB161_2602:
	s_mov_b64 s[6:7], 0
	s_mov_b64 s[8:9], -1
.LBB161_2603:
	s_andn2_b64 vcc, exec, s[6:7]
	s_mov_b64 s[6:7], 0
	s_cbranch_vccnz .LBB161_2614
; %bb.2604:
	v_cmp_gt_i16_e64 s[6:7], s22, 14
	s_and_b64 vcc, exec, s[6:7]
	s_cbranch_vccz .LBB161_2607
; %bb.2605:
	v_cmp_eq_u16_e64 s[4:5], s22, 15
	s_and_b64 vcc, exec, s[4:5]
	s_cbranch_vccz .LBB161_2610
; %bb.2606:
	global_load_ushort v6, v[4:5], off
	s_mov_b64 s[4:5], 0
	s_mov_b64 s[8:9], -1
	s_waitcnt vmcnt(0)
	v_lshlrev_b32_e32 v6, 16, v6
	v_cvt_f64_f32_e32 v[60:61], v6
	s_branch .LBB161_2611
.LBB161_2607:
	s_mov_b64 s[10:11], -1
                                        ; implicit-def: $vgpr60_vgpr61
	s_branch .LBB161_2612
.LBB161_2608:
	s_or_saveexec_b64 s[10:11], s[10:11]
	v_pk_mov_b32 v[60:61], s[8:9], s[8:9] op_sel:[0,1]
	s_xor_b64 exec, exec, s[10:11]
	s_cbranch_execz .LBB161_2589
.LBB161_2609:
	v_cmp_ne_u16_e32 vcc, 0, v6
	s_andn2_b64 s[6:7], s[6:7], exec
	s_and_b64 s[8:9], vcc, exec
	v_pk_mov_b32 v[60:61], 0, 0
	s_or_b64 s[6:7], s[6:7], s[8:9]
	s_or_b64 exec, exec, s[10:11]
	s_and_saveexec_b64 s[8:9], s[6:7]
	s_cbranch_execnz .LBB161_2590
	s_branch .LBB161_2591
.LBB161_2610:
	s_mov_b64 s[4:5], -1
                                        ; implicit-def: $vgpr60_vgpr61
.LBB161_2611:
	s_mov_b64 s[10:11], 0
.LBB161_2612:
	s_mov_b64 s[6:7], 0
	s_and_b64 vcc, exec, s[10:11]
	s_cbranch_vccz .LBB161_2614
; %bb.2613:
	v_cmp_ne_u16_e64 s[4:5], s22, 11
	s_mov_b64 s[6:7], -1
                                        ; implicit-def: $vgpr60_vgpr61
.LBB161_2614:
	s_and_b64 vcc, exec, s[4:5]
	s_cbranch_vccnz .LBB161_2678
; %bb.2615:
	s_andn2_b64 vcc, exec, s[6:7]
	s_cbranch_vccnz .LBB161_2617
.LBB161_2616:
	global_load_ubyte v6, v[4:5], off
	v_mov_b32_e32 v7, 0x3ff00000
	v_mov_b32_e32 v60, 0
	s_mov_b64 s[8:9], -1
	s_waitcnt vmcnt(0)
	v_cmp_ne_u16_e32 vcc, 0, v6
	v_cndmask_b32_e32 v61, 0, v7, vcc
.LBB161_2617:
	s_mov_b64 s[4:5], 0
.LBB161_2618:
	s_and_b64 vcc, exec, s[4:5]
	s_cbranch_vccz .LBB161_2667
; %bb.2619:
	v_cmp_lt_i16_e64 s[4:5], s22, 5
	s_and_b64 vcc, exec, s[4:5]
	s_cbranch_vccnz .LBB161_2624
; %bb.2620:
	v_cmp_lt_i16_e64 s[4:5], s22, 8
	s_and_b64 vcc, exec, s[4:5]
	s_cbranch_vccnz .LBB161_2625
	;; [unrolled: 4-line block ×3, first 2 shown]
; %bb.2622:
	v_cmp_gt_i16_e64 s[4:5], s22, 9
	s_and_b64 vcc, exec, s[4:5]
	s_cbranch_vccz .LBB161_2627
; %bb.2623:
	global_load_dwordx2 v[60:61], v[4:5], off
	s_mov_b64 s[4:5], 0
	s_branch .LBB161_2628
.LBB161_2624:
	s_mov_b64 s[4:5], -1
                                        ; implicit-def: $vgpr60_vgpr61
	s_branch .LBB161_2646
.LBB161_2625:
	s_mov_b64 s[4:5], -1
                                        ; implicit-def: $vgpr60_vgpr61
	s_branch .LBB161_2634
.LBB161_2626:
	s_mov_b64 s[4:5], -1
                                        ; implicit-def: $vgpr60_vgpr61
	s_branch .LBB161_2631
.LBB161_2627:
	s_mov_b64 s[4:5], -1
                                        ; implicit-def: $vgpr60_vgpr61
.LBB161_2628:
	s_andn2_b64 vcc, exec, s[4:5]
	s_cbranch_vccnz .LBB161_2630
; %bb.2629:
	global_load_dword v6, v[4:5], off
	s_waitcnt vmcnt(0)
	v_cvt_f64_f32_e32 v[60:61], v6
.LBB161_2630:
	s_mov_b64 s[4:5], 0
.LBB161_2631:
	s_andn2_b64 vcc, exec, s[4:5]
	s_cbranch_vccnz .LBB161_2633
; %bb.2632:
	global_load_dword v6, v[4:5], off
	s_waitcnt vmcnt(0)
	v_cvt_f32_f16_e32 v6, v6
	v_cvt_f64_f32_e32 v[60:61], v6
.LBB161_2633:
	s_mov_b64 s[4:5], 0
.LBB161_2634:
	s_andn2_b64 vcc, exec, s[4:5]
	s_cbranch_vccnz .LBB161_2645
; %bb.2635:
	v_cmp_lt_i16_e64 s[4:5], s22, 6
	s_and_b64 vcc, exec, s[4:5]
	s_cbranch_vccnz .LBB161_2638
; %bb.2636:
	v_cmp_gt_i16_e64 s[4:5], s22, 6
	s_and_b64 vcc, exec, s[4:5]
	s_cbranch_vccz .LBB161_2639
; %bb.2637:
	global_load_dwordx2 v[60:61], v[4:5], off
	s_mov_b64 s[4:5], 0
	s_branch .LBB161_2640
.LBB161_2638:
	s_mov_b64 s[4:5], -1
                                        ; implicit-def: $vgpr60_vgpr61
	s_branch .LBB161_2643
.LBB161_2639:
	s_mov_b64 s[4:5], -1
                                        ; implicit-def: $vgpr60_vgpr61
.LBB161_2640:
	s_andn2_b64 vcc, exec, s[4:5]
	s_cbranch_vccnz .LBB161_2642
; %bb.2641:
	global_load_dword v6, v[4:5], off
	s_waitcnt vmcnt(0)
	v_cvt_f64_f32_e32 v[60:61], v6
.LBB161_2642:
	s_mov_b64 s[4:5], 0
.LBB161_2643:
	s_andn2_b64 vcc, exec, s[4:5]
	s_cbranch_vccnz .LBB161_2645
; %bb.2644:
	global_load_ushort v6, v[4:5], off
	s_waitcnt vmcnt(0)
	v_cvt_f32_f16_e32 v6, v6
	v_cvt_f64_f32_e32 v[60:61], v6
.LBB161_2645:
	s_mov_b64 s[4:5], 0
.LBB161_2646:
	s_andn2_b64 vcc, exec, s[4:5]
	s_cbranch_vccnz .LBB161_2666
; %bb.2647:
	v_cmp_lt_i16_e64 s[4:5], s22, 2
	s_and_b64 vcc, exec, s[4:5]
	s_cbranch_vccnz .LBB161_2651
; %bb.2648:
	v_cmp_lt_i16_e64 s[4:5], s22, 3
	s_and_b64 vcc, exec, s[4:5]
	s_cbranch_vccnz .LBB161_2652
; %bb.2649:
	v_cmp_gt_i16_e64 s[4:5], s22, 3
	s_and_b64 vcc, exec, s[4:5]
	s_cbranch_vccz .LBB161_2653
; %bb.2650:
	global_load_dwordx2 v[6:7], v[4:5], off
	s_mov_b64 s[4:5], 0
	s_waitcnt vmcnt(0)
	v_cvt_f64_i32_e32 v[8:9], v7
	v_cvt_f64_u32_e32 v[6:7], v6
	v_ldexp_f64 v[8:9], v[8:9], 32
	v_add_f64 v[60:61], v[8:9], v[6:7]
	s_branch .LBB161_2654
.LBB161_2651:
	s_mov_b64 s[4:5], -1
                                        ; implicit-def: $vgpr60_vgpr61
	s_branch .LBB161_2660
.LBB161_2652:
	s_mov_b64 s[4:5], -1
                                        ; implicit-def: $vgpr60_vgpr61
	s_branch .LBB161_2657
.LBB161_2653:
	s_mov_b64 s[4:5], -1
                                        ; implicit-def: $vgpr60_vgpr61
.LBB161_2654:
	s_andn2_b64 vcc, exec, s[4:5]
	s_cbranch_vccnz .LBB161_2656
; %bb.2655:
	global_load_dword v6, v[4:5], off
	s_waitcnt vmcnt(0)
	v_cvt_f64_i32_e32 v[60:61], v6
.LBB161_2656:
	s_mov_b64 s[4:5], 0
.LBB161_2657:
	s_andn2_b64 vcc, exec, s[4:5]
	s_cbranch_vccnz .LBB161_2659
; %bb.2658:
	global_load_sshort v6, v[4:5], off
	s_waitcnt vmcnt(0)
	v_cvt_f64_i32_e32 v[60:61], v6
.LBB161_2659:
	s_mov_b64 s[4:5], 0
.LBB161_2660:
	s_andn2_b64 vcc, exec, s[4:5]
	s_cbranch_vccnz .LBB161_2666
; %bb.2661:
	v_cmp_gt_i16_e64 s[4:5], s22, 0
	s_and_b64 vcc, exec, s[4:5]
	s_cbranch_vccz .LBB161_2663
; %bb.2662:
	global_load_sbyte v6, v[4:5], off
	s_mov_b64 s[4:5], 0
	s_waitcnt vmcnt(0)
	v_cvt_f64_i32_e32 v[60:61], v6
	s_branch .LBB161_2664
.LBB161_2663:
	s_mov_b64 s[4:5], -1
                                        ; implicit-def: $vgpr60_vgpr61
.LBB161_2664:
	s_andn2_b64 vcc, exec, s[4:5]
	s_cbranch_vccnz .LBB161_2666
; %bb.2665:
	global_load_ubyte v4, v[4:5], off
	s_waitcnt vmcnt(0)
	v_cvt_f64_u32_e32 v[60:61], v4
.LBB161_2666:
	s_mov_b64 s[8:9], -1
.LBB161_2667:
	s_andn2_b64 vcc, exec, s[8:9]
	s_cbranch_vccnz .LBB161_3121
; %bb.2668:
	s_lshr_b32 s33, s20, 8
	s_getpc_b64 s[4:5]
	s_add_u32 s4, s4, _ZZZZN2at6native33launch_standard_gamma_grad_kernelERNS_18TensorIteratorBaseEENKUlvE_clEvENKUlvE_clEvENKUlddE_clEdd@rel32@lo+4
	s_addc_u32 s5, s5, _ZZZZN2at6native33launch_standard_gamma_grad_kernelERNS_18TensorIteratorBaseEENKUlvE_clEvENKUlvE_clEvENKUlddE_clEdd@rel32@hi+12
	s_swappc_b64 s[30:31], s[4:5]
	v_mov_b32_e32 v2, s77
	v_add_co_u32_e32 v4, vcc, s76, v68
	v_addc_co_u32_e32 v5, vcc, 0, v2, vcc
	v_mov_b32_e32 v2, 11
	v_cmp_lt_i16_sdwa s[4:5], s33, v2 src0_sel:BYTE_0 src1_sel:DWORD
	s_and_b64 vcc, exec, s[4:5]
	s_cbranch_vccnz .LBB161_2675
; %bb.2669:
	v_mov_b32_e32 v2, 25
	v_cmp_gt_i16_sdwa s[4:5], s33, v2 src0_sel:BYTE_0 src1_sel:DWORD
	s_mov_b64 s[10:11], -1
	s_mov_b64 s[6:7], 0
	s_and_b64 vcc, exec, s[4:5]
	s_mov_b64 s[8:9], 0
	s_mov_b64 s[4:5], 0
	s_cbranch_vccz .LBB161_2707
; %bb.2670:
	v_mov_b32_e32 v2, 28
	v_cmp_gt_i16_sdwa s[4:5], s33, v2 src0_sel:BYTE_0 src1_sel:DWORD
	s_and_b64 vcc, exec, s[4:5]
	s_cbranch_vccz .LBB161_2676
; %bb.2671:
	v_mov_b32_e32 v2, 43
	v_cmp_gt_i16_sdwa s[4:5], s33, v2 src0_sel:BYTE_0 src1_sel:DWORD
	s_and_b64 vcc, exec, s[4:5]
	;; [unrolled: 5-line block ×3, first 2 shown]
	s_cbranch_vccz .LBB161_2679
; %bb.2673:
	v_mov_b32_e32 v2, 46
	v_cmp_eq_u16_sdwa s[8:9], s33, v2 src0_sel:BYTE_0 src1_sel:DWORD
	s_mov_b64 s[4:5], -1
	s_mov_b64 s[10:11], 0
	s_and_b64 vcc, exec, s[8:9]
	s_mov_b64 s[8:9], 0
	s_cbranch_vccz .LBB161_2680
; %bb.2674:
	v_cvt_f32_f64_e32 v2, v[0:1]
	v_bfe_u32 v3, v2, 16, 1
	s_movk_i32 s4, 0x7fff
	v_add3_u32 v3, v2, v3, s4
	v_lshrrev_b32_e32 v3, 16, v3
	v_mov_b32_e32 v6, 0x7fc0
	v_cmp_o_f32_e32 vcc, v2, v2
	v_cndmask_b32_e32 v2, v6, v3, vcc
	global_store_dword v[4:5], v2, off
	s_mov_b64 s[4:5], 0
	s_mov_b64 s[8:9], -1
	s_branch .LBB161_2680
.LBB161_2675:
	s_mov_b64 s[4:5], -1
	s_mov_b64 s[8:9], 0
	s_branch .LBB161_2751
.LBB161_2676:
	s_mov_b64 s[4:5], 0
	s_branch .LBB161_2690
.LBB161_2677:
	s_mov_b64 s[4:5], 0
	s_branch .LBB161_2686
.LBB161_2678:
	s_trap 2
	s_or_b64 s[84:85], s[84:85], exec
                                        ; implicit-def: $vgpr60_vgpr61
	s_cbranch_execz .LBB161_2616
	s_branch .LBB161_2617
.LBB161_2679:
	s_mov_b64 s[4:5], 0
.LBB161_2680:
	s_and_b64 vcc, exec, s[10:11]
	s_cbranch_vccz .LBB161_2685
; %bb.2681:
	v_mov_b32_e32 v2, 44
	v_cmp_eq_u16_sdwa s[10:11], s33, v2 src0_sel:BYTE_0 src1_sel:DWORD
	s_mov_b64 s[4:5], -1
	s_and_b64 vcc, exec, s[10:11]
	s_cbranch_vccz .LBB161_2685
; %bb.2682:
	v_cvt_f32_f64_e32 v2, v[0:1]
	v_bfe_u32 v3, v2, 23, 8
	s_movk_i32 s4, 0xff
	v_cmp_ne_u32_e32 vcc, s4, v3
	v_mov_b32_e32 v6, 0xff
	s_and_saveexec_b64 s[8:9], vcc
; %bb.2683:
	s_mov_b32 s4, 0x3fffff
	v_lshrrev_b32_e32 v6, 23, v2
	v_and_b32_e32 v7, 0x400000, v2
	v_and_or_b32 v2, v2, s4, v3
	v_cmp_ne_u32_e32 vcc, 0, v7
	v_cmp_ne_u32_e64 s[4:5], 0, v2
	s_and_b64 s[4:5], vcc, s[4:5]
	v_cndmask_b32_e64 v2, 0, 1, s[4:5]
	v_add_u32_e32 v6, v6, v2
; %bb.2684:
	s_or_b64 exec, exec, s[8:9]
	s_mov_b64 s[4:5], 0
	s_mov_b64 s[8:9], -1
	global_store_byte v[4:5], v6, off
.LBB161_2685:
	s_mov_b64 s[10:11], 0
.LBB161_2686:
	s_and_b64 vcc, exec, s[10:11]
	s_cbranch_vccz .LBB161_2689
; %bb.2687:
	v_mov_b32_e32 v2, 29
	v_cmp_eq_u16_sdwa s[10:11], s33, v2 src0_sel:BYTE_0 src1_sel:DWORD
	s_mov_b64 s[4:5], -1
	s_and_b64 vcc, exec, s[10:11]
	s_cbranch_vccz .LBB161_2689
; %bb.2688:
	v_trunc_f64_e32 v[2:3], v[0:1]
	s_movk_i32 s4, 0xffe0
	v_ldexp_f64 v[6:7], v[2:3], s4
	v_floor_f64_e32 v[6:7], v[6:7]
	v_fmac_f64_e32 v[2:3], 0xc1f00000, v[6:7]
	v_cvt_u32_f64_e32 v9, v[6:7]
	v_cvt_u32_f64_e32 v8, v[2:3]
	global_store_dwordx2 v[4:5], v[8:9], off
	s_mov_b64 s[4:5], 0
	s_mov_b64 s[8:9], -1
.LBB161_2689:
	s_mov_b64 s[10:11], 0
.LBB161_2690:
	s_and_b64 vcc, exec, s[10:11]
	s_cbranch_vccz .LBB161_2706
; %bb.2691:
	v_mov_b32_e32 v2, 27
	v_cmp_lt_i16_sdwa s[10:11], s33, v2 src0_sel:BYTE_0 src1_sel:DWORD
	s_mov_b64 s[8:9], -1
	s_and_b64 vcc, exec, s[10:11]
	s_cbranch_vccnz .LBB161_2697
; %bb.2692:
	v_cmp_gt_i16_sdwa s[10:11], s33, v2 src0_sel:BYTE_0 src1_sel:DWORD
	s_and_b64 vcc, exec, s[10:11]
	v_cvt_u32_f64_e32 v2, v[0:1]
	s_cbranch_vccz .LBB161_2694
; %bb.2693:
	s_mov_b64 s[8:9], 0
	global_store_dword v[4:5], v2, off
.LBB161_2694:
	s_andn2_b64 vcc, exec, s[8:9]
	s_cbranch_vccnz .LBB161_2696
; %bb.2695:
	global_store_short v[4:5], v2, off
.LBB161_2696:
	s_mov_b64 s[8:9], 0
.LBB161_2697:
	s_andn2_b64 vcc, exec, s[8:9]
	s_cbranch_vccnz .LBB161_2705
; %bb.2698:
	v_cvt_f32_f64_e32 v2, v[0:1]
	v_and_b32_e32 v3, 0x7fffffff, v2
	s_mov_b32 s8, 0x43800000
	v_cmp_gt_u32_e32 vcc, s8, v3
	v_mov_b32_e32 v6, 0x80
	s_and_saveexec_b64 s[8:9], vcc
	s_cbranch_execz .LBB161_2704
; %bb.2699:
	s_mov_b32 s10, 0x3bffffff
	v_cmp_lt_u32_e32 vcc, s10, v3
	s_mov_b64 s[10:11], 0
                                        ; implicit-def: $vgpr3
	s_and_saveexec_b64 s[12:13], vcc
	s_xor_b64 s[12:13], exec, s[12:13]
	s_cbranch_execz .LBB161_2800
; %bb.2700:
	v_bfe_u32 v3, v2, 20, 1
	s_mov_b32 s14, 0x487ffff
	v_add3_u32 v3, v2, v3, s14
	s_mov_b64 s[10:11], exec
	v_lshrrev_b32_e32 v3, 20, v3
	s_or_saveexec_b64 s[12:13], s[12:13]
                                        ; implicit-def: $sgpr14
	s_xor_b64 exec, exec, s[12:13]
	s_cbranch_execnz .LBB161_2801
.LBB161_2701:
	s_or_b64 exec, exec, s[12:13]
	v_mov_b32_e32 v6, s14
	s_and_saveexec_b64 s[12:13], s[10:11]
.LBB161_2702:
	v_lshrrev_b32_e32 v2, 24, v2
	s_movk_i32 s10, 0x80
	v_and_or_b32 v6, v2, s10, v3
.LBB161_2703:
	s_or_b64 exec, exec, s[12:13]
.LBB161_2704:
	s_or_b64 exec, exec, s[8:9]
	global_store_byte v[4:5], v6, off
.LBB161_2705:
	s_mov_b64 s[8:9], -1
.LBB161_2706:
	s_mov_b64 s[10:11], 0
.LBB161_2707:
	s_and_b64 vcc, exec, s[10:11]
	s_cbranch_vccz .LBB161_2747
; %bb.2708:
	v_mov_b32_e32 v2, 22
	v_cmp_gt_i16_sdwa s[10:11], s33, v2 src0_sel:BYTE_0 src1_sel:DWORD
	s_mov_b64 s[6:7], -1
	s_and_b64 vcc, exec, s[10:11]
	s_cbranch_vccz .LBB161_2740
; %bb.2709:
	v_mov_b32_e32 v2, 24
	v_cmp_lt_i16_sdwa s[8:9], s33, v2 src0_sel:BYTE_0 src1_sel:DWORD
	s_and_b64 vcc, exec, s[8:9]
	s_cbranch_vccnz .LBB161_2729
; %bb.2710:
	v_cmp_gt_i16_sdwa s[8:9], s33, v2 src0_sel:BYTE_0 src1_sel:DWORD
	s_and_b64 vcc, exec, s[8:9]
	s_cbranch_vccz .LBB161_2718
; %bb.2711:
	v_cvt_f32_f64_e32 v2, v[0:1]
	v_and_b32_e32 v3, 0x7fffffff, v2
	s_mov_b32 s6, 0x47800000
	v_cmp_gt_u32_e32 vcc, s6, v3
	v_mov_b32_e32 v6, 0x80
	s_and_saveexec_b64 s[6:7], vcc
	s_cbranch_execz .LBB161_2717
; %bb.2712:
	s_mov_b32 s8, 0x37ffffff
	v_cmp_lt_u32_e32 vcc, s8, v3
	s_mov_b64 s[8:9], 0
                                        ; implicit-def: $vgpr3
	s_and_saveexec_b64 s[10:11], vcc
	s_xor_b64 s[10:11], exec, s[10:11]
	s_cbranch_execz .LBB161_2804
; %bb.2713:
	v_bfe_u32 v3, v2, 21, 1
	s_mov_b32 s12, 0x88fffff
	v_add3_u32 v3, v2, v3, s12
	s_mov_b64 s[8:9], exec
	v_lshrrev_b32_e32 v3, 21, v3
	s_or_saveexec_b64 s[10:11], s[10:11]
                                        ; implicit-def: $sgpr12
	s_xor_b64 exec, exec, s[10:11]
	s_cbranch_execnz .LBB161_2805
.LBB161_2714:
	s_or_b64 exec, exec, s[10:11]
	v_mov_b32_e32 v6, s12
	s_and_saveexec_b64 s[10:11], s[8:9]
.LBB161_2715:
	v_lshrrev_b32_e32 v2, 24, v2
	s_movk_i32 s8, 0x80
	v_and_or_b32 v6, v2, s8, v3
.LBB161_2716:
	s_or_b64 exec, exec, s[10:11]
.LBB161_2717:
	s_or_b64 exec, exec, s[6:7]
	s_mov_b64 s[6:7], 0
	global_store_byte v[4:5], v6, off
.LBB161_2718:
	s_and_b64 vcc, exec, s[6:7]
	s_cbranch_vccz .LBB161_2728
; %bb.2719:
	v_cvt_f32_f64_e32 v2, v[0:1]
	v_and_b32_e32 v6, 0x7fffffff, v2
	s_mov_b32 s6, 0x43f00000
	v_cmp_gt_u32_e32 vcc, s6, v6
                                        ; implicit-def: $vgpr3
	s_and_saveexec_b64 s[6:7], vcc
	s_xor_b64 s[6:7], exec, s[6:7]
	s_cbranch_execz .LBB161_2725
; %bb.2720:
	s_mov_b32 s8, 0x3c7fffff
	v_cmp_lt_u32_e32 vcc, s8, v6
                                        ; implicit-def: $vgpr3
	s_and_saveexec_b64 s[8:9], vcc
	s_xor_b64 s[8:9], exec, s[8:9]
; %bb.2721:
	v_bfe_u32 v3, v2, 20, 1
	s_mov_b32 s10, 0x407ffff
	v_add3_u32 v3, v2, v3, s10
	v_lshrrev_b32_e32 v6, 20, v3
	v_and_b32_e32 v3, 0xff00000, v3
	s_mov_b32 s10, 0x7f00000
	v_mov_b32_e32 v7, 0x7e
	v_cmp_ne_u32_e32 vcc, s10, v3
	v_cndmask_b32_e32 v3, v7, v6, vcc
; %bb.2722:
	s_andn2_saveexec_b64 s[8:9], s[8:9]
; %bb.2723:
	s_mov_b32 s10, 0x46800000
	v_add_f32_e64 v3, |v2|, s10
; %bb.2724:
	s_or_b64 exec, exec, s[8:9]
                                        ; implicit-def: $vgpr6
.LBB161_2725:
	s_andn2_saveexec_b64 s[6:7], s[6:7]
; %bb.2726:
	s_mov_b32 s8, 0x7f800000
	v_mov_b32_e32 v3, 0x7e
	v_mov_b32_e32 v7, 0x7f
	v_cmp_lt_u32_e32 vcc, s8, v6
	v_cndmask_b32_e32 v3, v3, v7, vcc
; %bb.2727:
	s_or_b64 exec, exec, s[6:7]
	v_lshrrev_b32_e32 v2, 24, v2
	s_movk_i32 s6, 0x80
	v_and_or_b32 v2, v2, s6, v3
	global_store_byte v[4:5], v2, off
.LBB161_2728:
	s_mov_b64 s[6:7], 0
.LBB161_2729:
	s_andn2_b64 vcc, exec, s[6:7]
	s_cbranch_vccnz .LBB161_2739
; %bb.2730:
	v_cvt_f32_f64_e32 v2, v[0:1]
	v_and_b32_e32 v6, 0x7fffffff, v2
	s_mov_b32 s6, 0x47800000
	v_cmp_gt_u32_e32 vcc, s6, v6
                                        ; implicit-def: $vgpr3
	s_and_saveexec_b64 s[6:7], vcc
	s_xor_b64 s[6:7], exec, s[6:7]
	s_cbranch_execz .LBB161_2736
; %bb.2731:
	s_mov_b32 s8, 0x387fffff
	v_cmp_lt_u32_e32 vcc, s8, v6
                                        ; implicit-def: $vgpr3
	s_and_saveexec_b64 s[8:9], vcc
	s_xor_b64 s[8:9], exec, s[8:9]
; %bb.2732:
	v_bfe_u32 v3, v2, 21, 1
	s_mov_b32 s10, 0x80fffff
	v_add3_u32 v3, v2, v3, s10
	v_lshrrev_b32_e32 v3, 21, v3
; %bb.2733:
	s_andn2_saveexec_b64 s[8:9], s[8:9]
; %bb.2734:
	s_mov_b32 s10, 0x43000000
	v_add_f32_e64 v3, |v2|, s10
; %bb.2735:
	s_or_b64 exec, exec, s[8:9]
                                        ; implicit-def: $vgpr6
.LBB161_2736:
	s_andn2_saveexec_b64 s[6:7], s[6:7]
; %bb.2737:
	s_mov_b32 s8, 0x7f800000
	v_mov_b32_e32 v3, 0x7c
	v_mov_b32_e32 v7, 0x7f
	v_cmp_lt_u32_e32 vcc, s8, v6
	v_cndmask_b32_e32 v3, v3, v7, vcc
; %bb.2738:
	s_or_b64 exec, exec, s[6:7]
	v_lshrrev_b32_e32 v2, 24, v2
	s_movk_i32 s6, 0x80
	v_and_or_b32 v2, v2, s6, v3
	global_store_byte v[4:5], v2, off
.LBB161_2739:
	s_mov_b64 s[6:7], 0
	s_mov_b64 s[8:9], -1
.LBB161_2740:
	s_andn2_b64 vcc, exec, s[6:7]
	s_mov_b64 s[6:7], 0
	s_cbranch_vccnz .LBB161_2747
; %bb.2741:
	v_mov_b32_e32 v2, 14
	v_cmp_gt_i16_sdwa s[6:7], s33, v2 src0_sel:BYTE_0 src1_sel:DWORD
	s_mov_b64 s[10:11], -1
	s_and_b64 vcc, exec, s[6:7]
	s_cbranch_vccz .LBB161_2745
; %bb.2742:
	v_mov_b32_e32 v2, 15
	v_cmp_eq_u16_sdwa s[6:7], s33, v2 src0_sel:BYTE_0 src1_sel:DWORD
	s_mov_b64 s[4:5], -1
	s_and_b64 vcc, exec, s[6:7]
	s_cbranch_vccz .LBB161_2744
; %bb.2743:
	v_cvt_f32_f64_e32 v2, v[0:1]
	v_bfe_u32 v3, v2, 16, 1
	s_movk_i32 s4, 0x7fff
	v_add3_u32 v3, v2, v3, s4
	v_lshrrev_b32_e32 v3, 16, v3
	v_mov_b32_e32 v6, 0x7fc0
	v_cmp_o_f32_e32 vcc, v2, v2
	v_cndmask_b32_e32 v2, v6, v3, vcc
	global_store_short v[4:5], v2, off
	s_mov_b64 s[4:5], 0
	s_mov_b64 s[8:9], -1
.LBB161_2744:
	s_mov_b64 s[10:11], 0
.LBB161_2745:
	s_mov_b64 s[6:7], 0
	s_and_b64 vcc, exec, s[10:11]
	s_cbranch_vccz .LBB161_2747
; %bb.2746:
	v_mov_b32_e32 v2, 11
	v_cmp_ne_u16_sdwa s[4:5], s33, v2 src0_sel:BYTE_0 src1_sel:DWORD
	s_mov_b64 s[6:7], -1
.LBB161_2747:
	s_and_b64 vcc, exec, s[4:5]
	s_cbranch_vccnz .LBB161_2803
; %bb.2748:
	s_andn2_b64 vcc, exec, s[6:7]
	s_cbranch_vccnz .LBB161_2750
.LBB161_2749:
	v_cmp_neq_f64_e32 vcc, 0, v[0:1]
	v_cndmask_b32_e64 v2, 0, 1, vcc
	s_mov_b64 s[8:9], -1
	global_store_byte v[4:5], v2, off
.LBB161_2750:
	s_mov_b64 s[4:5], 0
.LBB161_2751:
	s_and_b64 vcc, exec, s[4:5]
	s_cbranch_vccz .LBB161_2790
; %bb.2752:
	v_mov_b32_e32 v2, 5
	v_cmp_lt_i16_sdwa s[6:7], s33, v2 src0_sel:BYTE_0 src1_sel:DWORD
	s_mov_b64 s[4:5], -1
	s_and_b64 vcc, exec, s[6:7]
	s_cbranch_vccnz .LBB161_2773
; %bb.2753:
	v_mov_b32_e32 v2, 8
	v_cmp_lt_i16_sdwa s[6:7], s33, v2 src0_sel:BYTE_0 src1_sel:DWORD
	s_and_b64 vcc, exec, s[6:7]
	s_cbranch_vccnz .LBB161_2763
; %bb.2754:
	v_mov_b32_e32 v2, 9
	v_cmp_lt_i16_sdwa s[6:7], s33, v2 src0_sel:BYTE_0 src1_sel:DWORD
	s_and_b64 vcc, exec, s[6:7]
	s_cbranch_vccnz .LBB161_2760
; %bb.2755:
	v_cmp_gt_i16_sdwa s[6:7], s33, v2 src0_sel:BYTE_0 src1_sel:DWORD
	s_and_b64 vcc, exec, s[6:7]
	s_cbranch_vccz .LBB161_2757
; %bb.2756:
	v_mov_b32_e32 v2, 0
	v_mov_b32_e32 v3, v2
	global_store_dwordx4 v[4:5], v[0:3], off
	s_mov_b64 s[4:5], 0
.LBB161_2757:
	s_andn2_b64 vcc, exec, s[4:5]
	s_cbranch_vccnz .LBB161_2759
; %bb.2758:
	v_cvt_f32_f64_e32 v2, v[0:1]
	v_mov_b32_e32 v3, 0
	global_store_dwordx2 v[4:5], v[2:3], off
.LBB161_2759:
	s_mov_b64 s[4:5], 0
.LBB161_2760:
	s_andn2_b64 vcc, exec, s[4:5]
	s_cbranch_vccnz .LBB161_2762
; %bb.2761:
	v_cvt_f32_f64_e32 v2, v[0:1]
	v_cvt_f16_f32_e32 v2, v2
	global_store_dword v[4:5], v2, off
.LBB161_2762:
	s_mov_b64 s[4:5], 0
.LBB161_2763:
	s_andn2_b64 vcc, exec, s[4:5]
	s_cbranch_vccnz .LBB161_2772
; %bb.2764:
	v_mov_b32_e32 v2, 6
	v_cmp_lt_i16_sdwa s[6:7], s33, v2 src0_sel:BYTE_0 src1_sel:DWORD
	s_mov_b64 s[4:5], -1
	s_and_b64 vcc, exec, s[6:7]
	s_cbranch_vccnz .LBB161_2770
; %bb.2765:
	v_cmp_gt_i16_sdwa s[6:7], s33, v2 src0_sel:BYTE_0 src1_sel:DWORD
	s_and_b64 vcc, exec, s[6:7]
	s_cbranch_vccz .LBB161_2767
; %bb.2766:
	global_store_dwordx2 v[4:5], v[0:1], off
	s_mov_b64 s[4:5], 0
.LBB161_2767:
	s_andn2_b64 vcc, exec, s[4:5]
	s_cbranch_vccnz .LBB161_2769
; %bb.2768:
	v_cvt_f32_f64_e32 v2, v[0:1]
	global_store_dword v[4:5], v2, off
.LBB161_2769:
	s_mov_b64 s[4:5], 0
.LBB161_2770:
	s_andn2_b64 vcc, exec, s[4:5]
	s_cbranch_vccnz .LBB161_2772
; %bb.2771:
	v_cvt_f32_f64_e32 v2, v[0:1]
	v_cvt_f16_f32_e32 v2, v2
	global_store_short v[4:5], v2, off
.LBB161_2772:
	s_mov_b64 s[4:5], 0
.LBB161_2773:
	s_andn2_b64 vcc, exec, s[4:5]
	s_cbranch_vccnz .LBB161_2789
; %bb.2774:
	v_mov_b32_e32 v2, 2
	v_cmp_lt_i16_sdwa s[6:7], s33, v2 src0_sel:BYTE_0 src1_sel:DWORD
	s_mov_b64 s[4:5], -1
	s_and_b64 vcc, exec, s[6:7]
	s_cbranch_vccnz .LBB161_2784
; %bb.2775:
	v_mov_b32_e32 v2, 3
	v_cmp_lt_i16_sdwa s[6:7], s33, v2 src0_sel:BYTE_0 src1_sel:DWORD
	s_and_b64 vcc, exec, s[6:7]
	s_cbranch_vccnz .LBB161_2781
; %bb.2776:
	v_cmp_gt_i16_sdwa s[6:7], s33, v2 src0_sel:BYTE_0 src1_sel:DWORD
	s_and_b64 vcc, exec, s[6:7]
	s_cbranch_vccz .LBB161_2778
; %bb.2777:
	v_trunc_f64_e32 v[2:3], v[0:1]
	s_movk_i32 s4, 0xffe0
	v_ldexp_f64 v[6:7], v[2:3], s4
	v_floor_f64_e32 v[6:7], v[6:7]
	v_fmac_f64_e32 v[2:3], 0xc1f00000, v[6:7]
	v_cvt_i32_f64_e32 v9, v[6:7]
	v_cvt_u32_f64_e32 v8, v[2:3]
	global_store_dwordx2 v[4:5], v[8:9], off
	s_mov_b64 s[4:5], 0
.LBB161_2778:
	s_andn2_b64 vcc, exec, s[4:5]
	s_cbranch_vccnz .LBB161_2780
; %bb.2779:
	v_cvt_i32_f64_e32 v2, v[0:1]
	global_store_dword v[4:5], v2, off
.LBB161_2780:
	s_mov_b64 s[4:5], 0
.LBB161_2781:
	s_andn2_b64 vcc, exec, s[4:5]
	s_cbranch_vccnz .LBB161_2783
; %bb.2782:
	v_cvt_i32_f64_e32 v2, v[0:1]
	global_store_short v[4:5], v2, off
.LBB161_2783:
	s_mov_b64 s[4:5], 0
.LBB161_2784:
	s_andn2_b64 vcc, exec, s[4:5]
	s_cbranch_vccnz .LBB161_2789
; %bb.2785:
	v_mov_b32_e32 v2, 0
	v_cmp_gt_i16_sdwa s[6:7], s33, v2 src0_sel:BYTE_0 src1_sel:DWORD
	s_mov_b64 s[4:5], -1
	s_and_b64 vcc, exec, s[6:7]
	s_cbranch_vccz .LBB161_2787
; %bb.2786:
	v_cvt_i32_f64_e32 v2, v[0:1]
	global_store_byte v[4:5], v2, off
	s_mov_b64 s[4:5], 0
.LBB161_2787:
	s_andn2_b64 vcc, exec, s[4:5]
	s_cbranch_vccnz .LBB161_2789
; %bb.2788:
	v_trunc_f64_e32 v[0:1], v[0:1]
	s_movk_i32 s4, 0xffe0
	v_ldexp_f64 v[2:3], v[0:1], s4
	v_floor_f64_e32 v[2:3], v[2:3]
	v_fmac_f64_e32 v[0:1], 0xc1f00000, v[2:3]
	v_cvt_u32_f64_e32 v0, v[0:1]
	global_store_byte v[4:5], v0, off
.LBB161_2789:
	s_mov_b64 s[8:9], -1
.LBB161_2790:
	s_andn2_b64 vcc, exec, s[8:9]
	s_cbranch_vccnz .LBB161_3121
; %bb.2791:
	v_mov_b32_e32 v0, v42
	v_mov_b32_e32 v1, v43
	;; [unrolled: 1-line block ×4, first 2 shown]
	s_getpc_b64 s[4:5]
	s_add_u32 s4, s4, _ZZZZN2at6native33launch_standard_gamma_grad_kernelERNS_18TensorIteratorBaseEENKUlvE_clEvENKUlvE_clEvENKUlddE_clEdd@rel32@lo+4
	s_addc_u32 s5, s5, _ZZZZN2at6native33launch_standard_gamma_grad_kernelERNS_18TensorIteratorBaseEENKUlvE_clEvENKUlvE_clEvENKUlddE_clEdd@rel32@hi+12
	s_swappc_b64 s[30:31], s[4:5]
	v_mov_b32_e32 v2, s77
	v_add_co_u32_e32 v4, vcc, s76, v66
	v_addc_co_u32_e32 v5, vcc, 0, v2, vcc
	v_mov_b32_e32 v2, 11
	v_cmp_lt_i16_sdwa s[4:5], s33, v2 src0_sel:BYTE_0 src1_sel:DWORD
	s_and_b64 vcc, exec, s[4:5]
	s_cbranch_vccnz .LBB161_2798
; %bb.2792:
	v_mov_b32_e32 v2, 25
	v_cmp_gt_i16_sdwa s[4:5], s33, v2 src0_sel:BYTE_0 src1_sel:DWORD
	s_mov_b64 s[10:11], -1
	s_mov_b64 s[6:7], 0
	s_and_b64 vcc, exec, s[4:5]
	s_mov_b64 s[8:9], 0
	s_mov_b64 s[4:5], 0
	s_cbranch_vccz .LBB161_2834
; %bb.2793:
	v_mov_b32_e32 v2, 28
	v_cmp_gt_i16_sdwa s[4:5], s33, v2 src0_sel:BYTE_0 src1_sel:DWORD
	s_and_b64 vcc, exec, s[4:5]
	s_cbranch_vccz .LBB161_2799
; %bb.2794:
	v_mov_b32_e32 v2, 43
	v_cmp_gt_i16_sdwa s[4:5], s33, v2 src0_sel:BYTE_0 src1_sel:DWORD
	s_and_b64 vcc, exec, s[4:5]
	s_cbranch_vccz .LBB161_2802
; %bb.2795:
	v_mov_b32_e32 v2, 45
	v_cmp_gt_i16_sdwa s[4:5], s33, v2 src0_sel:BYTE_0 src1_sel:DWORD
	s_and_b64 vcc, exec, s[4:5]
	s_cbranch_vccz .LBB161_2806
; %bb.2796:
	v_mov_b32_e32 v2, 46
	v_cmp_eq_u16_sdwa s[8:9], s33, v2 src0_sel:BYTE_0 src1_sel:DWORD
	s_mov_b64 s[4:5], -1
	s_mov_b64 s[10:11], 0
	s_and_b64 vcc, exec, s[8:9]
	s_mov_b64 s[8:9], 0
	s_cbranch_vccz .LBB161_2807
; %bb.2797:
	v_cvt_f32_f64_e32 v2, v[0:1]
	v_bfe_u32 v3, v2, 16, 1
	s_movk_i32 s4, 0x7fff
	v_add3_u32 v3, v2, v3, s4
	v_lshrrev_b32_e32 v3, 16, v3
	v_mov_b32_e32 v6, 0x7fc0
	v_cmp_o_f32_e32 vcc, v2, v2
	v_cndmask_b32_e32 v2, v6, v3, vcc
	global_store_dword v[4:5], v2, off
	s_mov_b64 s[4:5], 0
	s_mov_b64 s[8:9], -1
	s_branch .LBB161_2807
.LBB161_2798:
	s_mov_b64 s[4:5], -1
	s_mov_b64 s[8:9], 0
	s_branch .LBB161_2878
.LBB161_2799:
	s_mov_b64 s[4:5], 0
	s_branch .LBB161_2817
.LBB161_2800:
	s_or_saveexec_b64 s[12:13], s[12:13]
                                        ; implicit-def: $sgpr14
	s_xor_b64 exec, exec, s[12:13]
	s_cbranch_execz .LBB161_2701
.LBB161_2801:
	s_mov_b32 s14, 0x46000000
	v_add_f32_e64 v3, |v2|, s14
	v_and_b32_e32 v3, 0xff, v3
	v_cmp_ne_u32_e32 vcc, 0, v3
	s_andn2_b64 s[10:11], s[10:11], exec
	s_and_b64 s[16:17], vcc, exec
	s_mov_b32 s14, 0
	s_or_b64 s[10:11], s[10:11], s[16:17]
	s_or_b64 exec, exec, s[12:13]
	v_mov_b32_e32 v6, s14
	s_and_saveexec_b64 s[12:13], s[10:11]
	s_cbranch_execnz .LBB161_2702
	s_branch .LBB161_2703
.LBB161_2802:
	s_mov_b64 s[4:5], 0
	s_branch .LBB161_2813
.LBB161_2803:
	s_trap 2
	s_or_b64 s[84:85], s[84:85], exec
	s_cbranch_execz .LBB161_2749
	s_branch .LBB161_2750
.LBB161_2804:
	s_or_saveexec_b64 s[10:11], s[10:11]
                                        ; implicit-def: $sgpr12
	s_xor_b64 exec, exec, s[10:11]
	s_cbranch_execz .LBB161_2714
.LBB161_2805:
	s_mov_b32 s12, 0x42800000
	v_add_f32_e64 v3, |v2|, s12
	v_and_b32_e32 v3, 0xff, v3
	v_cmp_ne_u32_e32 vcc, 0, v3
	s_andn2_b64 s[8:9], s[8:9], exec
	s_and_b64 s[14:15], vcc, exec
	s_mov_b32 s12, 0
	s_or_b64 s[8:9], s[8:9], s[14:15]
	s_or_b64 exec, exec, s[10:11]
	v_mov_b32_e32 v6, s12
	s_and_saveexec_b64 s[10:11], s[8:9]
	s_cbranch_execnz .LBB161_2715
	s_branch .LBB161_2716
.LBB161_2806:
	s_mov_b64 s[4:5], 0
.LBB161_2807:
	s_and_b64 vcc, exec, s[10:11]
	s_cbranch_vccz .LBB161_2812
; %bb.2808:
	v_mov_b32_e32 v2, 44
	v_cmp_eq_u16_sdwa s[10:11], s33, v2 src0_sel:BYTE_0 src1_sel:DWORD
	s_mov_b64 s[4:5], -1
	s_and_b64 vcc, exec, s[10:11]
	s_cbranch_vccz .LBB161_2812
; %bb.2809:
	v_cvt_f32_f64_e32 v2, v[0:1]
	v_bfe_u32 v3, v2, 23, 8
	s_movk_i32 s4, 0xff
	v_cmp_ne_u32_e32 vcc, s4, v3
	v_mov_b32_e32 v6, 0xff
	s_and_saveexec_b64 s[8:9], vcc
; %bb.2810:
	s_mov_b32 s4, 0x3fffff
	v_lshrrev_b32_e32 v6, 23, v2
	v_and_b32_e32 v7, 0x400000, v2
	v_and_or_b32 v2, v2, s4, v3
	v_cmp_ne_u32_e32 vcc, 0, v7
	v_cmp_ne_u32_e64 s[4:5], 0, v2
	s_and_b64 s[4:5], vcc, s[4:5]
	v_cndmask_b32_e64 v2, 0, 1, s[4:5]
	v_add_u32_e32 v6, v6, v2
; %bb.2811:
	s_or_b64 exec, exec, s[8:9]
	s_mov_b64 s[4:5], 0
	s_mov_b64 s[8:9], -1
	global_store_byte v[4:5], v6, off
.LBB161_2812:
	s_mov_b64 s[10:11], 0
.LBB161_2813:
	s_and_b64 vcc, exec, s[10:11]
	s_cbranch_vccz .LBB161_2816
; %bb.2814:
	v_mov_b32_e32 v2, 29
	v_cmp_eq_u16_sdwa s[10:11], s33, v2 src0_sel:BYTE_0 src1_sel:DWORD
	s_mov_b64 s[4:5], -1
	s_and_b64 vcc, exec, s[10:11]
	s_cbranch_vccz .LBB161_2816
; %bb.2815:
	v_trunc_f64_e32 v[2:3], v[0:1]
	s_movk_i32 s4, 0xffe0
	v_ldexp_f64 v[6:7], v[2:3], s4
	v_floor_f64_e32 v[6:7], v[6:7]
	v_fmac_f64_e32 v[2:3], 0xc1f00000, v[6:7]
	v_cvt_u32_f64_e32 v9, v[6:7]
	v_cvt_u32_f64_e32 v8, v[2:3]
	global_store_dwordx2 v[4:5], v[8:9], off
	s_mov_b64 s[4:5], 0
	s_mov_b64 s[8:9], -1
.LBB161_2816:
	s_mov_b64 s[10:11], 0
.LBB161_2817:
	s_and_b64 vcc, exec, s[10:11]
	s_cbranch_vccz .LBB161_2833
; %bb.2818:
	v_mov_b32_e32 v2, 27
	v_cmp_lt_i16_sdwa s[10:11], s33, v2 src0_sel:BYTE_0 src1_sel:DWORD
	s_mov_b64 s[8:9], -1
	s_and_b64 vcc, exec, s[10:11]
	s_cbranch_vccnz .LBB161_2824
; %bb.2819:
	v_cmp_gt_i16_sdwa s[10:11], s33, v2 src0_sel:BYTE_0 src1_sel:DWORD
	s_and_b64 vcc, exec, s[10:11]
	s_cbranch_vccz .LBB161_2821
; %bb.2820:
	v_cvt_u32_f64_e32 v2, v[0:1]
	s_mov_b64 s[8:9], 0
	global_store_dword v[4:5], v2, off
.LBB161_2821:
	s_andn2_b64 vcc, exec, s[8:9]
	s_cbranch_vccnz .LBB161_2823
; %bb.2822:
	v_cvt_u32_f64_e32 v2, v[0:1]
	global_store_short v[4:5], v2, off
.LBB161_2823:
	s_mov_b64 s[8:9], 0
.LBB161_2824:
	s_andn2_b64 vcc, exec, s[8:9]
	s_cbranch_vccnz .LBB161_2832
; %bb.2825:
	v_cvt_f32_f64_e32 v2, v[0:1]
	v_and_b32_e32 v3, 0x7fffffff, v2
	s_mov_b32 s8, 0x43800000
	v_cmp_gt_u32_e32 vcc, s8, v3
	v_mov_b32_e32 v6, 0x80
	s_and_saveexec_b64 s[8:9], vcc
	s_cbranch_execz .LBB161_2831
; %bb.2826:
	s_mov_b32 s10, 0x3bffffff
	v_cmp_lt_u32_e32 vcc, s10, v3
	s_mov_b64 s[10:11], 0
                                        ; implicit-def: $vgpr3
	s_and_saveexec_b64 s[12:13], vcc
	s_xor_b64 s[12:13], exec, s[12:13]
	s_cbranch_execz .LBB161_2927
; %bb.2827:
	v_bfe_u32 v3, v2, 20, 1
	s_mov_b32 s14, 0x487ffff
	v_add3_u32 v3, v2, v3, s14
	s_mov_b64 s[10:11], exec
	v_lshrrev_b32_e32 v3, 20, v3
	s_or_saveexec_b64 s[12:13], s[12:13]
                                        ; implicit-def: $sgpr14
	s_xor_b64 exec, exec, s[12:13]
	s_cbranch_execnz .LBB161_2928
.LBB161_2828:
	s_or_b64 exec, exec, s[12:13]
	v_mov_b32_e32 v6, s14
	s_and_saveexec_b64 s[12:13], s[10:11]
.LBB161_2829:
	v_lshrrev_b32_e32 v2, 24, v2
	s_movk_i32 s10, 0x80
	v_and_or_b32 v6, v2, s10, v3
.LBB161_2830:
	s_or_b64 exec, exec, s[12:13]
.LBB161_2831:
	s_or_b64 exec, exec, s[8:9]
	global_store_byte v[4:5], v6, off
.LBB161_2832:
	s_mov_b64 s[8:9], -1
.LBB161_2833:
	s_mov_b64 s[10:11], 0
.LBB161_2834:
	s_and_b64 vcc, exec, s[10:11]
	s_cbranch_vccz .LBB161_2874
; %bb.2835:
	v_mov_b32_e32 v2, 22
	v_cmp_gt_i16_sdwa s[10:11], s33, v2 src0_sel:BYTE_0 src1_sel:DWORD
	s_mov_b64 s[6:7], -1
	s_and_b64 vcc, exec, s[10:11]
	s_cbranch_vccz .LBB161_2867
; %bb.2836:
	v_mov_b32_e32 v2, 24
	v_cmp_lt_i16_sdwa s[8:9], s33, v2 src0_sel:BYTE_0 src1_sel:DWORD
	s_and_b64 vcc, exec, s[8:9]
	s_cbranch_vccnz .LBB161_2856
; %bb.2837:
	v_cmp_gt_i16_sdwa s[8:9], s33, v2 src0_sel:BYTE_0 src1_sel:DWORD
	s_and_b64 vcc, exec, s[8:9]
	s_cbranch_vccz .LBB161_2845
; %bb.2838:
	v_cvt_f32_f64_e32 v2, v[0:1]
	v_and_b32_e32 v3, 0x7fffffff, v2
	s_mov_b32 s6, 0x47800000
	v_cmp_gt_u32_e32 vcc, s6, v3
	v_mov_b32_e32 v6, 0x80
	s_and_saveexec_b64 s[6:7], vcc
	s_cbranch_execz .LBB161_2844
; %bb.2839:
	s_mov_b32 s8, 0x37ffffff
	v_cmp_lt_u32_e32 vcc, s8, v3
	s_mov_b64 s[8:9], 0
                                        ; implicit-def: $vgpr3
	s_and_saveexec_b64 s[10:11], vcc
	s_xor_b64 s[10:11], exec, s[10:11]
	s_cbranch_execz .LBB161_2931
; %bb.2840:
	v_bfe_u32 v3, v2, 21, 1
	s_mov_b32 s12, 0x88fffff
	v_add3_u32 v3, v2, v3, s12
	s_mov_b64 s[8:9], exec
	v_lshrrev_b32_e32 v3, 21, v3
	s_or_saveexec_b64 s[10:11], s[10:11]
                                        ; implicit-def: $sgpr12
	s_xor_b64 exec, exec, s[10:11]
	s_cbranch_execnz .LBB161_2932
.LBB161_2841:
	s_or_b64 exec, exec, s[10:11]
	v_mov_b32_e32 v6, s12
	s_and_saveexec_b64 s[10:11], s[8:9]
.LBB161_2842:
	v_lshrrev_b32_e32 v2, 24, v2
	s_movk_i32 s8, 0x80
	v_and_or_b32 v6, v2, s8, v3
.LBB161_2843:
	s_or_b64 exec, exec, s[10:11]
.LBB161_2844:
	s_or_b64 exec, exec, s[6:7]
	s_mov_b64 s[6:7], 0
	global_store_byte v[4:5], v6, off
.LBB161_2845:
	s_and_b64 vcc, exec, s[6:7]
	s_cbranch_vccz .LBB161_2855
; %bb.2846:
	v_cvt_f32_f64_e32 v2, v[0:1]
	v_and_b32_e32 v6, 0x7fffffff, v2
	s_mov_b32 s6, 0x43f00000
	v_cmp_gt_u32_e32 vcc, s6, v6
                                        ; implicit-def: $vgpr3
	s_and_saveexec_b64 s[6:7], vcc
	s_xor_b64 s[6:7], exec, s[6:7]
	s_cbranch_execz .LBB161_2852
; %bb.2847:
	s_mov_b32 s8, 0x3c7fffff
	v_cmp_lt_u32_e32 vcc, s8, v6
                                        ; implicit-def: $vgpr3
	s_and_saveexec_b64 s[8:9], vcc
	s_xor_b64 s[8:9], exec, s[8:9]
; %bb.2848:
	v_bfe_u32 v3, v2, 20, 1
	s_mov_b32 s10, 0x407ffff
	v_add3_u32 v3, v2, v3, s10
	v_lshrrev_b32_e32 v6, 20, v3
	v_and_b32_e32 v3, 0xff00000, v3
	s_mov_b32 s10, 0x7f00000
	v_mov_b32_e32 v7, 0x7e
	v_cmp_ne_u32_e32 vcc, s10, v3
	v_cndmask_b32_e32 v3, v7, v6, vcc
; %bb.2849:
	s_andn2_saveexec_b64 s[8:9], s[8:9]
; %bb.2850:
	s_mov_b32 s10, 0x46800000
	v_add_f32_e64 v3, |v2|, s10
; %bb.2851:
	s_or_b64 exec, exec, s[8:9]
                                        ; implicit-def: $vgpr6
.LBB161_2852:
	s_andn2_saveexec_b64 s[6:7], s[6:7]
; %bb.2853:
	s_mov_b32 s8, 0x7f800000
	v_mov_b32_e32 v3, 0x7e
	v_mov_b32_e32 v7, 0x7f
	v_cmp_lt_u32_e32 vcc, s8, v6
	v_cndmask_b32_e32 v3, v3, v7, vcc
; %bb.2854:
	s_or_b64 exec, exec, s[6:7]
	v_lshrrev_b32_e32 v2, 24, v2
	s_movk_i32 s6, 0x80
	v_and_or_b32 v2, v2, s6, v3
	global_store_byte v[4:5], v2, off
.LBB161_2855:
	s_mov_b64 s[6:7], 0
.LBB161_2856:
	s_andn2_b64 vcc, exec, s[6:7]
	s_cbranch_vccnz .LBB161_2866
; %bb.2857:
	v_cvt_f32_f64_e32 v2, v[0:1]
	v_and_b32_e32 v6, 0x7fffffff, v2
	s_mov_b32 s6, 0x47800000
	v_cmp_gt_u32_e32 vcc, s6, v6
                                        ; implicit-def: $vgpr3
	s_and_saveexec_b64 s[6:7], vcc
	s_xor_b64 s[6:7], exec, s[6:7]
	s_cbranch_execz .LBB161_2863
; %bb.2858:
	s_mov_b32 s8, 0x387fffff
	v_cmp_lt_u32_e32 vcc, s8, v6
                                        ; implicit-def: $vgpr3
	s_and_saveexec_b64 s[8:9], vcc
	s_xor_b64 s[8:9], exec, s[8:9]
; %bb.2859:
	v_bfe_u32 v3, v2, 21, 1
	s_mov_b32 s10, 0x80fffff
	v_add3_u32 v3, v2, v3, s10
	v_lshrrev_b32_e32 v3, 21, v3
; %bb.2860:
	s_andn2_saveexec_b64 s[8:9], s[8:9]
; %bb.2861:
	s_mov_b32 s10, 0x43000000
	v_add_f32_e64 v3, |v2|, s10
; %bb.2862:
	s_or_b64 exec, exec, s[8:9]
                                        ; implicit-def: $vgpr6
.LBB161_2863:
	s_andn2_saveexec_b64 s[6:7], s[6:7]
; %bb.2864:
	s_mov_b32 s8, 0x7f800000
	v_mov_b32_e32 v3, 0x7c
	v_mov_b32_e32 v7, 0x7f
	v_cmp_lt_u32_e32 vcc, s8, v6
	v_cndmask_b32_e32 v3, v3, v7, vcc
; %bb.2865:
	s_or_b64 exec, exec, s[6:7]
	v_lshrrev_b32_e32 v2, 24, v2
	s_movk_i32 s6, 0x80
	v_and_or_b32 v2, v2, s6, v3
	global_store_byte v[4:5], v2, off
.LBB161_2866:
	s_mov_b64 s[6:7], 0
	s_mov_b64 s[8:9], -1
.LBB161_2867:
	s_andn2_b64 vcc, exec, s[6:7]
	s_mov_b64 s[6:7], 0
	s_cbranch_vccnz .LBB161_2874
; %bb.2868:
	v_mov_b32_e32 v2, 14
	v_cmp_gt_i16_sdwa s[6:7], s33, v2 src0_sel:BYTE_0 src1_sel:DWORD
	s_mov_b64 s[10:11], -1
	s_and_b64 vcc, exec, s[6:7]
	s_cbranch_vccz .LBB161_2872
; %bb.2869:
	v_mov_b32_e32 v2, 15
	v_cmp_eq_u16_sdwa s[6:7], s33, v2 src0_sel:BYTE_0 src1_sel:DWORD
	s_mov_b64 s[4:5], -1
	s_and_b64 vcc, exec, s[6:7]
	s_cbranch_vccz .LBB161_2871
; %bb.2870:
	v_cvt_f32_f64_e32 v2, v[0:1]
	v_bfe_u32 v3, v2, 16, 1
	s_movk_i32 s4, 0x7fff
	v_add3_u32 v3, v2, v3, s4
	v_lshrrev_b32_e32 v3, 16, v3
	v_mov_b32_e32 v6, 0x7fc0
	v_cmp_o_f32_e32 vcc, v2, v2
	v_cndmask_b32_e32 v2, v6, v3, vcc
	global_store_short v[4:5], v2, off
	s_mov_b64 s[4:5], 0
	s_mov_b64 s[8:9], -1
.LBB161_2871:
	s_mov_b64 s[10:11], 0
.LBB161_2872:
	s_mov_b64 s[6:7], 0
	s_and_b64 vcc, exec, s[10:11]
	s_cbranch_vccz .LBB161_2874
; %bb.2873:
	v_mov_b32_e32 v2, 11
	v_cmp_ne_u16_sdwa s[4:5], s33, v2 src0_sel:BYTE_0 src1_sel:DWORD
	s_mov_b64 s[6:7], -1
.LBB161_2874:
	s_and_b64 vcc, exec, s[4:5]
	s_cbranch_vccnz .LBB161_2930
; %bb.2875:
	s_andn2_b64 vcc, exec, s[6:7]
	s_cbranch_vccnz .LBB161_2877
.LBB161_2876:
	v_cmp_neq_f64_e32 vcc, 0, v[0:1]
	v_cndmask_b32_e64 v2, 0, 1, vcc
	s_mov_b64 s[8:9], -1
	global_store_byte v[4:5], v2, off
.LBB161_2877:
	s_mov_b64 s[4:5], 0
.LBB161_2878:
	s_and_b64 vcc, exec, s[4:5]
	s_cbranch_vccz .LBB161_2917
; %bb.2879:
	v_mov_b32_e32 v2, 5
	v_cmp_lt_i16_sdwa s[6:7], s33, v2 src0_sel:BYTE_0 src1_sel:DWORD
	s_mov_b64 s[4:5], -1
	s_and_b64 vcc, exec, s[6:7]
	s_cbranch_vccnz .LBB161_2900
; %bb.2880:
	v_mov_b32_e32 v2, 8
	v_cmp_lt_i16_sdwa s[6:7], s33, v2 src0_sel:BYTE_0 src1_sel:DWORD
	s_and_b64 vcc, exec, s[6:7]
	s_cbranch_vccnz .LBB161_2890
; %bb.2881:
	v_mov_b32_e32 v2, 9
	v_cmp_lt_i16_sdwa s[6:7], s33, v2 src0_sel:BYTE_0 src1_sel:DWORD
	s_and_b64 vcc, exec, s[6:7]
	s_cbranch_vccnz .LBB161_2887
; %bb.2882:
	v_cmp_gt_i16_sdwa s[6:7], s33, v2 src0_sel:BYTE_0 src1_sel:DWORD
	s_and_b64 vcc, exec, s[6:7]
	s_cbranch_vccz .LBB161_2884
; %bb.2883:
	v_mov_b32_e32 v2, 0
	v_mov_b32_e32 v3, v2
	global_store_dwordx4 v[4:5], v[0:3], off
	s_mov_b64 s[4:5], 0
.LBB161_2884:
	s_andn2_b64 vcc, exec, s[4:5]
	s_cbranch_vccnz .LBB161_2886
; %bb.2885:
	v_cvt_f32_f64_e32 v2, v[0:1]
	v_mov_b32_e32 v3, 0
	global_store_dwordx2 v[4:5], v[2:3], off
.LBB161_2886:
	s_mov_b64 s[4:5], 0
.LBB161_2887:
	s_andn2_b64 vcc, exec, s[4:5]
	s_cbranch_vccnz .LBB161_2889
; %bb.2888:
	v_cvt_f32_f64_e32 v2, v[0:1]
	v_cvt_f16_f32_e32 v2, v2
	global_store_dword v[4:5], v2, off
.LBB161_2889:
	s_mov_b64 s[4:5], 0
.LBB161_2890:
	s_andn2_b64 vcc, exec, s[4:5]
	s_cbranch_vccnz .LBB161_2899
; %bb.2891:
	v_mov_b32_e32 v2, 6
	v_cmp_lt_i16_sdwa s[6:7], s33, v2 src0_sel:BYTE_0 src1_sel:DWORD
	s_mov_b64 s[4:5], -1
	s_and_b64 vcc, exec, s[6:7]
	s_cbranch_vccnz .LBB161_2897
; %bb.2892:
	v_cmp_gt_i16_sdwa s[6:7], s33, v2 src0_sel:BYTE_0 src1_sel:DWORD
	s_and_b64 vcc, exec, s[6:7]
	s_cbranch_vccz .LBB161_2894
; %bb.2893:
	global_store_dwordx2 v[4:5], v[0:1], off
	s_mov_b64 s[4:5], 0
.LBB161_2894:
	s_andn2_b64 vcc, exec, s[4:5]
	s_cbranch_vccnz .LBB161_2896
; %bb.2895:
	v_cvt_f32_f64_e32 v2, v[0:1]
	global_store_dword v[4:5], v2, off
.LBB161_2896:
	s_mov_b64 s[4:5], 0
.LBB161_2897:
	s_andn2_b64 vcc, exec, s[4:5]
	s_cbranch_vccnz .LBB161_2899
; %bb.2898:
	v_cvt_f32_f64_e32 v2, v[0:1]
	v_cvt_f16_f32_e32 v2, v2
	global_store_short v[4:5], v2, off
.LBB161_2899:
	s_mov_b64 s[4:5], 0
.LBB161_2900:
	s_andn2_b64 vcc, exec, s[4:5]
	s_cbranch_vccnz .LBB161_2916
; %bb.2901:
	v_mov_b32_e32 v2, 2
	v_cmp_lt_i16_sdwa s[6:7], s33, v2 src0_sel:BYTE_0 src1_sel:DWORD
	s_mov_b64 s[4:5], -1
	s_and_b64 vcc, exec, s[6:7]
	s_cbranch_vccnz .LBB161_2911
; %bb.2902:
	v_mov_b32_e32 v2, 3
	v_cmp_lt_i16_sdwa s[6:7], s33, v2 src0_sel:BYTE_0 src1_sel:DWORD
	s_and_b64 vcc, exec, s[6:7]
	s_cbranch_vccnz .LBB161_2908
; %bb.2903:
	v_cmp_gt_i16_sdwa s[6:7], s33, v2 src0_sel:BYTE_0 src1_sel:DWORD
	s_and_b64 vcc, exec, s[6:7]
	s_cbranch_vccz .LBB161_2905
; %bb.2904:
	v_trunc_f64_e32 v[2:3], v[0:1]
	s_movk_i32 s4, 0xffe0
	v_ldexp_f64 v[6:7], v[2:3], s4
	v_floor_f64_e32 v[6:7], v[6:7]
	v_fmac_f64_e32 v[2:3], 0xc1f00000, v[6:7]
	v_cvt_i32_f64_e32 v9, v[6:7]
	v_cvt_u32_f64_e32 v8, v[2:3]
	global_store_dwordx2 v[4:5], v[8:9], off
	s_mov_b64 s[4:5], 0
.LBB161_2905:
	s_andn2_b64 vcc, exec, s[4:5]
	s_cbranch_vccnz .LBB161_2907
; %bb.2906:
	v_cvt_i32_f64_e32 v2, v[0:1]
	global_store_dword v[4:5], v2, off
.LBB161_2907:
	s_mov_b64 s[4:5], 0
.LBB161_2908:
	s_andn2_b64 vcc, exec, s[4:5]
	s_cbranch_vccnz .LBB161_2910
; %bb.2909:
	v_cvt_i32_f64_e32 v2, v[0:1]
	global_store_short v[4:5], v2, off
.LBB161_2910:
	s_mov_b64 s[4:5], 0
.LBB161_2911:
	s_andn2_b64 vcc, exec, s[4:5]
	s_cbranch_vccnz .LBB161_2916
; %bb.2912:
	v_mov_b32_e32 v2, 0
	v_cmp_gt_i16_sdwa s[6:7], s33, v2 src0_sel:BYTE_0 src1_sel:DWORD
	s_mov_b64 s[4:5], -1
	s_and_b64 vcc, exec, s[6:7]
	s_cbranch_vccz .LBB161_2914
; %bb.2913:
	v_cvt_i32_f64_e32 v2, v[0:1]
	global_store_byte v[4:5], v2, off
	s_mov_b64 s[4:5], 0
.LBB161_2914:
	s_andn2_b64 vcc, exec, s[4:5]
	s_cbranch_vccnz .LBB161_2916
; %bb.2915:
	v_trunc_f64_e32 v[0:1], v[0:1]
	s_movk_i32 s4, 0xffe0
	v_ldexp_f64 v[2:3], v[0:1], s4
	v_floor_f64_e32 v[2:3], v[2:3]
	v_fmac_f64_e32 v[0:1], 0xc1f00000, v[2:3]
	v_cvt_u32_f64_e32 v0, v[0:1]
	global_store_byte v[4:5], v0, off
.LBB161_2916:
	s_mov_b64 s[8:9], -1
.LBB161_2917:
	s_andn2_b64 vcc, exec, s[8:9]
	s_cbranch_vccnz .LBB161_3121
; %bb.2918:
	v_mov_b32_e32 v0, v46
	v_mov_b32_e32 v1, v47
	;; [unrolled: 1-line block ×4, first 2 shown]
	s_getpc_b64 s[4:5]
	s_add_u32 s4, s4, _ZZZZN2at6native33launch_standard_gamma_grad_kernelERNS_18TensorIteratorBaseEENKUlvE_clEvENKUlvE_clEvENKUlddE_clEdd@rel32@lo+4
	s_addc_u32 s5, s5, _ZZZZN2at6native33launch_standard_gamma_grad_kernelERNS_18TensorIteratorBaseEENKUlvE_clEvENKUlvE_clEvENKUlddE_clEdd@rel32@hi+12
	s_swappc_b64 s[30:31], s[4:5]
	v_mov_b32_e32 v2, s77
	v_add_co_u32_e32 v4, vcc, s76, v64
	v_addc_co_u32_e32 v5, vcc, 0, v2, vcc
	v_mov_b32_e32 v2, 11
	v_cmp_lt_i16_sdwa s[4:5], s33, v2 src0_sel:BYTE_0 src1_sel:DWORD
	s_and_b64 vcc, exec, s[4:5]
	s_cbranch_vccnz .LBB161_2925
; %bb.2919:
	v_mov_b32_e32 v2, 25
	v_cmp_gt_i16_sdwa s[4:5], s33, v2 src0_sel:BYTE_0 src1_sel:DWORD
	s_mov_b64 s[10:11], -1
	s_mov_b64 s[6:7], 0
	s_and_b64 vcc, exec, s[4:5]
	s_mov_b64 s[8:9], 0
	s_mov_b64 s[4:5], 0
	s_cbranch_vccz .LBB161_2961
; %bb.2920:
	v_mov_b32_e32 v2, 28
	v_cmp_gt_i16_sdwa s[4:5], s33, v2 src0_sel:BYTE_0 src1_sel:DWORD
	s_and_b64 vcc, exec, s[4:5]
	s_cbranch_vccz .LBB161_2926
; %bb.2921:
	v_mov_b32_e32 v2, 43
	v_cmp_gt_i16_sdwa s[4:5], s33, v2 src0_sel:BYTE_0 src1_sel:DWORD
	s_and_b64 vcc, exec, s[4:5]
	s_cbranch_vccz .LBB161_2929
; %bb.2922:
	v_mov_b32_e32 v2, 45
	v_cmp_gt_i16_sdwa s[4:5], s33, v2 src0_sel:BYTE_0 src1_sel:DWORD
	s_and_b64 vcc, exec, s[4:5]
	s_cbranch_vccz .LBB161_2933
; %bb.2923:
	v_mov_b32_e32 v2, 46
	v_cmp_eq_u16_sdwa s[8:9], s33, v2 src0_sel:BYTE_0 src1_sel:DWORD
	s_mov_b64 s[4:5], -1
	s_mov_b64 s[10:11], 0
	s_and_b64 vcc, exec, s[8:9]
	s_mov_b64 s[8:9], 0
	s_cbranch_vccz .LBB161_2934
; %bb.2924:
	v_cvt_f32_f64_e32 v2, v[0:1]
	v_bfe_u32 v3, v2, 16, 1
	s_movk_i32 s4, 0x7fff
	v_add3_u32 v3, v2, v3, s4
	v_lshrrev_b32_e32 v3, 16, v3
	v_mov_b32_e32 v6, 0x7fc0
	v_cmp_o_f32_e32 vcc, v2, v2
	v_cndmask_b32_e32 v2, v6, v3, vcc
	global_store_dword v[4:5], v2, off
	s_mov_b64 s[4:5], 0
	s_mov_b64 s[8:9], -1
	s_branch .LBB161_2934
.LBB161_2925:
	s_mov_b64 s[4:5], -1
	s_mov_b64 s[8:9], 0
	s_branch .LBB161_3005
.LBB161_2926:
	s_mov_b64 s[4:5], 0
	s_branch .LBB161_2944
.LBB161_2927:
	s_or_saveexec_b64 s[12:13], s[12:13]
                                        ; implicit-def: $sgpr14
	s_xor_b64 exec, exec, s[12:13]
	s_cbranch_execz .LBB161_2828
.LBB161_2928:
	s_mov_b32 s14, 0x46000000
	v_add_f32_e64 v3, |v2|, s14
	v_and_b32_e32 v3, 0xff, v3
	v_cmp_ne_u32_e32 vcc, 0, v3
	s_andn2_b64 s[10:11], s[10:11], exec
	s_and_b64 s[16:17], vcc, exec
	s_mov_b32 s14, 0
	s_or_b64 s[10:11], s[10:11], s[16:17]
	s_or_b64 exec, exec, s[12:13]
	v_mov_b32_e32 v6, s14
	s_and_saveexec_b64 s[12:13], s[10:11]
	s_cbranch_execnz .LBB161_2829
	s_branch .LBB161_2830
.LBB161_2929:
	s_mov_b64 s[4:5], 0
	s_branch .LBB161_2940
.LBB161_2930:
	s_trap 2
	s_or_b64 s[84:85], s[84:85], exec
	s_cbranch_execz .LBB161_2876
	s_branch .LBB161_2877
.LBB161_2931:
	s_or_saveexec_b64 s[10:11], s[10:11]
                                        ; implicit-def: $sgpr12
	s_xor_b64 exec, exec, s[10:11]
	s_cbranch_execz .LBB161_2841
.LBB161_2932:
	s_mov_b32 s12, 0x42800000
	v_add_f32_e64 v3, |v2|, s12
	v_and_b32_e32 v3, 0xff, v3
	v_cmp_ne_u32_e32 vcc, 0, v3
	s_andn2_b64 s[8:9], s[8:9], exec
	s_and_b64 s[14:15], vcc, exec
	s_mov_b32 s12, 0
	s_or_b64 s[8:9], s[8:9], s[14:15]
	s_or_b64 exec, exec, s[10:11]
	v_mov_b32_e32 v6, s12
	s_and_saveexec_b64 s[10:11], s[8:9]
	s_cbranch_execnz .LBB161_2842
	s_branch .LBB161_2843
.LBB161_2933:
	s_mov_b64 s[4:5], 0
.LBB161_2934:
	s_and_b64 vcc, exec, s[10:11]
	s_cbranch_vccz .LBB161_2939
; %bb.2935:
	v_mov_b32_e32 v2, 44
	v_cmp_eq_u16_sdwa s[10:11], s33, v2 src0_sel:BYTE_0 src1_sel:DWORD
	s_mov_b64 s[4:5], -1
	s_and_b64 vcc, exec, s[10:11]
	s_cbranch_vccz .LBB161_2939
; %bb.2936:
	v_cvt_f32_f64_e32 v2, v[0:1]
	v_bfe_u32 v3, v2, 23, 8
	s_movk_i32 s4, 0xff
	v_cmp_ne_u32_e32 vcc, s4, v3
	v_mov_b32_e32 v6, 0xff
	s_and_saveexec_b64 s[8:9], vcc
; %bb.2937:
	s_mov_b32 s4, 0x3fffff
	v_lshrrev_b32_e32 v6, 23, v2
	v_and_b32_e32 v7, 0x400000, v2
	v_and_or_b32 v2, v2, s4, v3
	v_cmp_ne_u32_e32 vcc, 0, v7
	v_cmp_ne_u32_e64 s[4:5], 0, v2
	s_and_b64 s[4:5], vcc, s[4:5]
	v_cndmask_b32_e64 v2, 0, 1, s[4:5]
	v_add_u32_e32 v6, v6, v2
; %bb.2938:
	s_or_b64 exec, exec, s[8:9]
	s_mov_b64 s[4:5], 0
	s_mov_b64 s[8:9], -1
	global_store_byte v[4:5], v6, off
.LBB161_2939:
	s_mov_b64 s[10:11], 0
.LBB161_2940:
	s_and_b64 vcc, exec, s[10:11]
	s_cbranch_vccz .LBB161_2943
; %bb.2941:
	v_mov_b32_e32 v2, 29
	v_cmp_eq_u16_sdwa s[10:11], s33, v2 src0_sel:BYTE_0 src1_sel:DWORD
	s_mov_b64 s[4:5], -1
	s_and_b64 vcc, exec, s[10:11]
	s_cbranch_vccz .LBB161_2943
; %bb.2942:
	v_trunc_f64_e32 v[2:3], v[0:1]
	s_movk_i32 s4, 0xffe0
	v_ldexp_f64 v[6:7], v[2:3], s4
	v_floor_f64_e32 v[6:7], v[6:7]
	v_fmac_f64_e32 v[2:3], 0xc1f00000, v[6:7]
	v_cvt_u32_f64_e32 v9, v[6:7]
	v_cvt_u32_f64_e32 v8, v[2:3]
	global_store_dwordx2 v[4:5], v[8:9], off
	s_mov_b64 s[4:5], 0
	s_mov_b64 s[8:9], -1
.LBB161_2943:
	s_mov_b64 s[10:11], 0
.LBB161_2944:
	s_and_b64 vcc, exec, s[10:11]
	s_cbranch_vccz .LBB161_2960
; %bb.2945:
	v_mov_b32_e32 v2, 27
	v_cmp_lt_i16_sdwa s[10:11], s33, v2 src0_sel:BYTE_0 src1_sel:DWORD
	s_mov_b64 s[8:9], -1
	s_and_b64 vcc, exec, s[10:11]
	s_cbranch_vccnz .LBB161_2951
; %bb.2946:
	v_cmp_gt_i16_sdwa s[10:11], s33, v2 src0_sel:BYTE_0 src1_sel:DWORD
	s_and_b64 vcc, exec, s[10:11]
	s_cbranch_vccz .LBB161_2948
; %bb.2947:
	v_cvt_u32_f64_e32 v2, v[0:1]
	s_mov_b64 s[8:9], 0
	global_store_dword v[4:5], v2, off
.LBB161_2948:
	s_andn2_b64 vcc, exec, s[8:9]
	s_cbranch_vccnz .LBB161_2950
; %bb.2949:
	v_cvt_u32_f64_e32 v2, v[0:1]
	global_store_short v[4:5], v2, off
.LBB161_2950:
	s_mov_b64 s[8:9], 0
.LBB161_2951:
	s_andn2_b64 vcc, exec, s[8:9]
	s_cbranch_vccnz .LBB161_2959
; %bb.2952:
	v_cvt_f32_f64_e32 v2, v[0:1]
	v_and_b32_e32 v3, 0x7fffffff, v2
	s_mov_b32 s8, 0x43800000
	v_cmp_gt_u32_e32 vcc, s8, v3
	v_mov_b32_e32 v6, 0x80
	s_and_saveexec_b64 s[8:9], vcc
	s_cbranch_execz .LBB161_2958
; %bb.2953:
	s_mov_b32 s10, 0x3bffffff
	v_cmp_lt_u32_e32 vcc, s10, v3
	s_mov_b64 s[10:11], 0
                                        ; implicit-def: $vgpr3
	s_and_saveexec_b64 s[12:13], vcc
	s_xor_b64 s[12:13], exec, s[12:13]
	s_cbranch_execz .LBB161_3167
; %bb.2954:
	v_bfe_u32 v3, v2, 20, 1
	s_mov_b32 s14, 0x487ffff
	v_add3_u32 v3, v2, v3, s14
	s_mov_b64 s[10:11], exec
	v_lshrrev_b32_e32 v3, 20, v3
	s_or_saveexec_b64 s[12:13], s[12:13]
                                        ; implicit-def: $sgpr14
	s_xor_b64 exec, exec, s[12:13]
	s_cbranch_execnz .LBB161_3168
.LBB161_2955:
	s_or_b64 exec, exec, s[12:13]
	v_mov_b32_e32 v6, s14
	s_and_saveexec_b64 s[12:13], s[10:11]
.LBB161_2956:
	v_lshrrev_b32_e32 v2, 24, v2
	s_movk_i32 s10, 0x80
	v_and_or_b32 v6, v2, s10, v3
.LBB161_2957:
	s_or_b64 exec, exec, s[12:13]
.LBB161_2958:
	s_or_b64 exec, exec, s[8:9]
	global_store_byte v[4:5], v6, off
.LBB161_2959:
	s_mov_b64 s[8:9], -1
.LBB161_2960:
	s_mov_b64 s[10:11], 0
.LBB161_2961:
	s_and_b64 vcc, exec, s[10:11]
	s_cbranch_vccz .LBB161_3001
; %bb.2962:
	v_mov_b32_e32 v2, 22
	v_cmp_gt_i16_sdwa s[10:11], s33, v2 src0_sel:BYTE_0 src1_sel:DWORD
	s_mov_b64 s[6:7], -1
	s_and_b64 vcc, exec, s[10:11]
	s_cbranch_vccz .LBB161_2994
; %bb.2963:
	v_mov_b32_e32 v2, 24
	v_cmp_lt_i16_sdwa s[8:9], s33, v2 src0_sel:BYTE_0 src1_sel:DWORD
	s_and_b64 vcc, exec, s[8:9]
	s_cbranch_vccnz .LBB161_2983
; %bb.2964:
	v_cmp_gt_i16_sdwa s[8:9], s33, v2 src0_sel:BYTE_0 src1_sel:DWORD
	s_and_b64 vcc, exec, s[8:9]
	s_cbranch_vccz .LBB161_2972
; %bb.2965:
	v_cvt_f32_f64_e32 v2, v[0:1]
	v_and_b32_e32 v3, 0x7fffffff, v2
	s_mov_b32 s6, 0x47800000
	v_cmp_gt_u32_e32 vcc, s6, v3
	v_mov_b32_e32 v6, 0x80
	s_and_saveexec_b64 s[6:7], vcc
	s_cbranch_execz .LBB161_2971
; %bb.2966:
	s_mov_b32 s8, 0x37ffffff
	v_cmp_lt_u32_e32 vcc, s8, v3
	s_mov_b64 s[8:9], 0
                                        ; implicit-def: $vgpr3
	s_and_saveexec_b64 s[10:11], vcc
	s_xor_b64 s[10:11], exec, s[10:11]
	s_cbranch_execz .LBB161_3170
; %bb.2967:
	v_bfe_u32 v3, v2, 21, 1
	s_mov_b32 s12, 0x88fffff
	v_add3_u32 v3, v2, v3, s12
	s_mov_b64 s[8:9], exec
	v_lshrrev_b32_e32 v3, 21, v3
	s_or_saveexec_b64 s[10:11], s[10:11]
                                        ; implicit-def: $sgpr12
	s_xor_b64 exec, exec, s[10:11]
	s_cbranch_execnz .LBB161_3171
.LBB161_2968:
	s_or_b64 exec, exec, s[10:11]
	v_mov_b32_e32 v6, s12
	s_and_saveexec_b64 s[10:11], s[8:9]
.LBB161_2969:
	v_lshrrev_b32_e32 v2, 24, v2
	s_movk_i32 s8, 0x80
	v_and_or_b32 v6, v2, s8, v3
.LBB161_2970:
	s_or_b64 exec, exec, s[10:11]
.LBB161_2971:
	s_or_b64 exec, exec, s[6:7]
	s_mov_b64 s[6:7], 0
	global_store_byte v[4:5], v6, off
.LBB161_2972:
	s_and_b64 vcc, exec, s[6:7]
	s_cbranch_vccz .LBB161_2982
; %bb.2973:
	v_cvt_f32_f64_e32 v2, v[0:1]
	v_and_b32_e32 v6, 0x7fffffff, v2
	s_mov_b32 s6, 0x43f00000
	v_cmp_gt_u32_e32 vcc, s6, v6
                                        ; implicit-def: $vgpr3
	s_and_saveexec_b64 s[6:7], vcc
	s_xor_b64 s[6:7], exec, s[6:7]
	s_cbranch_execz .LBB161_2979
; %bb.2974:
	s_mov_b32 s8, 0x3c7fffff
	v_cmp_lt_u32_e32 vcc, s8, v6
                                        ; implicit-def: $vgpr3
	s_and_saveexec_b64 s[8:9], vcc
	s_xor_b64 s[8:9], exec, s[8:9]
; %bb.2975:
	v_bfe_u32 v3, v2, 20, 1
	s_mov_b32 s10, 0x407ffff
	v_add3_u32 v3, v2, v3, s10
	v_lshrrev_b32_e32 v6, 20, v3
	v_and_b32_e32 v3, 0xff00000, v3
	s_mov_b32 s10, 0x7f00000
	v_mov_b32_e32 v7, 0x7e
	v_cmp_ne_u32_e32 vcc, s10, v3
	v_cndmask_b32_e32 v3, v7, v6, vcc
; %bb.2976:
	s_andn2_saveexec_b64 s[8:9], s[8:9]
; %bb.2977:
	s_mov_b32 s10, 0x46800000
	v_add_f32_e64 v3, |v2|, s10
; %bb.2978:
	s_or_b64 exec, exec, s[8:9]
                                        ; implicit-def: $vgpr6
.LBB161_2979:
	s_andn2_saveexec_b64 s[6:7], s[6:7]
; %bb.2980:
	s_mov_b32 s8, 0x7f800000
	v_mov_b32_e32 v3, 0x7e
	v_mov_b32_e32 v7, 0x7f
	v_cmp_lt_u32_e32 vcc, s8, v6
	v_cndmask_b32_e32 v3, v3, v7, vcc
; %bb.2981:
	s_or_b64 exec, exec, s[6:7]
	v_lshrrev_b32_e32 v2, 24, v2
	s_movk_i32 s6, 0x80
	v_and_or_b32 v2, v2, s6, v3
	global_store_byte v[4:5], v2, off
.LBB161_2982:
	s_mov_b64 s[6:7], 0
.LBB161_2983:
	s_andn2_b64 vcc, exec, s[6:7]
	s_cbranch_vccnz .LBB161_2993
; %bb.2984:
	v_cvt_f32_f64_e32 v2, v[0:1]
	v_and_b32_e32 v6, 0x7fffffff, v2
	s_mov_b32 s6, 0x47800000
	v_cmp_gt_u32_e32 vcc, s6, v6
                                        ; implicit-def: $vgpr3
	s_and_saveexec_b64 s[6:7], vcc
	s_xor_b64 s[6:7], exec, s[6:7]
	s_cbranch_execz .LBB161_2990
; %bb.2985:
	s_mov_b32 s8, 0x387fffff
	v_cmp_lt_u32_e32 vcc, s8, v6
                                        ; implicit-def: $vgpr3
	s_and_saveexec_b64 s[8:9], vcc
	s_xor_b64 s[8:9], exec, s[8:9]
; %bb.2986:
	v_bfe_u32 v3, v2, 21, 1
	s_mov_b32 s10, 0x80fffff
	v_add3_u32 v3, v2, v3, s10
	v_lshrrev_b32_e32 v3, 21, v3
; %bb.2987:
	s_andn2_saveexec_b64 s[8:9], s[8:9]
; %bb.2988:
	s_mov_b32 s10, 0x43000000
	v_add_f32_e64 v3, |v2|, s10
; %bb.2989:
	s_or_b64 exec, exec, s[8:9]
                                        ; implicit-def: $vgpr6
.LBB161_2990:
	s_andn2_saveexec_b64 s[6:7], s[6:7]
; %bb.2991:
	s_mov_b32 s8, 0x7f800000
	v_mov_b32_e32 v3, 0x7c
	v_mov_b32_e32 v7, 0x7f
	v_cmp_lt_u32_e32 vcc, s8, v6
	v_cndmask_b32_e32 v3, v3, v7, vcc
; %bb.2992:
	s_or_b64 exec, exec, s[6:7]
	v_lshrrev_b32_e32 v2, 24, v2
	s_movk_i32 s6, 0x80
	v_and_or_b32 v2, v2, s6, v3
	global_store_byte v[4:5], v2, off
.LBB161_2993:
	s_mov_b64 s[6:7], 0
	s_mov_b64 s[8:9], -1
.LBB161_2994:
	s_andn2_b64 vcc, exec, s[6:7]
	s_mov_b64 s[6:7], 0
	s_cbranch_vccnz .LBB161_3001
; %bb.2995:
	v_mov_b32_e32 v2, 14
	v_cmp_gt_i16_sdwa s[6:7], s33, v2 src0_sel:BYTE_0 src1_sel:DWORD
	s_mov_b64 s[10:11], -1
	s_and_b64 vcc, exec, s[6:7]
	s_cbranch_vccz .LBB161_2999
; %bb.2996:
	v_mov_b32_e32 v2, 15
	v_cmp_eq_u16_sdwa s[6:7], s33, v2 src0_sel:BYTE_0 src1_sel:DWORD
	s_mov_b64 s[4:5], -1
	s_and_b64 vcc, exec, s[6:7]
	s_cbranch_vccz .LBB161_2998
; %bb.2997:
	v_cvt_f32_f64_e32 v2, v[0:1]
	v_bfe_u32 v3, v2, 16, 1
	s_movk_i32 s4, 0x7fff
	v_add3_u32 v3, v2, v3, s4
	v_lshrrev_b32_e32 v3, 16, v3
	v_mov_b32_e32 v6, 0x7fc0
	v_cmp_o_f32_e32 vcc, v2, v2
	v_cndmask_b32_e32 v2, v6, v3, vcc
	global_store_short v[4:5], v2, off
	s_mov_b64 s[4:5], 0
	s_mov_b64 s[8:9], -1
.LBB161_2998:
	s_mov_b64 s[10:11], 0
.LBB161_2999:
	s_mov_b64 s[6:7], 0
	s_and_b64 vcc, exec, s[10:11]
	s_cbranch_vccz .LBB161_3001
; %bb.3000:
	v_mov_b32_e32 v2, 11
	v_cmp_ne_u16_sdwa s[4:5], s33, v2 src0_sel:BYTE_0 src1_sel:DWORD
	s_mov_b64 s[6:7], -1
.LBB161_3001:
	s_and_b64 vcc, exec, s[4:5]
	s_cbranch_vccnz .LBB161_3169
; %bb.3002:
	s_andn2_b64 vcc, exec, s[6:7]
	s_cbranch_vccnz .LBB161_3004
.LBB161_3003:
	v_cmp_neq_f64_e32 vcc, 0, v[0:1]
	v_cndmask_b32_e64 v2, 0, 1, vcc
	s_mov_b64 s[8:9], -1
	global_store_byte v[4:5], v2, off
.LBB161_3004:
	s_mov_b64 s[4:5], 0
.LBB161_3005:
	s_and_b64 vcc, exec, s[4:5]
	s_cbranch_vccz .LBB161_3044
; %bb.3006:
	v_mov_b32_e32 v2, 5
	v_cmp_lt_i16_sdwa s[6:7], s33, v2 src0_sel:BYTE_0 src1_sel:DWORD
	s_mov_b64 s[4:5], -1
	s_and_b64 vcc, exec, s[6:7]
	s_cbranch_vccnz .LBB161_3027
; %bb.3007:
	v_mov_b32_e32 v2, 8
	v_cmp_lt_i16_sdwa s[6:7], s33, v2 src0_sel:BYTE_0 src1_sel:DWORD
	s_and_b64 vcc, exec, s[6:7]
	s_cbranch_vccnz .LBB161_3017
; %bb.3008:
	v_mov_b32_e32 v2, 9
	v_cmp_lt_i16_sdwa s[6:7], s33, v2 src0_sel:BYTE_0 src1_sel:DWORD
	s_and_b64 vcc, exec, s[6:7]
	s_cbranch_vccnz .LBB161_3014
; %bb.3009:
	v_cmp_gt_i16_sdwa s[6:7], s33, v2 src0_sel:BYTE_0 src1_sel:DWORD
	s_and_b64 vcc, exec, s[6:7]
	s_cbranch_vccz .LBB161_3011
; %bb.3010:
	v_mov_b32_e32 v2, 0
	v_mov_b32_e32 v3, v2
	global_store_dwordx4 v[4:5], v[0:3], off
	s_mov_b64 s[4:5], 0
.LBB161_3011:
	s_andn2_b64 vcc, exec, s[4:5]
	s_cbranch_vccnz .LBB161_3013
; %bb.3012:
	v_cvt_f32_f64_e32 v2, v[0:1]
	v_mov_b32_e32 v3, 0
	global_store_dwordx2 v[4:5], v[2:3], off
.LBB161_3013:
	s_mov_b64 s[4:5], 0
.LBB161_3014:
	s_andn2_b64 vcc, exec, s[4:5]
	s_cbranch_vccnz .LBB161_3016
; %bb.3015:
	v_cvt_f32_f64_e32 v2, v[0:1]
	v_cvt_f16_f32_e32 v2, v2
	global_store_dword v[4:5], v2, off
.LBB161_3016:
	s_mov_b64 s[4:5], 0
.LBB161_3017:
	s_andn2_b64 vcc, exec, s[4:5]
	s_cbranch_vccnz .LBB161_3026
; %bb.3018:
	v_mov_b32_e32 v2, 6
	v_cmp_lt_i16_sdwa s[6:7], s33, v2 src0_sel:BYTE_0 src1_sel:DWORD
	s_mov_b64 s[4:5], -1
	s_and_b64 vcc, exec, s[6:7]
	s_cbranch_vccnz .LBB161_3024
; %bb.3019:
	v_cmp_gt_i16_sdwa s[6:7], s33, v2 src0_sel:BYTE_0 src1_sel:DWORD
	s_and_b64 vcc, exec, s[6:7]
	s_cbranch_vccz .LBB161_3021
; %bb.3020:
	global_store_dwordx2 v[4:5], v[0:1], off
	s_mov_b64 s[4:5], 0
.LBB161_3021:
	s_andn2_b64 vcc, exec, s[4:5]
	s_cbranch_vccnz .LBB161_3023
; %bb.3022:
	v_cvt_f32_f64_e32 v2, v[0:1]
	global_store_dword v[4:5], v2, off
.LBB161_3023:
	s_mov_b64 s[4:5], 0
.LBB161_3024:
	s_andn2_b64 vcc, exec, s[4:5]
	s_cbranch_vccnz .LBB161_3026
; %bb.3025:
	v_cvt_f32_f64_e32 v2, v[0:1]
	v_cvt_f16_f32_e32 v2, v2
	global_store_short v[4:5], v2, off
.LBB161_3026:
	s_mov_b64 s[4:5], 0
.LBB161_3027:
	s_andn2_b64 vcc, exec, s[4:5]
	s_cbranch_vccnz .LBB161_3043
; %bb.3028:
	v_mov_b32_e32 v2, 2
	v_cmp_lt_i16_sdwa s[6:7], s33, v2 src0_sel:BYTE_0 src1_sel:DWORD
	s_mov_b64 s[4:5], -1
	s_and_b64 vcc, exec, s[6:7]
	s_cbranch_vccnz .LBB161_3038
; %bb.3029:
	v_mov_b32_e32 v2, 3
	v_cmp_lt_i16_sdwa s[6:7], s33, v2 src0_sel:BYTE_0 src1_sel:DWORD
	s_and_b64 vcc, exec, s[6:7]
	s_cbranch_vccnz .LBB161_3035
; %bb.3030:
	v_cmp_gt_i16_sdwa s[6:7], s33, v2 src0_sel:BYTE_0 src1_sel:DWORD
	s_and_b64 vcc, exec, s[6:7]
	s_cbranch_vccz .LBB161_3032
; %bb.3031:
	v_trunc_f64_e32 v[2:3], v[0:1]
	s_movk_i32 s4, 0xffe0
	v_ldexp_f64 v[6:7], v[2:3], s4
	v_floor_f64_e32 v[6:7], v[6:7]
	v_fmac_f64_e32 v[2:3], 0xc1f00000, v[6:7]
	v_cvt_i32_f64_e32 v9, v[6:7]
	v_cvt_u32_f64_e32 v8, v[2:3]
	global_store_dwordx2 v[4:5], v[8:9], off
	s_mov_b64 s[4:5], 0
.LBB161_3032:
	s_andn2_b64 vcc, exec, s[4:5]
	s_cbranch_vccnz .LBB161_3034
; %bb.3033:
	v_cvt_i32_f64_e32 v2, v[0:1]
	global_store_dword v[4:5], v2, off
.LBB161_3034:
	s_mov_b64 s[4:5], 0
.LBB161_3035:
	s_andn2_b64 vcc, exec, s[4:5]
	s_cbranch_vccnz .LBB161_3037
; %bb.3036:
	v_cvt_i32_f64_e32 v2, v[0:1]
	global_store_short v[4:5], v2, off
.LBB161_3037:
	s_mov_b64 s[4:5], 0
.LBB161_3038:
	s_andn2_b64 vcc, exec, s[4:5]
	s_cbranch_vccnz .LBB161_3043
; %bb.3039:
	v_mov_b32_e32 v2, 0
	v_cmp_gt_i16_sdwa s[6:7], s33, v2 src0_sel:BYTE_0 src1_sel:DWORD
	s_mov_b64 s[4:5], -1
	s_and_b64 vcc, exec, s[6:7]
	s_cbranch_vccz .LBB161_3041
; %bb.3040:
	v_cvt_i32_f64_e32 v2, v[0:1]
	global_store_byte v[4:5], v2, off
	s_mov_b64 s[4:5], 0
.LBB161_3041:
	s_andn2_b64 vcc, exec, s[4:5]
	s_cbranch_vccnz .LBB161_3043
; %bb.3042:
	v_trunc_f64_e32 v[0:1], v[0:1]
	s_movk_i32 s4, 0xffe0
	v_ldexp_f64 v[2:3], v[0:1], s4
	v_floor_f64_e32 v[2:3], v[2:3]
	v_fmac_f64_e32 v[0:1], 0xc1f00000, v[2:3]
	v_cvt_u32_f64_e32 v0, v[0:1]
	global_store_byte v[4:5], v0, off
.LBB161_3043:
	s_mov_b64 s[8:9], -1
.LBB161_3044:
	s_andn2_b64 vcc, exec, s[8:9]
	s_cbranch_vccnz .LBB161_3121
; %bb.3045:
	v_mov_b32_e32 v0, v58
	v_mov_b32_e32 v1, v59
	;; [unrolled: 1-line block ×4, first 2 shown]
	s_getpc_b64 s[4:5]
	s_add_u32 s4, s4, _ZZZZN2at6native33launch_standard_gamma_grad_kernelERNS_18TensorIteratorBaseEENKUlvE_clEvENKUlvE_clEvENKUlddE_clEdd@rel32@lo+4
	s_addc_u32 s5, s5, _ZZZZN2at6native33launch_standard_gamma_grad_kernelERNS_18TensorIteratorBaseEENKUlvE_clEvENKUlvE_clEvENKUlddE_clEdd@rel32@hi+12
	s_swappc_b64 s[30:31], s[4:5]
	v_mov_b32_e32 v2, 0xff
	v_and_b32_e32 v6, s33, v2
	v_mov_b32_e32 v2, s77
	v_add_co_u32_e32 v4, vcc, s76, v62
	v_addc_co_u32_e32 v5, vcc, 0, v2, vcc
	v_cmp_gt_i16_e32 vcc, 11, v6
	s_cbranch_vccnz .LBB161_3166
; %bb.3046:
	v_cmp_lt_i16_e32 vcc, 25, v6
	s_mov_b64 s[8:9], -1
	s_mov_b64 s[6:7], 0
	s_mov_b64 s[4:5], 0
	s_cbranch_vccz .LBB161_3079
; %bb.3047:
	v_cmp_lt_i16_e32 vcc, 28, v6
	s_cbranch_vccz .LBB161_3063
; %bb.3048:
	v_cmp_lt_i16_e32 vcc, 43, v6
	;; [unrolled: 3-line block ×3, first 2 shown]
	s_cbranch_vccz .LBB161_3053
; %bb.3050:
	v_cmp_eq_u16_e32 vcc, 46, v6
	s_mov_b64 s[4:5], -1
	s_cbranch_vccz .LBB161_3052
; %bb.3051:
	v_cvt_f32_f64_e32 v2, v[0:1]
	v_bfe_u32 v3, v2, 16, 1
	s_movk_i32 s4, 0x7fff
	v_add3_u32 v3, v2, v3, s4
	v_lshrrev_b32_e32 v3, 16, v3
	v_mov_b32_e32 v7, 0x7fc0
	v_cmp_o_f32_e32 vcc, v2, v2
	v_cndmask_b32_e32 v2, v7, v3, vcc
	global_store_dword v[4:5], v2, off
	s_mov_b64 s[4:5], 0
.LBB161_3052:
	s_mov_b64 s[8:9], 0
.LBB161_3053:
	s_and_b64 vcc, exec, s[8:9]
	s_cbranch_vccz .LBB161_3058
; %bb.3054:
	v_cmp_eq_u16_e32 vcc, 44, v6
	s_mov_b64 s[4:5], -1
	s_cbranch_vccz .LBB161_3058
; %bb.3055:
	v_cvt_f32_f64_e32 v2, v[0:1]
	v_bfe_u32 v3, v2, 23, 8
	s_movk_i32 s4, 0xff
	v_cmp_ne_u32_e32 vcc, s4, v3
	v_mov_b32_e32 v7, 0xff
	s_and_saveexec_b64 s[8:9], vcc
; %bb.3056:
	s_mov_b32 s4, 0x3fffff
	v_lshrrev_b32_e32 v7, 23, v2
	v_and_b32_e32 v8, 0x400000, v2
	v_and_or_b32 v2, v2, s4, v3
	v_cmp_ne_u32_e32 vcc, 0, v8
	v_cmp_ne_u32_e64 s[4:5], 0, v2
	s_and_b64 s[4:5], vcc, s[4:5]
	v_cndmask_b32_e64 v2, 0, 1, s[4:5]
	v_add_u32_e32 v7, v7, v2
; %bb.3057:
	s_or_b64 exec, exec, s[8:9]
	s_mov_b64 s[4:5], 0
	global_store_byte v[4:5], v7, off
.LBB161_3058:
	s_mov_b64 s[8:9], 0
.LBB161_3059:
	s_and_b64 vcc, exec, s[8:9]
	s_cbranch_vccz .LBB161_3062
; %bb.3060:
	v_cmp_eq_u16_e32 vcc, 29, v6
	s_mov_b64 s[4:5], -1
	s_cbranch_vccz .LBB161_3062
; %bb.3061:
	v_trunc_f64_e32 v[2:3], v[0:1]
	s_movk_i32 s4, 0xffe0
	v_ldexp_f64 v[8:9], v[2:3], s4
	v_floor_f64_e32 v[8:9], v[8:9]
	v_fmac_f64_e32 v[2:3], 0xc1f00000, v[8:9]
	v_cvt_u32_f64_e32 v11, v[8:9]
	v_cvt_u32_f64_e32 v10, v[2:3]
	global_store_dwordx2 v[4:5], v[10:11], off
	s_mov_b64 s[4:5], 0
.LBB161_3062:
	s_mov_b64 s[8:9], 0
.LBB161_3063:
	s_and_b64 vcc, exec, s[8:9]
	s_cbranch_vccz .LBB161_3078
; %bb.3064:
	v_cmp_gt_i16_e32 vcc, 27, v6
	s_mov_b64 s[8:9], -1
	s_cbranch_vccnz .LBB161_3070
; %bb.3065:
	v_cmp_lt_i16_e32 vcc, 27, v6
	v_cvt_u32_f64_e32 v2, v[0:1]
	s_cbranch_vccz .LBB161_3067
; %bb.3066:
	global_store_dword v[4:5], v2, off
	s_mov_b64 s[8:9], 0
.LBB161_3067:
	s_andn2_b64 vcc, exec, s[8:9]
	s_cbranch_vccnz .LBB161_3069
; %bb.3068:
	global_store_short v[4:5], v2, off
.LBB161_3069:
	s_mov_b64 s[8:9], 0
.LBB161_3070:
	s_andn2_b64 vcc, exec, s[8:9]
	s_cbranch_vccnz .LBB161_3078
; %bb.3071:
	v_cvt_f32_f64_e32 v2, v[0:1]
	v_and_b32_e32 v3, 0x7fffffff, v2
	s_mov_b32 s8, 0x43800000
	v_cmp_gt_u32_e32 vcc, s8, v3
	v_mov_b32_e32 v7, 0x80
	s_and_saveexec_b64 s[8:9], vcc
	s_cbranch_execz .LBB161_3077
; %bb.3072:
	s_mov_b32 s10, 0x3bffffff
	v_cmp_lt_u32_e32 vcc, s10, v3
	s_mov_b64 s[10:11], 0
                                        ; implicit-def: $vgpr3
	s_and_saveexec_b64 s[12:13], vcc
	s_xor_b64 s[12:13], exec, s[12:13]
	s_cbranch_execz .LBB161_3172
; %bb.3073:
	v_bfe_u32 v3, v2, 20, 1
	s_mov_b32 s14, 0x487ffff
	v_add3_u32 v3, v2, v3, s14
	s_mov_b64 s[10:11], exec
	v_lshrrev_b32_e32 v3, 20, v3
	s_or_saveexec_b64 s[12:13], s[12:13]
                                        ; implicit-def: $sgpr14
	s_xor_b64 exec, exec, s[12:13]
	s_cbranch_execnz .LBB161_3173
.LBB161_3074:
	s_or_b64 exec, exec, s[12:13]
	v_mov_b32_e32 v7, s14
	s_and_saveexec_b64 s[12:13], s[10:11]
.LBB161_3075:
	v_lshrrev_b32_e32 v2, 24, v2
	s_movk_i32 s10, 0x80
	v_and_or_b32 v7, v2, s10, v3
.LBB161_3076:
	s_or_b64 exec, exec, s[12:13]
.LBB161_3077:
	s_or_b64 exec, exec, s[8:9]
	global_store_byte v[4:5], v7, off
.LBB161_3078:
	s_mov_b64 s[8:9], 0
.LBB161_3079:
	s_and_b64 vcc, exec, s[8:9]
	s_cbranch_vccz .LBB161_3119
; %bb.3080:
	v_cmp_lt_i16_e32 vcc, 22, v6
	s_mov_b64 s[6:7], -1
	s_cbranch_vccz .LBB161_3112
; %bb.3081:
	v_cmp_gt_i16_e32 vcc, 24, v6
	s_cbranch_vccnz .LBB161_3101
; %bb.3082:
	v_cmp_lt_i16_e32 vcc, 24, v6
	s_cbranch_vccz .LBB161_3090
; %bb.3083:
	v_cvt_f32_f64_e32 v2, v[0:1]
	v_and_b32_e32 v3, 0x7fffffff, v2
	s_mov_b32 s6, 0x47800000
	v_cmp_gt_u32_e32 vcc, s6, v3
	v_mov_b32_e32 v7, 0x80
	s_and_saveexec_b64 s[6:7], vcc
	s_cbranch_execz .LBB161_3089
; %bb.3084:
	s_mov_b32 s8, 0x37ffffff
	v_cmp_lt_u32_e32 vcc, s8, v3
	s_mov_b64 s[8:9], 0
                                        ; implicit-def: $vgpr3
	s_and_saveexec_b64 s[10:11], vcc
	s_xor_b64 s[10:11], exec, s[10:11]
	s_cbranch_execz .LBB161_3175
; %bb.3085:
	v_bfe_u32 v3, v2, 21, 1
	s_mov_b32 s12, 0x88fffff
	v_add3_u32 v3, v2, v3, s12
	s_mov_b64 s[8:9], exec
	v_lshrrev_b32_e32 v3, 21, v3
	s_or_saveexec_b64 s[10:11], s[10:11]
                                        ; implicit-def: $sgpr12
	s_xor_b64 exec, exec, s[10:11]
	s_cbranch_execnz .LBB161_3176
.LBB161_3086:
	s_or_b64 exec, exec, s[10:11]
	v_mov_b32_e32 v7, s12
	s_and_saveexec_b64 s[10:11], s[8:9]
.LBB161_3087:
	v_lshrrev_b32_e32 v2, 24, v2
	s_movk_i32 s8, 0x80
	v_and_or_b32 v7, v2, s8, v3
.LBB161_3088:
	s_or_b64 exec, exec, s[10:11]
.LBB161_3089:
	s_or_b64 exec, exec, s[6:7]
	s_mov_b64 s[6:7], 0
	global_store_byte v[4:5], v7, off
.LBB161_3090:
	s_and_b64 vcc, exec, s[6:7]
	s_cbranch_vccz .LBB161_3100
; %bb.3091:
	v_cvt_f32_f64_e32 v2, v[0:1]
	v_and_b32_e32 v7, 0x7fffffff, v2
	s_mov_b32 s6, 0x43f00000
	v_cmp_gt_u32_e32 vcc, s6, v7
                                        ; implicit-def: $vgpr3
	s_and_saveexec_b64 s[6:7], vcc
	s_xor_b64 s[6:7], exec, s[6:7]
	s_cbranch_execz .LBB161_3097
; %bb.3092:
	s_mov_b32 s8, 0x3c7fffff
	v_cmp_lt_u32_e32 vcc, s8, v7
                                        ; implicit-def: $vgpr3
	s_and_saveexec_b64 s[8:9], vcc
	s_xor_b64 s[8:9], exec, s[8:9]
; %bb.3093:
	v_bfe_u32 v3, v2, 20, 1
	s_mov_b32 s10, 0x407ffff
	v_add3_u32 v3, v2, v3, s10
	v_lshrrev_b32_e32 v7, 20, v3
	v_and_b32_e32 v3, 0xff00000, v3
	s_mov_b32 s10, 0x7f00000
	v_mov_b32_e32 v8, 0x7e
	v_cmp_ne_u32_e32 vcc, s10, v3
	v_cndmask_b32_e32 v3, v8, v7, vcc
; %bb.3094:
	s_andn2_saveexec_b64 s[8:9], s[8:9]
; %bb.3095:
	s_mov_b32 s10, 0x46800000
	v_add_f32_e64 v3, |v2|, s10
; %bb.3096:
	s_or_b64 exec, exec, s[8:9]
                                        ; implicit-def: $vgpr7
.LBB161_3097:
	s_andn2_saveexec_b64 s[6:7], s[6:7]
; %bb.3098:
	s_mov_b32 s8, 0x7f800000
	v_mov_b32_e32 v3, 0x7e
	v_mov_b32_e32 v8, 0x7f
	v_cmp_lt_u32_e32 vcc, s8, v7
	v_cndmask_b32_e32 v3, v3, v8, vcc
; %bb.3099:
	s_or_b64 exec, exec, s[6:7]
	v_lshrrev_b32_e32 v2, 24, v2
	s_movk_i32 s6, 0x80
	v_and_or_b32 v2, v2, s6, v3
	global_store_byte v[4:5], v2, off
.LBB161_3100:
	s_mov_b64 s[6:7], 0
.LBB161_3101:
	s_andn2_b64 vcc, exec, s[6:7]
	s_cbranch_vccnz .LBB161_3111
; %bb.3102:
	v_cvt_f32_f64_e32 v2, v[0:1]
	v_and_b32_e32 v7, 0x7fffffff, v2
	s_mov_b32 s6, 0x47800000
	v_cmp_gt_u32_e32 vcc, s6, v7
                                        ; implicit-def: $vgpr3
	s_and_saveexec_b64 s[6:7], vcc
	s_xor_b64 s[6:7], exec, s[6:7]
	s_cbranch_execz .LBB161_3108
; %bb.3103:
	s_mov_b32 s8, 0x387fffff
	v_cmp_lt_u32_e32 vcc, s8, v7
                                        ; implicit-def: $vgpr3
	s_and_saveexec_b64 s[8:9], vcc
	s_xor_b64 s[8:9], exec, s[8:9]
; %bb.3104:
	v_bfe_u32 v3, v2, 21, 1
	s_mov_b32 s10, 0x80fffff
	v_add3_u32 v3, v2, v3, s10
	v_lshrrev_b32_e32 v3, 21, v3
; %bb.3105:
	s_andn2_saveexec_b64 s[8:9], s[8:9]
; %bb.3106:
	s_mov_b32 s10, 0x43000000
	v_add_f32_e64 v3, |v2|, s10
; %bb.3107:
	s_or_b64 exec, exec, s[8:9]
                                        ; implicit-def: $vgpr7
.LBB161_3108:
	s_andn2_saveexec_b64 s[6:7], s[6:7]
; %bb.3109:
	s_mov_b32 s8, 0x7f800000
	v_mov_b32_e32 v3, 0x7c
	v_mov_b32_e32 v8, 0x7f
	v_cmp_lt_u32_e32 vcc, s8, v7
	v_cndmask_b32_e32 v3, v3, v8, vcc
; %bb.3110:
	s_or_b64 exec, exec, s[6:7]
	v_lshrrev_b32_e32 v2, 24, v2
	s_movk_i32 s6, 0x80
	v_and_or_b32 v2, v2, s6, v3
	global_store_byte v[4:5], v2, off
.LBB161_3111:
	s_mov_b64 s[6:7], 0
.LBB161_3112:
	s_andn2_b64 vcc, exec, s[6:7]
	s_mov_b64 s[6:7], 0
	s_cbranch_vccnz .LBB161_3119
; %bb.3113:
	v_cmp_lt_i16_e32 vcc, 14, v6
	s_mov_b64 s[8:9], -1
	s_cbranch_vccz .LBB161_3117
; %bb.3114:
	v_cmp_eq_u16_e32 vcc, 15, v6
	s_mov_b64 s[4:5], -1
	s_cbranch_vccz .LBB161_3116
; %bb.3115:
	v_cvt_f32_f64_e32 v2, v[0:1]
	v_bfe_u32 v3, v2, 16, 1
	s_movk_i32 s4, 0x7fff
	v_add3_u32 v3, v2, v3, s4
	v_lshrrev_b32_e32 v3, 16, v3
	v_mov_b32_e32 v7, 0x7fc0
	v_cmp_o_f32_e32 vcc, v2, v2
	v_cndmask_b32_e32 v2, v7, v3, vcc
	global_store_short v[4:5], v2, off
	s_mov_b64 s[4:5], 0
.LBB161_3116:
	s_mov_b64 s[8:9], 0
.LBB161_3117:
	s_and_b64 vcc, exec, s[8:9]
	s_cbranch_vccz .LBB161_3119
; %bb.3118:
	v_cmp_ne_u16_e64 s[4:5], 11, v6
	s_mov_b64 s[6:7], -1
.LBB161_3119:
	s_and_b64 vcc, exec, s[4:5]
	s_cbranch_vccnz .LBB161_3174
.LBB161_3120:
	s_mov_b64 s[4:5], 0
	s_branch .LBB161_3122
.LBB161_3121:
	s_mov_b64 s[4:5], 0
	s_mov_b64 s[6:7], 0
                                        ; implicit-def: $vgpr4_vgpr5
                                        ; implicit-def: $vgpr6
                                        ; implicit-def: $vgpr0_vgpr1
.LBB161_3122:
	s_and_b64 s[8:9], s[4:5], exec
	s_and_b64 s[88:89], s[6:7], exec
	s_andn2_b64 s[4:5], s[80:81], exec
	s_and_b64 s[6:7], s[84:85], exec
	s_or_b64 s[80:81], s[4:5], s[6:7]
.LBB161_3123:
	s_or_b64 exec, exec, s[82:83]
	s_and_saveexec_b64 s[4:5], s[80:81]
	s_cbranch_execz .LBB161_3126
; %bb.3124:
	; divergent unreachable
	s_or_b64 exec, exec, s[4:5]
	s_and_saveexec_b64 s[4:5], s[88:89]
	s_xor_b64 s[4:5], exec, s[4:5]
	s_cbranch_execnz .LBB161_3127
.LBB161_3125:
	s_or_b64 exec, exec, s[4:5]
	s_and_saveexec_b64 s[4:5], s[8:9]
	s_cbranch_execnz .LBB161_3128
	s_branch .LBB161_3165
.LBB161_3126:
	s_or_b64 exec, exec, s[4:5]
	s_and_saveexec_b64 s[4:5], s[88:89]
	s_xor_b64 s[4:5], exec, s[4:5]
	s_cbranch_execz .LBB161_3125
.LBB161_3127:
	s_waitcnt vmcnt(0)
	v_cmp_neq_f64_e32 vcc, 0, v[0:1]
	v_cndmask_b32_e64 v2, 0, 1, vcc
	global_store_byte v[4:5], v2, off
	s_or_b64 exec, exec, s[4:5]
	s_and_saveexec_b64 s[4:5], s[8:9]
	s_cbranch_execz .LBB161_3165
.LBB161_3128:
	v_cmp_gt_i16_e32 vcc, 5, v6
	s_mov_b64 s[4:5], -1
	s_cbranch_vccnz .LBB161_3149
; %bb.3129:
	v_cmp_gt_i16_e32 vcc, 8, v6
	s_cbranch_vccnz .LBB161_3139
; %bb.3130:
	v_cmp_gt_i16_e32 vcc, 9, v6
	s_cbranch_vccnz .LBB161_3136
; %bb.3131:
	v_cmp_lt_i16_e32 vcc, 9, v6
	s_cbranch_vccz .LBB161_3133
; %bb.3132:
	s_waitcnt vmcnt(0)
	v_mov_b32_e32 v2, 0
	v_mov_b32_e32 v3, v2
	global_store_dwordx4 v[4:5], v[0:3], off
	s_mov_b64 s[4:5], 0
.LBB161_3133:
	s_andn2_b64 vcc, exec, s[4:5]
	s_cbranch_vccnz .LBB161_3135
; %bb.3134:
	s_waitcnt vmcnt(0)
	v_cvt_f32_f64_e32 v2, v[0:1]
	v_mov_b32_e32 v3, 0
	global_store_dwordx2 v[4:5], v[2:3], off
.LBB161_3135:
	s_mov_b64 s[4:5], 0
.LBB161_3136:
	s_andn2_b64 vcc, exec, s[4:5]
	s_cbranch_vccnz .LBB161_3138
; %bb.3137:
	s_waitcnt vmcnt(0)
	v_cvt_f32_f64_e32 v2, v[0:1]
	v_cvt_f16_f32_e32 v2, v2
	global_store_dword v[4:5], v2, off
.LBB161_3138:
	s_mov_b64 s[4:5], 0
.LBB161_3139:
	s_andn2_b64 vcc, exec, s[4:5]
	s_cbranch_vccnz .LBB161_3148
; %bb.3140:
	v_cmp_gt_i16_e32 vcc, 6, v6
	s_mov_b64 s[4:5], -1
	s_cbranch_vccnz .LBB161_3146
; %bb.3141:
	v_cmp_lt_i16_e32 vcc, 6, v6
	s_cbranch_vccz .LBB161_3143
; %bb.3142:
	s_waitcnt vmcnt(0)
	global_store_dwordx2 v[4:5], v[0:1], off
	s_mov_b64 s[4:5], 0
.LBB161_3143:
	s_andn2_b64 vcc, exec, s[4:5]
	s_cbranch_vccnz .LBB161_3145
; %bb.3144:
	s_waitcnt vmcnt(0)
	v_cvt_f32_f64_e32 v2, v[0:1]
	global_store_dword v[4:5], v2, off
.LBB161_3145:
	s_mov_b64 s[4:5], 0
.LBB161_3146:
	s_andn2_b64 vcc, exec, s[4:5]
	s_cbranch_vccnz .LBB161_3148
; %bb.3147:
	s_waitcnt vmcnt(0)
	v_cvt_f32_f64_e32 v2, v[0:1]
	v_cvt_f16_f32_e32 v2, v2
	global_store_short v[4:5], v2, off
.LBB161_3148:
	s_mov_b64 s[4:5], 0
.LBB161_3149:
	s_andn2_b64 vcc, exec, s[4:5]
	s_cbranch_vccnz .LBB161_3165
; %bb.3150:
	v_cmp_gt_i16_e32 vcc, 2, v6
	s_mov_b64 s[4:5], -1
	s_cbranch_vccnz .LBB161_3160
; %bb.3151:
	v_cmp_gt_i16_e32 vcc, 3, v6
	s_cbranch_vccnz .LBB161_3157
; %bb.3152:
	v_cmp_lt_i16_e32 vcc, 3, v6
	s_cbranch_vccz .LBB161_3154
; %bb.3153:
	s_waitcnt vmcnt(0)
	v_trunc_f64_e32 v[2:3], v[0:1]
	s_movk_i32 s4, 0xffe0
	v_ldexp_f64 v[8:9], v[2:3], s4
	v_floor_f64_e32 v[8:9], v[8:9]
	v_fmac_f64_e32 v[2:3], 0xc1f00000, v[8:9]
	v_cvt_i32_f64_e32 v11, v[8:9]
	v_cvt_u32_f64_e32 v10, v[2:3]
	global_store_dwordx2 v[4:5], v[10:11], off
	s_mov_b64 s[4:5], 0
.LBB161_3154:
	s_andn2_b64 vcc, exec, s[4:5]
	s_cbranch_vccnz .LBB161_3156
; %bb.3155:
	s_waitcnt vmcnt(0)
	v_cvt_i32_f64_e32 v2, v[0:1]
	global_store_dword v[4:5], v2, off
.LBB161_3156:
	s_mov_b64 s[4:5], 0
.LBB161_3157:
	s_andn2_b64 vcc, exec, s[4:5]
	s_cbranch_vccnz .LBB161_3159
; %bb.3158:
	s_waitcnt vmcnt(0)
	v_cvt_i32_f64_e32 v2, v[0:1]
	global_store_short v[4:5], v2, off
.LBB161_3159:
	s_mov_b64 s[4:5], 0
.LBB161_3160:
	s_andn2_b64 vcc, exec, s[4:5]
	s_cbranch_vccnz .LBB161_3165
; %bb.3161:
	v_cmp_lt_i16_e32 vcc, 0, v6
	s_mov_b64 s[4:5], -1
	s_cbranch_vccz .LBB161_3163
; %bb.3162:
	s_waitcnt vmcnt(0)
	v_cvt_i32_f64_e32 v2, v[0:1]
	global_store_byte v[4:5], v2, off
	s_mov_b64 s[4:5], 0
.LBB161_3163:
	s_andn2_b64 vcc, exec, s[4:5]
	s_cbranch_vccnz .LBB161_3165
; %bb.3164:
	s_waitcnt vmcnt(0)
	v_trunc_f64_e32 v[0:1], v[0:1]
	s_movk_i32 s4, 0xffe0
	v_ldexp_f64 v[2:3], v[0:1], s4
	v_floor_f64_e32 v[2:3], v[2:3]
	v_fmac_f64_e32 v[0:1], 0xc1f00000, v[2:3]
	v_cvt_u32_f64_e32 v0, v[0:1]
	global_store_byte v[4:5], v0, off
	s_endpgm
.LBB161_3165:
	s_endpgm
.LBB161_3166:
	s_mov_b64 s[6:7], 0
	s_mov_b64 s[4:5], -1
	s_branch .LBB161_3122
.LBB161_3167:
	s_or_saveexec_b64 s[12:13], s[12:13]
                                        ; implicit-def: $sgpr14
	s_xor_b64 exec, exec, s[12:13]
	s_cbranch_execz .LBB161_2955
.LBB161_3168:
	s_mov_b32 s14, 0x46000000
	v_add_f32_e64 v3, |v2|, s14
	v_and_b32_e32 v3, 0xff, v3
	v_cmp_ne_u32_e32 vcc, 0, v3
	s_andn2_b64 s[10:11], s[10:11], exec
	s_and_b64 s[16:17], vcc, exec
	s_mov_b32 s14, 0
	s_or_b64 s[10:11], s[10:11], s[16:17]
	s_or_b64 exec, exec, s[12:13]
	v_mov_b32_e32 v6, s14
	s_and_saveexec_b64 s[12:13], s[10:11]
	s_cbranch_execnz .LBB161_2956
	s_branch .LBB161_2957
.LBB161_3169:
	s_trap 2
	s_or_b64 s[84:85], s[84:85], exec
	s_cbranch_execz .LBB161_3003
	s_branch .LBB161_3004
.LBB161_3170:
	s_or_saveexec_b64 s[10:11], s[10:11]
                                        ; implicit-def: $sgpr12
	s_xor_b64 exec, exec, s[10:11]
	s_cbranch_execz .LBB161_2968
.LBB161_3171:
	s_mov_b32 s12, 0x42800000
	v_add_f32_e64 v3, |v2|, s12
	v_and_b32_e32 v3, 0xff, v3
	v_cmp_ne_u32_e32 vcc, 0, v3
	s_andn2_b64 s[8:9], s[8:9], exec
	s_and_b64 s[14:15], vcc, exec
	s_mov_b32 s12, 0
	s_or_b64 s[8:9], s[8:9], s[14:15]
	s_or_b64 exec, exec, s[10:11]
	v_mov_b32_e32 v6, s12
	s_and_saveexec_b64 s[10:11], s[8:9]
	s_cbranch_execnz .LBB161_2969
	s_branch .LBB161_2970
.LBB161_3172:
	s_or_saveexec_b64 s[12:13], s[12:13]
                                        ; implicit-def: $sgpr14
	s_xor_b64 exec, exec, s[12:13]
	s_cbranch_execz .LBB161_3074
.LBB161_3173:
	s_mov_b32 s14, 0x46000000
	v_add_f32_e64 v3, |v2|, s14
	v_and_b32_e32 v3, 0xff, v3
	v_cmp_ne_u32_e32 vcc, 0, v3
	s_andn2_b64 s[10:11], s[10:11], exec
	s_and_b64 s[16:17], vcc, exec
	s_mov_b32 s14, 0
	s_or_b64 s[10:11], s[10:11], s[16:17]
	s_or_b64 exec, exec, s[12:13]
	v_mov_b32_e32 v7, s14
	s_and_saveexec_b64 s[12:13], s[10:11]
	s_cbranch_execnz .LBB161_3075
	s_branch .LBB161_3076
.LBB161_3174:
	s_mov_b64 s[6:7], 0
	s_or_b64 s[84:85], s[84:85], exec
	s_trap 2
	s_branch .LBB161_3120
.LBB161_3175:
	s_or_saveexec_b64 s[10:11], s[10:11]
                                        ; implicit-def: $sgpr12
	s_xor_b64 exec, exec, s[10:11]
	s_cbranch_execz .LBB161_3086
.LBB161_3176:
	s_mov_b32 s12, 0x42800000
	v_add_f32_e64 v3, |v2|, s12
	v_and_b32_e32 v3, 0xff, v3
	v_cmp_ne_u32_e32 vcc, 0, v3
	s_andn2_b64 s[8:9], s[8:9], exec
	s_and_b64 s[14:15], vcc, exec
	s_mov_b32 s12, 0
	s_or_b64 s[8:9], s[8:9], s[14:15]
	s_or_b64 exec, exec, s[10:11]
	v_mov_b32_e32 v7, s12
	s_and_saveexec_b64 s[10:11], s[8:9]
	s_cbranch_execnz .LBB161_3087
	s_branch .LBB161_3088
	.section	.rodata,"a",@progbits
	.p2align	6, 0x0
	.amdhsa_kernel _ZN2at6native32elementwise_kernel_manual_unrollILi128ELi4EZNS0_15gpu_kernel_implIZZZNS0_33launch_standard_gamma_grad_kernelERNS_18TensorIteratorBaseEENKUlvE_clEvENKUlvE_clEvEUlddE_EEvS4_RKT_EUlibE0_EEviT1_
		.amdhsa_group_segment_fixed_size 0
		.amdhsa_private_segment_fixed_size 8
		.amdhsa_kernarg_size 432
		.amdhsa_user_sgpr_count 8
		.amdhsa_user_sgpr_private_segment_buffer 1
		.amdhsa_user_sgpr_dispatch_ptr 0
		.amdhsa_user_sgpr_queue_ptr 0
		.amdhsa_user_sgpr_kernarg_segment_ptr 1
		.amdhsa_user_sgpr_dispatch_id 0
		.amdhsa_user_sgpr_flat_scratch_init 1
		.amdhsa_user_sgpr_kernarg_preload_length 0
		.amdhsa_user_sgpr_kernarg_preload_offset 0
		.amdhsa_user_sgpr_private_segment_size 0
		.amdhsa_uses_dynamic_stack 0
		.amdhsa_system_sgpr_private_segment_wavefront_offset 1
		.amdhsa_system_sgpr_workgroup_id_x 1
		.amdhsa_system_sgpr_workgroup_id_y 0
		.amdhsa_system_sgpr_workgroup_id_z 0
		.amdhsa_system_sgpr_workgroup_info 0
		.amdhsa_system_vgpr_workitem_id 0
		.amdhsa_next_free_vgpr 71
		.amdhsa_next_free_sgpr 100
		.amdhsa_accum_offset 72
		.amdhsa_reserve_vcc 1
		.amdhsa_reserve_flat_scratch 1
		.amdhsa_float_round_mode_32 0
		.amdhsa_float_round_mode_16_64 0
		.amdhsa_float_denorm_mode_32 3
		.amdhsa_float_denorm_mode_16_64 3
		.amdhsa_dx10_clamp 1
		.amdhsa_ieee_mode 1
		.amdhsa_fp16_overflow 0
		.amdhsa_tg_split 0
		.amdhsa_exception_fp_ieee_invalid_op 0
		.amdhsa_exception_fp_denorm_src 0
		.amdhsa_exception_fp_ieee_div_zero 0
		.amdhsa_exception_fp_ieee_overflow 0
		.amdhsa_exception_fp_ieee_underflow 0
		.amdhsa_exception_fp_ieee_inexact 0
		.amdhsa_exception_int_div_zero 0
	.end_amdhsa_kernel
	.section	.text._ZN2at6native32elementwise_kernel_manual_unrollILi128ELi4EZNS0_15gpu_kernel_implIZZZNS0_33launch_standard_gamma_grad_kernelERNS_18TensorIteratorBaseEENKUlvE_clEvENKUlvE_clEvEUlddE_EEvS4_RKT_EUlibE0_EEviT1_,"axG",@progbits,_ZN2at6native32elementwise_kernel_manual_unrollILi128ELi4EZNS0_15gpu_kernel_implIZZZNS0_33launch_standard_gamma_grad_kernelERNS_18TensorIteratorBaseEENKUlvE_clEvENKUlvE_clEvEUlddE_EEvS4_RKT_EUlibE0_EEviT1_,comdat
.Lfunc_end161:
	.size	_ZN2at6native32elementwise_kernel_manual_unrollILi128ELi4EZNS0_15gpu_kernel_implIZZZNS0_33launch_standard_gamma_grad_kernelERNS_18TensorIteratorBaseEENKUlvE_clEvENKUlvE_clEvEUlddE_EEvS4_RKT_EUlibE0_EEviT1_, .Lfunc_end161-_ZN2at6native32elementwise_kernel_manual_unrollILi128ELi4EZNS0_15gpu_kernel_implIZZZNS0_33launch_standard_gamma_grad_kernelERNS_18TensorIteratorBaseEENKUlvE_clEvENKUlvE_clEvEUlddE_EEvS4_RKT_EUlibE0_EEviT1_
                                        ; -- End function
	.section	.AMDGPU.csdata,"",@progbits
; Kernel info:
; codeLenInByte = 61236
; NumSgprs: 106
; NumVgprs: 71
; NumAgprs: 0
; TotalNumVgprs: 71
; ScratchSize: 8
; MemoryBound: 1
; FloatMode: 240
; IeeeMode: 1
; LDSByteSize: 0 bytes/workgroup (compile time only)
; SGPRBlocks: 13
; VGPRBlocks: 8
; NumSGPRsForWavesPerEU: 106
; NumVGPRsForWavesPerEU: 71
; AccumOffset: 72
; Occupancy: 7
; WaveLimiterHint : 1
; COMPUTE_PGM_RSRC2:SCRATCH_EN: 1
; COMPUTE_PGM_RSRC2:USER_SGPR: 8
; COMPUTE_PGM_RSRC2:TRAP_HANDLER: 0
; COMPUTE_PGM_RSRC2:TGID_X_EN: 1
; COMPUTE_PGM_RSRC2:TGID_Y_EN: 0
; COMPUTE_PGM_RSRC2:TGID_Z_EN: 0
; COMPUTE_PGM_RSRC2:TIDIG_COMP_CNT: 0
; COMPUTE_PGM_RSRC3_GFX90A:ACCUM_OFFSET: 17
; COMPUTE_PGM_RSRC3_GFX90A:TG_SPLIT: 0
	.text
	.p2align	2                               ; -- Begin function _ZZZZN2at6native33launch_standard_gamma_grad_kernelERNS_18TensorIteratorBaseEENKUlvE_clEvENKUlvE0_clEvENKUlffE_clEff
	.type	_ZZZZN2at6native33launch_standard_gamma_grad_kernelERNS_18TensorIteratorBaseEENKUlvE_clEvENKUlvE0_clEvENKUlffE_clEff,@function
_ZZZZN2at6native33launch_standard_gamma_grad_kernelERNS_18TensorIteratorBaseEENKUlvE_clEvENKUlvE0_clEvENKUlffE_clEff: ; @_ZZZZN2at6native33launch_standard_gamma_grad_kernelERNS_18TensorIteratorBaseEENKUlvE_clEvENKUlvE0_clEvENKUlffE_clEff
; %bb.0:
	s_waitcnt vmcnt(0) expcnt(0) lgkmcnt(0)
	s_mov_b32 s4, 0x3f4ccccd
	v_mov_b32_e32 v3, v0
	v_cmp_ngt_f32_e32 vcc, s4, v1
                                        ; implicit-def: $vgpr0
	s_and_saveexec_b64 s[4:5], vcc
	s_xor_b64 s[8:9], exec, s[4:5]
	s_cbranch_execnz .LBB162_3
; %bb.1:
	s_andn2_saveexec_b64 s[12:13], s[8:9]
	s_cbranch_execnz .LBB162_12
.LBB162_2:
	s_or_b64 exec, exec, s[12:13]
	s_setpc_b64 s[30:31]
.LBB162_3:
	s_mov_b32 s4, 0x41000000
	v_cmp_nlt_f32_e32 vcc, s4, v3
                                        ; implicit-def: $vgpr0
	s_and_saveexec_b64 s[4:5], vcc
	s_xor_b64 s[6:7], exec, s[4:5]
	s_cbranch_execz .LBB162_5
; %bb.4:
	v_div_scale_f32 v0, s[4:5], v3, v3, v1
	v_rcp_f32_e32 v2, v0
	v_div_scale_f32 v4, vcc, v1, v3, v1
	s_mov_b32 s10, 0x800000
	v_fma_f32 v5, -v0, v2, 1.0
	v_fmac_f32_e32 v2, v5, v2
	v_mul_f32_e32 v5, v4, v2
	v_fma_f32 v6, -v0, v5, v4
	v_fmac_f32_e32 v5, v6, v2
	v_fma_f32 v0, -v0, v5, v4
	v_div_fmas_f32 v0, v0, v2, v5
	v_div_fixup_f32 v0, v0, v3, v1
	v_mov_b32_e32 v1, 0x4f800000
	v_cmp_gt_f32_e32 vcc, s10, v0
	v_cndmask_b32_e32 v2, 1.0, v1, vcc
	v_mul_f32_e32 v0, v0, v2
	v_log_f32_e32 v0, v0
	s_mov_b32 s11, 0x3f317217
	s_mov_b32 s12, 0x7f800000
	v_mov_b32_e32 v5, 0x3e23efad
	v_mul_f32_e32 v2, 0x3f317217, v0
	v_fma_f32 v4, v0, s11, -v2
	v_fmac_f32_e32 v4, 0x3377d1cf, v0
	v_add_f32_e32 v2, v2, v4
	v_cmp_lt_f32_e64 s[4:5], |v0|, s12
	v_cndmask_b32_e64 v0, v0, v2, s[4:5]
	v_mov_b32_e32 v2, 0x41b17218
	v_cndmask_b32_e32 v4, 0, v2, vcc
	v_sub_f32_e32 v0, v0, v4
	v_mov_b32_e32 v4, 0x3f08edd3
	v_fmac_f32_e32 v4, 0x3d2455ec, v0
	v_fmac_f32_e32 v5, v0, v4
	v_mov_b32_e32 v4, 0x3e04ec27
	v_fmac_f32_e32 v4, 0xbbd7fcb0, v0
	v_mov_b32_e32 v6, 0xbdc1cfe5
	v_cmp_gt_f32_e32 vcc, s10, v3
	v_fmac_f32_e32 v6, v0, v4
	v_mov_b32_e32 v4, 0x3d86a092
	v_mov_b32_e32 v9, 0x3ca46a14
	v_cndmask_b32_e32 v1, 1.0, v1, vcc
	v_fmac_f32_e32 v4, 0xbb2c44ab, v0
	v_mov_b32_e32 v7, 0x3ccdffc6
	v_fmac_f32_e32 v9, 0xbb0ba71e, v0
	v_mov_b32_e32 v10, 0x3ea742c0
	v_mul_f32_e32 v1, v3, v1
	v_fmac_f32_e32 v7, v0, v4
	v_mov_b32_e32 v4, 0xbacd1fe0
	v_fmac_f32_e32 v10, v0, v9
	v_mov_b32_e32 v9, 0xbb6b877e
	v_log_f32_e32 v1, v1
	v_fmac_f32_e32 v4, 0xbab02f1f, v0
	v_mov_b32_e32 v8, 0xbb48db63
	v_fmac_f32_e32 v9, 0x3a5f1085, v0
	v_mov_b32_e32 v11, 0x3dd51de0
	;; [unrolled: 2-line block ×4, first 2 shown]
	v_fmac_f32_e32 v4, 0x3c8badca, v0
	v_fmac_f32_e32 v9, 0xb423b90c, v0
	v_mov_b32_e32 v3, 0x3ab9d91c
	v_fma_f32 v4, v0, v4, 1.0
	v_fmac_f32_e32 v3, v0, v9
	v_mul_f32_e32 v0, 0x3f317217, v1
	v_fma_f32 v9, v1, s11, -v0
	v_fmac_f32_e32 v9, 0x3377d1cf, v1
	v_add_f32_e32 v0, v0, v9
	v_cmp_lt_f32_e64 s[4:5], |v1|, s12
	v_cndmask_b32_e64 v0, v1, v0, s[4:5]
	v_cndmask_b32_e32 v1, 0, v2, vcc
	v_sub_f32_e32 v0, v0, v1
	v_fmac_f32_e32 v7, v0, v8
	v_fmac_f32_e32 v11, v0, v3
	;; [unrolled: 1-line block ×6, first 2 shown]
	v_div_scale_f32 v0, s[4:5], v4, v4, v5
	v_rcp_f32_e32 v1, v0
	s_mov_b32 s4, 0x3fb8aa3b
	v_fma_f32 v2, -v0, v1, 1.0
	v_fmac_f32_e32 v1, v2, v1
	v_div_scale_f32 v2, vcc, v5, v4, v5
	v_mul_f32_e32 v3, v2, v1
	v_fma_f32 v6, -v0, v3, v2
	v_fmac_f32_e32 v3, v6, v1
	v_fma_f32 v0, -v0, v3, v2
	v_div_fmas_f32 v0, v0, v1, v3
	v_div_fixup_f32 v0, v0, v4, v5
	v_mul_f32_e32 v1, 0x3fb8aa3b, v0
	v_fma_f32 v2, v0, s4, -v1
	v_rndne_f32_e32 v3, v1
	v_fmac_f32_e32 v2, 0x32a5705f, v0
	v_sub_f32_e32 v1, v1, v3
	v_add_f32_e32 v1, v1, v2
	v_exp_f32_e32 v1, v1
	v_cvt_i32_f32_e32 v2, v3
	s_mov_b32 s4, 0xc2ce8ed0
	v_cmp_ngt_f32_e32 vcc, s4, v0
	s_mov_b32 s4, 0x42b17218
	v_ldexp_f32 v1, v1, v2
	v_cndmask_b32_e32 v1, 0, v1, vcc
	v_mov_b32_e32 v2, 0x7f800000
	v_cmp_nlt_f32_e32 vcc, s4, v0
	v_cndmask_b32_e32 v0, v2, v1, vcc
                                        ; implicit-def: $vgpr3
                                        ; implicit-def: $vgpr1
.LBB162_5:
	s_andn2_saveexec_b64 s[10:11], s[6:7]
	s_cbranch_execz .LBB162_11
; %bb.6:
	v_mul_f32_e32 v0, 0x3f666666, v3
	v_cmp_le_f32_e32 vcc, v0, v1
	v_mul_f32_e32 v0, 0x3f8ccccd, v3
	v_cmp_ge_f32_e64 s[4:5], v0, v1
	s_and_b64 s[4:5], vcc, s[4:5]
                                        ; implicit-def: $vgpr0
	s_and_saveexec_b64 s[6:7], s[4:5]
	s_xor_b64 s[4:5], exec, s[6:7]
	s_cbranch_execz .LBB162_8
; %bb.7:
	v_mul_f32_e32 v5, 0xc2820000, v1
	v_mul_f32_e32 v5, v5, v1
	v_div_scale_f32 v6, s[12:13], v3, v3, v5
	v_rcp_f32_e32 v7, v6
	v_mov_b32_e32 v8, 0x42540000
	v_mul_f32_e32 v4, 0x40c00000, v1
	v_fmac_f32_e32 v8, 0xc2f00000, v1
	v_mul_f32_e32 v8, v4, v8
	v_fma_f32 v4, -v6, v7, 1.0
	v_fmac_f32_e32 v7, v4, v7
	v_div_scale_f32 v4, vcc, v5, v3, v5
	v_mul_f32_e32 v9, v4, v7
	v_fma_f32 v10, -v6, v9, v4
	v_fmac_f32_e32 v9, v10, v7
	v_fma_f32 v4, -v6, v9, v4
	s_mov_b32 s7, 0x41400000
	v_div_fmas_f32 v4, v4, v7, v9
	v_mov_b32_e32 v7, 0x42d60000
	v_mul_f32_e32 v2, 0x41c00000, v3
	v_fma_f32 v0, v3, s7, 1.0
	v_fmac_f32_e32 v7, 0x45610000, v1
	v_mov_b32_e32 v1, v3
	v_div_fixup_f32 v6, v4, v3, v5
	v_pk_mul_f32 v[4:5], v[2:3], v[0:1]
	s_mov_b32 s6, 1.0
	v_fmac_f32_e32 v8, 0x44b40000, v5
	v_add_f32_e32 v6, v8, v6
	v_pk_fma_f32 v[0:1], v[2:3], v[0:1], s[6:7]
	s_mov_b32 s7, 0x4997e000
	v_fmac_f32_e32 v6, v7, v3
	v_pk_mul_f32 v[2:3], v[4:5], s[6:7]
	v_mov_b32_e32 v1, v3
	v_mov_b32_e32 v7, v5
	v_pk_mul_f32 v[0:1], v[0:1], v[6:7]
	v_div_scale_f32 v2, s[6:7], v1, v1, v0
	v_rcp_f32_e32 v3, v2
	v_fma_f32 v4, -v2, v3, 1.0
	v_fmac_f32_e32 v3, v4, v3
	v_div_scale_f32 v4, vcc, v0, v1, v0
	v_mul_f32_e32 v5, v4, v3
	v_fma_f32 v6, -v2, v5, v4
	v_fmac_f32_e32 v5, v6, v3
	v_fma_f32 v2, -v2, v5, v4
	v_div_fmas_f32 v2, v2, v3, v5
	v_div_fixup_f32 v0, v2, v1, v0
                                        ; implicit-def: $vgpr3
                                        ; implicit-def: $vgpr1
.LBB162_8:
	s_andn2_saveexec_b64 s[12:13], s[4:5]
	s_cbranch_execz .LBB162_10
; %bb.9:
	v_mul_f32_e32 v0, 0x41000000, v3
	s_mov_b32 s14, 0xf800000
	v_mul_f32_e32 v2, 0x4f800000, v0
	v_cmp_gt_f32_e32 vcc, s14, v0
	v_cndmask_b32_e32 v0, v0, v2, vcc
	v_sqrt_f32_e32 v2, v0
	v_sub_f32_e32 v7, v3, v1
	s_mov_b32 s6, 0x7f800000
	s_movk_i32 s7, 0x204
	v_add_u32_e32 v4, -1, v2
	v_fma_f32 v5, -v4, v2, v0
	v_cmp_ge_f32_e64 s[4:5], 0, v5
	v_add_u32_e32 v5, 1, v2
	v_cndmask_b32_e64 v4, v2, v4, s[4:5]
	v_fma_f32 v2, -v5, v2, v0
	v_cmp_lt_f32_e64 s[4:5], 0, v2
	v_cndmask_b32_e64 v2, v4, v5, s[4:5]
	v_mul_f32_e32 v4, 0x37800000, v2
	v_mov_b32_e32 v5, 0x260
	v_cndmask_b32_e32 v2, v2, v4, vcc
	v_cmp_class_f32_e32 vcc, v0, v5
	v_cndmask_b32_e32 v6, v2, v0, vcc
	v_div_scale_f32 v0, s[4:5], v7, v7, v6
	v_rcp_f32_e32 v2, v0
	s_brev_b32 s15, -2
	v_fma_f32 v4, -v0, v2, 1.0
	v_fmac_f32_e32 v2, v4, v2
	v_div_scale_f32 v4, vcc, v6, v7, v6
	v_mul_f32_e32 v8, v4, v2
	v_fma_f32 v9, -v0, v8, v4
	v_fmac_f32_e32 v8, v9, v2
	v_div_scale_f32 v9, s[4:5], v3, v3, v1
	v_rcp_f32_e32 v10, v9
	v_fma_f32 v0, -v0, v8, v4
	v_div_fmas_f32 v0, v0, v2, v8
	s_mov_b32 s4, 0x800000
	v_fma_f32 v2, -v9, v10, 1.0
	v_fmac_f32_e32 v10, v2, v10
	v_div_scale_f32 v2, vcc, v1, v3, v1
	v_mul_f32_e32 v4, v2, v10
	v_fma_f32 v8, -v9, v4, v2
	v_fmac_f32_e32 v4, v8, v10
	v_fma_f32 v2, -v9, v4, v2
	v_div_fmas_f32 v2, v2, v10, v4
	v_div_fixup_f32 v2, v2, v3, v1
	v_mov_b32_e32 v4, 0x4f800000
	v_cmp_gt_f32_e32 vcc, s4, v2
	v_cndmask_b32_e32 v4, 1.0, v4, vcc
	v_mul_f32_e32 v2, v2, v4
	v_log_f32_e32 v4, v2
	s_mov_b32 s4, 0x3f317217
	v_div_fixup_f32 v2, v0, v7, v6
	v_sub_f32_e32 v0, v1, v3
	v_mul_f32_e32 v8, 0x3f317217, v4
	v_fma_f32 v9, v4, s4, -v8
	v_fmac_f32_e32 v9, 0x3377d1cf, v4
	v_add_f32_e32 v8, v8, v9
	v_cmp_lt_f32_e64 s[4:5], |v4|, s6
	v_cndmask_b32_e64 v4, v4, v8, s[4:5]
	v_mov_b32_e32 v8, 0x41b17218
	v_cndmask_b32_e32 v8, 0, v8, vcc
	v_sub_f32_e32 v4, v4, v8
	v_fma_f32 v0, -v4, v3, v0
	v_mov_b32_e32 v8, 0xbfc00000
	v_cmp_eq_f32_e32 vcc, 1.0, v0
	v_cndmask_b32_e64 v24, v8, 1.0, vcc
	v_frexp_mant_f32_e64 v8, |v0|
	s_mov_b32 s4, 0x3f2aaaab
	v_cmp_gt_f32_e32 vcc, s4, v8
	v_cndmask_b32_e64 v9, 1.0, 2.0, vcc
	v_mul_f32_e32 v8, v8, v9
	v_add_f32_e32 v11, 1.0, v8
	v_rcp_f32_e32 v16, v11
	v_add_f32_e32 v9, -1.0, v11
	v_sub_f32_e32 v13, v8, v9
	v_add_f32_e32 v9, -1.0, v8
	v_mul_f32_e32 v17, v9, v16
	v_mul_f32_e32 v10, v11, v17
	v_fma_f32 v12, v17, v11, -v10
	v_fmac_f32_e32 v12, v17, v13
	v_add_f32_e32 v8, v10, v12
	v_sub_f32_e32 v11, v9, v8
	v_pk_add_f32 v[14:15], v[8:9], v[10:11] neg_lo:[0,1] neg_hi:[0,1]
	v_mov_b32_e32 v13, v8
	v_pk_add_f32 v[8:9], v[14:15], v[12:13] neg_lo:[0,1] neg_hi:[0,1]
	v_add_f32_e32 v8, v8, v9
	v_add_f32_e32 v8, v11, v8
	v_mul_f32_e32 v9, v16, v8
	v_add_f32_e32 v8, v17, v9
	v_sub_f32_e32 v10, v8, v17
	v_sub_f32_e32 v18, v9, v10
	v_mul_f32_e32 v9, v8, v8
	v_fma_f32 v11, v8, v8, -v9
	v_add_f32_e32 v10, v18, v18
	v_fmac_f32_e32 v11, v8, v10
	v_add_f32_e32 v10, v9, v11
	v_mov_b32_e32 v12, 0x3e91f4c4
	v_fmac_f32_e32 v12, 0x3e76c4e1, v10
	v_mov_b32_e32 v13, 0x3ecccdef
	v_fmac_f32_e32 v13, v10, v12
	v_sub_f32_e32 v9, v10, v9
	v_sub_f32_e32 v19, v11, v9
	v_mul_f32_e32 v9, v10, v13
	v_fma_f32 v11, v10, v13, -v9
	v_fmac_f32_e32 v11, v19, v13
	v_add_f32_e32 v12, v9, v11
	v_add_f32_e32 v13, 0x3f2aaaaa, v12
	v_sub_f32_e32 v9, v12, v9
	v_sub_f32_e32 v9, v11, v9
	v_add_f32_e32 v11, 0xbf2aaaaa, v13
	v_add_f32_e32 v9, 0x31739010, v9
	v_sub_f32_e32 v11, v12, v11
	v_pk_mul_f32 v[14:15], v[8:9], v[10:11]
	v_fma_f32 v12, v10, v8, -v14
	v_pk_add_f32 v[16:17], v[8:9], v[10:11]
	v_fmac_f32_e32 v12, v10, v18
	v_mov_b32_e32 v15, v17
	v_fmac_f32_e32 v12, v19, v8
	v_pk_add_f32 v[10:11], v[14:15], v[12:13]
	v_sub_f32_e32 v9, v10, v14
	v_sub_f32_e32 v9, v12, v9
	;; [unrolled: 1-line block ×3, first 2 shown]
	v_add_f32_e32 v15, v17, v12
	v_mov_b32_e32 v12, v11
	v_pk_mul_f32 v[12:13], v[10:11], v[12:13]
	v_cvt_f64_f32_e64 v[16:17], |v0|
	v_frexp_exp_i32_f64_e32 v13, v[16:17]
	v_subbrev_co_u32_e32 v13, vcc, 0, v13, vcc
	v_cvt_f32_i32_e32 v13, v13
	v_fma_f32 v14, v10, v11, -v12
	v_fmac_f32_e32 v14, v10, v15
	s_mov_b32 s4, 0x3f317218
	v_mul_f32_e32 v10, 0x3f317218, v13
	v_fmac_f32_e32 v14, v9, v11
	v_fma_f32 v16, v13, s4, -v10
	v_fmac_f32_e32 v16, 0xb102e308, v13
	v_ldexp_f32 v17, v8, 1
	v_add_f32_e32 v11, v12, v14
	v_pk_add_f32 v[8:9], v[10:11], v[16:17]
	v_ldexp_f32 v20, v18, 1
	v_mov_b32_e32 v18, v11
	v_mov_b32_e32 v19, v9
	;; [unrolled: 1-line block ×3, first 2 shown]
	v_pk_add_f32 v[12:13], v[18:19], v[12:13] neg_lo:[0,1] neg_hi:[0,1]
	v_mov_b32_e32 v15, v11
	v_pk_add_f32 v[12:13], v[14:15], v[12:13] neg_lo:[0,1] neg_hi:[0,1]
	v_add_f32_e32 v11, v20, v12
	v_add_f32_e32 v11, v11, v13
	v_pk_add_f32 v[12:13], v[8:9], v[10:11] neg_lo:[0,1] neg_hi:[0,1]
	v_pk_add_f32 v[14:15], v[8:9], v[10:11]
	v_mov_b32_e32 v18, v12
	v_mov_b32_e32 v19, v15
	;; [unrolled: 1-line block ×3, first 2 shown]
	v_pk_add_f32 v[18:19], v[16:17], v[18:19]
	v_mov_b32_e32 v10, v19
	v_pk_add_f32 v[20:21], v[10:11], v[8:9] neg_lo:[0,1] neg_hi:[0,1]
	v_mov_b32_e32 v21, v20
	v_mov_b32_e32 v18, v15
	;; [unrolled: 1-line block ×4, first 2 shown]
	v_pk_add_f32 v[12:13], v[16:17], v[12:13] neg_lo:[0,1] neg_hi:[0,1]
	v_pk_add_f32 v[22:23], v[14:15], v[20:21] neg_lo:[0,1] neg_hi:[0,1]
	;; [unrolled: 1-line block ×3, first 2 shown]
	v_mov_b32_e32 v16, v11
	v_pk_add_f32 v[8:9], v[16:17], v[8:9] neg_lo:[0,1] neg_hi:[0,1]
	v_mov_b32_e32 v22, v12
	v_pk_add_f32 v[14:15], v[22:23], v[8:9]
	v_mov_b32_e32 v16, v15
	v_pk_add_f32 v[16:17], v[14:15], v[16:17]
	v_pk_add_f32 v[10:11], v[10:11], v[16:17]
	v_mov_b32_e32 v13, v19
	v_mov_b32_e32 v15, v10
	v_pk_add_f32 v[18:19], v[14:15], v[12:13] neg_lo:[0,1] neg_hi:[0,1]
	v_mov_b32_e32 v9, v16
	v_sub_f32_e32 v11, v14, v18
	v_pk_add_f32 v[8:9], v[8:9], v[18:19] neg_lo:[0,1] neg_hi:[0,1]
	v_sub_f32_e32 v11, v12, v11
	v_add_f32_e32 v8, v8, v11
	v_add_f32_e32 v8, v8, v9
	;; [unrolled: 1-line block ×3, first 2 shown]
	v_sub_f32_e32 v10, v9, v10
	v_sub_f32_e32 v8, v8, v10
	v_mul_f32_e32 v10, v24, v9
	v_fma_f32 v9, v24, v9, -v10
	v_fmac_f32_e32 v9, v24, v8
	v_add_f32_e32 v8, v10, v9
	v_cmp_class_f32_e64 vcc, v10, s7
	v_sub_f32_e32 v11, v8, v10
	v_cndmask_b32_e32 v8, v8, v10, vcc
	s_mov_b32 s4, 0x42b17218
	v_mov_b32_e32 v10, 0x37000000
	v_cmp_eq_f32_e32 vcc, s4, v8
	v_cndmask_b32_e32 v10, 0, v10, vcc
	v_sub_f32_e32 v9, v9, v11
	v_sub_f32_e32 v11, v8, v10
	s_mov_b32 s5, 0x3fb8aa3b
	v_mul_f32_e32 v12, 0x3fb8aa3b, v11
	v_fma_f32 v13, v11, s5, -v12
	v_rndne_f32_e32 v14, v12
	v_fmac_f32_e32 v13, 0x32a5705f, v11
	v_sub_f32_e32 v12, v12, v14
	v_add_f32_e32 v12, v12, v13
	v_exp_f32_e32 v12, v12
	v_cvt_i32_f32_e32 v13, v14
	v_cmp_neq_f32_e64 vcc, |v8|, s6
	s_mov_b32 s5, 0xc2ce8ed0
	v_cndmask_b32_e32 v8, 0, v9, vcc
	v_ldexp_f32 v9, v12, v13
	v_cmp_ngt_f32_e32 vcc, s5, v11
	v_add_f32_e32 v8, v10, v8
	v_cndmask_b32_e32 v9, 0, v9, vcc
	v_mov_b32_e32 v10, 0x7f800000
	v_cmp_nlt_f32_e32 vcc, s4, v11
	v_cndmask_b32_e32 v9, v10, v9, vcc
	v_fma_f32 v8, v9, v8, v9
	v_cmp_class_f32_e64 vcc, v9, s7
	v_cndmask_b32_e32 v8, v8, v9, vcc
	v_trunc_f32_e32 v9, v24
	v_cmp_eq_f32_e32 vcc, v9, v24
	v_mul_f32_e32 v9, 0.5, v24
	v_trunc_f32_e32 v12, v9
	v_cmp_neq_f32_e64 s[4:5], v12, v9
	s_and_b64 s[4:5], vcc, s[4:5]
	v_cndmask_b32_e64 v9, 1.0, v0, s[4:5]
	v_mov_b32_e32 v11, 0x7fc00000
	v_bfi_b32 v8, s15, v8, v9
	v_cndmask_b32_e32 v9, v11, v8, vcc
	v_cmp_gt_f32_e32 vcc, 0, v0
	v_cndmask_b32_e32 v8, v8, v9, vcc
	v_cmp_class_f32_e64 s[16:17], v0, s7
	v_cmp_eq_f32_e32 vcc, 0, v0
	v_cmp_gt_f32_e64 s[6:7], 0, v24
	s_xor_b64 s[6:7], vcc, s[6:7]
	v_cndmask_b32_e64 v9, v10, 0, s[6:7]
	v_cndmask_b32_e64 v10, 0, v0, s[4:5]
	v_div_scale_f32 v12, s[4:5], v3, v3, 2.0
	v_rcp_f32_e32 v13, v12
	v_bfi_b32 v9, s15, v9, v10
	s_or_b64 vcc, vcc, s[16:17]
	v_cndmask_b32_e32 v8, v8, v9, vcc
	v_fma_f32 v9, -v12, v13, 1.0
	v_fmac_f32_e32 v13, v9, v13
	v_div_scale_f32 v9, vcc, 2.0, v3, 2.0
	v_mul_f32_e32 v10, v9, v13
	v_fma_f32 v14, -v12, v10, v9
	v_fmac_f32_e32 v10, v14, v13
	v_fma_f32 v9, -v12, v10, v9
	v_div_fmas_f32 v9, v9, v13, v10
	v_div_fixup_f32 v9, v9, v3, 2.0
	v_mul_f32_e32 v10, 0x4f800000, v9
	v_cmp_gt_f32_e32 vcc, s14, v9
	v_cndmask_b32_e32 v9, v9, v10, vcc
	v_sqrt_f32_e32 v10, v9
	v_cmp_o_f32_e64 s[4:5], v0, v0
	v_cndmask_b32_e64 v0, v11, v8, s[4:5]
	v_cmp_lt_f32_e64 s[4:5], v1, v3
	v_add_u32_e32 v8, -1, v10
	v_fma_f32 v11, -v8, v10, v9
	v_cndmask_b32_e64 v0, v0, -v0, s[4:5]
	v_cmp_ge_f32_e64 s[4:5], 0, v11
	v_add_u32_e32 v11, 1, v10
	v_cndmask_b32_e64 v8, v10, v8, s[4:5]
	v_fma_f32 v10, -v11, v10, v9
	v_cmp_lt_f32_e64 s[4:5], 0, v10
	v_cndmask_b32_e64 v8, v8, v11, s[4:5]
	v_mul_f32_e32 v10, 0x37800000, v8
	v_cndmask_b32_e32 v8, v8, v10, vcc
	v_cmp_class_f32_e32 vcc, v9, v5
	v_cndmask_b32_e32 v5, v8, v9, vcc
	v_pk_add_f32 v[8:9], v[2:3], v[0:1]
	v_pk_mul_f32 v[4:5], v[4:5], v[8:9]
	v_mul_f32_e32 v7, v7, v7
	v_div_scale_f32 v0, s[4:5], v7, v7, v5
	v_rcp_f32_e32 v8, v0
	s_mov_b32 s4, 0x41400000
	s_mov_b32 s5, 0x41c00000
	v_fma_f32 v2, -v0, v8, 1.0
	v_fmac_f32_e32 v8, v2, v8
	v_div_scale_f32 v2, vcc, v5, v7, v5
	v_mul_f32_e32 v9, v2, v8
	v_fma_f32 v10, -v0, v9, v2
	v_fmac_f32_e32 v9, v10, v8
	v_fma_f32 v10, -v0, v9, v2
	v_mov_b32_e32 v0, v3
	v_pk_mul_f32 v[2:3], v[0:1], s[4:5] op_sel_hi:[0,1]
	v_div_scale_f32 v0, s[4:5], v2, v2, 1.0
	v_rcp_f32_e32 v11, v0
	v_div_fmas_f32 v8, v10, v8, v9
	v_div_fixup_f32 v5, v8, v7, v5
	v_sub_f32_e32 v4, v4, v5
	v_fma_f32 v5, -v0, v11, 1.0
	v_fmac_f32_e32 v11, v5, v11
	v_div_scale_f32 v5, vcc, 1.0, v2, 1.0
	v_mul_f32_e32 v7, v5, v11
	v_fma_f32 v8, -v0, v7, v5
	v_fmac_f32_e32 v7, v8, v11
	v_fma_f32 v0, -v0, v7, v5
	v_div_scale_f32 v5, s[4:5], v3, v3, 1.0
	v_rcp_f32_e32 v8, v5
	v_div_fmas_f32 v0, v0, v11, v7
	v_div_fixup_f32 v0, v0, v2, 1.0
	v_mul_f32_e32 v1, v4, v1
	v_fma_f32 v2, -v5, v8, 1.0
	v_fmac_f32_e32 v8, v2, v8
	v_div_scale_f32 v2, vcc, 1.0, v3, 1.0
	v_mul_f32_e32 v7, v2, v8
	v_fma_f32 v9, -v5, v7, v2
	v_fmac_f32_e32 v7, v9, v8
	v_fma_f32 v2, -v5, v7, v2
	v_div_fmas_f32 v2, v2, v8, v7
	v_div_fixup_f32 v2, v2, v3, 1.0
	v_add_f32_e32 v2, 1.0, v2
	v_fma_f32 v0, v0, v2, 1.0
	v_mul_f32_e64 v0, v1, -v0
	v_div_scale_f32 v1, s[4:5], v6, v6, v0
	v_rcp_f32_e32 v2, v1
	v_fma_f32 v3, -v1, v2, 1.0
	v_fmac_f32_e32 v2, v3, v2
	v_div_scale_f32 v3, vcc, v0, v6, v0
	v_mul_f32_e32 v4, v3, v2
	v_fma_f32 v5, -v1, v4, v3
	v_fmac_f32_e32 v4, v5, v2
	v_fma_f32 v1, -v1, v4, v3
	v_div_fmas_f32 v1, v1, v2, v4
	v_div_fixup_f32 v0, v1, v6, v0
.LBB162_10:
	s_or_b64 exec, exec, s[12:13]
.LBB162_11:
	s_or_b64 exec, exec, s[10:11]
                                        ; implicit-def: $vgpr3
                                        ; implicit-def: $vgpr1
	s_andn2_saveexec_b64 s[12:13], s[8:9]
	s_cbranch_execz .LBB162_2
.LBB162_12:
	v_cmp_neq_f32_e32 vcc, 0, v3
	v_mov_b32_e32 v0, 0x7f800000
	v_mov_b32_e32 v2, 0x7f800000
	s_and_saveexec_b64 s[10:11], vcc
	s_cbranch_execz .LBB162_34
; %bb.13:
	v_cmp_gt_f32_e32 vcc, 0, v3
	s_mov_b64 s[4:5], -1
	v_mov_b32_e32 v4, 0
	v_mov_b32_e32 v5, v3
                                        ; implicit-def: $sgpr6
	s_and_saveexec_b64 s[14:15], vcc
	s_cbranch_execz .LBB162_21
; %bb.14:
	v_floor_f32_e32 v2, v3
	v_cmp_neq_f32_e32 vcc, v2, v3
	s_mov_b64 s[4:5], 0
	v_mov_b32_e32 v4, 0
                                        ; implicit-def: $vgpr5
	s_and_saveexec_b64 s[16:17], vcc
	s_cbranch_execz .LBB162_20
; %bb.15:
	v_mul_f32_e32 v2, 0x40490fdb, v3
	s_brev_b32 s4, 18
	v_and_b32_e32 v4, 0x7fffffff, v2
	v_cmp_nlt_f32_e64 s[4:5], |v2|, s4
                                        ; implicit-def: $vgpr6
                                        ; implicit-def: $vgpr5
	s_and_saveexec_b64 s[6:7], s[4:5]
	s_xor_b64 s[18:19], exec, s[6:7]
	s_cbranch_execz .LBB162_17
; %bb.16:
	v_lshrrev_b32_e32 v5, 23, v4
	v_add_u32_e32 v5, 0xffffff88, v5
	v_not_b32_e32 v6, 63
	v_cmp_lt_u32_e32 vcc, 63, v5
	v_cndmask_b32_e32 v6, 0, v6, vcc
	v_add_u32_e32 v5, v6, v5
	v_not_b32_e32 v6, 31
	v_cmp_lt_u32_e64 s[4:5], 31, v5
	v_cndmask_b32_e64 v8, 0, v6, s[4:5]
	v_add_u32_e32 v5, v8, v5
	v_cmp_lt_u32_e64 s[6:7], 31, v5
	v_cndmask_b32_e64 v6, 0, v6, s[6:7]
	v_add_u32_e32 v5, v6, v5
	v_and_b32_e32 v6, 0x7fffff, v4
	v_or_b32_e32 v20, 0x800000, v6
	s_mov_b32 s8, 0xfe5163ab
	v_mad_u64_u32 v[8:9], s[8:9], v20, s8, 0
	v_mov_b32_e32 v7, 0
	v_mov_b32_e32 v6, v9
	s_mov_b32 s8, 0x3c439041
	v_mad_u64_u32 v[10:11], s[8:9], v20, s8, v[6:7]
	v_mov_b32_e32 v6, v11
	s_mov_b32 s8, 0xdb629599
	v_mad_u64_u32 v[12:13], s[8:9], v20, s8, v[6:7]
	;; [unrolled: 3-line block ×6, first 2 shown]
	v_cndmask_b32_e32 v9, v18, v14, vcc
	v_cndmask_b32_e32 v6, v6, v16, vcc
	;; [unrolled: 1-line block ×3, first 2 shown]
	v_cndmask_b32_e64 v11, v6, v9, s[4:5]
	v_cndmask_b32_e64 v6, v7, v6, s[4:5]
	v_cndmask_b32_e32 v7, v16, v12, vcc
	v_cndmask_b32_e64 v9, v9, v7, s[4:5]
	v_sub_u32_e32 v13, 32, v5
	v_cmp_eq_u32_e64 s[8:9], 0, v5
	v_cndmask_b32_e32 v5, v14, v10, vcc
	v_cndmask_b32_e64 v6, v6, v11, s[6:7]
	v_cndmask_b32_e64 v11, v11, v9, s[6:7]
	;; [unrolled: 1-line block ×3, first 2 shown]
	v_alignbit_b32 v15, v6, v11, v13
	v_cndmask_b32_e64 v9, v9, v7, s[6:7]
	v_cndmask_b32_e64 v6, v15, v6, s[8:9]
	v_alignbit_b32 v10, v11, v9, v13
	v_cndmask_b32_e32 v8, v12, v8, vcc
	v_cndmask_b32_e64 v10, v10, v11, s[8:9]
	v_bfe_u32 v15, v6, 29, 1
	v_cndmask_b32_e64 v5, v5, v8, s[4:5]
	v_alignbit_b32 v11, v6, v10, 30
	v_sub_u32_e32 v16, 0, v15
	v_cndmask_b32_e64 v5, v7, v5, s[6:7]
	v_xor_b32_e32 v17, v11, v16
	v_alignbit_b32 v7, v9, v5, v13
	v_cndmask_b32_e64 v7, v7, v9, s[8:9]
	v_ffbh_u32_e32 v9, v17
	v_add_u32_e32 v9, 1, v9
	v_cmp_ne_u32_e32 vcc, v11, v16
	v_alignbit_b32 v8, v10, v7, 30
	v_cndmask_b32_e32 v9, 33, v9, vcc
	v_alignbit_b32 v5, v7, v5, 30
	v_xor_b32_e32 v8, v8, v16
	v_sub_u32_e32 v10, 32, v9
	v_xor_b32_e32 v5, v5, v16
	v_alignbit_b32 v11, v17, v8, v10
	v_alignbit_b32 v5, v8, v5, v10
	;; [unrolled: 1-line block ×3, first 2 shown]
	v_ffbh_u32_e32 v8, v7
	v_min_u32_e32 v8, 32, v8
	v_lshrrev_b32_e32 v14, 29, v6
	v_sub_u32_e32 v10, 31, v8
	v_alignbit_b32 v5, v7, v5, v10
	v_lshlrev_b32_e32 v7, 31, v14
	v_or_b32_e32 v10, 0x33800000, v7
	v_add_lshl_u32 v8, v8, v9, 23
	v_lshrrev_b32_e32 v5, 9, v5
	v_sub_u32_e32 v8, v10, v8
	v_or_b32_e32 v5, v8, v5
	v_alignbit_b32 v8, v9, v11, 9
	v_or_b32_e32 v7, v8, v7
	v_xor_b32_e32 v7, 1.0, v7
	s_mov_b32 s4, 0x3fc90fda
	v_mul_f32_e32 v8, 0x3fc90fda, v7
	v_fma_f32 v9, v7, s4, -v8
	v_fmac_f32_e32 v9, 0x33a22168, v7
	v_fmac_f32_e32 v9, 0x3fc90fda, v5
	v_lshrrev_b32_e32 v6, 30, v6
	v_add_f32_e32 v5, v8, v9
	v_add_u32_e32 v6, v15, v6
.LBB162_17:
	s_andn2_saveexec_b64 s[4:5], s[18:19]
; %bb.18:
	s_mov_b32 s6, 0x3f22f983
	v_mul_f32_e64 v5, |v2|, s6
	v_rndne_f32_e32 v7, v5
	s_mov_b32 s6, 0xbfc90fda
	v_cvt_i32_f32_e32 v6, v7
	v_fma_f32 v5, v7, s6, |v2|
	v_fmac_f32_e32 v5, 0xb3a22168, v7
	v_fmac_f32_e32 v5, 0xa7c234c4, v7
; %bb.19:
	s_or_b64 exec, exec, s[4:5]
	v_mul_f32_e32 v7, v5, v5
	v_mov_b32_e32 v8, 0xbf039337
	v_fmac_f32_e32 v8, 0x3c971480, v7
	v_mov_b32_e32 v9, 0x3f93f425
	v_fmac_f32_e32 v9, v7, v8
	v_rcp_f32_e32 v8, v9
	v_mov_b32_e32 v9, 0x3ec54587
	v_fmac_f32_e32 v9, 0xbc8cedd3, v7
	v_and_b32_e32 v6, 1, v6
	v_mul_f32_e32 v8, v9, v8
	v_mul_f32_e32 v7, v7, v8
	v_fma_f32 v8, v7, v5, v5
	v_rcp_f32_e32 v9, v8
	v_sub_f32_e32 v10, v8, v5
	v_fma_f32 v5, v7, v5, -v10
	v_cmp_eq_u32_e32 vcc, 0, v6
	v_fma_f32 v7, v8, -v9, 1.0
	v_fma_f32 v5, v5, -v9, v7
	v_fma_f32 v5, v5, -v9, -v9
	v_cndmask_b32_e32 v5, v5, v8, vcc
	v_xor_b32_e32 v4, v4, v2
	v_xor_b32_e32 v4, v4, v5
	s_mov_b32 s8, 0xc0490fdb
	v_div_scale_f32 v5, s[6:7], v4, v4, s8
	v_rcp_f32_e32 v6, v5
	s_movk_i32 s6, 0x1f8
	s_mov_b64 s[4:5], exec
	v_fma_f32 v7, -v5, v6, 1.0
	v_fmac_f32_e32 v6, v7, v6
	v_div_scale_f32 v7, vcc, s8, v4, s8
	v_mul_f32_e32 v8, v7, v6
	v_fma_f32 v9, -v5, v8, v7
	v_fmac_f32_e32 v8, v9, v6
	v_fma_f32 v5, -v5, v8, v7
	v_div_fmas_f32 v5, v5, v6, v8
	v_div_fixup_f32 v4, v5, v4, s8
	v_mov_b32_e32 v5, 0x7fc00000
	v_cmp_class_f32_e64 vcc, v2, s6
	v_cndmask_b32_e32 v4, v5, v4, vcc
	v_sub_f32_e32 v5, 1.0, v3
.LBB162_20:
	s_or_b64 exec, exec, s[16:17]
	s_mov_b32 s6, 0x7f800000
	s_orn2_b64 s[4:5], s[4:5], exec
.LBB162_21:
	s_or_b64 exec, exec, s[14:15]
	v_mov_b32_e32 v2, s6
	s_and_saveexec_b64 s[6:7], s[4:5]
	s_cbranch_execz .LBB162_33
; %bb.22:
	s_mov_b32 s14, 0x41200000
	v_cmp_gt_f32_e32 vcc, s14, v5
	v_mov_b32_e32 v2, 0
	s_and_saveexec_b64 s[4:5], vcc
	s_cbranch_execz .LBB162_26
; %bb.23:
	s_mov_b64 s[8:9], 0
	v_mov_b32_e32 v2, 0
.LBB162_24:                             ; =>This Inner Loop Header: Depth=1
	v_div_scale_f32 v6, s[16:17], v5, v5, 1.0
	v_rcp_f32_e32 v7, v6
	v_div_scale_f32 v8, vcc, 1.0, v5, 1.0
	v_fma_f32 v9, -v6, v7, 1.0
	v_fmac_f32_e32 v7, v9, v7
	v_mul_f32_e32 v9, v8, v7
	v_fma_f32 v10, -v6, v9, v8
	v_fmac_f32_e32 v9, v10, v7
	v_fma_f32 v6, -v6, v9, v8
	v_div_fmas_f32 v6, v6, v7, v9
	v_div_fixup_f32 v6, v6, v5, 1.0
	v_add_f32_e32 v5, 1.0, v5
	v_cmp_ngt_f32_e32 vcc, s14, v5
	s_or_b64 s[8:9], vcc, s[8:9]
	v_sub_f32_e32 v2, v2, v6
	s_andn2_b64 exec, exec, s[8:9]
	s_cbranch_execnz .LBB162_24
; %bb.25:
	s_or_b64 exec, exec, s[8:9]
.LBB162_26:
	s_or_b64 exec, exec, s[4:5]
	s_mov_b32 s4, 0x41200000
	v_cmp_neq_f32_e32 vcc, s4, v5
                                        ; implicit-def: $vgpr6
	s_and_saveexec_b64 s[4:5], vcc
	s_xor_b64 s[8:9], exec, s[4:5]
	s_cbranch_execz .LBB162_30
; %bb.27:
	s_mov_b32 s4, 0x5bb1a2bc
	v_cmp_gt_f32_e32 vcc, s4, v5
	v_mov_b32_e32 v6, 0
	s_and_saveexec_b64 s[4:5], vcc
	s_cbranch_execz .LBB162_29
; %bb.28:
	v_mul_f32_e32 v6, v5, v5
	v_div_scale_f32 v7, s[14:15], v6, v6, 1.0
	v_rcp_f32_e32 v8, v7
	v_div_scale_f32 v9, vcc, 1.0, v6, 1.0
	v_fma_f32 v10, -v7, v8, 1.0
	v_fmac_f32_e32 v8, v10, v8
	v_mul_f32_e32 v10, v9, v8
	v_fma_f32 v11, -v7, v10, v9
	v_fmac_f32_e32 v10, v11, v8
	v_fma_f32 v7, -v7, v10, v9
	v_div_fmas_f32 v7, v7, v8, v10
	v_div_fixup_f32 v6, v7, v6, 1.0
	v_mov_b32_e32 v7, 0x3daaaaab
	v_fma_f32 v8, 0, v6, v7
	v_mov_b32_e32 v9, 0xbcaccacd
	v_fmac_f32_e32 v9, v6, v8
	v_mov_b32_e32 v8, 0x3bf83e10
	v_fmac_f32_e32 v8, v6, v9
	;; [unrolled: 2-line block ×5, first 2 shown]
	v_fmac_f32_e32 v7, v6, v9
	v_mul_f32_e32 v6, v6, v7
.LBB162_29:
	s_or_b64 exec, exec, s[4:5]
	s_mov_b32 s4, 0x800000
	v_mov_b32_e32 v7, 0x4f800000
	v_cmp_gt_f32_e32 vcc, s4, v5
	v_cndmask_b32_e32 v7, 1.0, v7, vcc
	v_mul_f32_e32 v7, v5, v7
	v_log_f32_e32 v7, v7
	s_mov_b32 s4, 0x3f317217
	v_mul_f32_e32 v8, 0x3f317217, v7
	v_fma_f32 v9, v7, s4, -v8
	v_fmac_f32_e32 v9, 0x3377d1cf, v7
	s_mov_b32 s4, 0x7f800000
	v_add_f32_e32 v8, v8, v9
	v_cmp_lt_f32_e64 s[4:5], |v7|, s4
	v_cndmask_b32_e64 v7, v7, v8, s[4:5]
	v_div_scale_f32 v9, s[4:5], v5, v5, -0.5
	v_rcp_f32_e32 v10, v9
	v_mov_b32_e32 v8, 0x41b17218
	v_cndmask_b32_e32 v8, 0, v8, vcc
	v_sub_f32_e32 v7, v7, v8
	v_add_f32_e32 v2, v2, v7
	v_fma_f32 v7, -v9, v10, 1.0
	v_fmac_f32_e32 v10, v7, v10
	v_div_scale_f32 v7, vcc, -0.5, v5, -0.5
	v_mul_f32_e32 v8, v7, v10
	v_fma_f32 v11, -v9, v8, v7
	v_fmac_f32_e32 v8, v11, v10
	v_fma_f32 v7, -v9, v8, v7
	v_div_fmas_f32 v7, v7, v10, v8
	v_div_fixup_f32 v5, v7, v5, -0.5
	v_add_f32_e32 v2, v2, v5
	v_sub_f32_e32 v6, v2, v6
                                        ; implicit-def: $vgpr2
.LBB162_30:
	s_andn2_saveexec_b64 s[4:5], s[8:9]
; %bb.31:
	v_add_f32_e32 v6, 0x40101cb7, v2
; %bb.32:
	s_or_b64 exec, exec, s[4:5]
	v_add_f32_e32 v2, v4, v6
.LBB162_33:
	s_or_b64 exec, exec, s[6:7]
.LBB162_34:
	s_or_b64 exec, exec, s[10:11]
	v_div_scale_f32 v4, s[4:5], v3, v3, 1.0
	v_rcp_f32_e32 v5, v4
	v_div_scale_f32 v6, vcc, 1.0, v3, 1.0
	s_mov_b32 s6, 0xc0400000
	v_fma_f32 v7, -v4, v5, 1.0
	v_fmac_f32_e32 v5, v7, v5
	v_mul_f32_e32 v7, v6, v5
	v_fma_f32 v8, -v4, v7, v6
	v_fmac_f32_e32 v7, v8, v5
	v_fma_f32 v4, -v4, v7, v6
	v_mul_f32_e32 v6, v3, v3
	v_div_scale_f32 v8, s[4:5], v6, v6, 1.0
	v_rcp_f32_e32 v9, v8
	v_div_fmas_f32 v4, v4, v5, v7
	v_div_fixup_f32 v4, v4, v3, 1.0
	s_mov_b32 s18, 0x3f2aaaab
	v_fma_f32 v5, -v8, v9, 1.0
	v_fmac_f32_e32 v9, v5, v9
	v_div_scale_f32 v5, vcc, 1.0, v6, 1.0
	v_mul_f32_e32 v7, v5, v9
	v_fma_f32 v10, -v8, v7, v5
	v_fmac_f32_e32 v7, v10, v9
	v_fma_f32 v5, -v8, v7, v5
	v_add_f32_e32 v8, 1.0, v3
	v_div_scale_f32 v10, s[4:5], v8, v8, v1
	v_rcp_f32_e32 v11, v10
	v_div_fmas_f32 v5, v5, v9, v7
	v_div_fixup_f32 v5, v5, v6, 1.0
	v_mov_b32_e32 v25, 0x3ecccdef
	v_fma_f32 v6, -v10, v11, 1.0
	v_fmac_f32_e32 v11, v6, v11
	v_div_scale_f32 v6, vcc, v1, v8, v1
	v_mul_f32_e32 v7, v6, v11
	v_fma_f32 v9, -v10, v7, v6
	v_fmac_f32_e32 v7, v9, v11
	v_mul_f32_e32 v9, v8, v8
	v_fma_f32 v6, -v10, v7, v6
	v_div_scale_f32 v10, s[4:5], v9, v9, v1
	v_rcp_f32_e32 v12, v10
	v_div_fmas_f32 v6, v6, v11, v7
	v_div_fixup_f32 v6, v6, v8, v1
	v_sub_f32_e32 v4, v4, v6
	v_fma_f32 v6, -v10, v12, 1.0
	v_fmac_f32_e32 v12, v6, v12
	v_div_scale_f32 v6, vcc, v1, v9, v1
	v_mul_f32_e32 v7, v6, v12
	v_fma_f32 v11, -v10, v7, v6
	v_fmac_f32_e32 v7, v11, v12
	v_fma_f32 v6, -v10, v7, v6
	v_mul_f32_e32 v10, 0.5, v1
	v_mul_f32_e32 v10, v10, v1
	v_add_f32_e32 v8, 1.0, v8
	v_div_scale_f32 v11, s[4:5], v8, v8, v10
	v_rcp_f32_e32 v13, v11
	v_div_fmas_f32 v6, v6, v12, v7
	v_div_fixup_f32 v6, v6, v9, v1
	v_sub_f32_e32 v5, v5, v6
	v_fma_f32 v6, -v11, v13, 1.0
	v_fmac_f32_e32 v13, v6, v13
	v_div_scale_f32 v6, vcc, v10, v8, v10
	v_mul_f32_e32 v7, v6, v13
	v_fma_f32 v9, -v11, v7, v6
	v_fmac_f32_e32 v7, v9, v13
	v_mul_f32_e32 v9, v8, v8
	v_fma_f32 v6, -v11, v7, v6
	v_div_scale_f32 v11, s[4:5], v9, v9, v10
	v_rcp_f32_e32 v12, v11
	v_div_fmas_f32 v6, v6, v13, v7
	v_div_fixup_f32 v6, v6, v8, v10
	v_add_f32_e32 v8, 1.0, v8
	v_fma_f32 v7, -v11, v12, 1.0
	v_fmac_f32_e32 v12, v7, v12
	v_div_scale_f32 v7, vcc, v10, v9, v10
	v_mul_f32_e32 v13, v7, v12
	v_fma_f32 v14, -v11, v13, v7
	v_fmac_f32_e32 v13, v14, v12
	v_div_scale_f32 v14, s[4:5], s6, s6, v1
	v_rcp_f32_e32 v15, v14
	v_fma_f32 v7, -v11, v13, v7
	v_div_fmas_f32 v7, v7, v12, v13
	v_add_f32_e32 v4, v4, v6
	v_fma_f32 v11, -v14, v15, 1.0
	v_fmac_f32_e32 v15, v11, v15
	v_div_scale_f32 v11, vcc, v1, s6, v1
	v_mul_f32_e32 v12, v11, v15
	v_fma_f32 v13, -v14, v12, v11
	v_fmac_f32_e32 v12, v13, v15
	v_fma_f32 v11, -v14, v12, v11
	v_div_fmas_f32 v11, v11, v15, v12
	v_div_fixup_f32 v11, v11, s6, v1
	v_mul_f32_e32 v11, v11, v10
	v_div_scale_f32 v12, s[4:5], v8, v8, v11
	v_rcp_f32_e32 v13, v12
	v_div_fixup_f32 v6, v7, v9, v10
	v_add_f32_e32 v5, v5, v6
	s_mov_b32 s6, 0xc0a00000
	v_fma_f32 v6, -v12, v13, 1.0
	v_fmac_f32_e32 v13, v6, v13
	v_div_scale_f32 v6, vcc, v11, v8, v11
	v_mul_f32_e32 v7, v6, v13
	v_fma_f32 v9, -v12, v7, v6
	v_fmac_f32_e32 v7, v9, v13
	v_mul_f32_e32 v9, v8, v8
	v_div_scale_f32 v10, s[4:5], v9, v9, v11
	v_fma_f32 v6, -v12, v7, v6
	v_rcp_f32_e32 v12, v10
	v_div_fmas_f32 v6, v6, v13, v7
	v_div_fixup_f32 v6, v6, v8, v11
	v_add_f32_e32 v4, v4, v6
	v_fma_f32 v6, -v10, v12, 1.0
	v_fmac_f32_e32 v12, v6, v12
	v_div_scale_f32 v6, vcc, v11, v9, v11
	v_mul_f32_e32 v7, v6, v12
	v_fma_f32 v13, -v10, v7, v6
	v_fmac_f32_e32 v7, v13, v12
	v_fma_f32 v6, -v10, v7, v6
	v_mul_f32_e32 v10, 0xbe800000, v1
	v_mul_f32_e32 v10, v10, v11
	v_add_f32_e32 v8, 1.0, v8
	v_div_scale_f32 v13, s[4:5], v8, v8, v10
	v_rcp_f32_e32 v14, v13
	v_div_fmas_f32 v6, v6, v12, v7
	v_div_fixup_f32 v6, v6, v9, v11
	v_add_f32_e32 v5, v5, v6
	v_fma_f32 v6, -v13, v14, 1.0
	v_fmac_f32_e32 v14, v6, v14
	v_div_scale_f32 v6, vcc, v10, v8, v10
	v_mul_f32_e32 v7, v6, v14
	v_fma_f32 v9, -v13, v7, v6
	v_fmac_f32_e32 v7, v9, v14
	v_mul_f32_e32 v9, v8, v8
	v_div_scale_f32 v11, s[4:5], v9, v9, v10
	v_rcp_f32_e32 v12, v11
	v_fma_f32 v6, -v13, v7, v6
	v_div_fmas_f32 v6, v6, v14, v7
	v_div_fixup_f32 v6, v6, v8, v10
	v_fma_f32 v7, -v11, v12, 1.0
	v_fmac_f32_e32 v12, v7, v12
	v_div_scale_f32 v7, vcc, v10, v9, v10
	v_mul_f32_e32 v13, v7, v12
	v_fma_f32 v14, -v11, v13, v7
	v_fmac_f32_e32 v13, v14, v12
	v_div_scale_f32 v14, s[4:5], s6, s6, v1
	v_rcp_f32_e32 v15, v14
	v_fma_f32 v7, -v11, v13, v7
	v_div_fmas_f32 v7, v7, v12, v13
	v_add_f32_e32 v8, 1.0, v8
	v_fma_f32 v11, -v14, v15, 1.0
	v_fmac_f32_e32 v15, v11, v15
	v_div_scale_f32 v11, vcc, v1, s6, v1
	v_mul_f32_e32 v12, v11, v15
	v_fma_f32 v13, -v14, v12, v11
	v_fmac_f32_e32 v12, v13, v15
	v_fma_f32 v11, -v14, v12, v11
	v_div_fmas_f32 v11, v11, v15, v12
	v_div_fixup_f32 v11, v11, s6, v1
	v_mul_f32_e32 v11, v11, v10
	v_div_scale_f32 v12, s[4:5], v8, v8, v11
	v_rcp_f32_e32 v13, v12
	v_add_f32_e32 v4, v4, v6
	v_div_fixup_f32 v6, v7, v9, v10
	v_add_f32_e32 v5, v5, v6
	v_fma_f32 v6, -v12, v13, 1.0
	v_fmac_f32_e32 v13, v6, v13
	v_div_scale_f32 v6, vcc, v11, v8, v11
	v_mul_f32_e32 v7, v6, v13
	v_fma_f32 v9, -v12, v7, v6
	v_fmac_f32_e32 v7, v9, v13
	v_mul_f32_e32 v9, v8, v8
	v_div_scale_f32 v10, s[4:5], v9, v9, v11
	v_fma_f32 v6, -v12, v7, v6
	v_rcp_f32_e32 v12, v10
	v_div_fmas_f32 v6, v6, v13, v7
	v_div_fixup_f32 v6, v6, v8, v11
	v_add_f32_e32 v4, v4, v6
	v_fma_f32 v6, -v10, v12, 1.0
	v_fmac_f32_e32 v12, v6, v12
	v_div_scale_f32 v6, vcc, v11, v9, v11
	v_mul_f32_e32 v7, v6, v12
	v_fma_f32 v8, -v10, v7, v6
	v_fmac_f32_e32 v7, v8, v12
	v_fma_f32 v6, -v10, v7, v6
	v_div_fmas_f32 v6, v6, v12, v7
	v_cmp_eq_f32_e32 vcc, 1.0, v1
	v_cndmask_b32_e64 v22, v3, 1.0, vcc
	v_cmp_eq_f32_e64 s[4:5], 0, v22
	v_div_fixup_f32 v6, v6, v9, v11
	v_cndmask_b32_e64 v23, |v1|, 1.0, s[4:5]
	v_add_f32_e32 v5, v5, v6
	v_frexp_mant_f32_e32 v6, v23
	v_cmp_gt_f32_e64 s[6:7], s18, v6
	v_cndmask_b32_e64 v7, 1.0, 2.0, s[6:7]
	v_mul_f32_e32 v6, v6, v7
	v_add_f32_e32 v9, 1.0, v6
	v_rcp_f32_e32 v14, v9
	v_add_f32_e32 v7, -1.0, v9
	v_sub_f32_e32 v11, v6, v7
	v_add_f32_e32 v7, -1.0, v6
	v_mul_f32_e32 v15, v7, v14
	v_mul_f32_e32 v8, v9, v15
	v_fma_f32 v10, v15, v9, -v8
	v_fmac_f32_e32 v10, v15, v11
	v_add_f32_e32 v6, v8, v10
	v_sub_f32_e32 v9, v7, v6
	v_pk_add_f32 v[12:13], v[6:7], v[8:9] neg_lo:[0,1] neg_hi:[0,1]
	v_mov_b32_e32 v11, v6
	v_pk_add_f32 v[6:7], v[12:13], v[10:11] neg_lo:[0,1] neg_hi:[0,1]
	v_add_f32_e32 v6, v6, v7
	v_add_f32_e32 v6, v9, v6
	v_mul_f32_e32 v7, v14, v6
	v_add_f32_e32 v6, v15, v7
	v_sub_f32_e32 v8, v6, v15
	v_sub_f32_e32 v16, v7, v8
	v_mul_f32_e32 v7, v6, v6
	v_fma_f32 v9, v6, v6, -v7
	v_add_f32_e32 v8, v16, v16
	v_fmac_f32_e32 v9, v6, v8
	v_add_f32_e32 v8, v7, v9
	v_mov_b32_e32 v10, 0x3e91f4c4
	v_fmac_f32_e32 v10, 0x3e76c4e1, v8
	v_fma_f32 v10, v8, v10, v25
	v_sub_f32_e32 v7, v8, v7
	v_sub_f32_e32 v17, v9, v7
	v_mul_f32_e32 v7, v8, v10
	v_fma_f32 v9, v8, v10, -v7
	v_fmac_f32_e32 v9, v17, v10
	v_add_f32_e32 v10, v7, v9
	v_add_f32_e32 v11, 0x3f2aaaaa, v10
	v_sub_f32_e32 v7, v10, v7
	v_sub_f32_e32 v7, v9, v7
	v_add_f32_e32 v9, 0xbf2aaaaa, v11
	v_add_f32_e32 v7, 0x31739010, v7
	v_sub_f32_e32 v9, v10, v9
	v_pk_mul_f32 v[12:13], v[6:7], v[8:9]
	v_fma_f32 v10, v8, v6, -v12
	v_pk_add_f32 v[14:15], v[6:7], v[8:9]
	v_fmac_f32_e32 v10, v8, v16
	v_mov_b32_e32 v13, v15
	v_fmac_f32_e32 v10, v17, v6
	v_pk_add_f32 v[8:9], v[12:13], v[10:11]
	v_sub_f32_e32 v7, v8, v12
	v_sub_f32_e32 v7, v10, v7
	;; [unrolled: 1-line block ×3, first 2 shown]
	v_add_f32_e32 v13, v15, v10
	v_mov_b32_e32 v10, v9
	v_pk_mul_f32 v[10:11], v[8:9], v[10:11]
	v_cvt_f64_f32_e32 v[14:15], v23
	v_frexp_exp_i32_f64_e32 v11, v[14:15]
	v_subbrev_co_u32_e64 v11, s[6:7], 0, v11, s[6:7]
	v_cvt_f32_i32_e32 v11, v11
	v_fma_f32 v12, v8, v9, -v10
	v_fmac_f32_e32 v12, v8, v13
	s_mov_b32 s19, 0x3f317218
	v_mul_f32_e32 v8, 0x3f317218, v11
	v_fmac_f32_e32 v12, v7, v9
	v_fma_f32 v14, v11, s19, -v8
	v_fmac_f32_e32 v14, 0xb102e308, v11
	v_ldexp_f32 v15, v6, 1
	v_add_f32_e32 v9, v10, v12
	v_pk_add_f32 v[6:7], v[8:9], v[14:15]
	v_ldexp_f32 v18, v16, 1
	v_mov_b32_e32 v16, v9
	v_mov_b32_e32 v17, v7
	;; [unrolled: 1-line block ×3, first 2 shown]
	v_pk_add_f32 v[10:11], v[16:17], v[10:11] neg_lo:[0,1] neg_hi:[0,1]
	v_mov_b32_e32 v13, v9
	v_pk_add_f32 v[10:11], v[12:13], v[10:11] neg_lo:[0,1] neg_hi:[0,1]
	v_add_f32_e32 v9, v18, v10
	v_add_f32_e32 v9, v9, v11
	v_pk_add_f32 v[10:11], v[6:7], v[8:9] neg_lo:[0,1] neg_hi:[0,1]
	v_pk_add_f32 v[12:13], v[6:7], v[8:9]
	v_mov_b32_e32 v16, v10
	v_mov_b32_e32 v17, v13
	;; [unrolled: 1-line block ×3, first 2 shown]
	v_pk_add_f32 v[16:17], v[14:15], v[16:17]
	v_mov_b32_e32 v8, v17
	v_pk_add_f32 v[18:19], v[8:9], v[6:7] neg_lo:[0,1] neg_hi:[0,1]
	v_mov_b32_e32 v19, v18
	v_mov_b32_e32 v16, v13
	v_mov_b32_e32 v6, v7
	v_mov_b32_e32 v7, v18
	v_pk_add_f32 v[10:11], v[14:15], v[10:11] neg_lo:[0,1] neg_hi:[0,1]
	v_pk_add_f32 v[20:21], v[12:13], v[18:19] neg_lo:[0,1] neg_hi:[0,1]
	;; [unrolled: 1-line block ×3, first 2 shown]
	v_mov_b32_e32 v14, v9
	v_pk_add_f32 v[6:7], v[14:15], v[6:7] neg_lo:[0,1] neg_hi:[0,1]
	v_mov_b32_e32 v20, v10
	v_pk_add_f32 v[12:13], v[20:21], v[6:7]
	v_mov_b32_e32 v14, v13
	v_pk_add_f32 v[14:15], v[12:13], v[14:15]
	v_pk_add_f32 v[8:9], v[8:9], v[14:15]
	v_mov_b32_e32 v11, v17
	v_mov_b32_e32 v13, v8
	v_pk_add_f32 v[16:17], v[12:13], v[10:11] neg_lo:[0,1] neg_hi:[0,1]
	v_mov_b32_e32 v7, v14
	v_sub_f32_e32 v9, v12, v16
	v_pk_add_f32 v[6:7], v[6:7], v[16:17] neg_lo:[0,1] neg_hi:[0,1]
	v_sub_f32_e32 v9, v10, v9
	v_add_f32_e32 v6, v6, v9
	v_add_f32_e32 v6, v6, v7
	;; [unrolled: 1-line block ×3, first 2 shown]
	v_sub_f32_e32 v8, v7, v8
	v_sub_f32_e32 v6, v6, v8
	v_mul_f32_e32 v8, v22, v7
	v_fma_f32 v7, v22, v7, -v8
	v_fmac_f32_e32 v7, v22, v6
	s_movk_i32 s15, 0x204
	v_add_f32_e32 v6, v8, v7
	v_cmp_class_f32_e64 s[6:7], v8, s15
	v_sub_f32_e32 v9, v6, v8
	v_cndmask_b32_e64 v6, v6, v8, s[6:7]
	s_mov_b32 s16, 0x42b17218
	v_mov_b32_e32 v26, 0x37000000
	v_cmp_eq_f32_e64 s[6:7], s16, v6
	v_cndmask_b32_e64 v8, 0, v26, s[6:7]
	v_sub_f32_e32 v7, v7, v9
	v_sub_f32_e32 v9, v6, v8
	s_mov_b32 s20, 0x3fb8aa3b
	v_mul_f32_e32 v10, 0x3fb8aa3b, v9
	v_fma_f32 v11, v9, s20, -v10
	v_rndne_f32_e32 v12, v10
	v_fmac_f32_e32 v11, 0x32a5705f, v9
	v_sub_f32_e32 v10, v10, v12
	v_add_f32_e32 v10, v10, v11
	v_exp_f32_e32 v10, v10
	v_cvt_i32_f32_e32 v11, v12
	s_mov_b32 s14, 0x7f800000
	v_cmp_neq_f32_e64 s[6:7], |v6|, s14
	s_mov_b32 s21, 0xc2ce8ed0
	v_cndmask_b32_e64 v6, 0, v7, s[6:7]
	v_ldexp_f32 v7, v10, v11
	v_cmp_ngt_f32_e64 s[6:7], s21, v9
	v_cndmask_b32_e64 v7, 0, v7, s[6:7]
	v_cmp_nlt_f32_e64 s[6:7], s16, v9
	v_trunc_f32_e32 v9, v22
	v_add_f32_e32 v6, v8, v6
	v_cndmask_b32_e64 v7, v0, v7, s[6:7]
	v_cndmask_b32_e64 v8, v1, 1.0, s[4:5]
	v_cmp_eq_f32_e64 s[4:5], v9, v22
	v_mul_f32_e32 v9, 0.5, v22
	v_fma_f32 v6, v7, v6, v7
	v_cmp_class_f32_e64 s[6:7], v7, s15
	v_trunc_f32_e32 v10, v9
	v_cndmask_b32_e64 v7, v6, v7, s[6:7]
	v_cmp_neq_f32_e64 s[6:7], v10, v9
	s_and_b64 s[6:7], s[4:5], s[6:7]
	v_cndmask_b32_e64 v9, 1.0, v8, s[6:7]
	s_brev_b32 s17, -2
	v_mov_b32_e32 v6, 0x7fc00000
	v_bfi_b32 v7, s17, v7, v9
	v_cndmask_b32_e64 v9, v6, v7, s[4:5]
	v_cmp_gt_f32_e64 s[4:5], 0, v8
	v_cndmask_b32_e64 v7, v7, v9, s[4:5]
	v_cndmask_b32_e64 v9, |v3|, 1.0, vcc
	v_cmp_neq_f32_e64 s[4:5], v22, v9
	v_cmp_gt_f32_e64 s[8:9], 1.0, v23
	s_xor_b64 s[4:5], s[4:5], s[8:9]
	v_cndmask_b32_e64 v10, v9, 0, s[4:5]
	v_cmp_eq_f32_e64 s[4:5], 1.0, v23
	v_cmp_eq_f32_e64 s[8:9], 0, v8
	v_cmp_gt_f32_e64 s[10:11], 0, v22
	v_cndmask_b32_e64 v10, v10, v23, s[4:5]
	v_cmp_eq_f32_e64 s[4:5], s14, v9
	s_xor_b64 s[10:11], s[10:11], s[8:9]
	v_cndmask_b32_e64 v7, v7, v10, s[4:5]
	v_cmp_eq_f32_e64 s[4:5], s14, v23
	v_cndmask_b32_e64 v9, v0, 0, s[10:11]
	v_cndmask_b32_e64 v8, 0, v8, s[6:7]
	v_bfi_b32 v8, s17, v9, v8
	s_or_b64 s[4:5], s[4:5], s[8:9]
	v_add_f32_e32 v27, -1.0, v3
	v_cndmask_b32_e64 v7, v7, v8, s[4:5]
	v_cmp_o_f32_e64 s[4:5], v22, v22
	v_cndmask_b32_e64 v28, v27, 1.0, vcc
	v_cndmask_b32_e64 v7, v6, v7, s[4:5]
	v_cmp_eq_f32_e64 s[4:5], 0, v28
	v_cndmask_b32_e64 v29, |v1|, 1.0, s[4:5]
	v_frexp_mant_f32_e32 v3, v29
	v_cmp_gt_f32_e64 s[6:7], s18, v3
	v_cndmask_b32_e64 v8, 1.0, 2.0, s[6:7]
	v_mul_f32_e32 v3, v3, v8
	v_add_f32_e32 v8, 1.0, v3
	v_rcp_f32_e32 v16, v8
	v_add_f32_e32 v9, -1.0, v8
	v_sub_f32_e32 v11, v3, v9
	v_add_f32_e32 v9, -1.0, v3
	v_mul_f32_e32 v3, v9, v16
	v_mul_f32_e32 v10, v8, v3
	v_fma_f32 v12, v3, v8, -v10
	v_fmac_f32_e32 v12, v3, v11
	v_add_f32_e32 v8, v10, v12
	v_sub_f32_e32 v11, v9, v8
	v_pk_add_f32 v[14:15], v[8:9], v[10:11] neg_lo:[0,1] neg_hi:[0,1]
	v_mov_b32_e32 v13, v8
	v_pk_add_f32 v[8:9], v[14:15], v[12:13] neg_lo:[0,1] neg_hi:[0,1]
	v_add_f32_e32 v8, v8, v9
	v_add_f32_e32 v8, v11, v8
	v_mul_f32_e32 v9, v16, v8
	v_add_f32_e32 v8, v3, v9
	v_sub_f32_e32 v3, v8, v3
	v_sub_f32_e32 v3, v9, v3
	v_mul_f32_e32 v9, v8, v8
	v_fma_f32 v11, v8, v8, -v9
	v_add_f32_e32 v10, v3, v3
	v_fmac_f32_e32 v11, v8, v10
	v_mov_b32_e32 v24, 0x3e91f4c4
	v_add_f32_e32 v10, v9, v11
	v_fmac_f32_e32 v24, 0x3e76c4e1, v10
	v_fmac_f32_e32 v25, v10, v24
	v_sub_f32_e32 v9, v10, v9
	v_sub_f32_e32 v18, v11, v9
	v_mul_f32_e32 v9, v10, v25
	v_fma_f32 v11, v10, v25, -v9
	v_fmac_f32_e32 v11, v18, v25
	v_add_f32_e32 v12, v9, v11
	v_add_f32_e32 v13, 0x3f2aaaaa, v12
	v_sub_f32_e32 v9, v12, v9
	v_sub_f32_e32 v9, v11, v9
	v_add_f32_e32 v11, 0xbf2aaaaa, v13
	v_add_f32_e32 v9, 0x31739010, v9
	v_sub_f32_e32 v11, v12, v11
	v_pk_mul_f32 v[14:15], v[8:9], v[10:11]
	v_fma_f32 v12, v10, v8, -v14
	v_pk_add_f32 v[16:17], v[8:9], v[10:11]
	v_fmac_f32_e32 v12, v10, v3
	v_mov_b32_e32 v15, v17
	v_fmac_f32_e32 v12, v18, v8
	v_pk_add_f32 v[10:11], v[14:15], v[12:13]
	v_sub_f32_e32 v9, v10, v14
	v_sub_f32_e32 v9, v12, v9
	v_sub_f32_e32 v12, v13, v11
	v_add_f32_e32 v16, v17, v12
	v_mov_b32_e32 v12, v11
	v_pk_mul_f32 v[12:13], v[10:11], v[12:13]
	v_cvt_f64_f32_e32 v[14:15], v29
	v_frexp_exp_i32_f64_e32 v13, v[14:15]
	v_subbrev_co_u32_e64 v13, s[6:7], 0, v13, s[6:7]
	v_cvt_f32_i32_e32 v13, v13
	v_fma_f32 v14, v10, v11, -v12
	v_fmac_f32_e32 v14, v10, v16
	v_fmac_f32_e32 v14, v9, v11
	v_mul_f32_e32 v10, 0x3f317218, v13
	v_fma_f32 v16, v13, s19, -v10
	v_fmac_f32_e32 v16, 0xb102e308, v13
	v_ldexp_f32 v17, v8, 1
	v_add_f32_e32 v11, v12, v14
	v_pk_add_f32 v[8:9], v[10:11], v[16:17]
	v_mov_b32_e32 v18, v11
	v_mov_b32_e32 v19, v9
	;; [unrolled: 1-line block ×3, first 2 shown]
	v_pk_add_f32 v[12:13], v[18:19], v[12:13] neg_lo:[0,1] neg_hi:[0,1]
	v_mov_b32_e32 v15, v11
	v_ldexp_f32 v3, v3, 1
	v_pk_add_f32 v[12:13], v[14:15], v[12:13] neg_lo:[0,1] neg_hi:[0,1]
	v_add_f32_e32 v3, v3, v12
	v_add_f32_e32 v11, v3, v13
	v_pk_add_f32 v[12:13], v[8:9], v[10:11] neg_lo:[0,1] neg_hi:[0,1]
	v_pk_add_f32 v[14:15], v[8:9], v[10:11]
	v_mov_b32_e32 v18, v12
	v_mov_b32_e32 v19, v15
	;; [unrolled: 1-line block ×3, first 2 shown]
	v_pk_add_f32 v[18:19], v[16:17], v[18:19]
	v_mov_b32_e32 v10, v19
	v_pk_add_f32 v[20:21], v[10:11], v[8:9] neg_lo:[0,1] neg_hi:[0,1]
	v_mov_b32_e32 v3, v20
	v_mov_b32_e32 v18, v15
	v_mov_b32_e32 v8, v9
	v_mov_b32_e32 v9, v20
	v_pk_add_f32 v[12:13], v[16:17], v[12:13] neg_lo:[0,1] neg_hi:[0,1]
	v_pk_add_f32 v[22:23], v[14:15], v[2:3] neg_lo:[0,1] neg_hi:[0,1]
	;; [unrolled: 1-line block ×3, first 2 shown]
	v_mov_b32_e32 v16, v11
	v_pk_add_f32 v[8:9], v[16:17], v[8:9] neg_lo:[0,1] neg_hi:[0,1]
	v_mov_b32_e32 v22, v12
	v_pk_add_f32 v[14:15], v[22:23], v[8:9]
	v_mov_b32_e32 v16, v15
	v_pk_add_f32 v[16:17], v[14:15], v[16:17]
	v_pk_add_f32 v[10:11], v[10:11], v[16:17]
	v_mov_b32_e32 v13, v19
	v_mov_b32_e32 v15, v10
	v_pk_add_f32 v[18:19], v[14:15], v[12:13] neg_lo:[0,1] neg_hi:[0,1]
	v_mov_b32_e32 v9, v16
	v_sub_f32_e32 v3, v14, v18
	v_pk_add_f32 v[8:9], v[8:9], v[18:19] neg_lo:[0,1] neg_hi:[0,1]
	v_sub_f32_e32 v3, v12, v3
	v_add_f32_e32 v3, v8, v3
	v_add_f32_e32 v3, v3, v9
	;; [unrolled: 1-line block ×3, first 2 shown]
	v_sub_f32_e32 v9, v8, v10
	v_sub_f32_e32 v3, v3, v9
	v_mul_f32_e32 v9, v28, v8
	v_fma_f32 v8, v28, v8, -v9
	v_fmac_f32_e32 v8, v28, v3
	v_add_f32_e32 v3, v9, v8
	v_cmp_class_f32_e64 s[6:7], v9, s15
	v_sub_f32_e32 v10, v3, v9
	v_cndmask_b32_e64 v3, v3, v9, s[6:7]
	v_cmp_eq_f32_e64 s[6:7], s16, v3
	v_cndmask_b32_e64 v9, 0, v26, s[6:7]
	v_sub_f32_e32 v8, v8, v10
	v_sub_f32_e32 v10, v3, v9
	v_mul_f32_e32 v11, 0x3fb8aa3b, v10
	v_fma_f32 v12, v10, s20, -v11
	v_rndne_f32_e32 v13, v11
	v_fmac_f32_e32 v12, 0x32a5705f, v10
	v_sub_f32_e32 v11, v11, v13
	v_add_f32_e32 v11, v11, v12
	v_exp_f32_e32 v11, v11
	v_cvt_i32_f32_e32 v12, v13
	v_cmp_neq_f32_e64 s[6:7], |v3|, s14
	v_cndmask_b32_e64 v3, 0, v8, s[6:7]
	v_cmp_ngt_f32_e64 s[6:7], s21, v10
	v_ldexp_f32 v8, v11, v12
	v_cndmask_b32_e64 v8, 0, v8, s[6:7]
	v_cmp_nlt_f32_e64 s[6:7], s16, v10
	v_add_f32_e32 v3, v9, v3
	v_cndmask_b32_e64 v8, v0, v8, s[6:7]
	v_fma_f32 v3, v8, v3, v8
	v_cmp_class_f32_e64 s[6:7], v8, s15
	v_trunc_f32_e32 v9, v28
	v_cndmask_b32_e64 v3, v3, v8, s[6:7]
	v_cndmask_b32_e64 v8, v1, 1.0, s[4:5]
	v_cmp_eq_f32_e64 s[4:5], v9, v28
	v_mul_f32_e32 v9, 0.5, v28
	v_trunc_f32_e32 v10, v9
	v_cmp_neq_f32_e64 s[6:7], v10, v9
	s_and_b64 s[6:7], s[4:5], s[6:7]
	v_cndmask_b32_e64 v9, 1.0, v8, s[6:7]
	v_bfi_b32 v3, s17, v3, v9
	v_cndmask_b32_e64 v9, v6, v3, s[4:5]
	v_cmp_gt_f32_e64 s[4:5], 0, v8
	v_cndmask_b32_e64 v3, v3, v9, s[4:5]
	v_cndmask_b32_e64 v9, |v27|, 1.0, vcc
	v_cmp_neq_f32_e32 vcc, v28, v9
	v_cmp_gt_f32_e64 s[4:5], 1.0, v29
	s_xor_b64 s[4:5], vcc, s[4:5]
	v_cndmask_b32_e64 v10, v9, 0, s[4:5]
	v_cmp_eq_f32_e64 s[4:5], 0, v8
	v_cmp_gt_f32_e64 s[8:9], 0, v28
	v_cmp_eq_f32_e32 vcc, 1.0, v29
	s_xor_b64 s[8:9], s[8:9], s[4:5]
	v_cndmask_b32_e32 v10, v10, v29, vcc
	v_cmp_eq_f32_e32 vcc, s14, v9
	v_cndmask_b32_e64 v9, v0, 0, s[8:9]
	v_cndmask_b32_e64 v8, 0, v8, s[6:7]
	v_bfi_b32 v8, s17, v9, v8
	v_mul_f32_e32 v9, 0xbfb8aa3b, v1
	v_cndmask_b32_e32 v3, v3, v10, vcc
	s_mov_b32 s6, 0xbfb8aa3b
	v_rndne_f32_e32 v10, v9
	v_sub_f32_e32 v11, v9, v10
	v_fma_f32 v9, v1, s6, -v9
	v_fmac_f32_e32 v9, 0xb2a5705f, v1
	v_add_f32_e32 v9, v11, v9
	v_exp_f32_e32 v9, v9
	v_cvt_i32_f32_e32 v10, v10
	v_cmp_eq_f32_e32 vcc, s14, v29
	s_or_b64 vcc, vcc, s[4:5]
	v_cndmask_b32_e32 v3, v3, v8, vcc
	v_cmp_o_f32_e32 vcc, v28, v28
	s_mov_b32 s4, 0x42ce8ed0
	v_cndmask_b32_e32 v3, v6, v3, vcc
	v_ldexp_f32 v6, v9, v10
	v_cmp_nlt_f32_e32 vcc, s4, v1
	s_mov_b32 s4, 0xc2b17218
	v_cndmask_b32_e32 v6, 0, v6, vcc
	v_cmp_ngt_f32_e32 vcc, s4, v1
	s_mov_b32 s4, 0x800000
	v_cndmask_b32_e32 v0, v0, v6, vcc
	v_mov_b32_e32 v6, 0x4f800000
	v_cmp_gt_f32_e32 vcc, s4, v1
	v_cndmask_b32_e32 v6, 1.0, v6, vcc
	v_mul_f32_e32 v1, v1, v6
	v_log_f32_e32 v1, v1
	v_mul_f32_e32 v0, v0, v3
	v_mul_f32_e32 v3, v4, v7
	s_mov_b32 s4, 0x3f317217
	v_mul_f32_e32 v4, 0x3f317217, v1
	v_fma_f32 v6, v1, s4, -v4
	v_fmac_f32_e32 v6, 0x3377d1cf, v1
	v_add_f32_e32 v4, v4, v6
	v_cmp_lt_f32_e64 s[4:5], |v1|, s14
	v_cndmask_b32_e64 v1, v1, v4, s[4:5]
	v_mov_b32_e32 v4, 0x41b17218
	v_cndmask_b32_e32 v4, 0, v4, vcc
	v_sub_f32_e32 v1, v1, v4
	v_sub_f32_e32 v1, v1, v2
	v_mul_f32_e32 v2, v5, v7
	v_fma_f32 v1, v3, v1, -v2
	v_div_scale_f32 v2, s[4:5], v0, v0, -v1
	v_rcp_f32_e32 v3, v2
	v_fma_f32 v4, -v2, v3, 1.0
	v_fmac_f32_e32 v3, v4, v3
	v_div_scale_f32 v4, vcc, -v1, v0, -v1
	v_mul_f32_e32 v5, v4, v3
	v_fma_f32 v6, -v2, v5, v4
	v_fmac_f32_e32 v5, v6, v3
	v_fma_f32 v2, -v2, v5, v4
	v_div_fmas_f32 v2, v2, v3, v5
	v_div_fixup_f32 v0, v2, v0, -v1
	v_cmp_o_f32_e32 vcc, v0, v0
	v_cndmask_b32_e32 v0, 0, v0, vcc
	s_or_b64 exec, exec, s[12:13]
	s_setpc_b64 s[30:31]
.Lfunc_end162:
	.size	_ZZZZN2at6native33launch_standard_gamma_grad_kernelERNS_18TensorIteratorBaseEENKUlvE_clEvENKUlvE0_clEvENKUlffE_clEff, .Lfunc_end162-_ZZZZN2at6native33launch_standard_gamma_grad_kernelERNS_18TensorIteratorBaseEENKUlvE_clEvENKUlvE0_clEvENKUlffE_clEff
                                        ; -- End function
	.section	.AMDGPU.csdata,"",@progbits
; Function info:
; codeLenInByte = 8268
; NumSgprs: 36
; NumVgprs: 30
; NumAgprs: 0
; TotalNumVgprs: 30
; ScratchSize: 0
; MemoryBound: 0
	.section	.text._ZN2at6native29vectorized_elementwise_kernelILi16EZZZNS0_33launch_standard_gamma_grad_kernelERNS_18TensorIteratorBaseEENKUlvE_clEvENKUlvE0_clEvEUlffE_St5arrayIPcLm3EEEEviT0_T1_,"axG",@progbits,_ZN2at6native29vectorized_elementwise_kernelILi16EZZZNS0_33launch_standard_gamma_grad_kernelERNS_18TensorIteratorBaseEENKUlvE_clEvENKUlvE0_clEvEUlffE_St5arrayIPcLm3EEEEviT0_T1_,comdat
	.globl	_ZN2at6native29vectorized_elementwise_kernelILi16EZZZNS0_33launch_standard_gamma_grad_kernelERNS_18TensorIteratorBaseEENKUlvE_clEvENKUlvE0_clEvEUlffE_St5arrayIPcLm3EEEEviT0_T1_ ; -- Begin function _ZN2at6native29vectorized_elementwise_kernelILi16EZZZNS0_33launch_standard_gamma_grad_kernelERNS_18TensorIteratorBaseEENKUlvE_clEvENKUlvE0_clEvEUlffE_St5arrayIPcLm3EEEEviT0_T1_
	.p2align	8
	.type	_ZN2at6native29vectorized_elementwise_kernelILi16EZZZNS0_33launch_standard_gamma_grad_kernelERNS_18TensorIteratorBaseEENKUlvE_clEvENKUlvE0_clEvEUlffE_St5arrayIPcLm3EEEEviT0_T1_,@function
_ZN2at6native29vectorized_elementwise_kernelILi16EZZZNS0_33launch_standard_gamma_grad_kernelERNS_18TensorIteratorBaseEENKUlvE_clEvENKUlvE0_clEvEUlffE_St5arrayIPcLm3EEEEviT0_T1_: ; @_ZN2at6native29vectorized_elementwise_kernelILi16EZZZNS0_33launch_standard_gamma_grad_kernelERNS_18TensorIteratorBaseEENKUlvE_clEvENKUlvE0_clEvEUlffE_St5arrayIPcLm3EEEEviT0_T1_
; %bb.0:
	s_add_u32 flat_scratch_lo, s6, s9
	s_addc_u32 flat_scratch_hi, s7, 0
	s_load_dword s6, s[4:5], 0x0
	s_load_dwordx4 s[24:27], s[4:5], 0x8
	s_load_dwordx2 s[34:35], s[4:5], 0x18
	s_add_u32 s0, s0, s9
	s_addc_u32 s1, s1, 0
	s_lshl_b32 s28, s8, 10
	s_waitcnt lgkmcnt(0)
	s_sub_i32 s33, s6, s28
	v_mov_b32_e32 v34, v0
	s_cmpk_gt_i32 s33, 0x3ff
	s_mov_b64 s[4:5], -1
	s_mov_b32 s32, 0
	s_cbranch_scc0 .LBB163_2
; %bb.1:
	s_ashr_i32 s29, s28, 31
	s_lshl_b64 s[22:23], s[28:29], 2
	s_add_u32 s4, s26, s22
	s_addc_u32 s5, s27, s23
	v_lshlrev_b32_e32 v35, 4, v34
	s_add_u32 s6, s34, s22
	s_addc_u32 s7, s35, s23
	global_load_dwordx4 v[30:33], v35, s[4:5]
	global_load_dwordx4 v[36:39], v35, s[6:7]
	s_getpc_b64 s[36:37]
	s_add_u32 s36, s36, _ZZZZN2at6native33launch_standard_gamma_grad_kernelERNS_18TensorIteratorBaseEENKUlvE_clEvENKUlvE0_clEvENKUlffE_clEff@rel32@lo+4
	s_addc_u32 s37, s37, _ZZZZN2at6native33launch_standard_gamma_grad_kernelERNS_18TensorIteratorBaseEENKUlvE_clEvENKUlvE0_clEvENKUlffE_clEff@rel32@hi+12
	s_waitcnt vmcnt(1)
	v_mov_b32_e32 v0, v30
	s_waitcnt vmcnt(0)
	v_mov_b32_e32 v1, v36
	s_swappc_b64 s[30:31], s[36:37]
	v_mov_b32_e32 v30, v0
	v_mov_b32_e32 v0, v31
	v_mov_b32_e32 v1, v37
	s_swappc_b64 s[30:31], s[36:37]
	v_mov_b32_e32 v31, v0
	v_mov_b32_e32 v0, v32
	;; [unrolled: 4-line block ×3, first 2 shown]
	v_mov_b32_e32 v1, v39
	s_swappc_b64 s[30:31], s[36:37]
	s_add_u32 s4, s24, s22
	v_mov_b32_e32 v33, v0
	s_addc_u32 s5, s25, s23
	global_store_dwordx4 v35, v[30:33], s[4:5]
	s_mov_b64 s[4:5], 0
.LBB163_2:
	s_andn2_b64 vcc, exec, s[4:5]
	s_cbranch_vccnz .LBB163_23
; %bb.3:
	v_cmp_gt_i32_e64 s[22:23], s33, v34
	v_mov_b32_e32 v35, 0
	v_or_b32_e32 v42, s28, v34
	v_mov_b32_e32 v0, 0
	v_mov_b32_e32 v1, 0
	v_mov_b32_e32 v2, v34
	s_and_saveexec_b64 s[4:5], s[22:23]
	s_cbranch_execz .LBB163_5
; %bb.4:
	v_mov_b32_e32 v43, 0
	v_lshlrev_b64 v[0:1], 2, v[42:43]
	v_mov_b32_e32 v3, s35
	v_add_co_u32_e32 v2, vcc, s34, v0
	v_addc_co_u32_e32 v3, vcc, v3, v1, vcc
	v_mov_b32_e32 v5, s27
	v_add_co_u32_e32 v4, vcc, s26, v0
	v_addc_co_u32_e32 v5, vcc, v5, v1, vcc
	global_load_dword v0, v[4:5], off
	global_load_dword v1, v[2:3], off
	v_or_b32_e32 v2, 0x100, v34
.LBB163_5:
	s_or_b64 exec, exec, s[4:5]
	v_cmp_gt_i32_e32 vcc, s33, v2
	v_mov_b32_e32 v37, 0
	s_and_saveexec_b64 s[4:5], vcc
	s_cbranch_execz .LBB163_7
; %bb.6:
	v_add_u32_e32 v4, s28, v2
	v_mov_b32_e32 v5, 0
	v_lshlrev_b64 v[4:5], 2, v[4:5]
	v_mov_b32_e32 v3, s35
	v_add_co_u32_e32 v6, vcc, s34, v4
	v_addc_co_u32_e32 v7, vcc, v3, v5, vcc
	v_mov_b32_e32 v3, s27
	v_add_co_u32_e32 v4, vcc, s26, v4
	v_addc_co_u32_e32 v5, vcc, v3, v5, vcc
	global_load_dword v35, v[4:5], off
	global_load_dword v37, v[6:7], off
	v_add_u32_e32 v2, 0x100, v2
.LBB163_7:
	s_or_b64 exec, exec, s[4:5]
	v_cmp_gt_i32_e32 vcc, s33, v2
	v_mov_b32_e32 v36, 0
	v_mov_b32_e32 v38, 0
	v_mov_b32_e32 v39, 0
	s_and_saveexec_b64 s[4:5], vcc
	s_cbranch_execz .LBB163_9
; %bb.8:
	v_add_u32_e32 v4, s28, v2
	v_mov_b32_e32 v5, 0
	v_lshlrev_b64 v[4:5], 2, v[4:5]
	v_mov_b32_e32 v3, s35
	v_add_co_u32_e32 v6, vcc, s34, v4
	v_addc_co_u32_e32 v7, vcc, v3, v5, vcc
	v_mov_b32_e32 v3, s27
	v_add_co_u32_e32 v4, vcc, s26, v4
	v_addc_co_u32_e32 v5, vcc, v3, v5, vcc
	global_load_dword v38, v[4:5], off
	global_load_dword v39, v[6:7], off
	v_add_u32_e32 v2, 0x100, v2
.LBB163_9:
	s_or_b64 exec, exec, s[4:5]
	v_cmp_gt_i32_e32 vcc, s33, v2
	v_mov_b32_e32 v40, 0
	s_and_saveexec_b64 s[4:5], vcc
	s_cbranch_execz .LBB163_11
; %bb.10:
	v_add_u32_e32 v2, s28, v2
	v_mov_b32_e32 v3, 0
	v_lshlrev_b64 v[2:3], 2, v[2:3]
	v_mov_b32_e32 v5, s35
	v_add_co_u32_e32 v4, vcc, s34, v2
	v_addc_co_u32_e32 v5, vcc, v5, v3, vcc
	v_mov_b32_e32 v6, s27
	v_add_co_u32_e32 v2, vcc, s26, v2
	v_addc_co_u32_e32 v3, vcc, v6, v3, vcc
	global_load_dword v36, v[2:3], off
	global_load_dword v40, v[4:5], off
.LBB163_11:
	s_or_b64 exec, exec, s[4:5]
                                        ; implicit-def: $vgpr30_vgpr31_vgpr32_vgpr33
	s_and_saveexec_b64 s[26:27], s[22:23]
	s_cbranch_execz .LBB163_13
; %bb.12:
	s_getpc_b64 s[4:5]
	s_add_u32 s4, s4, _ZZZZN2at6native33launch_standard_gamma_grad_kernelERNS_18TensorIteratorBaseEENKUlvE_clEvENKUlvE0_clEvENKUlffE_clEff@rel32@lo+4
	s_addc_u32 s5, s5, _ZZZZN2at6native33launch_standard_gamma_grad_kernelERNS_18TensorIteratorBaseEENKUlvE_clEvENKUlvE0_clEvENKUlffE_clEff@rel32@hi+12
	s_swappc_b64 s[30:31], s[4:5]
	v_mov_b32_e32 v30, v0
.LBB163_13:
	s_or_b64 exec, exec, s[26:27]
	v_or_b32_e32 v41, 0x100, v34
	v_cmp_gt_i32_e32 vcc, s33, v41
	s_and_saveexec_b64 s[26:27], vcc
	s_cbranch_execz .LBB163_15
; %bb.14:
	s_waitcnt vmcnt(1)
	v_mov_b32_e32 v0, v35
	s_waitcnt vmcnt(0)
	v_mov_b32_e32 v1, v37
	s_getpc_b64 s[4:5]
	s_add_u32 s4, s4, _ZZZZN2at6native33launch_standard_gamma_grad_kernelERNS_18TensorIteratorBaseEENKUlvE_clEvENKUlvE0_clEvENKUlffE_clEff@rel32@lo+4
	s_addc_u32 s5, s5, _ZZZZN2at6native33launch_standard_gamma_grad_kernelERNS_18TensorIteratorBaseEENKUlvE_clEvENKUlvE0_clEvENKUlffE_clEff@rel32@hi+12
	s_swappc_b64 s[30:31], s[4:5]
	v_mov_b32_e32 v31, v0
.LBB163_15:
	s_or_b64 exec, exec, s[26:27]
	s_waitcnt vmcnt(1)
	v_or_b32_e32 v0, 0x200, v34
	v_cmp_gt_i32_e32 vcc, s33, v0
	s_and_saveexec_b64 s[26:27], vcc
	s_cbranch_execz .LBB163_17
; %bb.16:
	v_mov_b32_e32 v0, v38
	s_waitcnt vmcnt(0)
	v_mov_b32_e32 v1, v39
	s_getpc_b64 s[4:5]
	s_add_u32 s4, s4, _ZZZZN2at6native33launch_standard_gamma_grad_kernelERNS_18TensorIteratorBaseEENKUlvE_clEvENKUlvE0_clEvENKUlffE_clEff@rel32@lo+4
	s_addc_u32 s5, s5, _ZZZZN2at6native33launch_standard_gamma_grad_kernelERNS_18TensorIteratorBaseEENKUlvE_clEvENKUlvE0_clEvENKUlffE_clEff@rel32@hi+12
	s_swappc_b64 s[30:31], s[4:5]
	v_mov_b32_e32 v32, v0
.LBB163_17:
	s_or_b64 exec, exec, s[26:27]
	v_or_b32_e32 v0, 0x300, v34
	v_cmp_gt_i32_e32 vcc, s33, v0
	s_and_saveexec_b64 s[26:27], vcc
	s_cbranch_execnz .LBB163_24
; %bb.18:
	s_or_b64 exec, exec, s[26:27]
	s_and_saveexec_b64 s[4:5], s[22:23]
	s_xor_b64 s[4:5], exec, s[4:5]
	s_cbranch_execnz .LBB163_25
.LBB163_19:
	s_or_b64 exec, exec, s[4:5]
	v_cmp_gt_i32_e32 vcc, s33, v34
	s_and_saveexec_b64 s[4:5], vcc
	s_cbranch_execnz .LBB163_26
.LBB163_20:
	s_or_b64 exec, exec, s[4:5]
	v_cmp_gt_i32_e32 vcc, s33, v34
	s_and_saveexec_b64 s[4:5], vcc
	s_cbranch_execnz .LBB163_27
.LBB163_21:
	s_or_b64 exec, exec, s[4:5]
	v_cmp_gt_i32_e32 vcc, s33, v34
	s_and_saveexec_b64 s[4:5], vcc
	s_cbranch_execz .LBB163_23
.LBB163_22:
	v_add_u32_e32 v0, s28, v34
	s_waitcnt vmcnt(0)
	v_mov_b32_e32 v1, 0
	v_lshlrev_b64 v[0:1], 2, v[0:1]
	v_mov_b32_e32 v2, s25
	v_add_co_u32_e32 v0, vcc, s24, v0
	v_addc_co_u32_e32 v1, vcc, v2, v1, vcc
	global_store_dword v[0:1], v33, off
.LBB163_23:
	s_endpgm
.LBB163_24:
	v_mov_b32_e32 v0, v36
	s_waitcnt vmcnt(0)
	v_mov_b32_e32 v1, v40
	s_getpc_b64 s[4:5]
	s_add_u32 s4, s4, _ZZZZN2at6native33launch_standard_gamma_grad_kernelERNS_18TensorIteratorBaseEENKUlvE_clEvENKUlvE0_clEvENKUlffE_clEff@rel32@lo+4
	s_addc_u32 s5, s5, _ZZZZN2at6native33launch_standard_gamma_grad_kernelERNS_18TensorIteratorBaseEENKUlvE_clEvENKUlvE0_clEvENKUlffE_clEff@rel32@hi+12
	s_swappc_b64 s[30:31], s[4:5]
	v_mov_b32_e32 v33, v0
	s_or_b64 exec, exec, s[26:27]
	s_and_saveexec_b64 s[4:5], s[22:23]
	s_xor_b64 s[4:5], exec, s[4:5]
	s_cbranch_execz .LBB163_19
.LBB163_25:
	v_mov_b32_e32 v43, 0
	s_waitcnt vmcnt(0)
	v_lshlrev_b64 v[0:1], 2, v[42:43]
	v_mov_b32_e32 v2, s25
	v_add_co_u32_e32 v0, vcc, s24, v0
	v_addc_co_u32_e32 v1, vcc, v2, v1, vcc
	v_mov_b32_e32 v34, v41
	global_store_dword v[0:1], v30, off
	s_or_b64 exec, exec, s[4:5]
	v_cmp_gt_i32_e32 vcc, s33, v34
	s_and_saveexec_b64 s[4:5], vcc
	s_cbranch_execz .LBB163_20
.LBB163_26:
	v_add_u32_e32 v0, s28, v34
	s_waitcnt vmcnt(0)
	v_mov_b32_e32 v1, 0
	v_lshlrev_b64 v[0:1], 2, v[0:1]
	v_mov_b32_e32 v2, s25
	v_add_co_u32_e32 v0, vcc, s24, v0
	v_addc_co_u32_e32 v1, vcc, v2, v1, vcc
	v_add_u32_e32 v34, 0x100, v34
	global_store_dword v[0:1], v31, off
	s_or_b64 exec, exec, s[4:5]
	v_cmp_gt_i32_e32 vcc, s33, v34
	s_and_saveexec_b64 s[4:5], vcc
	s_cbranch_execz .LBB163_21
.LBB163_27:
	v_add_u32_e32 v0, s28, v34
	s_waitcnt vmcnt(0)
	v_mov_b32_e32 v1, 0
	v_lshlrev_b64 v[0:1], 2, v[0:1]
	v_mov_b32_e32 v2, s25
	v_add_co_u32_e32 v0, vcc, s24, v0
	v_addc_co_u32_e32 v1, vcc, v2, v1, vcc
	v_add_u32_e32 v34, 0x100, v34
	global_store_dword v[0:1], v32, off
	s_or_b64 exec, exec, s[4:5]
	v_cmp_gt_i32_e32 vcc, s33, v34
	s_and_saveexec_b64 s[4:5], vcc
	s_cbranch_execnz .LBB163_22
	s_branch .LBB163_23
	.section	.rodata,"a",@progbits
	.p2align	6, 0x0
	.amdhsa_kernel _ZN2at6native29vectorized_elementwise_kernelILi16EZZZNS0_33launch_standard_gamma_grad_kernelERNS_18TensorIteratorBaseEENKUlvE_clEvENKUlvE0_clEvEUlffE_St5arrayIPcLm3EEEEviT0_T1_
		.amdhsa_group_segment_fixed_size 0
		.amdhsa_private_segment_fixed_size 0
		.amdhsa_kernarg_size 32
		.amdhsa_user_sgpr_count 8
		.amdhsa_user_sgpr_private_segment_buffer 1
		.amdhsa_user_sgpr_dispatch_ptr 0
		.amdhsa_user_sgpr_queue_ptr 0
		.amdhsa_user_sgpr_kernarg_segment_ptr 1
		.amdhsa_user_sgpr_dispatch_id 0
		.amdhsa_user_sgpr_flat_scratch_init 1
		.amdhsa_user_sgpr_kernarg_preload_length 0
		.amdhsa_user_sgpr_kernarg_preload_offset 0
		.amdhsa_user_sgpr_private_segment_size 0
		.amdhsa_uses_dynamic_stack 0
		.amdhsa_system_sgpr_private_segment_wavefront_offset 0
		.amdhsa_system_sgpr_workgroup_id_x 1
		.amdhsa_system_sgpr_workgroup_id_y 0
		.amdhsa_system_sgpr_workgroup_id_z 0
		.amdhsa_system_sgpr_workgroup_info 0
		.amdhsa_system_vgpr_workitem_id 0
		.amdhsa_next_free_vgpr 44
		.amdhsa_next_free_sgpr 38
		.amdhsa_accum_offset 44
		.amdhsa_reserve_vcc 1
		.amdhsa_reserve_flat_scratch 1
		.amdhsa_float_round_mode_32 0
		.amdhsa_float_round_mode_16_64 0
		.amdhsa_float_denorm_mode_32 3
		.amdhsa_float_denorm_mode_16_64 3
		.amdhsa_dx10_clamp 1
		.amdhsa_ieee_mode 1
		.amdhsa_fp16_overflow 0
		.amdhsa_tg_split 0
		.amdhsa_exception_fp_ieee_invalid_op 0
		.amdhsa_exception_fp_denorm_src 0
		.amdhsa_exception_fp_ieee_div_zero 0
		.amdhsa_exception_fp_ieee_overflow 0
		.amdhsa_exception_fp_ieee_underflow 0
		.amdhsa_exception_fp_ieee_inexact 0
		.amdhsa_exception_int_div_zero 0
	.end_amdhsa_kernel
	.section	.text._ZN2at6native29vectorized_elementwise_kernelILi16EZZZNS0_33launch_standard_gamma_grad_kernelERNS_18TensorIteratorBaseEENKUlvE_clEvENKUlvE0_clEvEUlffE_St5arrayIPcLm3EEEEviT0_T1_,"axG",@progbits,_ZN2at6native29vectorized_elementwise_kernelILi16EZZZNS0_33launch_standard_gamma_grad_kernelERNS_18TensorIteratorBaseEENKUlvE_clEvENKUlvE0_clEvEUlffE_St5arrayIPcLm3EEEEviT0_T1_,comdat
.Lfunc_end163:
	.size	_ZN2at6native29vectorized_elementwise_kernelILi16EZZZNS0_33launch_standard_gamma_grad_kernelERNS_18TensorIteratorBaseEENKUlvE_clEvENKUlvE0_clEvEUlffE_St5arrayIPcLm3EEEEviT0_T1_, .Lfunc_end163-_ZN2at6native29vectorized_elementwise_kernelILi16EZZZNS0_33launch_standard_gamma_grad_kernelERNS_18TensorIteratorBaseEENKUlvE_clEvENKUlvE0_clEvEUlffE_St5arrayIPcLm3EEEEviT0_T1_
                                        ; -- End function
	.section	.AMDGPU.csdata,"",@progbits
; Kernel info:
; codeLenInByte = 1136
; NumSgprs: 44
; NumVgprs: 44
; NumAgprs: 0
; TotalNumVgprs: 44
; ScratchSize: 0
; MemoryBound: 0
; FloatMode: 240
; IeeeMode: 1
; LDSByteSize: 0 bytes/workgroup (compile time only)
; SGPRBlocks: 5
; VGPRBlocks: 5
; NumSGPRsForWavesPerEU: 44
; NumVGPRsForWavesPerEU: 44
; AccumOffset: 44
; Occupancy: 8
; WaveLimiterHint : 0
; COMPUTE_PGM_RSRC2:SCRATCH_EN: 0
; COMPUTE_PGM_RSRC2:USER_SGPR: 8
; COMPUTE_PGM_RSRC2:TRAP_HANDLER: 0
; COMPUTE_PGM_RSRC2:TGID_X_EN: 1
; COMPUTE_PGM_RSRC2:TGID_Y_EN: 0
; COMPUTE_PGM_RSRC2:TGID_Z_EN: 0
; COMPUTE_PGM_RSRC2:TIDIG_COMP_CNT: 0
; COMPUTE_PGM_RSRC3_GFX90A:ACCUM_OFFSET: 10
; COMPUTE_PGM_RSRC3_GFX90A:TG_SPLIT: 0
	.section	.text._ZN2at6native29vectorized_elementwise_kernelILi8EZZZNS0_33launch_standard_gamma_grad_kernelERNS_18TensorIteratorBaseEENKUlvE_clEvENKUlvE0_clEvEUlffE_St5arrayIPcLm3EEEEviT0_T1_,"axG",@progbits,_ZN2at6native29vectorized_elementwise_kernelILi8EZZZNS0_33launch_standard_gamma_grad_kernelERNS_18TensorIteratorBaseEENKUlvE_clEvENKUlvE0_clEvEUlffE_St5arrayIPcLm3EEEEviT0_T1_,comdat
	.globl	_ZN2at6native29vectorized_elementwise_kernelILi8EZZZNS0_33launch_standard_gamma_grad_kernelERNS_18TensorIteratorBaseEENKUlvE_clEvENKUlvE0_clEvEUlffE_St5arrayIPcLm3EEEEviT0_T1_ ; -- Begin function _ZN2at6native29vectorized_elementwise_kernelILi8EZZZNS0_33launch_standard_gamma_grad_kernelERNS_18TensorIteratorBaseEENKUlvE_clEvENKUlvE0_clEvEUlffE_St5arrayIPcLm3EEEEviT0_T1_
	.p2align	8
	.type	_ZN2at6native29vectorized_elementwise_kernelILi8EZZZNS0_33launch_standard_gamma_grad_kernelERNS_18TensorIteratorBaseEENKUlvE_clEvENKUlvE0_clEvEUlffE_St5arrayIPcLm3EEEEviT0_T1_,@function
_ZN2at6native29vectorized_elementwise_kernelILi8EZZZNS0_33launch_standard_gamma_grad_kernelERNS_18TensorIteratorBaseEENKUlvE_clEvENKUlvE0_clEvEUlffE_St5arrayIPcLm3EEEEviT0_T1_: ; @_ZN2at6native29vectorized_elementwise_kernelILi8EZZZNS0_33launch_standard_gamma_grad_kernelERNS_18TensorIteratorBaseEENKUlvE_clEvENKUlvE0_clEvEUlffE_St5arrayIPcLm3EEEEviT0_T1_
; %bb.0:
	s_add_u32 flat_scratch_lo, s6, s9
	s_addc_u32 flat_scratch_hi, s7, 0
	s_load_dword s6, s[4:5], 0x0
	s_load_dwordx4 s[24:27], s[4:5], 0x8
	s_load_dwordx2 s[34:35], s[4:5], 0x18
	s_add_u32 s0, s0, s9
	s_addc_u32 s1, s1, 0
	s_lshl_b32 s28, s8, 10
	s_waitcnt lgkmcnt(0)
	s_sub_i32 s33, s6, s28
	v_mov_b32_e32 v34, v0
	s_cmpk_gt_i32 s33, 0x3ff
	s_mov_b64 s[4:5], -1
	s_mov_b32 s32, 0
	s_cbranch_scc0 .LBB164_2
; %bb.1:
	s_ashr_i32 s29, s28, 31
	s_lshl_b64 s[22:23], s[28:29], 2
	s_add_u32 s4, s26, s22
	s_addc_u32 s5, s27, s23
	v_lshlrev_b32_e32 v35, 4, v34
	s_add_u32 s6, s34, s22
	s_addc_u32 s7, s35, s23
	global_load_dwordx4 v[30:33], v35, s[4:5]
	global_load_dwordx4 v[36:39], v35, s[6:7]
	s_getpc_b64 s[36:37]
	s_add_u32 s36, s36, _ZZZZN2at6native33launch_standard_gamma_grad_kernelERNS_18TensorIteratorBaseEENKUlvE_clEvENKUlvE0_clEvENKUlffE_clEff@rel32@lo+4
	s_addc_u32 s37, s37, _ZZZZN2at6native33launch_standard_gamma_grad_kernelERNS_18TensorIteratorBaseEENKUlvE_clEvENKUlvE0_clEvENKUlffE_clEff@rel32@hi+12
	s_waitcnt vmcnt(1)
	v_mov_b32_e32 v0, v30
	s_waitcnt vmcnt(0)
	v_mov_b32_e32 v1, v36
	s_swappc_b64 s[30:31], s[36:37]
	v_mov_b32_e32 v30, v0
	v_mov_b32_e32 v0, v31
	v_mov_b32_e32 v1, v37
	s_swappc_b64 s[30:31], s[36:37]
	v_mov_b32_e32 v31, v0
	v_mov_b32_e32 v0, v32
	;; [unrolled: 4-line block ×3, first 2 shown]
	v_mov_b32_e32 v1, v39
	s_swappc_b64 s[30:31], s[36:37]
	s_add_u32 s4, s24, s22
	v_mov_b32_e32 v33, v0
	s_addc_u32 s5, s25, s23
	global_store_dwordx4 v35, v[30:33], s[4:5]
	s_mov_b64 s[4:5], 0
.LBB164_2:
	s_andn2_b64 vcc, exec, s[4:5]
	s_cbranch_vccnz .LBB164_23
; %bb.3:
	v_cmp_gt_i32_e64 s[22:23], s33, v34
	v_mov_b32_e32 v35, 0
	v_or_b32_e32 v42, s28, v34
	v_mov_b32_e32 v0, 0
	v_mov_b32_e32 v1, 0
	;; [unrolled: 1-line block ×3, first 2 shown]
	s_and_saveexec_b64 s[4:5], s[22:23]
	s_cbranch_execz .LBB164_5
; %bb.4:
	v_mov_b32_e32 v43, 0
	v_lshlrev_b64 v[0:1], 2, v[42:43]
	v_mov_b32_e32 v3, s35
	v_add_co_u32_e32 v2, vcc, s34, v0
	v_addc_co_u32_e32 v3, vcc, v3, v1, vcc
	v_mov_b32_e32 v5, s27
	v_add_co_u32_e32 v4, vcc, s26, v0
	v_addc_co_u32_e32 v5, vcc, v5, v1, vcc
	global_load_dword v0, v[4:5], off
	global_load_dword v1, v[2:3], off
	v_or_b32_e32 v2, 0x100, v34
.LBB164_5:
	s_or_b64 exec, exec, s[4:5]
	v_cmp_gt_i32_e32 vcc, s33, v2
	v_mov_b32_e32 v37, 0
	s_and_saveexec_b64 s[4:5], vcc
	s_cbranch_execz .LBB164_7
; %bb.6:
	v_add_u32_e32 v4, s28, v2
	v_mov_b32_e32 v5, 0
	v_lshlrev_b64 v[4:5], 2, v[4:5]
	v_mov_b32_e32 v3, s35
	v_add_co_u32_e32 v6, vcc, s34, v4
	v_addc_co_u32_e32 v7, vcc, v3, v5, vcc
	v_mov_b32_e32 v3, s27
	v_add_co_u32_e32 v4, vcc, s26, v4
	v_addc_co_u32_e32 v5, vcc, v3, v5, vcc
	global_load_dword v35, v[4:5], off
	global_load_dword v37, v[6:7], off
	v_add_u32_e32 v2, 0x100, v2
.LBB164_7:
	s_or_b64 exec, exec, s[4:5]
	v_cmp_gt_i32_e32 vcc, s33, v2
	v_mov_b32_e32 v36, 0
	v_mov_b32_e32 v38, 0
	;; [unrolled: 1-line block ×3, first 2 shown]
	s_and_saveexec_b64 s[4:5], vcc
	s_cbranch_execz .LBB164_9
; %bb.8:
	v_add_u32_e32 v4, s28, v2
	v_mov_b32_e32 v5, 0
	v_lshlrev_b64 v[4:5], 2, v[4:5]
	v_mov_b32_e32 v3, s35
	v_add_co_u32_e32 v6, vcc, s34, v4
	v_addc_co_u32_e32 v7, vcc, v3, v5, vcc
	v_mov_b32_e32 v3, s27
	v_add_co_u32_e32 v4, vcc, s26, v4
	v_addc_co_u32_e32 v5, vcc, v3, v5, vcc
	global_load_dword v38, v[4:5], off
	global_load_dword v39, v[6:7], off
	v_add_u32_e32 v2, 0x100, v2
.LBB164_9:
	s_or_b64 exec, exec, s[4:5]
	v_cmp_gt_i32_e32 vcc, s33, v2
	v_mov_b32_e32 v40, 0
	s_and_saveexec_b64 s[4:5], vcc
	s_cbranch_execz .LBB164_11
; %bb.10:
	v_add_u32_e32 v2, s28, v2
	v_mov_b32_e32 v3, 0
	v_lshlrev_b64 v[2:3], 2, v[2:3]
	v_mov_b32_e32 v5, s35
	v_add_co_u32_e32 v4, vcc, s34, v2
	v_addc_co_u32_e32 v5, vcc, v5, v3, vcc
	v_mov_b32_e32 v6, s27
	v_add_co_u32_e32 v2, vcc, s26, v2
	v_addc_co_u32_e32 v3, vcc, v6, v3, vcc
	global_load_dword v36, v[2:3], off
	global_load_dword v40, v[4:5], off
.LBB164_11:
	s_or_b64 exec, exec, s[4:5]
                                        ; implicit-def: $vgpr30_vgpr31_vgpr32_vgpr33
	s_and_saveexec_b64 s[26:27], s[22:23]
	s_cbranch_execz .LBB164_13
; %bb.12:
	s_getpc_b64 s[4:5]
	s_add_u32 s4, s4, _ZZZZN2at6native33launch_standard_gamma_grad_kernelERNS_18TensorIteratorBaseEENKUlvE_clEvENKUlvE0_clEvENKUlffE_clEff@rel32@lo+4
	s_addc_u32 s5, s5, _ZZZZN2at6native33launch_standard_gamma_grad_kernelERNS_18TensorIteratorBaseEENKUlvE_clEvENKUlvE0_clEvENKUlffE_clEff@rel32@hi+12
	s_swappc_b64 s[30:31], s[4:5]
	v_mov_b32_e32 v30, v0
.LBB164_13:
	s_or_b64 exec, exec, s[26:27]
	v_or_b32_e32 v41, 0x100, v34
	v_cmp_gt_i32_e32 vcc, s33, v41
	s_and_saveexec_b64 s[26:27], vcc
	s_cbranch_execz .LBB164_15
; %bb.14:
	s_waitcnt vmcnt(1)
	v_mov_b32_e32 v0, v35
	s_waitcnt vmcnt(0)
	v_mov_b32_e32 v1, v37
	s_getpc_b64 s[4:5]
	s_add_u32 s4, s4, _ZZZZN2at6native33launch_standard_gamma_grad_kernelERNS_18TensorIteratorBaseEENKUlvE_clEvENKUlvE0_clEvENKUlffE_clEff@rel32@lo+4
	s_addc_u32 s5, s5, _ZZZZN2at6native33launch_standard_gamma_grad_kernelERNS_18TensorIteratorBaseEENKUlvE_clEvENKUlvE0_clEvENKUlffE_clEff@rel32@hi+12
	s_swappc_b64 s[30:31], s[4:5]
	v_mov_b32_e32 v31, v0
.LBB164_15:
	s_or_b64 exec, exec, s[26:27]
	s_waitcnt vmcnt(1)
	v_or_b32_e32 v0, 0x200, v34
	v_cmp_gt_i32_e32 vcc, s33, v0
	s_and_saveexec_b64 s[26:27], vcc
	s_cbranch_execz .LBB164_17
; %bb.16:
	v_mov_b32_e32 v0, v38
	s_waitcnt vmcnt(0)
	v_mov_b32_e32 v1, v39
	s_getpc_b64 s[4:5]
	s_add_u32 s4, s4, _ZZZZN2at6native33launch_standard_gamma_grad_kernelERNS_18TensorIteratorBaseEENKUlvE_clEvENKUlvE0_clEvENKUlffE_clEff@rel32@lo+4
	s_addc_u32 s5, s5, _ZZZZN2at6native33launch_standard_gamma_grad_kernelERNS_18TensorIteratorBaseEENKUlvE_clEvENKUlvE0_clEvENKUlffE_clEff@rel32@hi+12
	s_swappc_b64 s[30:31], s[4:5]
	v_mov_b32_e32 v32, v0
.LBB164_17:
	s_or_b64 exec, exec, s[26:27]
	v_or_b32_e32 v0, 0x300, v34
	v_cmp_gt_i32_e32 vcc, s33, v0
	s_and_saveexec_b64 s[26:27], vcc
	s_cbranch_execnz .LBB164_24
; %bb.18:
	s_or_b64 exec, exec, s[26:27]
	s_and_saveexec_b64 s[4:5], s[22:23]
	s_xor_b64 s[4:5], exec, s[4:5]
	s_cbranch_execnz .LBB164_25
.LBB164_19:
	s_or_b64 exec, exec, s[4:5]
	v_cmp_gt_i32_e32 vcc, s33, v34
	s_and_saveexec_b64 s[4:5], vcc
	s_cbranch_execnz .LBB164_26
.LBB164_20:
	s_or_b64 exec, exec, s[4:5]
	v_cmp_gt_i32_e32 vcc, s33, v34
	s_and_saveexec_b64 s[4:5], vcc
	s_cbranch_execnz .LBB164_27
.LBB164_21:
	s_or_b64 exec, exec, s[4:5]
	v_cmp_gt_i32_e32 vcc, s33, v34
	s_and_saveexec_b64 s[4:5], vcc
	s_cbranch_execz .LBB164_23
.LBB164_22:
	v_add_u32_e32 v0, s28, v34
	s_waitcnt vmcnt(0)
	v_mov_b32_e32 v1, 0
	v_lshlrev_b64 v[0:1], 2, v[0:1]
	v_mov_b32_e32 v2, s25
	v_add_co_u32_e32 v0, vcc, s24, v0
	v_addc_co_u32_e32 v1, vcc, v2, v1, vcc
	global_store_dword v[0:1], v33, off
.LBB164_23:
	s_endpgm
.LBB164_24:
	v_mov_b32_e32 v0, v36
	s_waitcnt vmcnt(0)
	v_mov_b32_e32 v1, v40
	s_getpc_b64 s[4:5]
	s_add_u32 s4, s4, _ZZZZN2at6native33launch_standard_gamma_grad_kernelERNS_18TensorIteratorBaseEENKUlvE_clEvENKUlvE0_clEvENKUlffE_clEff@rel32@lo+4
	s_addc_u32 s5, s5, _ZZZZN2at6native33launch_standard_gamma_grad_kernelERNS_18TensorIteratorBaseEENKUlvE_clEvENKUlvE0_clEvENKUlffE_clEff@rel32@hi+12
	s_swappc_b64 s[30:31], s[4:5]
	v_mov_b32_e32 v33, v0
	s_or_b64 exec, exec, s[26:27]
	s_and_saveexec_b64 s[4:5], s[22:23]
	s_xor_b64 s[4:5], exec, s[4:5]
	s_cbranch_execz .LBB164_19
.LBB164_25:
	v_mov_b32_e32 v43, 0
	s_waitcnt vmcnt(0)
	v_lshlrev_b64 v[0:1], 2, v[42:43]
	v_mov_b32_e32 v2, s25
	v_add_co_u32_e32 v0, vcc, s24, v0
	v_addc_co_u32_e32 v1, vcc, v2, v1, vcc
	v_mov_b32_e32 v34, v41
	global_store_dword v[0:1], v30, off
	s_or_b64 exec, exec, s[4:5]
	v_cmp_gt_i32_e32 vcc, s33, v34
	s_and_saveexec_b64 s[4:5], vcc
	s_cbranch_execz .LBB164_20
.LBB164_26:
	v_add_u32_e32 v0, s28, v34
	s_waitcnt vmcnt(0)
	v_mov_b32_e32 v1, 0
	v_lshlrev_b64 v[0:1], 2, v[0:1]
	v_mov_b32_e32 v2, s25
	v_add_co_u32_e32 v0, vcc, s24, v0
	v_addc_co_u32_e32 v1, vcc, v2, v1, vcc
	v_add_u32_e32 v34, 0x100, v34
	global_store_dword v[0:1], v31, off
	s_or_b64 exec, exec, s[4:5]
	v_cmp_gt_i32_e32 vcc, s33, v34
	s_and_saveexec_b64 s[4:5], vcc
	s_cbranch_execz .LBB164_21
.LBB164_27:
	v_add_u32_e32 v0, s28, v34
	s_waitcnt vmcnt(0)
	v_mov_b32_e32 v1, 0
	v_lshlrev_b64 v[0:1], 2, v[0:1]
	v_mov_b32_e32 v2, s25
	v_add_co_u32_e32 v0, vcc, s24, v0
	v_addc_co_u32_e32 v1, vcc, v2, v1, vcc
	v_add_u32_e32 v34, 0x100, v34
	global_store_dword v[0:1], v32, off
	s_or_b64 exec, exec, s[4:5]
	v_cmp_gt_i32_e32 vcc, s33, v34
	s_and_saveexec_b64 s[4:5], vcc
	s_cbranch_execnz .LBB164_22
	s_branch .LBB164_23
	.section	.rodata,"a",@progbits
	.p2align	6, 0x0
	.amdhsa_kernel _ZN2at6native29vectorized_elementwise_kernelILi8EZZZNS0_33launch_standard_gamma_grad_kernelERNS_18TensorIteratorBaseEENKUlvE_clEvENKUlvE0_clEvEUlffE_St5arrayIPcLm3EEEEviT0_T1_
		.amdhsa_group_segment_fixed_size 0
		.amdhsa_private_segment_fixed_size 0
		.amdhsa_kernarg_size 32
		.amdhsa_user_sgpr_count 8
		.amdhsa_user_sgpr_private_segment_buffer 1
		.amdhsa_user_sgpr_dispatch_ptr 0
		.amdhsa_user_sgpr_queue_ptr 0
		.amdhsa_user_sgpr_kernarg_segment_ptr 1
		.amdhsa_user_sgpr_dispatch_id 0
		.amdhsa_user_sgpr_flat_scratch_init 1
		.amdhsa_user_sgpr_kernarg_preload_length 0
		.amdhsa_user_sgpr_kernarg_preload_offset 0
		.amdhsa_user_sgpr_private_segment_size 0
		.amdhsa_uses_dynamic_stack 0
		.amdhsa_system_sgpr_private_segment_wavefront_offset 0
		.amdhsa_system_sgpr_workgroup_id_x 1
		.amdhsa_system_sgpr_workgroup_id_y 0
		.amdhsa_system_sgpr_workgroup_id_z 0
		.amdhsa_system_sgpr_workgroup_info 0
		.amdhsa_system_vgpr_workitem_id 0
		.amdhsa_next_free_vgpr 44
		.amdhsa_next_free_sgpr 38
		.amdhsa_accum_offset 44
		.amdhsa_reserve_vcc 1
		.amdhsa_reserve_flat_scratch 1
		.amdhsa_float_round_mode_32 0
		.amdhsa_float_round_mode_16_64 0
		.amdhsa_float_denorm_mode_32 3
		.amdhsa_float_denorm_mode_16_64 3
		.amdhsa_dx10_clamp 1
		.amdhsa_ieee_mode 1
		.amdhsa_fp16_overflow 0
		.amdhsa_tg_split 0
		.amdhsa_exception_fp_ieee_invalid_op 0
		.amdhsa_exception_fp_denorm_src 0
		.amdhsa_exception_fp_ieee_div_zero 0
		.amdhsa_exception_fp_ieee_overflow 0
		.amdhsa_exception_fp_ieee_underflow 0
		.amdhsa_exception_fp_ieee_inexact 0
		.amdhsa_exception_int_div_zero 0
	.end_amdhsa_kernel
	.section	.text._ZN2at6native29vectorized_elementwise_kernelILi8EZZZNS0_33launch_standard_gamma_grad_kernelERNS_18TensorIteratorBaseEENKUlvE_clEvENKUlvE0_clEvEUlffE_St5arrayIPcLm3EEEEviT0_T1_,"axG",@progbits,_ZN2at6native29vectorized_elementwise_kernelILi8EZZZNS0_33launch_standard_gamma_grad_kernelERNS_18TensorIteratorBaseEENKUlvE_clEvENKUlvE0_clEvEUlffE_St5arrayIPcLm3EEEEviT0_T1_,comdat
.Lfunc_end164:
	.size	_ZN2at6native29vectorized_elementwise_kernelILi8EZZZNS0_33launch_standard_gamma_grad_kernelERNS_18TensorIteratorBaseEENKUlvE_clEvENKUlvE0_clEvEUlffE_St5arrayIPcLm3EEEEviT0_T1_, .Lfunc_end164-_ZN2at6native29vectorized_elementwise_kernelILi8EZZZNS0_33launch_standard_gamma_grad_kernelERNS_18TensorIteratorBaseEENKUlvE_clEvENKUlvE0_clEvEUlffE_St5arrayIPcLm3EEEEviT0_T1_
                                        ; -- End function
	.section	.AMDGPU.csdata,"",@progbits
; Kernel info:
; codeLenInByte = 1136
; NumSgprs: 44
; NumVgprs: 44
; NumAgprs: 0
; TotalNumVgprs: 44
; ScratchSize: 0
; MemoryBound: 0
; FloatMode: 240
; IeeeMode: 1
; LDSByteSize: 0 bytes/workgroup (compile time only)
; SGPRBlocks: 5
; VGPRBlocks: 5
; NumSGPRsForWavesPerEU: 44
; NumVGPRsForWavesPerEU: 44
; AccumOffset: 44
; Occupancy: 8
; WaveLimiterHint : 0
; COMPUTE_PGM_RSRC2:SCRATCH_EN: 0
; COMPUTE_PGM_RSRC2:USER_SGPR: 8
; COMPUTE_PGM_RSRC2:TRAP_HANDLER: 0
; COMPUTE_PGM_RSRC2:TGID_X_EN: 1
; COMPUTE_PGM_RSRC2:TGID_Y_EN: 0
; COMPUTE_PGM_RSRC2:TGID_Z_EN: 0
; COMPUTE_PGM_RSRC2:TIDIG_COMP_CNT: 0
; COMPUTE_PGM_RSRC3_GFX90A:ACCUM_OFFSET: 10
; COMPUTE_PGM_RSRC3_GFX90A:TG_SPLIT: 0
	.section	.text._ZN2at6native29vectorized_elementwise_kernelILi4EZZZNS0_33launch_standard_gamma_grad_kernelERNS_18TensorIteratorBaseEENKUlvE_clEvENKUlvE0_clEvEUlffE_St5arrayIPcLm3EEEEviT0_T1_,"axG",@progbits,_ZN2at6native29vectorized_elementwise_kernelILi4EZZZNS0_33launch_standard_gamma_grad_kernelERNS_18TensorIteratorBaseEENKUlvE_clEvENKUlvE0_clEvEUlffE_St5arrayIPcLm3EEEEviT0_T1_,comdat
	.globl	_ZN2at6native29vectorized_elementwise_kernelILi4EZZZNS0_33launch_standard_gamma_grad_kernelERNS_18TensorIteratorBaseEENKUlvE_clEvENKUlvE0_clEvEUlffE_St5arrayIPcLm3EEEEviT0_T1_ ; -- Begin function _ZN2at6native29vectorized_elementwise_kernelILi4EZZZNS0_33launch_standard_gamma_grad_kernelERNS_18TensorIteratorBaseEENKUlvE_clEvENKUlvE0_clEvEUlffE_St5arrayIPcLm3EEEEviT0_T1_
	.p2align	8
	.type	_ZN2at6native29vectorized_elementwise_kernelILi4EZZZNS0_33launch_standard_gamma_grad_kernelERNS_18TensorIteratorBaseEENKUlvE_clEvENKUlvE0_clEvEUlffE_St5arrayIPcLm3EEEEviT0_T1_,@function
_ZN2at6native29vectorized_elementwise_kernelILi4EZZZNS0_33launch_standard_gamma_grad_kernelERNS_18TensorIteratorBaseEENKUlvE_clEvENKUlvE0_clEvEUlffE_St5arrayIPcLm3EEEEviT0_T1_: ; @_ZN2at6native29vectorized_elementwise_kernelILi4EZZZNS0_33launch_standard_gamma_grad_kernelERNS_18TensorIteratorBaseEENKUlvE_clEvENKUlvE0_clEvEUlffE_St5arrayIPcLm3EEEEviT0_T1_
; %bb.0:
	s_add_u32 flat_scratch_lo, s6, s9
	s_addc_u32 flat_scratch_hi, s7, 0
	s_load_dword s6, s[4:5], 0x0
	s_load_dwordx4 s[24:27], s[4:5], 0x8
	s_load_dwordx2 s[34:35], s[4:5], 0x18
	s_add_u32 s0, s0, s9
	s_addc_u32 s1, s1, 0
	s_lshl_b32 s28, s8, 10
	s_waitcnt lgkmcnt(0)
	s_sub_i32 s33, s6, s28
	v_mov_b32_e32 v34, v0
	s_cmpk_gt_i32 s33, 0x3ff
	s_mov_b64 s[4:5], -1
	s_mov_b32 s32, 0
	s_cbranch_scc0 .LBB165_2
; %bb.1:
	s_ashr_i32 s29, s28, 31
	s_lshl_b64 s[22:23], s[28:29], 2
	s_add_u32 s4, s26, s22
	s_addc_u32 s5, s27, s23
	v_lshlrev_b32_e32 v35, 4, v34
	s_add_u32 s6, s34, s22
	s_addc_u32 s7, s35, s23
	global_load_dwordx4 v[30:33], v35, s[4:5]
	global_load_dwordx4 v[36:39], v35, s[6:7]
	s_getpc_b64 s[36:37]
	s_add_u32 s36, s36, _ZZZZN2at6native33launch_standard_gamma_grad_kernelERNS_18TensorIteratorBaseEENKUlvE_clEvENKUlvE0_clEvENKUlffE_clEff@rel32@lo+4
	s_addc_u32 s37, s37, _ZZZZN2at6native33launch_standard_gamma_grad_kernelERNS_18TensorIteratorBaseEENKUlvE_clEvENKUlvE0_clEvENKUlffE_clEff@rel32@hi+12
	s_waitcnt vmcnt(1)
	v_mov_b32_e32 v0, v30
	s_waitcnt vmcnt(0)
	v_mov_b32_e32 v1, v36
	s_swappc_b64 s[30:31], s[36:37]
	v_mov_b32_e32 v30, v0
	v_mov_b32_e32 v0, v31
	v_mov_b32_e32 v1, v37
	s_swappc_b64 s[30:31], s[36:37]
	v_mov_b32_e32 v31, v0
	v_mov_b32_e32 v0, v32
	;; [unrolled: 4-line block ×3, first 2 shown]
	v_mov_b32_e32 v1, v39
	s_swappc_b64 s[30:31], s[36:37]
	s_add_u32 s4, s24, s22
	v_mov_b32_e32 v33, v0
	s_addc_u32 s5, s25, s23
	global_store_dwordx4 v35, v[30:33], s[4:5]
	s_mov_b64 s[4:5], 0
.LBB165_2:
	s_andn2_b64 vcc, exec, s[4:5]
	s_cbranch_vccnz .LBB165_23
; %bb.3:
	v_cmp_gt_i32_e64 s[22:23], s33, v34
	v_mov_b32_e32 v35, 0
	v_or_b32_e32 v42, s28, v34
	v_mov_b32_e32 v0, 0
	v_mov_b32_e32 v1, 0
	;; [unrolled: 1-line block ×3, first 2 shown]
	s_and_saveexec_b64 s[4:5], s[22:23]
	s_cbranch_execz .LBB165_5
; %bb.4:
	v_mov_b32_e32 v43, 0
	v_lshlrev_b64 v[0:1], 2, v[42:43]
	v_mov_b32_e32 v3, s35
	v_add_co_u32_e32 v2, vcc, s34, v0
	v_addc_co_u32_e32 v3, vcc, v3, v1, vcc
	v_mov_b32_e32 v5, s27
	v_add_co_u32_e32 v4, vcc, s26, v0
	v_addc_co_u32_e32 v5, vcc, v5, v1, vcc
	global_load_dword v0, v[4:5], off
	global_load_dword v1, v[2:3], off
	v_or_b32_e32 v2, 0x100, v34
.LBB165_5:
	s_or_b64 exec, exec, s[4:5]
	v_cmp_gt_i32_e32 vcc, s33, v2
	v_mov_b32_e32 v37, 0
	s_and_saveexec_b64 s[4:5], vcc
	s_cbranch_execz .LBB165_7
; %bb.6:
	v_add_u32_e32 v4, s28, v2
	v_mov_b32_e32 v5, 0
	v_lshlrev_b64 v[4:5], 2, v[4:5]
	v_mov_b32_e32 v3, s35
	v_add_co_u32_e32 v6, vcc, s34, v4
	v_addc_co_u32_e32 v7, vcc, v3, v5, vcc
	v_mov_b32_e32 v3, s27
	v_add_co_u32_e32 v4, vcc, s26, v4
	v_addc_co_u32_e32 v5, vcc, v3, v5, vcc
	global_load_dword v35, v[4:5], off
	global_load_dword v37, v[6:7], off
	v_add_u32_e32 v2, 0x100, v2
.LBB165_7:
	s_or_b64 exec, exec, s[4:5]
	v_cmp_gt_i32_e32 vcc, s33, v2
	v_mov_b32_e32 v36, 0
	v_mov_b32_e32 v38, 0
	;; [unrolled: 1-line block ×3, first 2 shown]
	s_and_saveexec_b64 s[4:5], vcc
	s_cbranch_execz .LBB165_9
; %bb.8:
	v_add_u32_e32 v4, s28, v2
	v_mov_b32_e32 v5, 0
	v_lshlrev_b64 v[4:5], 2, v[4:5]
	v_mov_b32_e32 v3, s35
	v_add_co_u32_e32 v6, vcc, s34, v4
	v_addc_co_u32_e32 v7, vcc, v3, v5, vcc
	v_mov_b32_e32 v3, s27
	v_add_co_u32_e32 v4, vcc, s26, v4
	v_addc_co_u32_e32 v5, vcc, v3, v5, vcc
	global_load_dword v38, v[4:5], off
	global_load_dword v39, v[6:7], off
	v_add_u32_e32 v2, 0x100, v2
.LBB165_9:
	s_or_b64 exec, exec, s[4:5]
	v_cmp_gt_i32_e32 vcc, s33, v2
	v_mov_b32_e32 v40, 0
	s_and_saveexec_b64 s[4:5], vcc
	s_cbranch_execz .LBB165_11
; %bb.10:
	v_add_u32_e32 v2, s28, v2
	v_mov_b32_e32 v3, 0
	v_lshlrev_b64 v[2:3], 2, v[2:3]
	v_mov_b32_e32 v5, s35
	v_add_co_u32_e32 v4, vcc, s34, v2
	v_addc_co_u32_e32 v5, vcc, v5, v3, vcc
	v_mov_b32_e32 v6, s27
	v_add_co_u32_e32 v2, vcc, s26, v2
	v_addc_co_u32_e32 v3, vcc, v6, v3, vcc
	global_load_dword v36, v[2:3], off
	global_load_dword v40, v[4:5], off
.LBB165_11:
	s_or_b64 exec, exec, s[4:5]
                                        ; implicit-def: $vgpr30_vgpr31_vgpr32_vgpr33
	s_and_saveexec_b64 s[26:27], s[22:23]
	s_cbranch_execz .LBB165_13
; %bb.12:
	s_getpc_b64 s[4:5]
	s_add_u32 s4, s4, _ZZZZN2at6native33launch_standard_gamma_grad_kernelERNS_18TensorIteratorBaseEENKUlvE_clEvENKUlvE0_clEvENKUlffE_clEff@rel32@lo+4
	s_addc_u32 s5, s5, _ZZZZN2at6native33launch_standard_gamma_grad_kernelERNS_18TensorIteratorBaseEENKUlvE_clEvENKUlvE0_clEvENKUlffE_clEff@rel32@hi+12
	s_swappc_b64 s[30:31], s[4:5]
	v_mov_b32_e32 v30, v0
.LBB165_13:
	s_or_b64 exec, exec, s[26:27]
	v_or_b32_e32 v41, 0x100, v34
	v_cmp_gt_i32_e32 vcc, s33, v41
	s_and_saveexec_b64 s[26:27], vcc
	s_cbranch_execz .LBB165_15
; %bb.14:
	s_waitcnt vmcnt(1)
	v_mov_b32_e32 v0, v35
	s_waitcnt vmcnt(0)
	v_mov_b32_e32 v1, v37
	s_getpc_b64 s[4:5]
	s_add_u32 s4, s4, _ZZZZN2at6native33launch_standard_gamma_grad_kernelERNS_18TensorIteratorBaseEENKUlvE_clEvENKUlvE0_clEvENKUlffE_clEff@rel32@lo+4
	s_addc_u32 s5, s5, _ZZZZN2at6native33launch_standard_gamma_grad_kernelERNS_18TensorIteratorBaseEENKUlvE_clEvENKUlvE0_clEvENKUlffE_clEff@rel32@hi+12
	s_swappc_b64 s[30:31], s[4:5]
	v_mov_b32_e32 v31, v0
.LBB165_15:
	s_or_b64 exec, exec, s[26:27]
	s_waitcnt vmcnt(1)
	v_or_b32_e32 v0, 0x200, v34
	v_cmp_gt_i32_e32 vcc, s33, v0
	s_and_saveexec_b64 s[26:27], vcc
	s_cbranch_execz .LBB165_17
; %bb.16:
	v_mov_b32_e32 v0, v38
	s_waitcnt vmcnt(0)
	v_mov_b32_e32 v1, v39
	s_getpc_b64 s[4:5]
	s_add_u32 s4, s4, _ZZZZN2at6native33launch_standard_gamma_grad_kernelERNS_18TensorIteratorBaseEENKUlvE_clEvENKUlvE0_clEvENKUlffE_clEff@rel32@lo+4
	s_addc_u32 s5, s5, _ZZZZN2at6native33launch_standard_gamma_grad_kernelERNS_18TensorIteratorBaseEENKUlvE_clEvENKUlvE0_clEvENKUlffE_clEff@rel32@hi+12
	s_swappc_b64 s[30:31], s[4:5]
	v_mov_b32_e32 v32, v0
.LBB165_17:
	s_or_b64 exec, exec, s[26:27]
	v_or_b32_e32 v0, 0x300, v34
	v_cmp_gt_i32_e32 vcc, s33, v0
	s_and_saveexec_b64 s[26:27], vcc
	s_cbranch_execnz .LBB165_24
; %bb.18:
	s_or_b64 exec, exec, s[26:27]
	s_and_saveexec_b64 s[4:5], s[22:23]
	s_xor_b64 s[4:5], exec, s[4:5]
	s_cbranch_execnz .LBB165_25
.LBB165_19:
	s_or_b64 exec, exec, s[4:5]
	v_cmp_gt_i32_e32 vcc, s33, v34
	s_and_saveexec_b64 s[4:5], vcc
	s_cbranch_execnz .LBB165_26
.LBB165_20:
	s_or_b64 exec, exec, s[4:5]
	v_cmp_gt_i32_e32 vcc, s33, v34
	s_and_saveexec_b64 s[4:5], vcc
	s_cbranch_execnz .LBB165_27
.LBB165_21:
	s_or_b64 exec, exec, s[4:5]
	v_cmp_gt_i32_e32 vcc, s33, v34
	s_and_saveexec_b64 s[4:5], vcc
	s_cbranch_execz .LBB165_23
.LBB165_22:
	v_add_u32_e32 v0, s28, v34
	s_waitcnt vmcnt(0)
	v_mov_b32_e32 v1, 0
	v_lshlrev_b64 v[0:1], 2, v[0:1]
	v_mov_b32_e32 v2, s25
	v_add_co_u32_e32 v0, vcc, s24, v0
	v_addc_co_u32_e32 v1, vcc, v2, v1, vcc
	global_store_dword v[0:1], v33, off
.LBB165_23:
	s_endpgm
.LBB165_24:
	v_mov_b32_e32 v0, v36
	s_waitcnt vmcnt(0)
	v_mov_b32_e32 v1, v40
	s_getpc_b64 s[4:5]
	s_add_u32 s4, s4, _ZZZZN2at6native33launch_standard_gamma_grad_kernelERNS_18TensorIteratorBaseEENKUlvE_clEvENKUlvE0_clEvENKUlffE_clEff@rel32@lo+4
	s_addc_u32 s5, s5, _ZZZZN2at6native33launch_standard_gamma_grad_kernelERNS_18TensorIteratorBaseEENKUlvE_clEvENKUlvE0_clEvENKUlffE_clEff@rel32@hi+12
	s_swappc_b64 s[30:31], s[4:5]
	v_mov_b32_e32 v33, v0
	s_or_b64 exec, exec, s[26:27]
	s_and_saveexec_b64 s[4:5], s[22:23]
	s_xor_b64 s[4:5], exec, s[4:5]
	s_cbranch_execz .LBB165_19
.LBB165_25:
	v_mov_b32_e32 v43, 0
	s_waitcnt vmcnt(0)
	v_lshlrev_b64 v[0:1], 2, v[42:43]
	v_mov_b32_e32 v2, s25
	v_add_co_u32_e32 v0, vcc, s24, v0
	v_addc_co_u32_e32 v1, vcc, v2, v1, vcc
	v_mov_b32_e32 v34, v41
	global_store_dword v[0:1], v30, off
	s_or_b64 exec, exec, s[4:5]
	v_cmp_gt_i32_e32 vcc, s33, v34
	s_and_saveexec_b64 s[4:5], vcc
	s_cbranch_execz .LBB165_20
.LBB165_26:
	v_add_u32_e32 v0, s28, v34
	s_waitcnt vmcnt(0)
	v_mov_b32_e32 v1, 0
	v_lshlrev_b64 v[0:1], 2, v[0:1]
	v_mov_b32_e32 v2, s25
	v_add_co_u32_e32 v0, vcc, s24, v0
	v_addc_co_u32_e32 v1, vcc, v2, v1, vcc
	v_add_u32_e32 v34, 0x100, v34
	global_store_dword v[0:1], v31, off
	s_or_b64 exec, exec, s[4:5]
	v_cmp_gt_i32_e32 vcc, s33, v34
	s_and_saveexec_b64 s[4:5], vcc
	s_cbranch_execz .LBB165_21
.LBB165_27:
	v_add_u32_e32 v0, s28, v34
	s_waitcnt vmcnt(0)
	v_mov_b32_e32 v1, 0
	v_lshlrev_b64 v[0:1], 2, v[0:1]
	v_mov_b32_e32 v2, s25
	v_add_co_u32_e32 v0, vcc, s24, v0
	v_addc_co_u32_e32 v1, vcc, v2, v1, vcc
	v_add_u32_e32 v34, 0x100, v34
	global_store_dword v[0:1], v32, off
	s_or_b64 exec, exec, s[4:5]
	v_cmp_gt_i32_e32 vcc, s33, v34
	s_and_saveexec_b64 s[4:5], vcc
	s_cbranch_execnz .LBB165_22
	s_branch .LBB165_23
	.section	.rodata,"a",@progbits
	.p2align	6, 0x0
	.amdhsa_kernel _ZN2at6native29vectorized_elementwise_kernelILi4EZZZNS0_33launch_standard_gamma_grad_kernelERNS_18TensorIteratorBaseEENKUlvE_clEvENKUlvE0_clEvEUlffE_St5arrayIPcLm3EEEEviT0_T1_
		.amdhsa_group_segment_fixed_size 0
		.amdhsa_private_segment_fixed_size 0
		.amdhsa_kernarg_size 32
		.amdhsa_user_sgpr_count 8
		.amdhsa_user_sgpr_private_segment_buffer 1
		.amdhsa_user_sgpr_dispatch_ptr 0
		.amdhsa_user_sgpr_queue_ptr 0
		.amdhsa_user_sgpr_kernarg_segment_ptr 1
		.amdhsa_user_sgpr_dispatch_id 0
		.amdhsa_user_sgpr_flat_scratch_init 1
		.amdhsa_user_sgpr_kernarg_preload_length 0
		.amdhsa_user_sgpr_kernarg_preload_offset 0
		.amdhsa_user_sgpr_private_segment_size 0
		.amdhsa_uses_dynamic_stack 0
		.amdhsa_system_sgpr_private_segment_wavefront_offset 0
		.amdhsa_system_sgpr_workgroup_id_x 1
		.amdhsa_system_sgpr_workgroup_id_y 0
		.amdhsa_system_sgpr_workgroup_id_z 0
		.amdhsa_system_sgpr_workgroup_info 0
		.amdhsa_system_vgpr_workitem_id 0
		.amdhsa_next_free_vgpr 44
		.amdhsa_next_free_sgpr 38
		.amdhsa_accum_offset 44
		.amdhsa_reserve_vcc 1
		.amdhsa_reserve_flat_scratch 1
		.amdhsa_float_round_mode_32 0
		.amdhsa_float_round_mode_16_64 0
		.amdhsa_float_denorm_mode_32 3
		.amdhsa_float_denorm_mode_16_64 3
		.amdhsa_dx10_clamp 1
		.amdhsa_ieee_mode 1
		.amdhsa_fp16_overflow 0
		.amdhsa_tg_split 0
		.amdhsa_exception_fp_ieee_invalid_op 0
		.amdhsa_exception_fp_denorm_src 0
		.amdhsa_exception_fp_ieee_div_zero 0
		.amdhsa_exception_fp_ieee_overflow 0
		.amdhsa_exception_fp_ieee_underflow 0
		.amdhsa_exception_fp_ieee_inexact 0
		.amdhsa_exception_int_div_zero 0
	.end_amdhsa_kernel
	.section	.text._ZN2at6native29vectorized_elementwise_kernelILi4EZZZNS0_33launch_standard_gamma_grad_kernelERNS_18TensorIteratorBaseEENKUlvE_clEvENKUlvE0_clEvEUlffE_St5arrayIPcLm3EEEEviT0_T1_,"axG",@progbits,_ZN2at6native29vectorized_elementwise_kernelILi4EZZZNS0_33launch_standard_gamma_grad_kernelERNS_18TensorIteratorBaseEENKUlvE_clEvENKUlvE0_clEvEUlffE_St5arrayIPcLm3EEEEviT0_T1_,comdat
.Lfunc_end165:
	.size	_ZN2at6native29vectorized_elementwise_kernelILi4EZZZNS0_33launch_standard_gamma_grad_kernelERNS_18TensorIteratorBaseEENKUlvE_clEvENKUlvE0_clEvEUlffE_St5arrayIPcLm3EEEEviT0_T1_, .Lfunc_end165-_ZN2at6native29vectorized_elementwise_kernelILi4EZZZNS0_33launch_standard_gamma_grad_kernelERNS_18TensorIteratorBaseEENKUlvE_clEvENKUlvE0_clEvEUlffE_St5arrayIPcLm3EEEEviT0_T1_
                                        ; -- End function
	.section	.AMDGPU.csdata,"",@progbits
; Kernel info:
; codeLenInByte = 1136
; NumSgprs: 44
; NumVgprs: 44
; NumAgprs: 0
; TotalNumVgprs: 44
; ScratchSize: 0
; MemoryBound: 0
; FloatMode: 240
; IeeeMode: 1
; LDSByteSize: 0 bytes/workgroup (compile time only)
; SGPRBlocks: 5
; VGPRBlocks: 5
; NumSGPRsForWavesPerEU: 44
; NumVGPRsForWavesPerEU: 44
; AccumOffset: 44
; Occupancy: 8
; WaveLimiterHint : 0
; COMPUTE_PGM_RSRC2:SCRATCH_EN: 0
; COMPUTE_PGM_RSRC2:USER_SGPR: 8
; COMPUTE_PGM_RSRC2:TRAP_HANDLER: 0
; COMPUTE_PGM_RSRC2:TGID_X_EN: 1
; COMPUTE_PGM_RSRC2:TGID_Y_EN: 0
; COMPUTE_PGM_RSRC2:TGID_Z_EN: 0
; COMPUTE_PGM_RSRC2:TIDIG_COMP_CNT: 0
; COMPUTE_PGM_RSRC3_GFX90A:ACCUM_OFFSET: 10
; COMPUTE_PGM_RSRC3_GFX90A:TG_SPLIT: 0
	.section	.text._ZN2at6native29vectorized_elementwise_kernelILi2EZZZNS0_33launch_standard_gamma_grad_kernelERNS_18TensorIteratorBaseEENKUlvE_clEvENKUlvE0_clEvEUlffE_St5arrayIPcLm3EEEEviT0_T1_,"axG",@progbits,_ZN2at6native29vectorized_elementwise_kernelILi2EZZZNS0_33launch_standard_gamma_grad_kernelERNS_18TensorIteratorBaseEENKUlvE_clEvENKUlvE0_clEvEUlffE_St5arrayIPcLm3EEEEviT0_T1_,comdat
	.globl	_ZN2at6native29vectorized_elementwise_kernelILi2EZZZNS0_33launch_standard_gamma_grad_kernelERNS_18TensorIteratorBaseEENKUlvE_clEvENKUlvE0_clEvEUlffE_St5arrayIPcLm3EEEEviT0_T1_ ; -- Begin function _ZN2at6native29vectorized_elementwise_kernelILi2EZZZNS0_33launch_standard_gamma_grad_kernelERNS_18TensorIteratorBaseEENKUlvE_clEvENKUlvE0_clEvEUlffE_St5arrayIPcLm3EEEEviT0_T1_
	.p2align	8
	.type	_ZN2at6native29vectorized_elementwise_kernelILi2EZZZNS0_33launch_standard_gamma_grad_kernelERNS_18TensorIteratorBaseEENKUlvE_clEvENKUlvE0_clEvEUlffE_St5arrayIPcLm3EEEEviT0_T1_,@function
_ZN2at6native29vectorized_elementwise_kernelILi2EZZZNS0_33launch_standard_gamma_grad_kernelERNS_18TensorIteratorBaseEENKUlvE_clEvENKUlvE0_clEvEUlffE_St5arrayIPcLm3EEEEviT0_T1_: ; @_ZN2at6native29vectorized_elementwise_kernelILi2EZZZNS0_33launch_standard_gamma_grad_kernelERNS_18TensorIteratorBaseEENKUlvE_clEvENKUlvE0_clEvEUlffE_St5arrayIPcLm3EEEEviT0_T1_
; %bb.0:
	s_add_u32 flat_scratch_lo, s6, s9
	s_addc_u32 flat_scratch_hi, s7, 0
	s_load_dword s6, s[4:5], 0x0
	s_load_dwordx4 s[24:27], s[4:5], 0x8
	s_load_dwordx2 s[34:35], s[4:5], 0x18
	s_add_u32 s0, s0, s9
	s_addc_u32 s1, s1, 0
	s_lshl_b32 s28, s8, 10
	s_waitcnt lgkmcnt(0)
	s_sub_i32 s33, s6, s28
	v_mov_b32_e32 v34, v0
	s_cmpk_gt_i32 s33, 0x3ff
	s_mov_b64 s[4:5], -1
	s_mov_b32 s32, 0
	s_cbranch_scc0 .LBB166_2
; %bb.1:
	s_ashr_i32 s29, s28, 31
	s_lshl_b64 s[22:23], s[28:29], 2
	s_add_u32 s4, s26, s22
	s_addc_u32 s5, s27, s23
	v_lshlrev_b32_e32 v35, 3, v34
	global_load_dwordx2 v[30:31], v35, s[4:5]
	s_add_u32 s6, s34, s22
	s_addc_u32 s7, s35, s23
	global_load_dwordx2 v[32:33], v35, s[6:7]
	global_load_dwordx2 v[36:37], v35, s[4:5] offset:2048
	global_load_dwordx2 v[38:39], v35, s[6:7] offset:2048
	s_getpc_b64 s[36:37]
	s_add_u32 s36, s36, _ZZZZN2at6native33launch_standard_gamma_grad_kernelERNS_18TensorIteratorBaseEENKUlvE_clEvENKUlvE0_clEvENKUlffE_clEff@rel32@lo+4
	s_addc_u32 s37, s37, _ZZZZN2at6native33launch_standard_gamma_grad_kernelERNS_18TensorIteratorBaseEENKUlvE_clEvENKUlvE0_clEvENKUlffE_clEff@rel32@hi+12
	s_waitcnt vmcnt(3)
	v_mov_b32_e32 v0, v30
	s_waitcnt vmcnt(2)
	v_mov_b32_e32 v1, v32
	s_swappc_b64 s[30:31], s[36:37]
	v_mov_b32_e32 v30, v0
	v_mov_b32_e32 v0, v31
	v_mov_b32_e32 v1, v33
	s_swappc_b64 s[30:31], s[36:37]
	v_mov_b32_e32 v31, v0
	v_mov_b32_e32 v0, v36
	;; [unrolled: 4-line block ×3, first 2 shown]
	v_mov_b32_e32 v1, v39
	s_swappc_b64 s[30:31], s[36:37]
	s_add_u32 s4, s24, s22
	s_addc_u32 s5, s25, s23
	v_mov_b32_e32 v33, v0
	global_store_dwordx2 v35, v[30:31], s[4:5]
	global_store_dwordx2 v35, v[32:33], s[4:5] offset:2048
	s_mov_b64 s[4:5], 0
.LBB166_2:
	s_andn2_b64 vcc, exec, s[4:5]
	s_cbranch_vccnz .LBB166_23
; %bb.3:
	v_cmp_gt_i32_e64 s[22:23], s33, v34
	v_mov_b32_e32 v35, 0
	v_or_b32_e32 v42, s28, v34
	v_mov_b32_e32 v0, 0
	v_mov_b32_e32 v1, 0
	;; [unrolled: 1-line block ×3, first 2 shown]
	s_and_saveexec_b64 s[4:5], s[22:23]
	s_cbranch_execz .LBB166_5
; %bb.4:
	v_mov_b32_e32 v43, 0
	v_lshlrev_b64 v[0:1], 2, v[42:43]
	v_mov_b32_e32 v3, s35
	v_add_co_u32_e32 v2, vcc, s34, v0
	v_addc_co_u32_e32 v3, vcc, v3, v1, vcc
	v_mov_b32_e32 v5, s27
	v_add_co_u32_e32 v4, vcc, s26, v0
	v_addc_co_u32_e32 v5, vcc, v5, v1, vcc
	global_load_dword v0, v[4:5], off
	global_load_dword v1, v[2:3], off
	v_or_b32_e32 v2, 0x100, v34
.LBB166_5:
	s_or_b64 exec, exec, s[4:5]
	v_cmp_gt_i32_e32 vcc, s33, v2
	v_mov_b32_e32 v37, 0
	s_and_saveexec_b64 s[4:5], vcc
	s_cbranch_execz .LBB166_7
; %bb.6:
	v_add_u32_e32 v4, s28, v2
	v_mov_b32_e32 v5, 0
	v_lshlrev_b64 v[4:5], 2, v[4:5]
	v_mov_b32_e32 v3, s35
	v_add_co_u32_e32 v6, vcc, s34, v4
	v_addc_co_u32_e32 v7, vcc, v3, v5, vcc
	v_mov_b32_e32 v3, s27
	v_add_co_u32_e32 v4, vcc, s26, v4
	v_addc_co_u32_e32 v5, vcc, v3, v5, vcc
	global_load_dword v35, v[4:5], off
	global_load_dword v37, v[6:7], off
	v_add_u32_e32 v2, 0x100, v2
.LBB166_7:
	s_or_b64 exec, exec, s[4:5]
	v_cmp_gt_i32_e32 vcc, s33, v2
	v_mov_b32_e32 v36, 0
	v_mov_b32_e32 v38, 0
	;; [unrolled: 1-line block ×3, first 2 shown]
	s_and_saveexec_b64 s[4:5], vcc
	s_cbranch_execz .LBB166_9
; %bb.8:
	v_add_u32_e32 v4, s28, v2
	v_mov_b32_e32 v5, 0
	v_lshlrev_b64 v[4:5], 2, v[4:5]
	v_mov_b32_e32 v3, s35
	v_add_co_u32_e32 v6, vcc, s34, v4
	v_addc_co_u32_e32 v7, vcc, v3, v5, vcc
	v_mov_b32_e32 v3, s27
	v_add_co_u32_e32 v4, vcc, s26, v4
	v_addc_co_u32_e32 v5, vcc, v3, v5, vcc
	global_load_dword v38, v[4:5], off
	global_load_dword v39, v[6:7], off
	v_add_u32_e32 v2, 0x100, v2
.LBB166_9:
	s_or_b64 exec, exec, s[4:5]
	v_cmp_gt_i32_e32 vcc, s33, v2
	v_mov_b32_e32 v40, 0
	s_and_saveexec_b64 s[4:5], vcc
	s_cbranch_execz .LBB166_11
; %bb.10:
	v_add_u32_e32 v2, s28, v2
	v_mov_b32_e32 v3, 0
	v_lshlrev_b64 v[2:3], 2, v[2:3]
	v_mov_b32_e32 v5, s35
	v_add_co_u32_e32 v4, vcc, s34, v2
	v_addc_co_u32_e32 v5, vcc, v5, v3, vcc
	v_mov_b32_e32 v6, s27
	v_add_co_u32_e32 v2, vcc, s26, v2
	v_addc_co_u32_e32 v3, vcc, v6, v3, vcc
	global_load_dword v36, v[2:3], off
	global_load_dword v40, v[4:5], off
.LBB166_11:
	s_or_b64 exec, exec, s[4:5]
                                        ; implicit-def: $vgpr30_vgpr31_vgpr32_vgpr33
	s_and_saveexec_b64 s[26:27], s[22:23]
	s_cbranch_execz .LBB166_13
; %bb.12:
	s_getpc_b64 s[4:5]
	s_add_u32 s4, s4, _ZZZZN2at6native33launch_standard_gamma_grad_kernelERNS_18TensorIteratorBaseEENKUlvE_clEvENKUlvE0_clEvENKUlffE_clEff@rel32@lo+4
	s_addc_u32 s5, s5, _ZZZZN2at6native33launch_standard_gamma_grad_kernelERNS_18TensorIteratorBaseEENKUlvE_clEvENKUlvE0_clEvENKUlffE_clEff@rel32@hi+12
	s_swappc_b64 s[30:31], s[4:5]
	v_mov_b32_e32 v30, v0
.LBB166_13:
	s_or_b64 exec, exec, s[26:27]
	v_or_b32_e32 v41, 0x100, v34
	v_cmp_gt_i32_e32 vcc, s33, v41
	s_and_saveexec_b64 s[26:27], vcc
	s_cbranch_execz .LBB166_15
; %bb.14:
	s_waitcnt vmcnt(1)
	v_mov_b32_e32 v0, v35
	s_waitcnt vmcnt(0)
	v_mov_b32_e32 v1, v37
	s_getpc_b64 s[4:5]
	s_add_u32 s4, s4, _ZZZZN2at6native33launch_standard_gamma_grad_kernelERNS_18TensorIteratorBaseEENKUlvE_clEvENKUlvE0_clEvENKUlffE_clEff@rel32@lo+4
	s_addc_u32 s5, s5, _ZZZZN2at6native33launch_standard_gamma_grad_kernelERNS_18TensorIteratorBaseEENKUlvE_clEvENKUlvE0_clEvENKUlffE_clEff@rel32@hi+12
	s_swappc_b64 s[30:31], s[4:5]
	v_mov_b32_e32 v31, v0
.LBB166_15:
	s_or_b64 exec, exec, s[26:27]
	s_waitcnt vmcnt(1)
	v_or_b32_e32 v0, 0x200, v34
	v_cmp_gt_i32_e32 vcc, s33, v0
	s_and_saveexec_b64 s[26:27], vcc
	s_cbranch_execz .LBB166_17
; %bb.16:
	v_mov_b32_e32 v0, v38
	s_waitcnt vmcnt(0)
	v_mov_b32_e32 v1, v39
	s_getpc_b64 s[4:5]
	s_add_u32 s4, s4, _ZZZZN2at6native33launch_standard_gamma_grad_kernelERNS_18TensorIteratorBaseEENKUlvE_clEvENKUlvE0_clEvENKUlffE_clEff@rel32@lo+4
	s_addc_u32 s5, s5, _ZZZZN2at6native33launch_standard_gamma_grad_kernelERNS_18TensorIteratorBaseEENKUlvE_clEvENKUlvE0_clEvENKUlffE_clEff@rel32@hi+12
	s_swappc_b64 s[30:31], s[4:5]
	v_mov_b32_e32 v32, v0
.LBB166_17:
	s_or_b64 exec, exec, s[26:27]
	v_or_b32_e32 v0, 0x300, v34
	v_cmp_gt_i32_e32 vcc, s33, v0
	s_and_saveexec_b64 s[26:27], vcc
	s_cbranch_execnz .LBB166_24
; %bb.18:
	s_or_b64 exec, exec, s[26:27]
	s_and_saveexec_b64 s[4:5], s[22:23]
	s_xor_b64 s[4:5], exec, s[4:5]
	s_cbranch_execnz .LBB166_25
.LBB166_19:
	s_or_b64 exec, exec, s[4:5]
	v_cmp_gt_i32_e32 vcc, s33, v34
	s_and_saveexec_b64 s[4:5], vcc
	s_cbranch_execnz .LBB166_26
.LBB166_20:
	s_or_b64 exec, exec, s[4:5]
	v_cmp_gt_i32_e32 vcc, s33, v34
	s_and_saveexec_b64 s[4:5], vcc
	s_cbranch_execnz .LBB166_27
.LBB166_21:
	s_or_b64 exec, exec, s[4:5]
	v_cmp_gt_i32_e32 vcc, s33, v34
	s_and_saveexec_b64 s[4:5], vcc
	s_cbranch_execz .LBB166_23
.LBB166_22:
	v_add_u32_e32 v0, s28, v34
	s_waitcnt vmcnt(0)
	v_mov_b32_e32 v1, 0
	v_lshlrev_b64 v[0:1], 2, v[0:1]
	v_mov_b32_e32 v2, s25
	v_add_co_u32_e32 v0, vcc, s24, v0
	v_addc_co_u32_e32 v1, vcc, v2, v1, vcc
	global_store_dword v[0:1], v33, off
.LBB166_23:
	s_endpgm
.LBB166_24:
	v_mov_b32_e32 v0, v36
	s_waitcnt vmcnt(0)
	v_mov_b32_e32 v1, v40
	s_getpc_b64 s[4:5]
	s_add_u32 s4, s4, _ZZZZN2at6native33launch_standard_gamma_grad_kernelERNS_18TensorIteratorBaseEENKUlvE_clEvENKUlvE0_clEvENKUlffE_clEff@rel32@lo+4
	s_addc_u32 s5, s5, _ZZZZN2at6native33launch_standard_gamma_grad_kernelERNS_18TensorIteratorBaseEENKUlvE_clEvENKUlvE0_clEvENKUlffE_clEff@rel32@hi+12
	s_swappc_b64 s[30:31], s[4:5]
	v_mov_b32_e32 v33, v0
	s_or_b64 exec, exec, s[26:27]
	s_and_saveexec_b64 s[4:5], s[22:23]
	s_xor_b64 s[4:5], exec, s[4:5]
	s_cbranch_execz .LBB166_19
.LBB166_25:
	v_mov_b32_e32 v43, 0
	s_waitcnt vmcnt(0)
	v_lshlrev_b64 v[0:1], 2, v[42:43]
	v_mov_b32_e32 v2, s25
	v_add_co_u32_e32 v0, vcc, s24, v0
	v_addc_co_u32_e32 v1, vcc, v2, v1, vcc
	v_mov_b32_e32 v34, v41
	global_store_dword v[0:1], v30, off
	s_or_b64 exec, exec, s[4:5]
	v_cmp_gt_i32_e32 vcc, s33, v34
	s_and_saveexec_b64 s[4:5], vcc
	s_cbranch_execz .LBB166_20
.LBB166_26:
	v_add_u32_e32 v0, s28, v34
	s_waitcnt vmcnt(0)
	v_mov_b32_e32 v1, 0
	v_lshlrev_b64 v[0:1], 2, v[0:1]
	v_mov_b32_e32 v2, s25
	v_add_co_u32_e32 v0, vcc, s24, v0
	v_addc_co_u32_e32 v1, vcc, v2, v1, vcc
	v_add_u32_e32 v34, 0x100, v34
	global_store_dword v[0:1], v31, off
	s_or_b64 exec, exec, s[4:5]
	v_cmp_gt_i32_e32 vcc, s33, v34
	s_and_saveexec_b64 s[4:5], vcc
	s_cbranch_execz .LBB166_21
.LBB166_27:
	v_add_u32_e32 v0, s28, v34
	s_waitcnt vmcnt(0)
	v_mov_b32_e32 v1, 0
	v_lshlrev_b64 v[0:1], 2, v[0:1]
	v_mov_b32_e32 v2, s25
	v_add_co_u32_e32 v0, vcc, s24, v0
	v_addc_co_u32_e32 v1, vcc, v2, v1, vcc
	v_add_u32_e32 v34, 0x100, v34
	global_store_dword v[0:1], v32, off
	s_or_b64 exec, exec, s[4:5]
	v_cmp_gt_i32_e32 vcc, s33, v34
	s_and_saveexec_b64 s[4:5], vcc
	s_cbranch_execnz .LBB166_22
	s_branch .LBB166_23
	.section	.rodata,"a",@progbits
	.p2align	6, 0x0
	.amdhsa_kernel _ZN2at6native29vectorized_elementwise_kernelILi2EZZZNS0_33launch_standard_gamma_grad_kernelERNS_18TensorIteratorBaseEENKUlvE_clEvENKUlvE0_clEvEUlffE_St5arrayIPcLm3EEEEviT0_T1_
		.amdhsa_group_segment_fixed_size 0
		.amdhsa_private_segment_fixed_size 0
		.amdhsa_kernarg_size 32
		.amdhsa_user_sgpr_count 8
		.amdhsa_user_sgpr_private_segment_buffer 1
		.amdhsa_user_sgpr_dispatch_ptr 0
		.amdhsa_user_sgpr_queue_ptr 0
		.amdhsa_user_sgpr_kernarg_segment_ptr 1
		.amdhsa_user_sgpr_dispatch_id 0
		.amdhsa_user_sgpr_flat_scratch_init 1
		.amdhsa_user_sgpr_kernarg_preload_length 0
		.amdhsa_user_sgpr_kernarg_preload_offset 0
		.amdhsa_user_sgpr_private_segment_size 0
		.amdhsa_uses_dynamic_stack 0
		.amdhsa_system_sgpr_private_segment_wavefront_offset 0
		.amdhsa_system_sgpr_workgroup_id_x 1
		.amdhsa_system_sgpr_workgroup_id_y 0
		.amdhsa_system_sgpr_workgroup_id_z 0
		.amdhsa_system_sgpr_workgroup_info 0
		.amdhsa_system_vgpr_workitem_id 0
		.amdhsa_next_free_vgpr 44
		.amdhsa_next_free_sgpr 38
		.amdhsa_accum_offset 44
		.amdhsa_reserve_vcc 1
		.amdhsa_reserve_flat_scratch 1
		.amdhsa_float_round_mode_32 0
		.amdhsa_float_round_mode_16_64 0
		.amdhsa_float_denorm_mode_32 3
		.amdhsa_float_denorm_mode_16_64 3
		.amdhsa_dx10_clamp 1
		.amdhsa_ieee_mode 1
		.amdhsa_fp16_overflow 0
		.amdhsa_tg_split 0
		.amdhsa_exception_fp_ieee_invalid_op 0
		.amdhsa_exception_fp_denorm_src 0
		.amdhsa_exception_fp_ieee_div_zero 0
		.amdhsa_exception_fp_ieee_overflow 0
		.amdhsa_exception_fp_ieee_underflow 0
		.amdhsa_exception_fp_ieee_inexact 0
		.amdhsa_exception_int_div_zero 0
	.end_amdhsa_kernel
	.section	.text._ZN2at6native29vectorized_elementwise_kernelILi2EZZZNS0_33launch_standard_gamma_grad_kernelERNS_18TensorIteratorBaseEENKUlvE_clEvENKUlvE0_clEvEUlffE_St5arrayIPcLm3EEEEviT0_T1_,"axG",@progbits,_ZN2at6native29vectorized_elementwise_kernelILi2EZZZNS0_33launch_standard_gamma_grad_kernelERNS_18TensorIteratorBaseEENKUlvE_clEvENKUlvE0_clEvEUlffE_St5arrayIPcLm3EEEEviT0_T1_,comdat
.Lfunc_end166:
	.size	_ZN2at6native29vectorized_elementwise_kernelILi2EZZZNS0_33launch_standard_gamma_grad_kernelERNS_18TensorIteratorBaseEENKUlvE_clEvENKUlvE0_clEvEUlffE_St5arrayIPcLm3EEEEviT0_T1_, .Lfunc_end166-_ZN2at6native29vectorized_elementwise_kernelILi2EZZZNS0_33launch_standard_gamma_grad_kernelERNS_18TensorIteratorBaseEENKUlvE_clEvENKUlvE0_clEvEUlffE_St5arrayIPcLm3EEEEviT0_T1_
                                        ; -- End function
	.section	.AMDGPU.csdata,"",@progbits
; Kernel info:
; codeLenInByte = 1160
; NumSgprs: 44
; NumVgprs: 44
; NumAgprs: 0
; TotalNumVgprs: 44
; ScratchSize: 0
; MemoryBound: 0
; FloatMode: 240
; IeeeMode: 1
; LDSByteSize: 0 bytes/workgroup (compile time only)
; SGPRBlocks: 5
; VGPRBlocks: 5
; NumSGPRsForWavesPerEU: 44
; NumVGPRsForWavesPerEU: 44
; AccumOffset: 44
; Occupancy: 8
; WaveLimiterHint : 1
; COMPUTE_PGM_RSRC2:SCRATCH_EN: 0
; COMPUTE_PGM_RSRC2:USER_SGPR: 8
; COMPUTE_PGM_RSRC2:TRAP_HANDLER: 0
; COMPUTE_PGM_RSRC2:TGID_X_EN: 1
; COMPUTE_PGM_RSRC2:TGID_Y_EN: 0
; COMPUTE_PGM_RSRC2:TGID_Z_EN: 0
; COMPUTE_PGM_RSRC2:TIDIG_COMP_CNT: 0
; COMPUTE_PGM_RSRC3_GFX90A:ACCUM_OFFSET: 10
; COMPUTE_PGM_RSRC3_GFX90A:TG_SPLIT: 0
	.section	.text._ZN2at6native27unrolled_elementwise_kernelIZZZNS0_33launch_standard_gamma_grad_kernelERNS_18TensorIteratorBaseEENKUlvE_clEvENKUlvE0_clEvEUlffE_St5arrayIPcLm3EELi4E23TrivialOffsetCalculatorILi2EjESA_ILi1EjENS0_6memory15LoadWithoutCastENSD_16StoreWithoutCastEEEviT_T0_T2_T3_T4_T5_,"axG",@progbits,_ZN2at6native27unrolled_elementwise_kernelIZZZNS0_33launch_standard_gamma_grad_kernelERNS_18TensorIteratorBaseEENKUlvE_clEvENKUlvE0_clEvEUlffE_St5arrayIPcLm3EELi4E23TrivialOffsetCalculatorILi2EjESA_ILi1EjENS0_6memory15LoadWithoutCastENSD_16StoreWithoutCastEEEviT_T0_T2_T3_T4_T5_,comdat
	.globl	_ZN2at6native27unrolled_elementwise_kernelIZZZNS0_33launch_standard_gamma_grad_kernelERNS_18TensorIteratorBaseEENKUlvE_clEvENKUlvE0_clEvEUlffE_St5arrayIPcLm3EELi4E23TrivialOffsetCalculatorILi2EjESA_ILi1EjENS0_6memory15LoadWithoutCastENSD_16StoreWithoutCastEEEviT_T0_T2_T3_T4_T5_ ; -- Begin function _ZN2at6native27unrolled_elementwise_kernelIZZZNS0_33launch_standard_gamma_grad_kernelERNS_18TensorIteratorBaseEENKUlvE_clEvENKUlvE0_clEvEUlffE_St5arrayIPcLm3EELi4E23TrivialOffsetCalculatorILi2EjESA_ILi1EjENS0_6memory15LoadWithoutCastENSD_16StoreWithoutCastEEEviT_T0_T2_T3_T4_T5_
	.p2align	8
	.type	_ZN2at6native27unrolled_elementwise_kernelIZZZNS0_33launch_standard_gamma_grad_kernelERNS_18TensorIteratorBaseEENKUlvE_clEvENKUlvE0_clEvEUlffE_St5arrayIPcLm3EELi4E23TrivialOffsetCalculatorILi2EjESA_ILi1EjENS0_6memory15LoadWithoutCastENSD_16StoreWithoutCastEEEviT_T0_T2_T3_T4_T5_,@function
_ZN2at6native27unrolled_elementwise_kernelIZZZNS0_33launch_standard_gamma_grad_kernelERNS_18TensorIteratorBaseEENKUlvE_clEvENKUlvE0_clEvEUlffE_St5arrayIPcLm3EELi4E23TrivialOffsetCalculatorILi2EjESA_ILi1EjENS0_6memory15LoadWithoutCastENSD_16StoreWithoutCastEEEviT_T0_T2_T3_T4_T5_: ; @_ZN2at6native27unrolled_elementwise_kernelIZZZNS0_33launch_standard_gamma_grad_kernelERNS_18TensorIteratorBaseEENKUlvE_clEvENKUlvE0_clEvEUlffE_St5arrayIPcLm3EELi4E23TrivialOffsetCalculatorILi2EjESA_ILi1EjENS0_6memory15LoadWithoutCastENSD_16StoreWithoutCastEEEviT_T0_T2_T3_T4_T5_
; %bb.0:
	s_add_u32 flat_scratch_lo, s6, s9
	s_addc_u32 flat_scratch_hi, s7, 0
	s_add_u32 s0, s0, s9
	s_load_dword s9, s[4:5], 0x0
	s_load_dwordx4 s[24:27], s[4:5], 0x8
	s_load_dwordx2 s[6:7], s[4:5], 0x18
	s_addc_u32 s1, s1, 0
	s_lshl_b32 s28, s8, 10
	v_mov_b32_e32 v34, v0
	s_waitcnt lgkmcnt(0)
	s_sub_i32 s29, s9, s28
	v_cmp_gt_i32_e64 s[22:23], s29, v34
	v_mov_b32_e32 v35, 0
	v_or_b32_e32 v42, s28, v34
	v_mov_b32_e32 v0, 0
	v_mov_b32_e32 v1, 0
	;; [unrolled: 1-line block ×3, first 2 shown]
	s_mov_b32 s32, 0
	s_and_saveexec_b64 s[4:5], s[22:23]
	s_cbranch_execz .LBB167_2
; %bb.1:
	v_mov_b32_e32 v43, 0
	v_lshlrev_b64 v[0:1], 2, v[42:43]
	v_mov_b32_e32 v3, s27
	v_add_co_u32_e32 v2, vcc, s26, v0
	v_addc_co_u32_e32 v3, vcc, v3, v1, vcc
	v_mov_b32_e32 v5, s7
	v_add_co_u32_e32 v4, vcc, s6, v0
	v_addc_co_u32_e32 v5, vcc, v5, v1, vcc
	global_load_dword v0, v[2:3], off
	global_load_dword v1, v[4:5], off
	v_or_b32_e32 v2, 0x100, v34
.LBB167_2:
	s_or_b64 exec, exec, s[4:5]
	v_cmp_gt_i32_e32 vcc, s29, v2
	v_mov_b32_e32 v37, 0
	s_and_saveexec_b64 s[4:5], vcc
	s_cbranch_execz .LBB167_4
; %bb.3:
	v_add_u32_e32 v4, s28, v2
	v_mov_b32_e32 v5, 0
	v_lshlrev_b64 v[4:5], 2, v[4:5]
	v_mov_b32_e32 v3, s27
	v_add_co_u32_e32 v6, vcc, s26, v4
	v_addc_co_u32_e32 v7, vcc, v3, v5, vcc
	v_mov_b32_e32 v3, s7
	v_add_co_u32_e32 v4, vcc, s6, v4
	v_addc_co_u32_e32 v5, vcc, v3, v5, vcc
	global_load_dword v35, v[6:7], off
	global_load_dword v37, v[4:5], off
	v_add_u32_e32 v2, 0x100, v2
.LBB167_4:
	s_or_b64 exec, exec, s[4:5]
	v_cmp_gt_i32_e32 vcc, s29, v2
	v_mov_b32_e32 v36, 0
	v_mov_b32_e32 v38, 0
	;; [unrolled: 1-line block ×3, first 2 shown]
	s_and_saveexec_b64 s[4:5], vcc
	s_cbranch_execz .LBB167_6
; %bb.5:
	v_add_u32_e32 v4, s28, v2
	v_mov_b32_e32 v5, 0
	v_lshlrev_b64 v[4:5], 2, v[4:5]
	v_mov_b32_e32 v3, s27
	v_add_co_u32_e32 v6, vcc, s26, v4
	v_addc_co_u32_e32 v7, vcc, v3, v5, vcc
	v_mov_b32_e32 v3, s7
	v_add_co_u32_e32 v4, vcc, s6, v4
	v_addc_co_u32_e32 v5, vcc, v3, v5, vcc
	global_load_dword v38, v[6:7], off
	global_load_dword v39, v[4:5], off
	v_add_u32_e32 v2, 0x100, v2
.LBB167_6:
	s_or_b64 exec, exec, s[4:5]
	v_cmp_gt_i32_e32 vcc, s29, v2
	v_mov_b32_e32 v40, 0
	s_and_saveexec_b64 s[4:5], vcc
	s_cbranch_execz .LBB167_8
; %bb.7:
	v_add_u32_e32 v2, s28, v2
	v_mov_b32_e32 v3, 0
	v_lshlrev_b64 v[2:3], 2, v[2:3]
	v_mov_b32_e32 v5, s27
	v_add_co_u32_e32 v4, vcc, s26, v2
	v_addc_co_u32_e32 v5, vcc, v5, v3, vcc
	v_mov_b32_e32 v6, s7
	v_add_co_u32_e32 v2, vcc, s6, v2
	v_addc_co_u32_e32 v3, vcc, v6, v3, vcc
	global_load_dword v36, v[4:5], off
	global_load_dword v40, v[2:3], off
.LBB167_8:
	s_or_b64 exec, exec, s[4:5]
                                        ; implicit-def: $vgpr30_vgpr31_vgpr32_vgpr33
	s_and_saveexec_b64 s[26:27], s[22:23]
	s_cbranch_execz .LBB167_10
; %bb.9:
	s_getpc_b64 s[4:5]
	s_add_u32 s4, s4, _ZZZZN2at6native33launch_standard_gamma_grad_kernelERNS_18TensorIteratorBaseEENKUlvE_clEvENKUlvE0_clEvENKUlffE_clEff@rel32@lo+4
	s_addc_u32 s5, s5, _ZZZZN2at6native33launch_standard_gamma_grad_kernelERNS_18TensorIteratorBaseEENKUlvE_clEvENKUlvE0_clEvENKUlffE_clEff@rel32@hi+12
	s_swappc_b64 s[30:31], s[4:5]
	v_mov_b32_e32 v30, v0
.LBB167_10:
	s_or_b64 exec, exec, s[26:27]
	v_or_b32_e32 v41, 0x100, v34
	v_cmp_gt_i32_e32 vcc, s29, v41
	s_and_saveexec_b64 s[26:27], vcc
	s_cbranch_execz .LBB167_12
; %bb.11:
	s_waitcnt vmcnt(1)
	v_mov_b32_e32 v0, v35
	s_waitcnt vmcnt(0)
	v_mov_b32_e32 v1, v37
	s_getpc_b64 s[4:5]
	s_add_u32 s4, s4, _ZZZZN2at6native33launch_standard_gamma_grad_kernelERNS_18TensorIteratorBaseEENKUlvE_clEvENKUlvE0_clEvENKUlffE_clEff@rel32@lo+4
	s_addc_u32 s5, s5, _ZZZZN2at6native33launch_standard_gamma_grad_kernelERNS_18TensorIteratorBaseEENKUlvE_clEvENKUlvE0_clEvENKUlffE_clEff@rel32@hi+12
	s_swappc_b64 s[30:31], s[4:5]
	v_mov_b32_e32 v31, v0
.LBB167_12:
	s_or_b64 exec, exec, s[26:27]
	s_waitcnt vmcnt(1)
	v_or_b32_e32 v0, 0x200, v34
	v_cmp_gt_i32_e32 vcc, s29, v0
	s_and_saveexec_b64 s[26:27], vcc
	s_cbranch_execz .LBB167_14
; %bb.13:
	v_mov_b32_e32 v0, v38
	s_waitcnt vmcnt(0)
	v_mov_b32_e32 v1, v39
	s_getpc_b64 s[4:5]
	s_add_u32 s4, s4, _ZZZZN2at6native33launch_standard_gamma_grad_kernelERNS_18TensorIteratorBaseEENKUlvE_clEvENKUlvE0_clEvENKUlffE_clEff@rel32@lo+4
	s_addc_u32 s5, s5, _ZZZZN2at6native33launch_standard_gamma_grad_kernelERNS_18TensorIteratorBaseEENKUlvE_clEvENKUlvE0_clEvENKUlffE_clEff@rel32@hi+12
	s_swappc_b64 s[30:31], s[4:5]
	v_mov_b32_e32 v32, v0
.LBB167_14:
	s_or_b64 exec, exec, s[26:27]
	v_or_b32_e32 v0, 0x300, v34
	v_cmp_gt_i32_e32 vcc, s29, v0
	s_and_saveexec_b64 s[26:27], vcc
	s_cbranch_execnz .LBB167_20
; %bb.15:
	s_or_b64 exec, exec, s[26:27]
	s_and_saveexec_b64 s[4:5], s[22:23]
	s_xor_b64 s[4:5], exec, s[4:5]
	s_cbranch_execnz .LBB167_21
.LBB167_16:
	s_or_b64 exec, exec, s[4:5]
	v_cmp_gt_i32_e32 vcc, s29, v34
	s_and_saveexec_b64 s[4:5], vcc
	s_cbranch_execnz .LBB167_22
.LBB167_17:
	s_or_b64 exec, exec, s[4:5]
	v_cmp_gt_i32_e32 vcc, s29, v34
	s_and_saveexec_b64 s[4:5], vcc
	s_cbranch_execnz .LBB167_23
.LBB167_18:
	s_or_b64 exec, exec, s[4:5]
	v_cmp_gt_i32_e32 vcc, s29, v34
	s_and_saveexec_b64 s[4:5], vcc
	s_cbranch_execnz .LBB167_24
.LBB167_19:
	s_endpgm
.LBB167_20:
	v_mov_b32_e32 v0, v36
	s_waitcnt vmcnt(0)
	v_mov_b32_e32 v1, v40
	s_getpc_b64 s[4:5]
	s_add_u32 s4, s4, _ZZZZN2at6native33launch_standard_gamma_grad_kernelERNS_18TensorIteratorBaseEENKUlvE_clEvENKUlvE0_clEvENKUlffE_clEff@rel32@lo+4
	s_addc_u32 s5, s5, _ZZZZN2at6native33launch_standard_gamma_grad_kernelERNS_18TensorIteratorBaseEENKUlvE_clEvENKUlvE0_clEvENKUlffE_clEff@rel32@hi+12
	s_swappc_b64 s[30:31], s[4:5]
	v_mov_b32_e32 v33, v0
	s_or_b64 exec, exec, s[26:27]
	s_and_saveexec_b64 s[4:5], s[22:23]
	s_xor_b64 s[4:5], exec, s[4:5]
	s_cbranch_execz .LBB167_16
.LBB167_21:
	v_mov_b32_e32 v43, 0
	s_waitcnt vmcnt(0)
	v_lshlrev_b64 v[0:1], 2, v[42:43]
	v_mov_b32_e32 v2, s25
	v_add_co_u32_e32 v0, vcc, s24, v0
	v_addc_co_u32_e32 v1, vcc, v2, v1, vcc
	v_mov_b32_e32 v34, v41
	global_store_dword v[0:1], v30, off
	s_or_b64 exec, exec, s[4:5]
	v_cmp_gt_i32_e32 vcc, s29, v34
	s_and_saveexec_b64 s[4:5], vcc
	s_cbranch_execz .LBB167_17
.LBB167_22:
	v_add_u32_e32 v0, s28, v34
	s_waitcnt vmcnt(0)
	v_mov_b32_e32 v1, 0
	v_lshlrev_b64 v[0:1], 2, v[0:1]
	v_add_u32_e32 v2, 0x100, v34
	v_mov_b32_e32 v3, s25
	v_add_co_u32_e32 v0, vcc, s24, v0
	v_addc_co_u32_e32 v1, vcc, v3, v1, vcc
	v_mov_b32_e32 v34, v2
	global_store_dword v[0:1], v31, off
	s_or_b64 exec, exec, s[4:5]
	v_cmp_gt_i32_e32 vcc, s29, v34
	s_and_saveexec_b64 s[4:5], vcc
	s_cbranch_execz .LBB167_18
.LBB167_23:
	v_add_u32_e32 v0, s28, v34
	s_waitcnt vmcnt(0)
	v_mov_b32_e32 v1, 0
	v_lshlrev_b64 v[0:1], 2, v[0:1]
	v_add_u32_e32 v2, 0x100, v34
	v_mov_b32_e32 v3, s25
	v_add_co_u32_e32 v0, vcc, s24, v0
	v_addc_co_u32_e32 v1, vcc, v3, v1, vcc
	v_mov_b32_e32 v34, v2
	global_store_dword v[0:1], v32, off
	s_or_b64 exec, exec, s[4:5]
	v_cmp_gt_i32_e32 vcc, s29, v34
	s_and_saveexec_b64 s[4:5], vcc
	s_cbranch_execz .LBB167_19
.LBB167_24:
	v_add_u32_e32 v0, s28, v34
	s_waitcnt vmcnt(0)
	v_mov_b32_e32 v1, 0
	v_lshlrev_b64 v[0:1], 2, v[0:1]
	v_mov_b32_e32 v2, s25
	v_add_co_u32_e32 v0, vcc, s24, v0
	v_addc_co_u32_e32 v1, vcc, v2, v1, vcc
	global_store_dword v[0:1], v33, off
	s_endpgm
	.section	.rodata,"a",@progbits
	.p2align	6, 0x0
	.amdhsa_kernel _ZN2at6native27unrolled_elementwise_kernelIZZZNS0_33launch_standard_gamma_grad_kernelERNS_18TensorIteratorBaseEENKUlvE_clEvENKUlvE0_clEvEUlffE_St5arrayIPcLm3EELi4E23TrivialOffsetCalculatorILi2EjESA_ILi1EjENS0_6memory15LoadWithoutCastENSD_16StoreWithoutCastEEEviT_T0_T2_T3_T4_T5_
		.amdhsa_group_segment_fixed_size 0
		.amdhsa_private_segment_fixed_size 0
		.amdhsa_kernarg_size 36
		.amdhsa_user_sgpr_count 8
		.amdhsa_user_sgpr_private_segment_buffer 1
		.amdhsa_user_sgpr_dispatch_ptr 0
		.amdhsa_user_sgpr_queue_ptr 0
		.amdhsa_user_sgpr_kernarg_segment_ptr 1
		.amdhsa_user_sgpr_dispatch_id 0
		.amdhsa_user_sgpr_flat_scratch_init 1
		.amdhsa_user_sgpr_kernarg_preload_length 0
		.amdhsa_user_sgpr_kernarg_preload_offset 0
		.amdhsa_user_sgpr_private_segment_size 0
		.amdhsa_uses_dynamic_stack 0
		.amdhsa_system_sgpr_private_segment_wavefront_offset 0
		.amdhsa_system_sgpr_workgroup_id_x 1
		.amdhsa_system_sgpr_workgroup_id_y 0
		.amdhsa_system_sgpr_workgroup_id_z 0
		.amdhsa_system_sgpr_workgroup_info 0
		.amdhsa_system_vgpr_workitem_id 0
		.amdhsa_next_free_vgpr 44
		.amdhsa_next_free_sgpr 33
		.amdhsa_accum_offset 44
		.amdhsa_reserve_vcc 1
		.amdhsa_reserve_flat_scratch 1
		.amdhsa_float_round_mode_32 0
		.amdhsa_float_round_mode_16_64 0
		.amdhsa_float_denorm_mode_32 3
		.amdhsa_float_denorm_mode_16_64 3
		.amdhsa_dx10_clamp 1
		.amdhsa_ieee_mode 1
		.amdhsa_fp16_overflow 0
		.amdhsa_tg_split 0
		.amdhsa_exception_fp_ieee_invalid_op 0
		.amdhsa_exception_fp_denorm_src 0
		.amdhsa_exception_fp_ieee_div_zero 0
		.amdhsa_exception_fp_ieee_overflow 0
		.amdhsa_exception_fp_ieee_underflow 0
		.amdhsa_exception_fp_ieee_inexact 0
		.amdhsa_exception_int_div_zero 0
	.end_amdhsa_kernel
	.section	.text._ZN2at6native27unrolled_elementwise_kernelIZZZNS0_33launch_standard_gamma_grad_kernelERNS_18TensorIteratorBaseEENKUlvE_clEvENKUlvE0_clEvEUlffE_St5arrayIPcLm3EELi4E23TrivialOffsetCalculatorILi2EjESA_ILi1EjENS0_6memory15LoadWithoutCastENSD_16StoreWithoutCastEEEviT_T0_T2_T3_T4_T5_,"axG",@progbits,_ZN2at6native27unrolled_elementwise_kernelIZZZNS0_33launch_standard_gamma_grad_kernelERNS_18TensorIteratorBaseEENKUlvE_clEvENKUlvE0_clEvEUlffE_St5arrayIPcLm3EELi4E23TrivialOffsetCalculatorILi2EjESA_ILi1EjENS0_6memory15LoadWithoutCastENSD_16StoreWithoutCastEEEviT_T0_T2_T3_T4_T5_,comdat
.Lfunc_end167:
	.size	_ZN2at6native27unrolled_elementwise_kernelIZZZNS0_33launch_standard_gamma_grad_kernelERNS_18TensorIteratorBaseEENKUlvE_clEvENKUlvE0_clEvEUlffE_St5arrayIPcLm3EELi4E23TrivialOffsetCalculatorILi2EjESA_ILi1EjENS0_6memory15LoadWithoutCastENSD_16StoreWithoutCastEEEviT_T0_T2_T3_T4_T5_, .Lfunc_end167-_ZN2at6native27unrolled_elementwise_kernelIZZZNS0_33launch_standard_gamma_grad_kernelERNS_18TensorIteratorBaseEENKUlvE_clEvENKUlvE0_clEvEUlffE_St5arrayIPcLm3EELi4E23TrivialOffsetCalculatorILi2EjESA_ILi1EjENS0_6memory15LoadWithoutCastENSD_16StoreWithoutCastEEEviT_T0_T2_T3_T4_T5_
                                        ; -- End function
	.section	.AMDGPU.csdata,"",@progbits
; Kernel info:
; codeLenInByte = 968
; NumSgprs: 39
; NumVgprs: 44
; NumAgprs: 0
; TotalNumVgprs: 44
; ScratchSize: 0
; MemoryBound: 0
; FloatMode: 240
; IeeeMode: 1
; LDSByteSize: 0 bytes/workgroup (compile time only)
; SGPRBlocks: 4
; VGPRBlocks: 5
; NumSGPRsForWavesPerEU: 39
; NumVGPRsForWavesPerEU: 44
; AccumOffset: 44
; Occupancy: 8
; WaveLimiterHint : 0
; COMPUTE_PGM_RSRC2:SCRATCH_EN: 0
; COMPUTE_PGM_RSRC2:USER_SGPR: 8
; COMPUTE_PGM_RSRC2:TRAP_HANDLER: 0
; COMPUTE_PGM_RSRC2:TGID_X_EN: 1
; COMPUTE_PGM_RSRC2:TGID_Y_EN: 0
; COMPUTE_PGM_RSRC2:TGID_Z_EN: 0
; COMPUTE_PGM_RSRC2:TIDIG_COMP_CNT: 0
; COMPUTE_PGM_RSRC3_GFX90A:ACCUM_OFFSET: 10
; COMPUTE_PGM_RSRC3_GFX90A:TG_SPLIT: 0
	.section	.text._ZN2at6native32elementwise_kernel_manual_unrollILi128ELi4EZNS0_22gpu_kernel_impl_nocastIZZZNS0_33launch_standard_gamma_grad_kernelERNS_18TensorIteratorBaseEENKUlvE_clEvENKUlvE0_clEvEUlffE_EEvS4_RKT_EUlibE_EEviT1_,"axG",@progbits,_ZN2at6native32elementwise_kernel_manual_unrollILi128ELi4EZNS0_22gpu_kernel_impl_nocastIZZZNS0_33launch_standard_gamma_grad_kernelERNS_18TensorIteratorBaseEENKUlvE_clEvENKUlvE0_clEvEUlffE_EEvS4_RKT_EUlibE_EEviT1_,comdat
	.globl	_ZN2at6native32elementwise_kernel_manual_unrollILi128ELi4EZNS0_22gpu_kernel_impl_nocastIZZZNS0_33launch_standard_gamma_grad_kernelERNS_18TensorIteratorBaseEENKUlvE_clEvENKUlvE0_clEvEUlffE_EEvS4_RKT_EUlibE_EEviT1_ ; -- Begin function _ZN2at6native32elementwise_kernel_manual_unrollILi128ELi4EZNS0_22gpu_kernel_impl_nocastIZZZNS0_33launch_standard_gamma_grad_kernelERNS_18TensorIteratorBaseEENKUlvE_clEvENKUlvE0_clEvEUlffE_EEvS4_RKT_EUlibE_EEviT1_
	.p2align	8
	.type	_ZN2at6native32elementwise_kernel_manual_unrollILi128ELi4EZNS0_22gpu_kernel_impl_nocastIZZZNS0_33launch_standard_gamma_grad_kernelERNS_18TensorIteratorBaseEENKUlvE_clEvENKUlvE0_clEvEUlffE_EEvS4_RKT_EUlibE_EEviT1_,@function
_ZN2at6native32elementwise_kernel_manual_unrollILi128ELi4EZNS0_22gpu_kernel_impl_nocastIZZZNS0_33launch_standard_gamma_grad_kernelERNS_18TensorIteratorBaseEENKUlvE_clEvENKUlvE0_clEvEUlffE_EEvS4_RKT_EUlibE_EEviT1_: ; @_ZN2at6native32elementwise_kernel_manual_unrollILi128ELi4EZNS0_22gpu_kernel_impl_nocastIZZZNS0_33launch_standard_gamma_grad_kernelERNS_18TensorIteratorBaseEENKUlvE_clEvENKUlvE0_clEvEUlffE_EEvS4_RKT_EUlibE_EEviT1_
; %bb.0:
	s_load_dword s58, s[4:5], 0x0
	s_load_dword s33, s[4:5], 0x8
	s_add_u32 flat_scratch_lo, s6, s9
	s_addc_u32 flat_scratch_hi, s7, 0
	s_add_u32 s0, s0, s9
	s_mov_b64 s[22:23], s[4:5]
	s_addc_u32 s1, s1, 0
	s_or_b32 s22, s22, 8
	v_lshl_or_b32 v40, s8, 9, v0
	s_waitcnt lgkmcnt(0)
	s_add_i32 s56, s33, -1
	v_or_b32_e32 v0, 0x180, v40
	s_cmp_gt_u32 s56, 1
	v_cmp_le_i32_e32 vcc, s58, v0
	s_cselect_b64 s[28:29], -1, 0
	s_mov_b32 s32, 0
	s_and_saveexec_b64 s[4:5], vcc
	s_xor_b64 s[34:35], exec, s[4:5]
	s_cbranch_execz .LBB168_50
; %bb.1:
	s_load_dwordx4 s[40:43], s[22:23], 0x4
	s_load_dwordx2 s[48:49], s[22:23], 0x14
	s_load_dwordx4 s[36:39], s[22:23], 0xc4
	s_load_dwordx2 s[46:47], s[22:23], 0xd4
	s_load_dwordx2 s[44:45], s[22:23], 0x198
	s_load_dwordx4 s[24:27], s[22:23], 0x188
	s_cmp_lg_u32 s33, 0
	s_cselect_b64 s[52:53], -1, 0
	s_min_u32 s57, s56, 15
	s_cmp_gt_u32 s33, 1
	s_cselect_b64 s[50:51], -1, 0
	v_cmp_gt_i32_e32 vcc, s58, v40
	s_and_saveexec_b64 s[54:55], vcc
	s_cbranch_execnz .LBB168_5
; %bb.2:
	s_or_b64 exec, exec, s[54:55]
	v_cmp_gt_i32_e32 vcc, s58, v40
	s_and_saveexec_b64 s[54:55], vcc
	s_cbranch_execnz .LBB168_16
.LBB168_3:
	s_or_b64 exec, exec, s[54:55]
	v_cmp_gt_i32_e32 vcc, s58, v40
	s_and_saveexec_b64 s[54:55], vcc
	s_cbranch_execnz .LBB168_27
.LBB168_4:
	s_or_b64 exec, exec, s[54:55]
	v_cmp_gt_i32_e32 vcc, s58, v40
	s_and_saveexec_b64 s[54:55], vcc
	s_cbranch_execnz .LBB168_38
	s_branch .LBB168_49
.LBB168_5:
	s_andn2_b64 vcc, exec, s[28:29]
	s_cbranch_vccnz .LBB168_12
; %bb.6:
	s_andn2_b64 vcc, exec, s[52:53]
	v_mov_b32_e32 v2, 0
	v_mov_b32_e32 v4, 0
	;; [unrolled: 1-line block ×3, first 2 shown]
	s_cbranch_vccnz .LBB168_11
; %bb.7:
	s_add_i32 s4, s57, 1
	s_and_b32 s6, s4, 30
	s_add_u32 s4, s22, 0xffffffec
	s_addc_u32 s5, s23, -1
	v_mov_b32_e32 v30, 0
	v_mov_b32_e32 v0, v40
	;; [unrolled: 1-line block ×4, first 2 shown]
.LBB168_8:                              ; =>This Inner Loop Header: Depth=1
	s_mov_b64 s[16:17], s[4:5]
	s_load_dwordx4 s[8:11], s[16:17], 0x18
	s_load_dwordx2 s[18:19], s[16:17], 0x28
	s_load_dwordx2 s[20:21], s[16:17], 0xe8
	s_load_dwordx4 s[12:15], s[16:17], 0xd8
	s_add_u32 s4, s16, 24
	s_waitcnt lgkmcnt(0)
	v_mul_hi_u32 v1, s9, v0
	v_add_u32_e32 v1, v0, v1
	v_lshrrev_b32_e32 v1, s10, v1
	v_mul_lo_u32 v3, v1, s8
	v_mul_hi_u32 v5, s18, v1
	v_sub_u32_e32 v0, v0, v3
	v_add_u32_e32 v3, v1, v5
	v_mul_lo_u32 v5, v0, s12
	v_mul_lo_u32 v6, v0, s13
	;; [unrolled: 1-line block ×3, first 2 shown]
	v_lshrrev_b32_e32 v0, s19, v3
	v_mul_lo_u32 v3, v0, s11
	v_sub_u32_e32 v1, v1, v3
	s_addc_u32 s5, s17, 0
	s_add_i32 s6, s6, -2
	v_mul_lo_u32 v3, v1, s15
	v_mul_lo_u32 v8, v1, s20
	;; [unrolled: 1-line block ×3, first 2 shown]
	s_cmp_lg_u32 s6, 0
	v_add3_u32 v30, v5, v30, v3
	v_add3_u32 v2, v7, v2, v1
	;; [unrolled: 1-line block ×3, first 2 shown]
	s_cbranch_scc1 .LBB168_8
; %bb.9:
	s_bitcmp1_b32 s57, 0
	s_cselect_b64 s[6:7], -1, 0
	s_and_b64 vcc, exec, s[6:7]
	s_cbranch_vccnz .LBB168_11
; %bb.10:
	s_load_dwordx2 s[6:7], s[4:5], 0x18
	s_load_dword s10, s[4:5], 0x20
	s_load_dword s11, s[4:5], 0xe0
	s_load_dwordx2 s[8:9], s[4:5], 0xd8
	s_waitcnt lgkmcnt(0)
	v_mul_hi_u32 v1, s7, v0
	v_add_u32_e32 v1, v0, v1
	v_lshrrev_b32_e32 v1, s10, v1
	v_mul_lo_u32 v1, v1, s6
	v_sub_u32_e32 v0, v0, v1
	v_mad_u64_u32 v[30:31], s[4:5], v0, s8, v[30:31]
	v_mad_u64_u32 v[4:5], s[4:5], v0, s9, v[4:5]
	;; [unrolled: 1-line block ×3, first 2 shown]
.LBB168_11:
	s_cbranch_execz .LBB168_13
	s_branch .LBB168_15
.LBB168_12:
                                        ; implicit-def: $vgpr2
                                        ; implicit-def: $vgpr4
                                        ; implicit-def: $vgpr30
.LBB168_13:
	s_waitcnt lgkmcnt(0)
	v_mul_hi_u32 v0, s41, v40
	v_add_u32_e32 v0, v40, v0
	v_lshrrev_b32_e32 v0, s42, v0
	v_mul_lo_u32 v1, v0, s40
	v_sub_u32_e32 v1, v40, v1
	v_mul_lo_u32 v30, v1, s36
	v_mul_lo_u32 v2, v1, s38
	s_andn2_b64 vcc, exec, s[50:51]
	v_mul_lo_u32 v4, v1, s37
	s_cbranch_vccnz .LBB168_15
; %bb.14:
	v_mul_hi_u32 v1, s48, v0
	v_add_u32_e32 v1, v0, v1
	v_lshrrev_b32_e32 v1, s49, v1
	v_mul_lo_u32 v1, v1, s43
	v_sub_u32_e32 v0, v0, v1
	v_mad_u64_u32 v[30:31], s[4:5], v0, s39, v[30:31]
	v_mad_u64_u32 v[4:5], s[4:5], v0, s46, v[4:5]
	;; [unrolled: 1-line block ×3, first 2 shown]
.LBB168_15:
	s_waitcnt lgkmcnt(0)
	global_load_dword v0, v4, s[26:27]
	global_load_dword v1, v2, s[44:45]
	s_getpc_b64 s[4:5]
	s_add_u32 s4, s4, _ZZZZN2at6native33launch_standard_gamma_grad_kernelERNS_18TensorIteratorBaseEENKUlvE_clEvENKUlvE0_clEvENKUlffE_clEff@rel32@lo+4
	s_addc_u32 s5, s5, _ZZZZN2at6native33launch_standard_gamma_grad_kernelERNS_18TensorIteratorBaseEENKUlvE_clEvENKUlvE0_clEvENKUlffE_clEff@rel32@hi+12
	s_swappc_b64 s[30:31], s[4:5]
	v_add_u32_e32 v40, 0x80, v40
	global_store_dword v30, v0, s[24:25]
	s_or_b64 exec, exec, s[54:55]
	v_cmp_gt_i32_e32 vcc, s58, v40
	s_and_saveexec_b64 s[54:55], vcc
	s_cbranch_execz .LBB168_3
.LBB168_16:
	s_andn2_b64 vcc, exec, s[28:29]
	s_cbranch_vccnz .LBB168_23
; %bb.17:
	s_andn2_b64 vcc, exec, s[52:53]
	v_mov_b32_e32 v2, 0
	v_mov_b32_e32 v4, 0
	v_mov_b32_e32 v30, 0
	s_cbranch_vccnz .LBB168_22
; %bb.18:
	s_add_i32 s4, s57, 1
	s_and_b32 s6, s4, 30
	s_add_u32 s4, s22, 0xffffffec
	s_addc_u32 s5, s23, -1
	v_mov_b32_e32 v30, 0
	v_mov_b32_e32 v0, v40
	;; [unrolled: 1-line block ×4, first 2 shown]
.LBB168_19:                             ; =>This Inner Loop Header: Depth=1
	s_mov_b64 s[16:17], s[4:5]
	s_load_dwordx4 s[8:11], s[16:17], 0x18
	s_load_dwordx2 s[18:19], s[16:17], 0x28
	s_load_dwordx2 s[20:21], s[16:17], 0xe8
	s_load_dwordx4 s[12:15], s[16:17], 0xd8
	s_add_u32 s4, s16, 24
	s_waitcnt lgkmcnt(0)
	v_mul_hi_u32 v1, s9, v0
	v_add_u32_e32 v1, v0, v1
	v_lshrrev_b32_e32 v1, s10, v1
	v_mul_lo_u32 v3, v1, s8
	v_mul_hi_u32 v5, s18, v1
	v_sub_u32_e32 v0, v0, v3
	v_add_u32_e32 v3, v1, v5
	v_mul_lo_u32 v5, v0, s12
	v_mul_lo_u32 v6, v0, s13
	;; [unrolled: 1-line block ×3, first 2 shown]
	v_lshrrev_b32_e32 v0, s19, v3
	v_mul_lo_u32 v3, v0, s11
	v_sub_u32_e32 v1, v1, v3
	s_addc_u32 s5, s17, 0
	s_add_i32 s6, s6, -2
	v_mul_lo_u32 v3, v1, s15
	v_mul_lo_u32 v8, v1, s20
	;; [unrolled: 1-line block ×3, first 2 shown]
	s_cmp_eq_u32 s6, 0
	v_add3_u32 v30, v5, v30, v3
	v_add3_u32 v2, v7, v2, v1
	;; [unrolled: 1-line block ×3, first 2 shown]
	s_cbranch_scc0 .LBB168_19
; %bb.20:
	s_bitcmp1_b32 s57, 0
	s_cselect_b64 s[6:7], -1, 0
	s_and_b64 vcc, exec, s[6:7]
	s_cbranch_vccnz .LBB168_22
; %bb.21:
	s_load_dwordx2 s[6:7], s[4:5], 0x18
	s_load_dword s10, s[4:5], 0x20
	s_load_dword s11, s[4:5], 0xe0
	s_load_dwordx2 s[8:9], s[4:5], 0xd8
	s_waitcnt lgkmcnt(0)
	v_mul_hi_u32 v1, s7, v0
	v_add_u32_e32 v1, v0, v1
	v_lshrrev_b32_e32 v1, s10, v1
	v_mul_lo_u32 v1, v1, s6
	v_sub_u32_e32 v0, v0, v1
	v_mad_u64_u32 v[30:31], s[4:5], v0, s8, v[30:31]
	v_mad_u64_u32 v[4:5], s[4:5], v0, s9, v[4:5]
	;; [unrolled: 1-line block ×3, first 2 shown]
.LBB168_22:
	s_cbranch_execz .LBB168_24
	s_branch .LBB168_26
.LBB168_23:
                                        ; implicit-def: $vgpr2
                                        ; implicit-def: $vgpr4
                                        ; implicit-def: $vgpr30
.LBB168_24:
	s_waitcnt lgkmcnt(0)
	v_mul_hi_u32 v0, s41, v40
	v_add_u32_e32 v0, v40, v0
	v_lshrrev_b32_e32 v0, s42, v0
	v_mul_lo_u32 v1, v0, s40
	v_sub_u32_e32 v1, v40, v1
	v_mul_lo_u32 v30, v1, s36
	v_mul_lo_u32 v2, v1, s38
	s_andn2_b64 vcc, exec, s[50:51]
	v_mul_lo_u32 v4, v1, s37
	s_cbranch_vccnz .LBB168_26
; %bb.25:
	v_mul_hi_u32 v1, s48, v0
	v_add_u32_e32 v1, v0, v1
	v_lshrrev_b32_e32 v1, s49, v1
	v_mul_lo_u32 v1, v1, s43
	v_sub_u32_e32 v0, v0, v1
	v_mad_u64_u32 v[30:31], s[4:5], v0, s39, v[30:31]
	v_mad_u64_u32 v[4:5], s[4:5], v0, s46, v[4:5]
	;; [unrolled: 1-line block ×3, first 2 shown]
.LBB168_26:
	s_waitcnt lgkmcnt(0)
	global_load_dword v0, v4, s[26:27]
	global_load_dword v1, v2, s[44:45]
	s_getpc_b64 s[4:5]
	s_add_u32 s4, s4, _ZZZZN2at6native33launch_standard_gamma_grad_kernelERNS_18TensorIteratorBaseEENKUlvE_clEvENKUlvE0_clEvENKUlffE_clEff@rel32@lo+4
	s_addc_u32 s5, s5, _ZZZZN2at6native33launch_standard_gamma_grad_kernelERNS_18TensorIteratorBaseEENKUlvE_clEvENKUlvE0_clEvENKUlffE_clEff@rel32@hi+12
	s_swappc_b64 s[30:31], s[4:5]
	v_add_u32_e32 v40, 0x80, v40
	global_store_dword v30, v0, s[24:25]
	s_or_b64 exec, exec, s[54:55]
	v_cmp_gt_i32_e32 vcc, s58, v40
	s_and_saveexec_b64 s[54:55], vcc
	s_cbranch_execz .LBB168_4
.LBB168_27:
	s_andn2_b64 vcc, exec, s[28:29]
	s_cbranch_vccnz .LBB168_34
; %bb.28:
	s_andn2_b64 vcc, exec, s[52:53]
	v_mov_b32_e32 v2, 0
	v_mov_b32_e32 v4, 0
	;; [unrolled: 1-line block ×3, first 2 shown]
	s_cbranch_vccnz .LBB168_33
; %bb.29:
	s_add_i32 s4, s57, 1
	s_and_b32 s6, s4, 30
	s_add_u32 s4, s22, 0xffffffec
	s_addc_u32 s5, s23, -1
	v_mov_b32_e32 v30, 0
	v_mov_b32_e32 v0, v40
	;; [unrolled: 1-line block ×4, first 2 shown]
.LBB168_30:                             ; =>This Inner Loop Header: Depth=1
	s_mov_b64 s[16:17], s[4:5]
	s_load_dwordx4 s[8:11], s[16:17], 0x18
	s_load_dwordx2 s[18:19], s[16:17], 0x28
	s_load_dwordx2 s[20:21], s[16:17], 0xe8
	s_load_dwordx4 s[12:15], s[16:17], 0xd8
	s_add_u32 s4, s16, 24
	s_waitcnt lgkmcnt(0)
	v_mul_hi_u32 v1, s9, v0
	v_add_u32_e32 v1, v0, v1
	v_lshrrev_b32_e32 v1, s10, v1
	v_mul_lo_u32 v3, v1, s8
	v_mul_hi_u32 v5, s18, v1
	v_sub_u32_e32 v0, v0, v3
	v_add_u32_e32 v3, v1, v5
	v_mul_lo_u32 v5, v0, s12
	v_mul_lo_u32 v6, v0, s13
	;; [unrolled: 1-line block ×3, first 2 shown]
	v_lshrrev_b32_e32 v0, s19, v3
	v_mul_lo_u32 v3, v0, s11
	v_sub_u32_e32 v1, v1, v3
	s_addc_u32 s5, s17, 0
	s_add_i32 s6, s6, -2
	v_mul_lo_u32 v3, v1, s15
	v_mul_lo_u32 v8, v1, s20
	;; [unrolled: 1-line block ×3, first 2 shown]
	s_cmp_eq_u32 s6, 0
	v_add3_u32 v30, v5, v30, v3
	v_add3_u32 v2, v7, v2, v1
	;; [unrolled: 1-line block ×3, first 2 shown]
	s_cbranch_scc0 .LBB168_30
; %bb.31:
	s_bitcmp1_b32 s57, 0
	s_cselect_b64 s[6:7], -1, 0
	s_and_b64 vcc, exec, s[6:7]
	s_cbranch_vccnz .LBB168_33
; %bb.32:
	s_load_dwordx2 s[6:7], s[4:5], 0x18
	s_load_dword s10, s[4:5], 0x20
	s_load_dword s11, s[4:5], 0xe0
	s_load_dwordx2 s[8:9], s[4:5], 0xd8
	s_waitcnt lgkmcnt(0)
	v_mul_hi_u32 v1, s7, v0
	v_add_u32_e32 v1, v0, v1
	v_lshrrev_b32_e32 v1, s10, v1
	v_mul_lo_u32 v1, v1, s6
	v_sub_u32_e32 v0, v0, v1
	v_mad_u64_u32 v[30:31], s[4:5], v0, s8, v[30:31]
	v_mad_u64_u32 v[4:5], s[4:5], v0, s9, v[4:5]
	v_mad_u64_u32 v[2:3], s[4:5], v0, s11, v[2:3]
.LBB168_33:
	s_cbranch_execz .LBB168_35
	s_branch .LBB168_37
.LBB168_34:
                                        ; implicit-def: $vgpr2
                                        ; implicit-def: $vgpr4
                                        ; implicit-def: $vgpr30
.LBB168_35:
	s_waitcnt lgkmcnt(0)
	v_mul_hi_u32 v0, s41, v40
	v_add_u32_e32 v0, v40, v0
	v_lshrrev_b32_e32 v0, s42, v0
	v_mul_lo_u32 v1, v0, s40
	v_sub_u32_e32 v1, v40, v1
	v_mul_lo_u32 v30, v1, s36
	v_mul_lo_u32 v2, v1, s38
	s_andn2_b64 vcc, exec, s[50:51]
	v_mul_lo_u32 v4, v1, s37
	s_cbranch_vccnz .LBB168_37
; %bb.36:
	v_mul_hi_u32 v1, s48, v0
	v_add_u32_e32 v1, v0, v1
	v_lshrrev_b32_e32 v1, s49, v1
	v_mul_lo_u32 v1, v1, s43
	v_sub_u32_e32 v0, v0, v1
	v_mad_u64_u32 v[30:31], s[4:5], v0, s39, v[30:31]
	v_mad_u64_u32 v[4:5], s[4:5], v0, s46, v[4:5]
	;; [unrolled: 1-line block ×3, first 2 shown]
.LBB168_37:
	s_waitcnt lgkmcnt(0)
	global_load_dword v0, v4, s[26:27]
	global_load_dword v1, v2, s[44:45]
	s_getpc_b64 s[4:5]
	s_add_u32 s4, s4, _ZZZZN2at6native33launch_standard_gamma_grad_kernelERNS_18TensorIteratorBaseEENKUlvE_clEvENKUlvE0_clEvENKUlffE_clEff@rel32@lo+4
	s_addc_u32 s5, s5, _ZZZZN2at6native33launch_standard_gamma_grad_kernelERNS_18TensorIteratorBaseEENKUlvE_clEvENKUlvE0_clEvENKUlffE_clEff@rel32@hi+12
	s_swappc_b64 s[30:31], s[4:5]
	v_add_u32_e32 v40, 0x80, v40
	global_store_dword v30, v0, s[24:25]
	s_or_b64 exec, exec, s[54:55]
	v_cmp_gt_i32_e32 vcc, s58, v40
	s_and_saveexec_b64 s[54:55], vcc
	s_cbranch_execz .LBB168_49
.LBB168_38:
	s_andn2_b64 vcc, exec, s[28:29]
	s_cbranch_vccnz .LBB168_45
; %bb.39:
	s_andn2_b64 vcc, exec, s[52:53]
	v_mov_b32_e32 v2, 0
	v_mov_b32_e32 v4, 0
	;; [unrolled: 1-line block ×3, first 2 shown]
	s_cbranch_vccnz .LBB168_44
; %bb.40:
	s_add_i32 s4, s57, 1
	s_and_b32 s6, s4, 30
	s_add_u32 s4, s22, 0xffffffec
	s_addc_u32 s5, s23, -1
	v_mov_b32_e32 v30, 0
	v_mov_b32_e32 v0, v40
	;; [unrolled: 1-line block ×4, first 2 shown]
.LBB168_41:                             ; =>This Inner Loop Header: Depth=1
	s_mov_b64 s[16:17], s[4:5]
	s_load_dwordx4 s[8:11], s[16:17], 0x18
	s_load_dwordx2 s[18:19], s[16:17], 0x28
	s_load_dwordx2 s[20:21], s[16:17], 0xe8
	s_load_dwordx4 s[12:15], s[16:17], 0xd8
	s_add_u32 s4, s16, 24
	s_waitcnt lgkmcnt(0)
	v_mul_hi_u32 v1, s9, v0
	v_add_u32_e32 v1, v0, v1
	v_lshrrev_b32_e32 v1, s10, v1
	v_mul_lo_u32 v3, v1, s8
	v_mul_hi_u32 v5, s18, v1
	v_sub_u32_e32 v0, v0, v3
	v_add_u32_e32 v3, v1, v5
	v_mul_lo_u32 v5, v0, s12
	v_mul_lo_u32 v6, v0, s13
	;; [unrolled: 1-line block ×3, first 2 shown]
	v_lshrrev_b32_e32 v0, s19, v3
	v_mul_lo_u32 v3, v0, s11
	v_sub_u32_e32 v1, v1, v3
	s_addc_u32 s5, s17, 0
	s_add_i32 s6, s6, -2
	v_mul_lo_u32 v3, v1, s15
	v_mul_lo_u32 v8, v1, s20
	;; [unrolled: 1-line block ×3, first 2 shown]
	s_cmp_eq_u32 s6, 0
	v_add3_u32 v30, v5, v30, v3
	v_add3_u32 v2, v7, v2, v1
	;; [unrolled: 1-line block ×3, first 2 shown]
	s_cbranch_scc0 .LBB168_41
; %bb.42:
	s_bitcmp1_b32 s57, 0
	s_cselect_b64 s[6:7], -1, 0
	s_and_b64 vcc, exec, s[6:7]
	s_cbranch_vccnz .LBB168_44
; %bb.43:
	s_load_dwordx2 s[6:7], s[4:5], 0x18
	s_load_dword s10, s[4:5], 0x20
	s_load_dword s11, s[4:5], 0xe0
	s_load_dwordx2 s[8:9], s[4:5], 0xd8
	s_waitcnt lgkmcnt(0)
	v_mul_hi_u32 v1, s7, v0
	v_add_u32_e32 v1, v0, v1
	v_lshrrev_b32_e32 v1, s10, v1
	v_mul_lo_u32 v1, v1, s6
	v_sub_u32_e32 v0, v0, v1
	v_mad_u64_u32 v[30:31], s[4:5], v0, s8, v[30:31]
	v_mad_u64_u32 v[4:5], s[4:5], v0, s9, v[4:5]
	;; [unrolled: 1-line block ×3, first 2 shown]
.LBB168_44:
	s_cbranch_execz .LBB168_46
	s_branch .LBB168_48
.LBB168_45:
                                        ; implicit-def: $vgpr2
                                        ; implicit-def: $vgpr4
                                        ; implicit-def: $vgpr30
.LBB168_46:
	s_waitcnt lgkmcnt(0)
	v_mul_hi_u32 v0, s41, v40
	v_add_u32_e32 v0, v40, v0
	v_lshrrev_b32_e32 v0, s42, v0
	v_mul_lo_u32 v1, v0, s40
	v_sub_u32_e32 v1, v40, v1
	v_mul_lo_u32 v30, v1, s36
	v_mul_lo_u32 v2, v1, s38
	s_andn2_b64 vcc, exec, s[50:51]
	v_mul_lo_u32 v4, v1, s37
	s_cbranch_vccnz .LBB168_48
; %bb.47:
	v_mul_hi_u32 v1, s48, v0
	v_add_u32_e32 v1, v0, v1
	v_lshrrev_b32_e32 v1, s49, v1
	v_mul_lo_u32 v1, v1, s43
	v_sub_u32_e32 v0, v0, v1
	v_mad_u64_u32 v[30:31], s[4:5], v0, s39, v[30:31]
	v_mad_u64_u32 v[4:5], s[4:5], v0, s46, v[4:5]
	;; [unrolled: 1-line block ×3, first 2 shown]
.LBB168_48:
	s_waitcnt lgkmcnt(0)
	global_load_dword v0, v4, s[26:27]
	global_load_dword v1, v2, s[44:45]
	s_getpc_b64 s[4:5]
	s_add_u32 s4, s4, _ZZZZN2at6native33launch_standard_gamma_grad_kernelERNS_18TensorIteratorBaseEENKUlvE_clEvENKUlvE0_clEvENKUlffE_clEff@rel32@lo+4
	s_addc_u32 s5, s5, _ZZZZN2at6native33launch_standard_gamma_grad_kernelERNS_18TensorIteratorBaseEENKUlvE_clEvENKUlvE0_clEvENKUlffE_clEff@rel32@hi+12
	s_swappc_b64 s[30:31], s[4:5]
	global_store_dword v30, v0, s[24:25]
.LBB168_49:
	s_or_b64 exec, exec, s[54:55]
                                        ; implicit-def: $vgpr0
                                        ; implicit-def: $vgpr40
.LBB168_50:
	s_andn2_saveexec_b64 s[4:5], s[34:35]
	s_cbranch_execz .LBB168_57
; %bb.51:
	v_cndmask_b32_e64 v1, 0, 1, s[28:29]
	v_cmp_ne_u32_e64 s[4:5], 1, v1
	s_andn2_b64 vcc, exec, s[28:29]
	s_cbranch_vccnz .LBB168_58
; %bb.52:
	s_cmp_lg_u32 s33, 0
	v_mov_b32_e32 v2, 0
	v_mov_b32_e32 v4, 0
	;; [unrolled: 1-line block ×3, first 2 shown]
	s_cbranch_scc0 .LBB168_59
; %bb.53:
	s_min_u32 s8, s56, 15
	s_add_i32 s6, s8, 1
	s_and_b32 s9, s6, 30
	s_add_u32 s6, s22, 0xffffffec
	s_addc_u32 s7, s23, -1
	v_mov_b32_e32 v34, 0
	v_mov_b32_e32 v1, v40
	;; [unrolled: 1-line block ×4, first 2 shown]
.LBB168_54:                             ; =>This Inner Loop Header: Depth=1
	s_mov_b64 s[10:11], s[6:7]
	s_load_dwordx4 s[12:15], s[10:11], 0x18
	s_load_dwordx2 s[20:21], s[10:11], 0x28
	s_waitcnt lgkmcnt(0)
	s_load_dwordx2 s[24:25], s[10:11], 0xe8
	s_load_dwordx4 s[16:19], s[10:11], 0xd8
	s_add_u32 s6, s10, 24
	v_mul_hi_u32 v3, s13, v1
	v_add_u32_e32 v3, v1, v3
	v_lshrrev_b32_e32 v3, s14, v3
	v_mul_lo_u32 v5, v3, s12
	v_mul_hi_u32 v6, s20, v3
	v_sub_u32_e32 v1, v1, v5
	v_add_u32_e32 v5, v3, v6
	s_waitcnt lgkmcnt(0)
	v_mul_lo_u32 v6, v1, s16
	v_mul_lo_u32 v7, v1, s17
	;; [unrolled: 1-line block ×3, first 2 shown]
	v_lshrrev_b32_e32 v1, s21, v5
	v_mul_lo_u32 v5, v1, s15
	v_sub_u32_e32 v3, v3, v5
	s_addc_u32 s7, s11, 0
	s_add_i32 s9, s9, -2
	v_mul_lo_u32 v5, v3, s19
	v_mul_lo_u32 v9, v3, s24
	;; [unrolled: 1-line block ×3, first 2 shown]
	s_cmp_lg_u32 s9, 0
	v_add3_u32 v34, v6, v34, v5
	v_add3_u32 v2, v8, v2, v3
	;; [unrolled: 1-line block ×3, first 2 shown]
	s_cbranch_scc1 .LBB168_54
; %bb.55:
	s_bitcmp1_b32 s8, 0
	s_cselect_b64 s[8:9], -1, 0
	s_and_b64 vcc, exec, s[8:9]
	s_cbranch_vccnz .LBB168_59
; %bb.56:
	s_load_dwordx2 s[8:9], s[6:7], 0x18
	s_load_dword s12, s[6:7], 0x20
	s_load_dword s13, s[6:7], 0xe0
	s_load_dwordx2 s[10:11], s[6:7], 0xd8
	s_waitcnt lgkmcnt(0)
	v_mul_hi_u32 v3, s9, v1
	v_add_u32_e32 v3, v1, v3
	v_lshrrev_b32_e32 v3, s12, v3
	v_mul_lo_u32 v3, v3, s8
	v_sub_u32_e32 v1, v1, v3
	v_mad_u64_u32 v[34:35], s[6:7], v1, s10, v[34:35]
	v_mad_u64_u32 v[4:5], s[6:7], v1, s11, v[4:5]
	;; [unrolled: 1-line block ×3, first 2 shown]
	s_cbranch_execz .LBB168_60
	s_branch .LBB168_62
.LBB168_57:
	s_endpgm
.LBB168_58:
                                        ; implicit-def: $vgpr2
                                        ; implicit-def: $vgpr4
                                        ; implicit-def: $vgpr34
	s_branch .LBB168_60
.LBB168_59:
	s_cbranch_execnz .LBB168_62
.LBB168_60:
	s_load_dwordx4 s[8:11], s[22:23], 0x4
	s_load_dwordx4 s[12:15], s[22:23], 0xc4
	s_cmp_lt_u32 s33, 2
	s_waitcnt lgkmcnt(0)
	v_mul_hi_u32 v1, s9, v40
	v_add_u32_e32 v1, v40, v1
	v_lshrrev_b32_e32 v1, s10, v1
	v_mul_lo_u32 v2, v1, s8
	v_sub_u32_e32 v3, v40, v2
	v_mul_lo_u32 v34, v3, s12
	v_mul_lo_u32 v2, v3, s14
	;; [unrolled: 1-line block ×3, first 2 shown]
	s_cbranch_scc1 .LBB168_62
; %bb.61:
	s_load_dwordx4 s[8:11], s[22:23], 0x10
	s_load_dwordx4 s[12:15], s[22:23], 0xd0
	s_waitcnt lgkmcnt(0)
	v_mul_hi_u32 v3, s9, v1
	v_add_u32_e32 v3, v1, v3
	v_lshrrev_b32_e32 v3, s10, v3
	v_mul_lo_u32 v3, v3, s8
	v_sub_u32_e32 v1, v1, v3
	v_mad_u64_u32 v[34:35], s[6:7], v1, s12, v[34:35]
	v_mad_u64_u32 v[4:5], s[6:7], v1, s13, v[4:5]
	;; [unrolled: 1-line block ×3, first 2 shown]
.LBB168_62:
	s_and_b64 vcc, exec, s[4:5]
	v_add_u32_e32 v1, 0x80, v40
	s_cbranch_vccnz .LBB168_68
; %bb.63:
	s_cmp_lg_u32 s33, 0
	v_mov_b32_e32 v32, 0
	v_mov_b32_e32 v38, 0
	;; [unrolled: 1-line block ×3, first 2 shown]
	s_cbranch_scc0 .LBB168_69
; %bb.64:
	s_min_u32 s8, s56, 15
	s_add_i32 s6, s8, 1
	s_and_b32 s9, s6, 30
	s_add_u32 s6, s22, 0xffffffec
	s_addc_u32 s7, s23, -1
	v_mov_b32_e32 v36, 0
	v_mov_b32_e32 v3, v1
	;; [unrolled: 1-line block ×4, first 2 shown]
.LBB168_65:                             ; =>This Inner Loop Header: Depth=1
	s_mov_b64 s[10:11], s[6:7]
	s_load_dwordx4 s[12:15], s[10:11], 0x18
	s_load_dwordx2 s[20:21], s[10:11], 0x28
	s_waitcnt lgkmcnt(0)
	s_load_dwordx2 s[24:25], s[10:11], 0xe8
	s_load_dwordx4 s[16:19], s[10:11], 0xd8
	s_add_u32 s6, s10, 24
	v_mul_hi_u32 v5, s13, v3
	v_add_u32_e32 v5, v3, v5
	v_lshrrev_b32_e32 v5, s14, v5
	v_mul_lo_u32 v6, v5, s12
	v_mul_hi_u32 v7, s20, v5
	v_sub_u32_e32 v3, v3, v6
	v_add_u32_e32 v6, v5, v7
	s_waitcnt lgkmcnt(0)
	v_mul_lo_u32 v7, v3, s16
	v_mul_lo_u32 v8, v3, s17
	;; [unrolled: 1-line block ×3, first 2 shown]
	v_lshrrev_b32_e32 v3, s21, v6
	v_mul_lo_u32 v6, v3, s15
	v_sub_u32_e32 v5, v5, v6
	s_addc_u32 s7, s11, 0
	s_add_i32 s9, s9, -2
	v_mul_lo_u32 v6, v5, s19
	v_mul_lo_u32 v10, v5, s24
	;; [unrolled: 1-line block ×3, first 2 shown]
	s_cmp_lg_u32 s9, 0
	v_add3_u32 v36, v7, v36, v6
	v_add3_u32 v32, v9, v32, v5
	;; [unrolled: 1-line block ×3, first 2 shown]
	s_cbranch_scc1 .LBB168_65
; %bb.66:
	s_bitcmp1_b32 s8, 0
	s_cselect_b64 s[8:9], -1, 0
	s_and_b64 vcc, exec, s[8:9]
	s_cbranch_vccnz .LBB168_69
; %bb.67:
	s_load_dwordx2 s[8:9], s[6:7], 0x18
	s_load_dword s12, s[6:7], 0x20
	s_load_dword s13, s[6:7], 0xe0
	s_load_dwordx2 s[10:11], s[6:7], 0xd8
	s_waitcnt lgkmcnt(0)
	v_mul_hi_u32 v5, s9, v3
	v_add_u32_e32 v5, v3, v5
	v_lshrrev_b32_e32 v5, s12, v5
	v_mul_lo_u32 v5, v5, s8
	v_sub_u32_e32 v3, v3, v5
	v_mad_u64_u32 v[36:37], s[6:7], v3, s10, v[36:37]
	v_mad_u64_u32 v[38:39], s[6:7], v3, s11, v[38:39]
	;; [unrolled: 1-line block ×3, first 2 shown]
	s_cbranch_execz .LBB168_70
	s_branch .LBB168_72
.LBB168_68:
                                        ; implicit-def: $vgpr32
                                        ; implicit-def: $vgpr38
                                        ; implicit-def: $vgpr36
	s_branch .LBB168_70
.LBB168_69:
	s_cbranch_execnz .LBB168_72
.LBB168_70:
	s_load_dwordx4 s[8:11], s[22:23], 0x4
	s_load_dwordx4 s[12:15], s[22:23], 0xc4
	s_cmp_lt_u32 s33, 2
	s_waitcnt lgkmcnt(0)
	v_mul_hi_u32 v3, s9, v1
	v_add_u32_e32 v3, v1, v3
	v_lshrrev_b32_e32 v3, s10, v3
	v_mul_lo_u32 v5, v3, s8
	v_sub_u32_e32 v1, v1, v5
	v_mul_lo_u32 v36, v1, s12
	v_mul_lo_u32 v32, v1, s14
	;; [unrolled: 1-line block ×3, first 2 shown]
	s_cbranch_scc1 .LBB168_72
; %bb.71:
	s_load_dwordx4 s[8:11], s[22:23], 0x10
	s_load_dwordx4 s[12:15], s[22:23], 0xd0
	s_waitcnt lgkmcnt(0)
	v_mul_hi_u32 v1, s9, v3
	v_add_u32_e32 v1, v3, v1
	v_lshrrev_b32_e32 v1, s10, v1
	v_mul_lo_u32 v1, v1, s8
	v_sub_u32_e32 v1, v3, v1
	v_mad_u64_u32 v[36:37], s[6:7], v1, s12, v[36:37]
	v_mad_u64_u32 v[38:39], s[6:7], v1, s13, v[38:39]
	;; [unrolled: 1-line block ×3, first 2 shown]
.LBB168_72:
	s_and_b64 vcc, exec, s[4:5]
	v_add_u32_e32 v1, 0x100, v40
	s_cbranch_vccnz .LBB168_78
; %bb.73:
	s_cmp_lg_u32 s33, 0
	v_mov_b32_e32 v42, 0
	v_mov_b32_e32 v44, 0
	;; [unrolled: 1-line block ×3, first 2 shown]
	s_cbranch_scc0 .LBB168_79
; %bb.74:
	s_min_u32 s8, s56, 15
	s_add_i32 s6, s8, 1
	s_and_b32 s9, s6, 30
	s_add_u32 s6, s22, 0xffffffec
	s_addc_u32 s7, s23, -1
	v_mov_b32_e32 v40, 0
	v_mov_b32_e32 v3, v1
	;; [unrolled: 1-line block ×4, first 2 shown]
.LBB168_75:                             ; =>This Inner Loop Header: Depth=1
	s_mov_b64 s[10:11], s[6:7]
	s_load_dwordx4 s[12:15], s[10:11], 0x18
	s_load_dwordx2 s[20:21], s[10:11], 0x28
	s_waitcnt lgkmcnt(0)
	s_load_dwordx2 s[24:25], s[10:11], 0xe8
	s_load_dwordx4 s[16:19], s[10:11], 0xd8
	s_add_u32 s6, s10, 24
	v_mul_hi_u32 v5, s13, v3
	v_add_u32_e32 v5, v3, v5
	v_lshrrev_b32_e32 v5, s14, v5
	v_mul_lo_u32 v6, v5, s12
	v_mul_hi_u32 v7, s20, v5
	v_sub_u32_e32 v3, v3, v6
	v_add_u32_e32 v6, v5, v7
	s_waitcnt lgkmcnt(0)
	v_mul_lo_u32 v7, v3, s16
	v_mul_lo_u32 v8, v3, s17
	;; [unrolled: 1-line block ×3, first 2 shown]
	v_lshrrev_b32_e32 v3, s21, v6
	v_mul_lo_u32 v6, v3, s15
	v_sub_u32_e32 v5, v5, v6
	s_addc_u32 s7, s11, 0
	s_add_i32 s9, s9, -2
	v_mul_lo_u32 v6, v5, s19
	v_mul_lo_u32 v10, v5, s24
	;; [unrolled: 1-line block ×3, first 2 shown]
	s_cmp_lg_u32 s9, 0
	v_add3_u32 v40, v7, v40, v6
	v_add3_u32 v42, v9, v42, v5
	;; [unrolled: 1-line block ×3, first 2 shown]
	s_cbranch_scc1 .LBB168_75
; %bb.76:
	s_bitcmp1_b32 s8, 0
	s_cselect_b64 s[8:9], -1, 0
	s_and_b64 vcc, exec, s[8:9]
	s_cbranch_vccnz .LBB168_79
; %bb.77:
	s_load_dwordx2 s[8:9], s[6:7], 0x18
	s_load_dword s12, s[6:7], 0x20
	s_load_dword s13, s[6:7], 0xe0
	s_load_dwordx2 s[10:11], s[6:7], 0xd8
	s_waitcnt lgkmcnt(0)
	v_mul_hi_u32 v5, s9, v3
	v_add_u32_e32 v5, v3, v5
	v_lshrrev_b32_e32 v5, s12, v5
	v_mul_lo_u32 v5, v5, s8
	v_sub_u32_e32 v3, v3, v5
	v_mad_u64_u32 v[40:41], s[6:7], v3, s10, v[40:41]
	v_mad_u64_u32 v[44:45], s[6:7], v3, s11, v[44:45]
	;; [unrolled: 1-line block ×3, first 2 shown]
	s_cbranch_execz .LBB168_80
	s_branch .LBB168_82
.LBB168_78:
                                        ; implicit-def: $vgpr42
                                        ; implicit-def: $vgpr44
                                        ; implicit-def: $vgpr40
	s_branch .LBB168_80
.LBB168_79:
	s_cbranch_execnz .LBB168_82
.LBB168_80:
	s_load_dwordx4 s[8:11], s[22:23], 0x4
	s_load_dwordx4 s[12:15], s[22:23], 0xc4
	s_cmp_lt_u32 s33, 2
	s_waitcnt lgkmcnt(0)
	v_mul_hi_u32 v3, s9, v1
	v_add_u32_e32 v3, v1, v3
	v_lshrrev_b32_e32 v3, s10, v3
	v_mul_lo_u32 v5, v3, s8
	v_sub_u32_e32 v1, v1, v5
	v_mul_lo_u32 v40, v1, s12
	v_mul_lo_u32 v42, v1, s14
	;; [unrolled: 1-line block ×3, first 2 shown]
	s_cbranch_scc1 .LBB168_82
; %bb.81:
	s_load_dwordx4 s[8:11], s[22:23], 0x10
	s_load_dwordx4 s[12:15], s[22:23], 0xd0
	s_waitcnt lgkmcnt(0)
	v_mul_hi_u32 v1, s9, v3
	v_add_u32_e32 v1, v3, v1
	v_lshrrev_b32_e32 v1, s10, v1
	v_mul_lo_u32 v1, v1, s8
	v_sub_u32_e32 v1, v3, v1
	v_mad_u64_u32 v[40:41], s[6:7], v1, s12, v[40:41]
	v_mad_u64_u32 v[44:45], s[6:7], v1, s13, v[44:45]
	;; [unrolled: 1-line block ×3, first 2 shown]
.LBB168_82:
	s_and_b64 vcc, exec, s[4:5]
	s_cbranch_vccnz .LBB168_88
; %bb.83:
	s_cmp_lg_u32 s33, 0
	v_mov_b32_e32 v48, 0
	v_mov_b32_e32 v50, 0
	;; [unrolled: 1-line block ×3, first 2 shown]
	s_cbranch_scc0 .LBB168_89
; %bb.84:
	s_min_u32 s6, s56, 15
	s_add_i32 s4, s6, 1
	s_and_b32 s7, s4, 30
	s_add_u32 s4, s22, 0xffffffec
	s_addc_u32 s5, s23, -1
	v_mov_b32_e32 v46, 0
	v_mov_b32_e32 v1, v0
	v_mov_b32_e32 v50, 0
	v_mov_b32_e32 v48, 0
.LBB168_85:                             ; =>This Inner Loop Header: Depth=1
	s_mov_b64 s[16:17], s[4:5]
	s_load_dwordx4 s[8:11], s[16:17], 0x18
	s_load_dwordx2 s[18:19], s[16:17], 0x28
	s_load_dwordx2 s[20:21], s[16:17], 0xe8
	s_load_dwordx4 s[12:15], s[16:17], 0xd8
	s_add_u32 s4, s16, 24
	s_waitcnt lgkmcnt(0)
	v_mul_hi_u32 v3, s9, v1
	v_add_u32_e32 v3, v1, v3
	v_lshrrev_b32_e32 v3, s10, v3
	v_mul_lo_u32 v5, v3, s8
	v_mul_hi_u32 v6, s18, v3
	v_sub_u32_e32 v1, v1, v5
	v_add_u32_e32 v5, v3, v6
	v_mul_lo_u32 v6, v1, s12
	v_mul_lo_u32 v7, v1, s13
	;; [unrolled: 1-line block ×3, first 2 shown]
	v_lshrrev_b32_e32 v1, s19, v5
	v_mul_lo_u32 v5, v1, s11
	v_sub_u32_e32 v3, v3, v5
	s_addc_u32 s5, s17, 0
	s_add_i32 s7, s7, -2
	v_mul_lo_u32 v5, v3, s15
	v_mul_lo_u32 v9, v3, s20
	;; [unrolled: 1-line block ×3, first 2 shown]
	s_cmp_lg_u32 s7, 0
	v_add3_u32 v46, v6, v46, v5
	v_add3_u32 v48, v8, v48, v3
	;; [unrolled: 1-line block ×3, first 2 shown]
	s_cbranch_scc1 .LBB168_85
; %bb.86:
	s_bitcmp1_b32 s6, 0
	s_cselect_b64 s[6:7], -1, 0
	s_and_b64 vcc, exec, s[6:7]
	s_cbranch_vccnz .LBB168_89
; %bb.87:
	s_load_dwordx2 s[6:7], s[4:5], 0x18
	s_load_dword s10, s[4:5], 0x20
	s_load_dword s11, s[4:5], 0xe0
	s_load_dwordx2 s[8:9], s[4:5], 0xd8
	s_waitcnt lgkmcnt(0)
	v_mul_hi_u32 v3, s7, v1
	v_add_u32_e32 v3, v1, v3
	v_lshrrev_b32_e32 v3, s10, v3
	v_mul_lo_u32 v3, v3, s6
	v_sub_u32_e32 v1, v1, v3
	v_mad_u64_u32 v[46:47], s[4:5], v1, s8, v[46:47]
	v_mad_u64_u32 v[50:51], s[4:5], v1, s9, v[50:51]
	;; [unrolled: 1-line block ×3, first 2 shown]
	s_cbranch_execz .LBB168_90
	s_branch .LBB168_92
.LBB168_88:
                                        ; implicit-def: $vgpr48
                                        ; implicit-def: $vgpr50
                                        ; implicit-def: $vgpr46
	s_branch .LBB168_90
.LBB168_89:
	s_cbranch_execnz .LBB168_92
.LBB168_90:
	s_load_dwordx4 s[4:7], s[22:23], 0x4
	s_load_dwordx4 s[8:11], s[22:23], 0xc4
	s_cmp_lt_u32 s33, 2
	s_waitcnt lgkmcnt(0)
	v_mul_hi_u32 v1, s5, v0
	v_add_u32_e32 v1, v0, v1
	v_lshrrev_b32_e32 v1, s6, v1
	v_mul_lo_u32 v3, v1, s4
	v_sub_u32_e32 v0, v0, v3
	v_mul_lo_u32 v46, v0, s8
	v_mul_lo_u32 v48, v0, s10
	;; [unrolled: 1-line block ×3, first 2 shown]
	s_cbranch_scc1 .LBB168_92
; %bb.91:
	s_load_dwordx4 s[4:7], s[22:23], 0x10
	s_load_dwordx4 s[8:11], s[22:23], 0xd0
	s_waitcnt lgkmcnt(0)
	v_mul_hi_u32 v0, s5, v1
	v_add_u32_e32 v0, v1, v0
	v_lshrrev_b32_e32 v0, s6, v0
	v_mul_lo_u32 v0, v0, s4
	v_sub_u32_e32 v0, v1, v0
	v_mad_u64_u32 v[46:47], s[4:5], v0, s8, v[46:47]
	v_mad_u64_u32 v[50:51], s[4:5], v0, s9, v[50:51]
	;; [unrolled: 1-line block ×3, first 2 shown]
.LBB168_92:
	s_waitcnt lgkmcnt(0)
	s_load_dwordx4 s[24:27], s[22:23], 0x188
	s_load_dwordx2 s[28:29], s[22:23], 0x198
	s_getpc_b64 s[22:23]
	s_add_u32 s22, s22, _ZZZZN2at6native33launch_standard_gamma_grad_kernelERNS_18TensorIteratorBaseEENKUlvE_clEvENKUlvE0_clEvENKUlffE_clEff@rel32@lo+4
	s_addc_u32 s23, s23, _ZZZZN2at6native33launch_standard_gamma_grad_kernelERNS_18TensorIteratorBaseEENKUlvE_clEvENKUlvE0_clEvENKUlffE_clEff@rel32@hi+12
	s_waitcnt lgkmcnt(0)
	global_load_dword v0, v4, s[26:27]
	global_load_dword v1, v2, s[28:29]
	s_swappc_b64 s[30:31], s[22:23]
	v_mov_b32_e32 v30, v0
	global_load_dword v0, v38, s[26:27]
	global_load_dword v1, v32, s[28:29]
	s_swappc_b64 s[30:31], s[22:23]
	v_mov_b32_e32 v31, v0
	;; [unrolled: 4-line block ×3, first 2 shown]
	global_load_dword v0, v50, s[26:27]
	global_load_dword v1, v48, s[28:29]
	s_swappc_b64 s[30:31], s[22:23]
	global_store_dword v34, v30, s[24:25]
	global_store_dword v36, v31, s[24:25]
	;; [unrolled: 1-line block ×4, first 2 shown]
	s_endpgm
	.section	.rodata,"a",@progbits
	.p2align	6, 0x0
	.amdhsa_kernel _ZN2at6native32elementwise_kernel_manual_unrollILi128ELi4EZNS0_22gpu_kernel_impl_nocastIZZZNS0_33launch_standard_gamma_grad_kernelERNS_18TensorIteratorBaseEENKUlvE_clEvENKUlvE0_clEvEUlffE_EEvS4_RKT_EUlibE_EEviT1_
		.amdhsa_group_segment_fixed_size 0
		.amdhsa_private_segment_fixed_size 0
		.amdhsa_kernarg_size 432
		.amdhsa_user_sgpr_count 8
		.amdhsa_user_sgpr_private_segment_buffer 1
		.amdhsa_user_sgpr_dispatch_ptr 0
		.amdhsa_user_sgpr_queue_ptr 0
		.amdhsa_user_sgpr_kernarg_segment_ptr 1
		.amdhsa_user_sgpr_dispatch_id 0
		.amdhsa_user_sgpr_flat_scratch_init 1
		.amdhsa_user_sgpr_kernarg_preload_length 0
		.amdhsa_user_sgpr_kernarg_preload_offset 0
		.amdhsa_user_sgpr_private_segment_size 0
		.amdhsa_uses_dynamic_stack 0
		.amdhsa_system_sgpr_private_segment_wavefront_offset 0
		.amdhsa_system_sgpr_workgroup_id_x 1
		.amdhsa_system_sgpr_workgroup_id_y 0
		.amdhsa_system_sgpr_workgroup_id_z 0
		.amdhsa_system_sgpr_workgroup_info 0
		.amdhsa_system_vgpr_workitem_id 0
		.amdhsa_next_free_vgpr 52
		.amdhsa_next_free_sgpr 59
		.amdhsa_accum_offset 52
		.amdhsa_reserve_vcc 1
		.amdhsa_reserve_flat_scratch 1
		.amdhsa_float_round_mode_32 0
		.amdhsa_float_round_mode_16_64 0
		.amdhsa_float_denorm_mode_32 3
		.amdhsa_float_denorm_mode_16_64 3
		.amdhsa_dx10_clamp 1
		.amdhsa_ieee_mode 1
		.amdhsa_fp16_overflow 0
		.amdhsa_tg_split 0
		.amdhsa_exception_fp_ieee_invalid_op 0
		.amdhsa_exception_fp_denorm_src 0
		.amdhsa_exception_fp_ieee_div_zero 0
		.amdhsa_exception_fp_ieee_overflow 0
		.amdhsa_exception_fp_ieee_underflow 0
		.amdhsa_exception_fp_ieee_inexact 0
		.amdhsa_exception_int_div_zero 0
	.end_amdhsa_kernel
	.section	.text._ZN2at6native32elementwise_kernel_manual_unrollILi128ELi4EZNS0_22gpu_kernel_impl_nocastIZZZNS0_33launch_standard_gamma_grad_kernelERNS_18TensorIteratorBaseEENKUlvE_clEvENKUlvE0_clEvEUlffE_EEvS4_RKT_EUlibE_EEviT1_,"axG",@progbits,_ZN2at6native32elementwise_kernel_manual_unrollILi128ELi4EZNS0_22gpu_kernel_impl_nocastIZZZNS0_33launch_standard_gamma_grad_kernelERNS_18TensorIteratorBaseEENKUlvE_clEvENKUlvE0_clEvEUlffE_EEvS4_RKT_EUlibE_EEviT1_,comdat
.Lfunc_end168:
	.size	_ZN2at6native32elementwise_kernel_manual_unrollILi128ELi4EZNS0_22gpu_kernel_impl_nocastIZZZNS0_33launch_standard_gamma_grad_kernelERNS_18TensorIteratorBaseEENKUlvE_clEvENKUlvE0_clEvEUlffE_EEvS4_RKT_EUlibE_EEviT1_, .Lfunc_end168-_ZN2at6native32elementwise_kernel_manual_unrollILi128ELi4EZNS0_22gpu_kernel_impl_nocastIZZZNS0_33launch_standard_gamma_grad_kernelERNS_18TensorIteratorBaseEENKUlvE_clEvENKUlvE0_clEvEUlffE_EEvS4_RKT_EUlibE_EEviT1_
                                        ; -- End function
	.section	.AMDGPU.csdata,"",@progbits
; Kernel info:
; codeLenInByte = 4768
; NumSgprs: 65
; NumVgprs: 52
; NumAgprs: 0
; TotalNumVgprs: 52
; ScratchSize: 0
; MemoryBound: 0
; FloatMode: 240
; IeeeMode: 1
; LDSByteSize: 0 bytes/workgroup (compile time only)
; SGPRBlocks: 8
; VGPRBlocks: 6
; NumSGPRsForWavesPerEU: 65
; NumVGPRsForWavesPerEU: 52
; AccumOffset: 52
; Occupancy: 8
; WaveLimiterHint : 1
; COMPUTE_PGM_RSRC2:SCRATCH_EN: 0
; COMPUTE_PGM_RSRC2:USER_SGPR: 8
; COMPUTE_PGM_RSRC2:TRAP_HANDLER: 0
; COMPUTE_PGM_RSRC2:TGID_X_EN: 1
; COMPUTE_PGM_RSRC2:TGID_Y_EN: 0
; COMPUTE_PGM_RSRC2:TGID_Z_EN: 0
; COMPUTE_PGM_RSRC2:TIDIG_COMP_CNT: 0
; COMPUTE_PGM_RSRC3_GFX90A:ACCUM_OFFSET: 12
; COMPUTE_PGM_RSRC3_GFX90A:TG_SPLIT: 0
	.text
	.p2align	2                               ; -- Begin function _ZN2at6native25elementwise_kernel_helperILb1EZZZNS0_33launch_standard_gamma_grad_kernelERNS_18TensorIteratorBaseEENKUlvE_clEvENKUlvE0_clEvEUlffE_NS0_6memory8policies11unroll_baseILi512ESt5arrayIPcLm3EE23TrivialOffsetCalculatorILi2EjESD_ILi1EjENS7_12LoadWithCastILi2EEENS7_13StoreWithCastILi1EEELi32ELi1EEEEEvT0_T1_
	.type	_ZN2at6native25elementwise_kernel_helperILb1EZZZNS0_33launch_standard_gamma_grad_kernelERNS_18TensorIteratorBaseEENKUlvE_clEvENKUlvE0_clEvEUlffE_NS0_6memory8policies11unroll_baseILi512ESt5arrayIPcLm3EE23TrivialOffsetCalculatorILi2EjESD_ILi1EjENS7_12LoadWithCastILi2EEENS7_13StoreWithCastILi1EEELi32ELi1EEEEEvT0_T1_,@function
_ZN2at6native25elementwise_kernel_helperILb1EZZZNS0_33launch_standard_gamma_grad_kernelERNS_18TensorIteratorBaseEENKUlvE_clEvENKUlvE0_clEvEUlffE_NS0_6memory8policies11unroll_baseILi512ESt5arrayIPcLm3EE23TrivialOffsetCalculatorILi2EjESD_ILi1EjENS7_12LoadWithCastILi2EEENS7_13StoreWithCastILi1EEELi32ELi1EEEEEvT0_T1_: ; @_ZN2at6native25elementwise_kernel_helperILb1EZZZNS0_33launch_standard_gamma_grad_kernelERNS_18TensorIteratorBaseEENKUlvE_clEvENKUlvE0_clEvEUlffE_NS0_6memory8policies11unroll_baseILi512ESt5arrayIPcLm3EE23TrivialOffsetCalculatorILi2EjESD_ILi1EjENS7_12LoadWithCastILi2EEENS7_13StoreWithCastILi1EEELi32ELi1EEEEEvT0_T1_
; %bb.0:
	s_waitcnt vmcnt(0) expcnt(0) lgkmcnt(0)
	s_mov_b32 s4, s33
	s_mov_b32 s33, s32
	s_or_saveexec_b64 s[6:7], -1
	buffer_store_dword v74, off, s[0:3], s33 offset:256 ; 4-byte Folded Spill
	buffer_store_dword v75, off, s[0:3], s33 offset:260 ; 4-byte Folded Spill
	;; [unrolled: 1-line block ×5, first 2 shown]
	s_mov_b64 exec, s[6:7]
	v_writelane_b32 v75, s4, 2
	v_accvgpr_write_b32 a0, v40             ;  Reload Reuse
	s_addk_i32 s32, 0x4800
	v_accvgpr_write_b32 a1, v41             ;  Reload Reuse
	v_accvgpr_write_b32 a2, v42             ;  Reload Reuse
	;; [unrolled: 1-line block ×9, first 2 shown]
	v_accvgpr_write_b32 a10, v58            ;  Reload Reuse
	v_accvgpr_write_b32 a11, v59            ;  Reload Reuse
	;; [unrolled: 1-line block ×8, first 2 shown]
	v_writelane_b32 v74, s34, 0
	v_writelane_b32 v74, s35, 1
	;; [unrolled: 1-line block ×66, first 2 shown]
	s_load_dword s4, s[8:9], 0x10
	s_load_dword s6, s[8:9], 0x0
	s_mov_b32 s5, 0
                                        ; implicit-def: $vgpr78 : SGPR spill to VGPR lane
	v_and_b32_e32 v31, 0x3ff, v31
	v_writelane_b32 v78, s5, 0
	s_waitcnt lgkmcnt(0)
	s_lshr_b32 s4, s4, 16
	s_cmp_lg_u32 s4, 0
	s_cselect_b64 s[4:5], -1, 0
	s_not_b32 s7, s12
	s_cmp_lg_u64 s[4:5], 0
	s_addc_u32 s4, s6, s7
	s_lshl_b32 s4, s4, 14
	v_mov_b32_e32 v63, v12
	v_mov_b32_e32 v62, v11
	;; [unrolled: 1-line block ×6, first 2 shown]
	v_writelane_b32 v78, s4, 1
	s_mov_b64 s[4:5], 0
	v_lshrrev_b32_e64 v11, 6, s33
	v_mov_b32_e32 v12, 10
	v_mov_b32_e32 v13, 25
	;; [unrolled: 1-line block ×30, first 2 shown]
	buffer_store_dword v6, off, s[0:3], s33 offset:4
	buffer_store_dword v6, off, s[0:3], s33
	buffer_store_dword v6, off, s[0:3], s33 offset:12
	buffer_store_dword v6, off, s[0:3], s33 offset:8
	;; [unrolled: 1-line block ×62, first 2 shown]
                                        ; implicit-def: $sgpr6_sgpr7
                                        ; implicit-def: $sgpr8_sgpr9
                                        ; implicit-def: $sgpr10_sgpr11
                                        ; implicit-def: $sgpr12_sgpr13
	s_branch .LBB169_17
.LBB169_1:                              ;   in Loop: Header=BB169_17 Depth=1
	s_or_b64 exec, exec, vcc
	v_readlane_b32 vcc_lo, v78, 38
	v_readlane_b32 vcc_hi, v78, 39
	s_andn2_b64 vcc, vcc, exec
	s_and_b64 s[60:61], s[68:69], exec
	s_or_b64 vcc, vcc, s[60:61]
	v_writelane_b32 v78, vcc_lo, 38
	v_writelane_b32 v78, vcc_hi, 39
	v_readlane_b32 vcc_lo, v78, 44
	v_readlane_b32 vcc_hi, v78, 45
	s_andn2_b64 vcc, vcc, exec
	s_and_b64 s[60:61], s[66:67], exec
	s_or_b64 s[62:63], vcc, s[60:61]
	v_readlane_b32 vcc_lo, v78, 46
	v_readlane_b32 vcc_hi, v78, 47
	s_orn2_b64 vcc, vcc, exec
	v_writelane_b32 v78, vcc_lo, 36
	v_writelane_b32 v78, vcc_hi, 37
.LBB169_2:                              ;   in Loop: Header=BB169_17 Depth=1
	s_or_b64 exec, exec, s[96:97]
	v_readlane_b32 vcc_lo, v78, 28
	v_readlane_b32 s60, v78, 38
	v_readlane_b32 vcc_hi, v78, 29
	v_readlane_b32 s61, v78, 39
	s_andn2_b64 vcc, vcc, exec
	s_and_b64 s[60:61], s[60:61], exec
	s_or_b64 vcc, vcc, s[60:61]
	v_writelane_b32 v78, vcc_lo, 28
	v_writelane_b32 v78, vcc_hi, 29
	v_readlane_b32 vcc_lo, v78, 30
	v_readlane_b32 vcc_hi, v78, 31
	s_andn2_b64 vcc, vcc, exec
	s_and_b64 s[60:61], s[62:63], exec
	s_or_b64 vcc, vcc, s[60:61]
	v_writelane_b32 v78, vcc_lo, 30
	v_writelane_b32 v78, vcc_hi, 31
	v_readlane_b32 vcc_lo, v78, 36
	v_readlane_b32 vcc_hi, v78, 37
	s_orn2_b64 s[96:97], vcc, exec
.LBB169_3:                              ;   in Loop: Header=BB169_17 Depth=1
	s_or_b64 exec, exec, s[94:95]
	v_readlane_b32 vcc_lo, v78, 22
	v_readlane_b32 s60, v78, 28
	v_readlane_b32 vcc_hi, v78, 23
	v_readlane_b32 s61, v78, 29
	s_andn2_b64 vcc, vcc, exec
	s_and_b64 s[60:61], s[60:61], exec
	s_or_b64 vcc, vcc, s[60:61]
	v_writelane_b32 v78, vcc_lo, 22
	v_writelane_b32 v78, vcc_hi, 23
	v_readlane_b32 vcc_lo, v78, 26
	v_readlane_b32 s60, v78, 30
	v_readlane_b32 vcc_hi, v78, 27
	v_readlane_b32 s61, v78, 31
	s_andn2_b64 vcc, vcc, exec
	s_and_b64 s[60:61], s[60:61], exec
	s_or_b64 s[62:63], vcc, s[60:61]
	s_orn2_b64 s[90:91], s[96:97], exec
.LBB169_4:                              ;   in Loop: Header=BB169_17 Depth=1
	s_or_b64 exec, exec, s[88:89]
	v_readlane_b32 vcc_lo, v78, 18
	v_readlane_b32 s60, v78, 22
	v_readlane_b32 vcc_hi, v78, 19
	v_readlane_b32 s61, v78, 23
	s_andn2_b64 vcc, vcc, exec
	s_and_b64 s[60:61], s[60:61], exec
	s_or_b64 vcc, vcc, s[60:61]
	v_writelane_b32 v78, vcc_lo, 18
	v_writelane_b32 v78, vcc_hi, 19
	v_readlane_b32 vcc_lo, v78, 20
	v_readlane_b32 vcc_hi, v78, 21
	s_andn2_b64 vcc, vcc, exec
	s_and_b64 s[60:61], s[62:63], exec
	s_or_b64 s[62:63], vcc, s[60:61]
	s_orn2_b64 s[84:85], s[90:91], exec
.LBB169_5:                              ;   in Loop: Header=BB169_17 Depth=1
	s_or_b64 exec, exec, s[82:83]
	v_readlane_b32 vcc_lo, v78, 14
	v_readlane_b32 s60, v78, 18
	v_readlane_b32 vcc_hi, v78, 15
	v_readlane_b32 s61, v78, 19
	s_andn2_b64 vcc, vcc, exec
	s_and_b64 s[60:61], s[60:61], exec
	s_or_b64 vcc, vcc, s[60:61]
	v_writelane_b32 v78, vcc_lo, 14
	v_writelane_b32 v78, vcc_hi, 15
	v_readlane_b32 vcc_lo, v78, 16
	v_readlane_b32 vcc_hi, v78, 17
	s_andn2_b64 vcc, vcc, exec
	s_and_b64 s[60:61], s[62:63], exec
	s_or_b64 s[62:63], vcc, s[60:61]
	s_orn2_b64 s[78:79], s[84:85], exec
.LBB169_6:                              ;   in Loop: Header=BB169_17 Depth=1
	v_readlane_b32 vcc_lo, v78, 12
	v_readlane_b32 vcc_hi, v78, 13
	s_or_b64 exec, exec, vcc
	v_readlane_b32 vcc_lo, v78, 8
	v_readlane_b32 s60, v78, 14
	v_readlane_b32 vcc_hi, v78, 9
	v_readlane_b32 s61, v78, 15
	s_andn2_b64 vcc, vcc, exec
	s_and_b64 s[60:61], s[60:61], exec
	s_or_b64 vcc, vcc, s[60:61]
	v_writelane_b32 v78, vcc_lo, 8
	v_writelane_b32 v78, vcc_hi, 9
	v_readlane_b32 vcc_lo, v78, 10
	v_readlane_b32 vcc_hi, v78, 11
	s_andn2_b64 vcc, vcc, exec
	s_and_b64 s[60:61], s[62:63], exec
	s_or_b64 s[62:63], vcc, s[60:61]
	s_orn2_b64 s[72:73], s[78:79], exec
.LBB169_7:                              ;   in Loop: Header=BB169_17 Depth=1
	v_readlane_b32 vcc_lo, v78, 6
	v_readlane_b32 vcc_hi, v78, 7
	s_or_b64 exec, exec, vcc
	v_readlane_b32 vcc_lo, v78, 2
	v_readlane_b32 s60, v78, 8
	v_readlane_b32 vcc_hi, v78, 3
	v_readlane_b32 s61, v78, 9
	s_andn2_b64 vcc, vcc, exec
	s_and_b64 s[60:61], s[60:61], exec
	s_or_b64 vcc, vcc, s[60:61]
	v_writelane_b32 v78, vcc_lo, 2
	v_writelane_b32 v78, vcc_hi, 3
	v_readlane_b32 vcc_lo, v78, 4
	v_readlane_b32 vcc_hi, v78, 5
	s_andn2_b64 vcc, vcc, exec
	s_and_b64 s[60:61], s[62:63], exec
	s_or_b64 s[60:61], vcc, s[60:61]
	s_orn2_b64 s[66:67], s[72:73], exec
.LBB169_8:                              ;   in Loop: Header=BB169_17 Depth=1
	s_or_b64 exec, exec, s[64:65]
	s_andn2_b64 vcc, s[56:57], exec
	v_readlane_b32 s56, v78, 2
	v_readlane_b32 s57, v78, 3
	s_and_b64 s[56:57], s[56:57], exec
	s_or_b64 s[56:57], vcc, s[56:57]
	s_andn2_b64 vcc, s[54:55], exec
	s_and_b64 s[54:55], s[60:61], exec
	s_or_b64 s[54:55], vcc, s[54:55]
	s_orn2_b64 s[60:61], s[66:67], exec
.LBB169_9:                              ;   in Loop: Header=BB169_17 Depth=1
	s_or_b64 exec, exec, s[58:59]
	s_andn2_b64 vcc, s[50:51], exec
	s_and_b64 s[50:51], s[56:57], exec
	s_or_b64 s[50:51], vcc, s[50:51]
	s_andn2_b64 vcc, s[48:49], exec
	s_and_b64 s[48:49], s[54:55], exec
	s_or_b64 s[48:49], vcc, s[48:49]
	s_orn2_b64 s[54:55], s[60:61], exec
.LBB169_10:                             ;   in Loop: Header=BB169_17 Depth=1
	s_or_b64 exec, exec, s[52:53]
	s_andn2_b64 vcc, s[44:45], exec
	s_and_b64 s[44:45], s[50:51], exec
	s_or_b64 s[44:45], vcc, s[44:45]
	s_andn2_b64 vcc, s[42:43], exec
	s_and_b64 s[42:43], s[48:49], exec
	s_or_b64 s[42:43], vcc, s[42:43]
	s_orn2_b64 s[48:49], s[54:55], exec
.LBB169_11:                             ;   in Loop: Header=BB169_17 Depth=1
	s_or_b64 exec, exec, s[46:47]
	s_andn2_b64 vcc, s[38:39], exec
	s_and_b64 s[38:39], s[44:45], exec
	s_or_b64 s[38:39], vcc, s[38:39]
	s_andn2_b64 vcc, s[36:37], exec
	s_and_b64 s[36:37], s[42:43], exec
	s_or_b64 s[36:37], vcc, s[36:37]
	s_orn2_b64 s[42:43], s[48:49], exec
.LBB169_12:                             ;   in Loop: Header=BB169_17 Depth=1
	s_or_b64 exec, exec, s[40:41]
	s_andn2_b64 vcc, s[30:31], exec
	s_and_b64 s[30:31], s[38:39], exec
	s_or_b64 s[30:31], vcc, s[30:31]
	s_andn2_b64 s[28:29], s[28:29], exec
	s_and_b64 vcc, s[36:37], exec
	s_or_b64 s[28:29], s[28:29], vcc
	s_orn2_b64 s[36:37], s[42:43], exec
.LBB169_13:                             ;   in Loop: Header=BB169_17 Depth=1
	s_or_b64 exec, exec, s[34:35]
	s_andn2_b64 s[24:25], s[24:25], exec
	s_and_b64 vcc, s[30:31], exec
	s_andn2_b64 s[22:23], s[22:23], exec
	s_and_b64 s[28:29], s[28:29], exec
	s_or_b64 s[24:25], s[24:25], vcc
	s_or_b64 s[22:23], s[22:23], s[28:29]
	s_orn2_b64 s[28:29], s[36:37], exec
.LBB169_14:                             ;   in Loop: Header=BB169_17 Depth=1
	s_or_b64 exec, exec, s[26:27]
	s_andn2_b64 s[18:19], s[18:19], exec
	s_and_b64 s[24:25], s[24:25], exec
	s_andn2_b64 s[16:17], s[16:17], exec
	s_and_b64 s[22:23], s[22:23], exec
	s_or_b64 s[18:19], s[18:19], s[24:25]
	s_or_b64 s[16:17], s[16:17], s[22:23]
	s_orn2_b64 s[22:23], s[28:29], exec
.LBB169_15:                             ;   in Loop: Header=BB169_17 Depth=1
	s_or_b64 exec, exec, s[20:21]
	s_andn2_b64 s[12:13], s[12:13], exec
	s_and_b64 s[18:19], s[18:19], exec
	s_andn2_b64 s[10:11], s[10:11], exec
	s_and_b64 s[16:17], s[16:17], exec
	s_or_b64 s[12:13], s[12:13], s[18:19]
	s_or_b64 s[10:11], s[10:11], s[16:17]
	s_orn2_b64 s[16:17], s[22:23], exec
.LBB169_16:                             ;   in Loop: Header=BB169_17 Depth=1
	s_or_b64 exec, exec, s[14:15]
	s_and_b64 s[14:15], exec, s[16:17]
	s_or_b64 s[4:5], s[14:15], s[4:5]
	s_andn2_b64 s[8:9], s[8:9], exec
	s_and_b64 s[14:15], s[12:13], exec
	s_or_b64 s[8:9], s[8:9], s[14:15]
	s_andn2_b64 s[6:7], s[6:7], exec
	s_and_b64 s[14:15], s[10:11], exec
	s_or_b64 s[6:7], s[6:7], s[14:15]
	s_andn2_b64 exec, exec, s[4:5]
	s_cbranch_execz .LBB169_3650
.LBB169_17:                             ; =>This Inner Loop Header: Depth=1
	v_cmp_lt_i32_e32 vcc, v51, v72
	s_mov_b64 s[16:17], -1
	s_mov_b64 s[18:19], -1
                                        ; implicit-def: $sgpr20_sgpr21
                                        ; implicit-def: $sgpr22_sgpr23
	s_and_saveexec_b64 s[14:15], vcc
	s_cbranch_execz .LBB169_127
; %bb.18:                               ;   in Loop: Header=BB169_17 Depth=1
	v_readlane_b32 s18, v78, 1
	s_waitcnt vmcnt(0) lgkmcnt(0)
	v_add_u32_e32 v52, s18, v51
	v_mul_lo_u32 v0, v52, v9
	v_add_co_u32_e32 v0, vcc, v2, v0
	v_addc_co_u32_e32 v1, vcc, 0, v3, vcc
	v_cmp_gt_i16_sdwa s[22:23], v7, v12 src0_sel:BYTE_0 src1_sel:DWORD
	s_mov_b64 s[24:25], 0
                                        ; implicit-def: $sgpr18_sgpr19
                                        ; implicit-def: $sgpr20_sgpr21
                                        ; implicit-def: $vgpr54
	s_and_saveexec_b64 s[26:27], s[22:23]
	s_xor_b64 s[22:23], exec, s[26:27]
	s_cbranch_execnz .LBB169_21
; %bb.19:                               ;   in Loop: Header=BB169_17 Depth=1
	s_andn2_saveexec_b64 s[22:23], s[22:23]
	s_cbranch_execnz .LBB169_80
.LBB169_20:                             ;   in Loop: Header=BB169_17 Depth=1
	s_or_b64 exec, exec, s[22:23]
	s_mov_b64 s[26:27], 0
	s_and_saveexec_b64 s[22:23], s[24:25]
	s_cbranch_execnz .LBB169_121
	s_branch .LBB169_126
.LBB169_21:                             ;   in Loop: Header=BB169_17 Depth=1
	v_cmp_gt_i16_sdwa s[18:19], v7, v13 src0_sel:BYTE_0 src1_sel:DWORD
                                        ; implicit-def: $sgpr26_sgpr27
                                        ; implicit-def: $sgpr20_sgpr21
                                        ; implicit-def: $vgpr54
	s_and_saveexec_b64 s[28:29], s[18:19]
	s_xor_b64 s[18:19], exec, s[28:29]
	s_cbranch_execz .LBB169_53
; %bb.22:                               ;   in Loop: Header=BB169_17 Depth=1
	v_cmp_gt_i16_sdwa s[28:29], v7, v14 src0_sel:BYTE_0 src1_sel:DWORD
                                        ; implicit-def: $sgpr26_sgpr27
                                        ; implicit-def: $sgpr20_sgpr21
                                        ; implicit-def: $vgpr54
	s_and_saveexec_b64 vcc, s[28:29]
	s_xor_b64 s[28:29], exec, vcc
	s_cbranch_execz .LBB169_38
; %bb.23:                               ;   in Loop: Header=BB169_17 Depth=1
	v_cmp_gt_i16_sdwa s[20:21], v7, v15 src0_sel:BYTE_0 src1_sel:DWORD
	s_mov_b64 vcc, 0
                                        ; implicit-def: $sgpr24_sgpr25
                                        ; implicit-def: $sgpr26_sgpr27
                                        ; implicit-def: $vgpr54
	s_and_saveexec_b64 s[30:31], s[20:21]
	s_xor_b64 s[20:21], exec, s[30:31]
	s_cbranch_execz .LBB169_33
; %bb.24:                               ;   in Loop: Header=BB169_17 Depth=1
	v_cmp_gt_i16_sdwa s[26:27], v7, v16 src0_sel:BYTE_0 src1_sel:DWORD
	s_mov_b64 s[30:31], 0
                                        ; implicit-def: $sgpr24_sgpr25
                                        ; implicit-def: $sgpr34_sgpr35
                                        ; implicit-def: $vgpr54
	s_and_saveexec_b64 vcc, s[26:27]
	s_xor_b64 s[26:27], exec, vcc
	s_cbranch_execz .LBB169_28
; %bb.25:                               ;   in Loop: Header=BB169_17 Depth=1
	v_cmp_eq_u16_sdwa s[34:35], v7, v17 src0_sel:BYTE_0 src1_sel:DWORD
	s_mov_b64 s[24:25], 0
	s_mov_b64 vcc, 0
                                        ; implicit-def: $vgpr54
	s_and_saveexec_b64 s[30:31], s[34:35]
	s_cbranch_execz .LBB169_27
; %bb.26:                               ;   in Loop: Header=BB169_17 Depth=1
	flat_load_dword v0, v[0:1]
	s_mov_b64 vcc, exec
	s_waitcnt vmcnt(0) lgkmcnt(0)
	v_lshlrev_b32_e32 v54, 16, v0
.LBB169_27:                             ;   in Loop: Header=BB169_17 Depth=1
	s_or_b64 exec, exec, s[30:31]
	s_mov_b64 s[34:35], -1
	s_and_b64 s[30:31], vcc, exec
                                        ; implicit-def: $vgpr0_vgpr1
.LBB169_28:                             ;   in Loop: Header=BB169_17 Depth=1
	s_andn2_saveexec_b64 s[26:27], s[26:27]
	s_cbranch_execz .LBB169_32
; %bb.29:                               ;   in Loop: Header=BB169_17 Depth=1
	v_cmp_eq_u16_sdwa s[38:39], v7, v18 src0_sel:BYTE_0 src1_sel:DWORD
	s_mov_b64 vcc, s[30:31]
                                        ; implicit-def: $vgpr54
	s_and_saveexec_b64 s[36:37], s[38:39]
	s_cbranch_execz .LBB169_31
; %bb.30:                               ;   in Loop: Header=BB169_17 Depth=1
	flat_load_ubyte v0, v[0:1]
	s_movk_i32 vcc_lo, 0xff
	s_waitcnt vmcnt(0) lgkmcnt(0)
	v_lshlrev_b32_e32 v1, 23, v0
	v_cmp_ne_u32_e32 vcc, vcc_lo, v0
	v_cndmask_b32_e32 v1, v19, v1, vcc
	v_cmp_ne_u32_e32 vcc, 0, v0
	v_cndmask_b32_e32 v54, v20, v1, vcc
	s_or_b64 vcc, s[30:31], exec
.LBB169_31:                             ;   in Loop: Header=BB169_17 Depth=1
	s_or_b64 exec, exec, s[36:37]
	s_andn2_b64 s[30:31], s[30:31], exec
	s_and_b64 vcc, vcc, exec
	s_andn2_b64 s[24:25], s[24:25], exec
	s_or_b64 s[34:35], s[34:35], exec
	s_or_b64 s[30:31], s[30:31], vcc
.LBB169_32:                             ;   in Loop: Header=BB169_17 Depth=1
	s_or_b64 exec, exec, s[26:27]
	s_and_b64 s[26:27], s[24:25], exec
	s_and_b64 s[24:25], s[34:35], exec
	s_and_b64 vcc, s[30:31], exec
                                        ; implicit-def: $vgpr0_vgpr1
.LBB169_33:                             ;   in Loop: Header=BB169_17 Depth=1
	s_andn2_saveexec_b64 s[20:21], s[20:21]
	s_cbranch_execz .LBB169_37
; %bb.34:                               ;   in Loop: Header=BB169_17 Depth=1
	v_cmp_eq_u16_sdwa s[36:37], v7, v21 src0_sel:BYTE_0 src1_sel:DWORD
	s_mov_b64 s[34:35], vcc
                                        ; implicit-def: $vgpr54
	s_and_saveexec_b64 s[30:31], s[36:37]
	s_cbranch_execz .LBB169_36
; %bb.35:                               ;   in Loop: Header=BB169_17 Depth=1
	flat_load_dwordx2 v[0:1], v[0:1]
	s_or_b64 s[34:35], vcc, exec
	s_waitcnt vmcnt(0) lgkmcnt(0)
	v_ffbh_u32_e32 v53, v1
	v_min_u32_e32 v53, 32, v53
	v_lshlrev_b64 v[0:1], v53, v[0:1]
	v_min_u32_e32 v0, 1, v0
	v_or_b32_e32 v0, v1, v0
	v_cvt_f32_u32_e32 v0, v0
	v_sub_u32_e32 v1, 32, v53
	v_ldexp_f32 v54, v0, v1
.LBB169_36:                             ;   in Loop: Header=BB169_17 Depth=1
	s_or_b64 exec, exec, s[30:31]
	s_andn2_b64 vcc, vcc, exec
	s_and_b64 s[30:31], s[34:35], exec
	s_andn2_b64 s[26:27], s[26:27], exec
	s_or_b64 s[24:25], s[24:25], exec
	s_or_b64 vcc, vcc, s[30:31]
.LBB169_37:                             ;   in Loop: Header=BB169_17 Depth=1
	s_or_b64 exec, exec, s[20:21]
	s_and_b64 s[20:21], s[26:27], exec
	s_and_b64 s[26:27], s[24:25], exec
	s_and_b64 s[24:25], vcc, exec
                                        ; implicit-def: $vgpr0_vgpr1
.LBB169_38:                             ;   in Loop: Header=BB169_17 Depth=1
	s_andn2_saveexec_b64 s[28:29], s[28:29]
	s_cbranch_execz .LBB169_52
; %bb.39:                               ;   in Loop: Header=BB169_17 Depth=1
	v_cmp_gt_i16_sdwa vcc, v7, v22 src0_sel:BYTE_0 src1_sel:DWORD
                                        ; implicit-def: $vgpr54
	s_and_saveexec_b64 s[30:31], vcc
	s_xor_b64 vcc, exec, s[30:31]
	s_cbranch_execz .LBB169_45
; %bb.40:                               ;   in Loop: Header=BB169_17 Depth=1
	v_cmp_gt_i16_sdwa s[30:31], v7, v23 src0_sel:BYTE_0 src1_sel:DWORD
                                        ; implicit-def: $vgpr54
	s_and_saveexec_b64 s[34:35], s[30:31]
	s_xor_b64 s[30:31], exec, s[34:35]
	s_cbranch_execz .LBB169_42
; %bb.41:                               ;   in Loop: Header=BB169_17 Depth=1
	flat_load_dword v0, v[0:1]
	s_waitcnt vmcnt(0) lgkmcnt(0)
	v_cvt_f32_u32_e32 v54, v0
                                        ; implicit-def: $vgpr0_vgpr1
.LBB169_42:                             ;   in Loop: Header=BB169_17 Depth=1
	s_andn2_saveexec_b64 s[30:31], s[30:31]
	s_cbranch_execz .LBB169_44
; %bb.43:                               ;   in Loop: Header=BB169_17 Depth=1
	flat_load_ushort v0, v[0:1]
	s_waitcnt vmcnt(0) lgkmcnt(0)
	v_cvt_f32_u32_e32 v54, v0
.LBB169_44:                             ;   in Loop: Header=BB169_17 Depth=1
	s_or_b64 exec, exec, s[30:31]
                                        ; implicit-def: $vgpr0_vgpr1
.LBB169_45:                             ;   in Loop: Header=BB169_17 Depth=1
	s_andn2_saveexec_b64 s[30:31], vcc
	s_cbranch_execz .LBB169_51
; %bb.46:                               ;   in Loop: Header=BB169_17 Depth=1
	flat_load_ubyte v0, v[0:1]
	s_movk_i32 vcc_lo, 0x7f
	s_mov_b64 s[34:35], 0
                                        ; implicit-def: $sgpr40
	s_waitcnt vmcnt(0) lgkmcnt(0)
	v_cmp_lt_i16_e32 vcc, vcc_lo, v0
	s_and_saveexec_b64 s[36:37], vcc
	s_xor_b64 s[36:37], exec, s[36:37]
	s_cbranch_execnz .LBB169_765
; %bb.47:                               ;   in Loop: Header=BB169_17 Depth=1
	s_or_saveexec_b64 s[36:37], s[36:37]
	v_mov_b32_e32 v54, s40
	s_xor_b64 exec, exec, s[36:37]
	s_cbranch_execnz .LBB169_768
.LBB169_48:                             ;   in Loop: Header=BB169_17 Depth=1
	s_or_b64 exec, exec, s[36:37]
	s_and_saveexec_b64 s[36:37], s[34:35]
	s_cbranch_execz .LBB169_50
.LBB169_49:                             ;   in Loop: Header=BB169_17 Depth=1
	v_lshlrev_b32_e32 v1, 24, v0
	v_and_b32_e32 v0, 0xffff, v0
	v_and_b32_e32 v53, 7, v0
	v_ffbh_u32_e32 v55, v53
	v_min_u32_e32 v55, 32, v55
	v_subrev_u32_e32 v64, 28, v55
	v_bfe_u32 v54, v0, 3, 4
	v_lshlrev_b32_e32 v0, v64, v0
	v_sub_u32_e32 v55, 29, v55
	v_and_b32_e32 v0, 7, v0
	v_cmp_eq_u32_e32 vcc, 0, v54
	v_cndmask_b32_e32 v54, v54, v55, vcc
	v_cndmask_b32_e32 v0, v53, v0, vcc
	v_lshlrev_b32_e32 v0, 20, v0
	v_and_b32_e32 v1, 0x80000000, v1
	v_lshl_add_u32 v53, v54, 23, v24
	v_or3_b32 v54, v1, v53, v0
.LBB169_50:                             ;   in Loop: Header=BB169_17 Depth=1
	s_or_b64 exec, exec, s[36:37]
.LBB169_51:                             ;   in Loop: Header=BB169_17 Depth=1
	s_or_b64 exec, exec, s[30:31]
	s_andn2_b64 s[20:21], s[20:21], exec
	s_andn2_b64 s[26:27], s[26:27], exec
	s_or_b64 s[24:25], s[24:25], exec
.LBB169_52:                             ;   in Loop: Header=BB169_17 Depth=1
	s_or_b64 exec, exec, s[28:29]
	s_and_b64 s[20:21], s[20:21], exec
	s_and_b64 s[26:27], s[26:27], exec
	;; [unrolled: 1-line block ×3, first 2 shown]
                                        ; implicit-def: $vgpr0_vgpr1
.LBB169_53:                             ;   in Loop: Header=BB169_17 Depth=1
	s_andn2_saveexec_b64 s[18:19], s[18:19]
	s_cbranch_execz .LBB169_79
; %bb.54:                               ;   in Loop: Header=BB169_17 Depth=1
	v_cmp_gt_i16_sdwa s[28:29], v7, v25 src0_sel:BYTE_0 src1_sel:DWORD
	s_mov_b64 s[30:31], s[24:25]
                                        ; implicit-def: $vgpr54
	s_and_saveexec_b64 vcc, s[28:29]
	s_xor_b64 s[28:29], exec, vcc
	s_cbranch_execz .LBB169_68
; %bb.55:                               ;   in Loop: Header=BB169_17 Depth=1
	v_cmp_gt_i16_sdwa vcc, v7, v26 src0_sel:BYTE_0 src1_sel:DWORD
                                        ; implicit-def: $vgpr54
	s_and_saveexec_b64 s[30:31], vcc
	s_xor_b64 s[30:31], exec, s[30:31]
	s_cbranch_execz .LBB169_65
; %bb.56:                               ;   in Loop: Header=BB169_17 Depth=1
	v_cmp_gt_i16_sdwa vcc, v7, v27 src0_sel:BYTE_0 src1_sel:DWORD
                                        ; implicit-def: $vgpr54
	s_and_saveexec_b64 s[34:35], vcc
	s_xor_b64 s[34:35], exec, s[34:35]
	s_cbranch_execz .LBB169_62
; %bb.57:                               ;   in Loop: Header=BB169_17 Depth=1
	flat_load_ubyte v0, v[0:1]
	s_movk_i32 vcc_lo, 0x7f
	s_mov_b64 s[36:37], 0
                                        ; implicit-def: $sgpr42
	s_waitcnt vmcnt(0) lgkmcnt(0)
	v_cmp_lt_i16_e32 vcc, vcc_lo, v0
	s_and_saveexec_b64 s[38:39], vcc
	s_xor_b64 s[38:39], exec, s[38:39]
	s_cbranch_execnz .LBB169_980
; %bb.58:                               ;   in Loop: Header=BB169_17 Depth=1
	s_or_saveexec_b64 s[38:39], s[38:39]
	v_mov_b32_e32 v54, s42
	s_xor_b64 exec, exec, s[38:39]
	s_cbranch_execnz .LBB169_983
.LBB169_59:                             ;   in Loop: Header=BB169_17 Depth=1
	s_or_b64 exec, exec, s[38:39]
	s_and_saveexec_b64 s[38:39], s[36:37]
	s_cbranch_execz .LBB169_61
.LBB169_60:                             ;   in Loop: Header=BB169_17 Depth=1
	v_lshlrev_b32_e32 v1, 24, v0
	v_and_b32_e32 v0, 0xffff, v0
	v_and_b32_e32 v53, 3, v0
	v_ffbh_u32_e32 v55, v53
	v_min_u32_e32 v55, 32, v55
	v_subrev_u32_e32 v64, 29, v55
	v_bfe_u32 v54, v0, 2, 5
	v_lshlrev_b32_e32 v0, v64, v0
	v_sub_u32_e32 v55, 30, v55
	v_and_b32_e32 v0, 3, v0
	v_cmp_eq_u32_e32 vcc, 0, v54
	v_cndmask_b32_e32 v54, v54, v55, vcc
	v_cndmask_b32_e32 v0, v53, v0, vcc
	v_lshlrev_b32_e32 v0, 21, v0
	v_and_b32_e32 v1, 0x80000000, v1
	v_lshl_add_u32 v53, v54, 23, v28
	v_or3_b32 v54, v1, v53, v0
.LBB169_61:                             ;   in Loop: Header=BB169_17 Depth=1
	s_or_b64 exec, exec, s[38:39]
                                        ; implicit-def: $vgpr0_vgpr1
.LBB169_62:                             ;   in Loop: Header=BB169_17 Depth=1
	s_andn2_saveexec_b64 s[34:35], s[34:35]
	s_cbranch_execz .LBB169_64
; %bb.63:                               ;   in Loop: Header=BB169_17 Depth=1
	flat_load_ubyte v0, v[0:1]
	s_mov_b32 vcc_lo, 0x7f800000
	s_waitcnt vmcnt(0) lgkmcnt(0)
	v_lshlrev_b32_e32 v0, 24, v0
	v_and_b32_e32 v1, 0x7f000000, v0
	v_ffbh_u32_e32 v53, v1
	v_min_u32_e32 v53, 32, v53
	v_sub_u32_e64 v53, v53, 4 clamp
	v_lshlrev_b32_e32 v55, v53, v1
	v_lshlrev_b32_e32 v53, 23, v53
	v_lshrrev_b32_e32 v55, 4, v55
	v_add_u32_e32 v54, 0x1000000, v1
	v_sub_u32_e32 v53, v55, v53
	v_ashrrev_i32_e32 v54, 8, v54
	v_add_u32_e32 v53, 0x3c000000, v53
	v_and_or_b32 v53, v54, vcc_lo, v53
	v_cmp_ne_u32_e32 vcc, 0, v1
	v_cndmask_b32_e32 v1, 0, v53, vcc
	s_brev_b32 vcc_lo, 1
	v_and_or_b32 v54, v0, vcc_lo, v1
.LBB169_64:                             ;   in Loop: Header=BB169_17 Depth=1
	s_or_b64 exec, exec, s[34:35]
                                        ; implicit-def: $vgpr0_vgpr1
.LBB169_65:                             ;   in Loop: Header=BB169_17 Depth=1
	s_andn2_saveexec_b64 s[30:31], s[30:31]
	s_cbranch_execz .LBB169_67
; %bb.66:                               ;   in Loop: Header=BB169_17 Depth=1
	flat_load_ubyte v0, v[0:1]
	s_movk_i32 vcc_lo, 0x7f00
	s_waitcnt vmcnt(0) lgkmcnt(0)
	v_lshlrev_b16_e32 v1, 8, v0
	v_lshlrev_b32_e32 v0, 25, v0
	v_lshrrev_b32_e32 v53, 4, v0
	v_and_or_b32 v54, v1, vcc_lo, 0.5
	v_or_b32_e32 v53, 0x70000000, v53
	s_brev_b32 vcc_lo, 16
	v_add_f32_e32 v54, -0.5, v54
	v_mul_f32_e32 v53, 0x7800000, v53
	v_cmp_gt_u32_e32 vcc, vcc_lo, v0
	v_cndmask_b32_e32 v0, v53, v54, vcc
	v_bfe_i32 v1, v1, 0, 16
	s_brev_b32 vcc_lo, 1
	v_and_or_b32 v54, v1, vcc_lo, v0
.LBB169_67:                             ;   in Loop: Header=BB169_17 Depth=1
	s_or_b64 exec, exec, s[30:31]
	s_or_b64 s[30:31], s[24:25], exec
                                        ; implicit-def: $vgpr0_vgpr1
.LBB169_68:                             ;   in Loop: Header=BB169_17 Depth=1
	s_or_saveexec_b64 s[28:29], s[28:29]
                                        ; implicit-def: $vcc
                                        ; implicit-def: $sgpr38_sgpr39
	s_xor_b64 exec, exec, s[28:29]
	s_cbranch_execz .LBB169_78
; %bb.69:                               ;   in Loop: Header=BB169_17 Depth=1
	v_cmp_gt_i16_sdwa vcc, v7, v29 src0_sel:BYTE_0 src1_sel:DWORD
	s_mov_b64 s[36:37], s[30:31]
                                        ; implicit-def: $sgpr38_sgpr39
                                        ; implicit-def: $sgpr34_sgpr35
                                        ; implicit-def: $vgpr54
	s_and_saveexec_b64 s[40:41], vcc
	s_xor_b64 vcc, exec, s[40:41]
	s_cbranch_execz .LBB169_73
; %bb.70:                               ;   in Loop: Header=BB169_17 Depth=1
	v_cmp_eq_u16_sdwa s[38:39], v7, v32 src0_sel:BYTE_0 src1_sel:DWORD
	s_mov_b64 s[36:37], s[30:31]
                                        ; implicit-def: $vgpr54
	s_and_saveexec_b64 s[34:35], s[38:39]
	s_cbranch_execz .LBB169_72
; %bb.71:                               ;   in Loop: Header=BB169_17 Depth=1
	flat_load_ushort v0, v[0:1]
	s_or_b64 s[36:37], s[30:31], exec
	s_waitcnt vmcnt(0) lgkmcnt(0)
	v_lshlrev_b32_e32 v54, 16, v0
.LBB169_72:                             ;   in Loop: Header=BB169_17 Depth=1
	s_or_b64 exec, exec, s[34:35]
	s_andn2_b64 s[40:41], s[30:31], exec
	s_and_b64 s[36:37], s[36:37], exec
	s_mov_b64 s[34:35], -1
	s_mov_b64 s[38:39], 0
	s_or_b64 s[36:37], s[40:41], s[36:37]
                                        ; implicit-def: $vgpr0_vgpr1
.LBB169_73:                             ;   in Loop: Header=BB169_17 Depth=1
	s_andn2_saveexec_b64 s[40:41], vcc
	s_cbranch_execz .LBB169_77
; %bb.74:                               ;   in Loop: Header=BB169_17 Depth=1
	v_cmp_eq_u16_sdwa s[44:45], v7, v33 src0_sel:BYTE_0 src1_sel:DWORD
	s_mov_b64 vcc, s[36:37]
                                        ; implicit-def: $vgpr54
	s_and_saveexec_b64 s[42:43], s[44:45]
	s_cbranch_execz .LBB169_76
; %bb.75:                               ;   in Loop: Header=BB169_17 Depth=1
	flat_load_ubyte v0, v[0:1]
	s_waitcnt vmcnt(0) lgkmcnt(0)
	v_cmp_ne_u16_e32 vcc, 0, v0
	v_cndmask_b32_e64 v54, 0, 1.0, vcc
	s_or_b64 vcc, s[36:37], exec
.LBB169_76:                             ;   in Loop: Header=BB169_17 Depth=1
	s_or_b64 exec, exec, s[42:43]
	s_andn2_b64 s[36:37], s[36:37], exec
	s_and_b64 vcc, vcc, exec
	s_andn2_b64 s[38:39], s[38:39], exec
	s_or_b64 s[34:35], s[34:35], exec
	s_or_b64 s[36:37], s[36:37], vcc
.LBB169_77:                             ;   in Loop: Header=BB169_17 Depth=1
	s_or_b64 exec, exec, s[40:41]
	s_and_b64 vcc, s[34:35], exec
	s_andn2_b64 s[30:31], s[30:31], exec
	s_and_b64 s[34:35], s[36:37], exec
	s_and_b64 s[38:39], s[38:39], exec
	s_or_b64 s[30:31], s[30:31], s[34:35]
.LBB169_78:                             ;   in Loop: Header=BB169_17 Depth=1
	s_or_b64 exec, exec, s[28:29]
	s_andn2_b64 s[20:21], s[20:21], exec
	s_and_b64 s[28:29], s[38:39], exec
	s_or_b64 s[20:21], s[20:21], s[28:29]
	s_andn2_b64 s[26:27], s[26:27], exec
	s_and_b64 s[28:29], vcc, exec
	s_or_b64 s[26:27], s[26:27], s[28:29]
	s_andn2_b64 s[24:25], s[24:25], exec
	s_and_b64 s[28:29], s[30:31], exec
	s_or_b64 s[24:25], s[24:25], s[28:29]
.LBB169_79:                             ;   in Loop: Header=BB169_17 Depth=1
	s_or_b64 exec, exec, s[18:19]
	s_and_b64 s[20:21], s[20:21], exec
	s_and_b64 s[18:19], s[26:27], exec
	;; [unrolled: 1-line block ×3, first 2 shown]
                                        ; implicit-def: $vgpr0_vgpr1
	s_andn2_saveexec_b64 s[22:23], s[22:23]
	s_cbranch_execz .LBB169_20
.LBB169_80:                             ;   in Loop: Header=BB169_17 Depth=1
	v_cmp_gt_i16_sdwa s[26:27], v7, v34 src0_sel:BYTE_0 src1_sel:DWORD
                                        ; implicit-def: $vgpr54
	s_and_saveexec_b64 s[28:29], s[26:27]
	s_xor_b64 s[26:27], exec, s[28:29]
	s_cbranch_execz .LBB169_102
; %bb.81:                               ;   in Loop: Header=BB169_17 Depth=1
	v_cmp_gt_i16_sdwa s[28:29], v7, v35 src0_sel:BYTE_0 src1_sel:DWORD
                                        ; implicit-def: $vgpr54
	s_and_saveexec_b64 vcc, s[28:29]
	s_xor_b64 s[28:29], exec, vcc
	s_cbranch_execz .LBB169_91
; %bb.82:                               ;   in Loop: Header=BB169_17 Depth=1
	v_cmp_gt_i16_sdwa vcc, v7, v36 src0_sel:BYTE_0 src1_sel:DWORD
                                        ; implicit-def: $vgpr54
	s_and_saveexec_b64 s[30:31], vcc
	s_xor_b64 vcc, exec, s[30:31]
	s_cbranch_execz .LBB169_88
; %bb.83:                               ;   in Loop: Header=BB169_17 Depth=1
	v_cmp_gt_i16_sdwa s[30:31], v7, v37 src0_sel:BYTE_0 src1_sel:DWORD
                                        ; implicit-def: $vgpr54
	s_and_saveexec_b64 s[34:35], s[30:31]
	s_xor_b64 s[30:31], exec, s[34:35]
	s_cbranch_execz .LBB169_85
; %bb.84:                               ;   in Loop: Header=BB169_17 Depth=1
	flat_load_dwordx2 v[0:1], v[0:1]
	s_waitcnt vmcnt(0) lgkmcnt(0)
	v_cvt_f32_f64_e32 v54, v[0:1]
                                        ; implicit-def: $vgpr0_vgpr1
.LBB169_85:                             ;   in Loop: Header=BB169_17 Depth=1
	s_andn2_saveexec_b64 s[30:31], s[30:31]
	s_cbranch_execz .LBB169_87
; %bb.86:                               ;   in Loop: Header=BB169_17 Depth=1
	flat_load_dword v54, v[0:1]
.LBB169_87:                             ;   in Loop: Header=BB169_17 Depth=1
	s_or_b64 exec, exec, s[30:31]
                                        ; implicit-def: $vgpr0_vgpr1
.LBB169_88:                             ;   in Loop: Header=BB169_17 Depth=1
	s_andn2_saveexec_b64 vcc, vcc
	s_cbranch_execz .LBB169_90
; %bb.89:                               ;   in Loop: Header=BB169_17 Depth=1
	flat_load_dword v0, v[0:1]
	s_waitcnt vmcnt(0) lgkmcnt(0)
	v_cvt_f32_f16_e32 v54, v0
.LBB169_90:                             ;   in Loop: Header=BB169_17 Depth=1
	s_or_b64 exec, exec, vcc
                                        ; implicit-def: $vgpr0_vgpr1
.LBB169_91:                             ;   in Loop: Header=BB169_17 Depth=1
	s_andn2_saveexec_b64 s[28:29], s[28:29]
	s_cbranch_execz .LBB169_101
; %bb.92:                               ;   in Loop: Header=BB169_17 Depth=1
	v_cmp_gt_i16_sdwa vcc, v7, v38 src0_sel:BYTE_0 src1_sel:DWORD
                                        ; implicit-def: $vgpr54
	s_and_saveexec_b64 s[30:31], vcc
	s_xor_b64 vcc, exec, s[30:31]
	s_cbranch_execz .LBB169_98
; %bb.93:                               ;   in Loop: Header=BB169_17 Depth=1
	v_cmp_gt_i16_sdwa s[30:31], v7, v39 src0_sel:BYTE_0 src1_sel:DWORD
                                        ; implicit-def: $vgpr54
	s_and_saveexec_b64 s[34:35], s[30:31]
	s_xor_b64 s[30:31], exec, s[34:35]
	s_cbranch_execz .LBB169_95
; %bb.94:                               ;   in Loop: Header=BB169_17 Depth=1
	flat_load_dwordx2 v[0:1], v[0:1]
	s_waitcnt vmcnt(0) lgkmcnt(0)
	v_cvt_f32_f64_e32 v54, v[0:1]
                                        ; implicit-def: $vgpr0_vgpr1
.LBB169_95:                             ;   in Loop: Header=BB169_17 Depth=1
	s_andn2_saveexec_b64 s[30:31], s[30:31]
	s_cbranch_execz .LBB169_97
; %bb.96:                               ;   in Loop: Header=BB169_17 Depth=1
	s_waitcnt vmcnt(0) lgkmcnt(0)
	flat_load_dword v54, v[0:1]
.LBB169_97:                             ;   in Loop: Header=BB169_17 Depth=1
	s_or_b64 exec, exec, s[30:31]
                                        ; implicit-def: $vgpr0_vgpr1
.LBB169_98:                             ;   in Loop: Header=BB169_17 Depth=1
	s_andn2_saveexec_b64 vcc, vcc
	s_cbranch_execz .LBB169_100
; %bb.99:                               ;   in Loop: Header=BB169_17 Depth=1
	flat_load_ushort v0, v[0:1]
	s_waitcnt vmcnt(0) lgkmcnt(0)
	v_cvt_f32_f16_e32 v54, v0
.LBB169_100:                            ;   in Loop: Header=BB169_17 Depth=1
	s_or_b64 exec, exec, vcc
.LBB169_101:                            ;   in Loop: Header=BB169_17 Depth=1
	s_or_b64 exec, exec, s[28:29]
                                        ; implicit-def: $vgpr0_vgpr1
.LBB169_102:                            ;   in Loop: Header=BB169_17 Depth=1
	s_andn2_saveexec_b64 s[26:27], s[26:27]
	s_cbranch_execz .LBB169_120
; %bb.103:                              ;   in Loop: Header=BB169_17 Depth=1
	v_cmp_gt_i16_sdwa s[28:29], v7, v48 src0_sel:BYTE_0 src1_sel:DWORD
                                        ; implicit-def: $vgpr54
	s_and_saveexec_b64 vcc, s[28:29]
	s_xor_b64 s[28:29], exec, vcc
	s_cbranch_execz .LBB169_113
; %bb.104:                              ;   in Loop: Header=BB169_17 Depth=1
	v_cmp_gt_i16_sdwa vcc, v7, v49 src0_sel:BYTE_0 src1_sel:DWORD
                                        ; implicit-def: $vgpr54
	s_and_saveexec_b64 s[30:31], vcc
	s_xor_b64 vcc, exec, s[30:31]
	s_cbranch_execz .LBB169_110
; %bb.105:                              ;   in Loop: Header=BB169_17 Depth=1
	v_cmp_gt_i16_sdwa s[30:31], v7, v50 src0_sel:BYTE_0 src1_sel:DWORD
                                        ; implicit-def: $vgpr54
	s_and_saveexec_b64 s[34:35], s[30:31]
	s_xor_b64 s[30:31], exec, s[34:35]
	s_cbranch_execz .LBB169_107
; %bb.106:                              ;   in Loop: Header=BB169_17 Depth=1
	flat_load_dwordx2 v[0:1], v[0:1]
	s_waitcnt vmcnt(0) lgkmcnt(0)
	v_xor_b32_e32 v54, v0, v1
	v_ffbh_i32_e32 v53, v1
	v_ashrrev_i32_e32 v54, 31, v54
	v_add_u32_e32 v53, -1, v53
	v_add_u32_e32 v54, 32, v54
	v_min_u32_e32 v53, v53, v54
	v_lshlrev_b64 v[0:1], v53, v[0:1]
	v_min_u32_e32 v0, 1, v0
	v_or_b32_e32 v0, v1, v0
	v_cvt_f32_i32_e32 v0, v0
	v_sub_u32_e32 v1, 32, v53
	v_ldexp_f32 v54, v0, v1
                                        ; implicit-def: $vgpr0_vgpr1
.LBB169_107:                            ;   in Loop: Header=BB169_17 Depth=1
	s_andn2_saveexec_b64 s[30:31], s[30:31]
	s_cbranch_execz .LBB169_109
; %bb.108:                              ;   in Loop: Header=BB169_17 Depth=1
	flat_load_dword v0, v[0:1]
	s_waitcnt vmcnt(0) lgkmcnt(0)
	v_cvt_f32_i32_e32 v54, v0
.LBB169_109:                            ;   in Loop: Header=BB169_17 Depth=1
	s_or_b64 exec, exec, s[30:31]
                                        ; implicit-def: $vgpr0_vgpr1
.LBB169_110:                            ;   in Loop: Header=BB169_17 Depth=1
	s_andn2_saveexec_b64 vcc, vcc
	s_cbranch_execz .LBB169_112
; %bb.111:                              ;   in Loop: Header=BB169_17 Depth=1
	flat_load_sshort v0, v[0:1]
	s_waitcnt vmcnt(0) lgkmcnt(0)
	v_cvt_f32_i32_e32 v54, v0
.LBB169_112:                            ;   in Loop: Header=BB169_17 Depth=1
	s_or_b64 exec, exec, vcc
                                        ; implicit-def: $vgpr0_vgpr1
.LBB169_113:                            ;   in Loop: Header=BB169_17 Depth=1
	s_andn2_saveexec_b64 s[28:29], s[28:29]
	s_cbranch_execz .LBB169_119
; %bb.114:                              ;   in Loop: Header=BB169_17 Depth=1
	v_cmp_gt_i16_sdwa vcc, v7, v6 src0_sel:BYTE_0 src1_sel:DWORD
                                        ; implicit-def: $vgpr54
	s_and_saveexec_b64 s[30:31], vcc
	s_xor_b64 vcc, exec, s[30:31]
	s_cbranch_execz .LBB169_116
; %bb.115:                              ;   in Loop: Header=BB169_17 Depth=1
	flat_load_sbyte v0, v[0:1]
	s_waitcnt vmcnt(0) lgkmcnt(0)
	v_cvt_f32_i32_e32 v54, v0
                                        ; implicit-def: $vgpr0_vgpr1
.LBB169_116:                            ;   in Loop: Header=BB169_17 Depth=1
	s_andn2_saveexec_b64 vcc, vcc
	s_cbranch_execz .LBB169_118
; %bb.117:                              ;   in Loop: Header=BB169_17 Depth=1
	flat_load_ubyte v0, v[0:1]
	s_waitcnt vmcnt(0) lgkmcnt(0)
	v_cvt_f32_ubyte0_e32 v54, v0
.LBB169_118:                            ;   in Loop: Header=BB169_17 Depth=1
	s_or_b64 exec, exec, vcc
.LBB169_119:                            ;   in Loop: Header=BB169_17 Depth=1
	s_or_b64 exec, exec, s[28:29]
.LBB169_120:                            ;   in Loop: Header=BB169_17 Depth=1
	s_or_b64 exec, exec, s[26:27]
	s_andn2_b64 s[20:21], s[20:21], exec
	s_andn2_b64 s[18:19], s[18:19], exec
	s_or_b64 s[24:25], s[24:25], exec
	s_or_b64 exec, exec, s[22:23]
	s_mov_b64 s[26:27], 0
	s_and_saveexec_b64 s[22:23], s[24:25]
	s_cbranch_execz .LBB169_126
.LBB169_121:                            ;   in Loop: Header=BB169_17 Depth=1
	v_mul_lo_u32 v0, v52, v10
	v_add_co_u32_e32 v0, vcc, v4, v0
	v_readlane_b32 s24, v78, 0
	v_addc_co_u32_e32 v1, vcc, 0, v5, vcc
	v_add_u32_e32 v53, s24, v11
	v_cmp_gt_i16_sdwa s[24:25], v8, v12 src0_sel:BYTE_0 src1_sel:DWORD
	s_mov_b64 vcc, 0
	s_waitcnt vmcnt(0) lgkmcnt(0)
	buffer_store_dword v54, v53, s[0:3], 0 offen offset:4
                                        ; implicit-def: $sgpr26_sgpr27
                                        ; implicit-def: $sgpr28_sgpr29
                                        ; implicit-def: $vgpr52
	s_and_saveexec_b64 s[30:31], s[24:25]
	s_xor_b64 s[24:25], exec, s[30:31]
	s_cbranch_execnz .LBB169_132
; %bb.122:                              ;   in Loop: Header=BB169_17 Depth=1
	s_andn2_saveexec_b64 s[24:25], s[24:25]
	s_cbranch_execnz .LBB169_191
.LBB169_123:                            ;   in Loop: Header=BB169_17 Depth=1
	s_or_b64 exec, exec, s[24:25]
	s_mov_b64 s[24:25], 0
	s_and_saveexec_b64 s[30:31], vcc
	s_cbranch_execz .LBB169_125
.LBB169_124:                            ;   in Loop: Header=BB169_17 Depth=1
	s_mov_b64 s[24:25], exec
	v_add_u32_e32 v51, 0x200, v51
	s_andn2_b64 s[28:29], s[28:29], exec
	s_andn2_b64 s[26:27], s[26:27], exec
	s_waitcnt vmcnt(0) lgkmcnt(0)
	buffer_store_dword v52, v53, s[0:3], 0 offen
.LBB169_125:                            ;   in Loop: Header=BB169_17 Depth=1
	s_or_b64 exec, exec, s[30:31]
	s_andn2_b64 s[20:21], s[20:21], exec
	s_and_b64 s[28:29], s[28:29], exec
	s_andn2_b64 s[18:19], s[18:19], exec
	s_and_b64 s[26:27], s[26:27], exec
	s_or_b64 s[20:21], s[20:21], s[28:29]
	s_or_b64 s[18:19], s[18:19], s[26:27]
	s_and_b64 s[26:27], s[24:25], exec
.LBB169_126:                            ;   in Loop: Header=BB169_17 Depth=1
	s_or_b64 exec, exec, s[22:23]
	s_and_b64 s[22:23], s[20:21], exec
	s_and_b64 s[20:21], s[18:19], exec
	s_orn2_b64 s[18:19], s[26:27], exec
.LBB169_127:                            ;   in Loop: Header=BB169_17 Depth=1
	s_or_b64 exec, exec, s[14:15]
	s_andn2_b64 s[12:13], s[12:13], exec
	s_and_b64 s[14:15], s[22:23], exec
	s_or_b64 s[12:13], s[12:13], s[14:15]
	s_andn2_b64 s[10:11], s[10:11], exec
	s_and_b64 s[14:15], s[20:21], exec
	s_or_b64 s[10:11], s[10:11], s[14:15]
	s_and_saveexec_b64 s[14:15], s[18:19]
	s_cbranch_execz .LBB169_16
; %bb.128:                              ;   in Loop: Header=BB169_17 Depth=1
	v_cmp_lt_i32_e32 vcc, v51, v72
	s_mov_b64 s[22:23], -1
	s_mov_b64 s[24:25], -1
                                        ; implicit-def: $sgpr16_sgpr17
                                        ; implicit-def: $sgpr18_sgpr19
	s_and_saveexec_b64 s[20:21], vcc
	s_cbranch_execz .LBB169_338
; %bb.129:                              ;   in Loop: Header=BB169_17 Depth=1
	v_readlane_b32 s16, v78, 1
	s_waitcnt vmcnt(0) lgkmcnt(0)
	v_add_u32_e32 v52, s16, v51
	v_mul_lo_u32 v0, v52, v9
	v_add_co_u32_e32 v0, vcc, v2, v0
	v_addc_co_u32_e32 v1, vcc, 0, v3, vcc
	v_cmp_gt_i16_sdwa s[24:25], v7, v12 src0_sel:BYTE_0 src1_sel:DWORD
	s_mov_b64 s[26:27], 0
                                        ; implicit-def: $sgpr16_sgpr17
                                        ; implicit-def: $sgpr18_sgpr19
                                        ; implicit-def: $vgpr54
	s_and_saveexec_b64 s[28:29], s[24:25]
	s_xor_b64 s[24:25], exec, s[28:29]
	s_cbranch_execnz .LBB169_232
; %bb.130:                              ;   in Loop: Header=BB169_17 Depth=1
	s_andn2_saveexec_b64 s[24:25], s[24:25]
	s_cbranch_execnz .LBB169_291
.LBB169_131:                            ;   in Loop: Header=BB169_17 Depth=1
	s_or_b64 exec, exec, s[24:25]
	s_mov_b64 s[28:29], 0
	s_and_saveexec_b64 s[24:25], s[26:27]
	s_cbranch_execnz .LBB169_332
	s_branch .LBB169_337
.LBB169_132:                            ;   in Loop: Header=BB169_17 Depth=1
	v_cmp_gt_i16_sdwa s[26:27], v8, v13 src0_sel:BYTE_0 src1_sel:DWORD
	s_mov_b64 s[30:31], 0
                                        ; implicit-def: $sgpr34_sgpr35
                                        ; implicit-def: $sgpr28_sgpr29
                                        ; implicit-def: $vgpr52
	s_and_saveexec_b64 vcc, s[26:27]
	s_xor_b64 s[26:27], exec, vcc
	s_cbranch_execz .LBB169_164
; %bb.133:                              ;   in Loop: Header=BB169_17 Depth=1
	v_cmp_gt_i16_sdwa vcc, v8, v14 src0_sel:BYTE_0 src1_sel:DWORD
                                        ; implicit-def: $sgpr34_sgpr35
                                        ; implicit-def: $sgpr28_sgpr29
                                        ; implicit-def: $vgpr52
	s_and_saveexec_b64 s[36:37], vcc
	s_xor_b64 s[36:37], exec, s[36:37]
	s_cbranch_execz .LBB169_149
; %bb.134:                              ;   in Loop: Header=BB169_17 Depth=1
	v_cmp_gt_i16_sdwa s[28:29], v8, v15 src0_sel:BYTE_0 src1_sel:DWORD
                                        ; implicit-def: $vcc
                                        ; implicit-def: $sgpr34_sgpr35
                                        ; implicit-def: $vgpr52
	s_and_saveexec_b64 s[38:39], s[28:29]
	s_xor_b64 s[28:29], exec, s[38:39]
	s_cbranch_execz .LBB169_144
; %bb.135:                              ;   in Loop: Header=BB169_17 Depth=1
	v_cmp_gt_i16_sdwa vcc, v8, v16 src0_sel:BYTE_0 src1_sel:DWORD
	s_mov_b64 s[38:39], 0
                                        ; implicit-def: $sgpr34_sgpr35
                                        ; implicit-def: $sgpr30_sgpr31
                                        ; implicit-def: $vgpr52
	s_and_saveexec_b64 s[40:41], vcc
	s_xor_b64 vcc, exec, s[40:41]
	s_cbranch_execz .LBB169_139
; %bb.136:                              ;   in Loop: Header=BB169_17 Depth=1
	v_cmp_eq_u16_sdwa s[40:41], v8, v17 src0_sel:BYTE_0 src1_sel:DWORD
	s_mov_b64 s[30:31], 0
                                        ; implicit-def: $vgpr52
	s_and_saveexec_b64 s[34:35], s[40:41]
	s_cbranch_execz .LBB169_138
; %bb.137:                              ;   in Loop: Header=BB169_17 Depth=1
	flat_load_dword v0, v[0:1]
	s_mov_b64 s[38:39], exec
	s_waitcnt vmcnt(0) lgkmcnt(0)
	v_lshlrev_b32_e32 v52, 16, v0
.LBB169_138:                            ;   in Loop: Header=BB169_17 Depth=1
	s_or_b64 exec, exec, s[34:35]
	s_mov_b64 s[34:35], -1
	s_and_b64 s[38:39], s[38:39], exec
                                        ; implicit-def: $vgpr0_vgpr1
.LBB169_139:                            ;   in Loop: Header=BB169_17 Depth=1
	s_andn2_saveexec_b64 s[40:41], vcc
	s_cbranch_execz .LBB169_143
; %bb.140:                              ;   in Loop: Header=BB169_17 Depth=1
	v_cmp_eq_u16_sdwa s[44:45], v8, v18 src0_sel:BYTE_0 src1_sel:DWORD
	s_mov_b64 vcc, s[38:39]
                                        ; implicit-def: $vgpr52
	s_and_saveexec_b64 s[42:43], s[44:45]
	s_cbranch_execz .LBB169_142
; %bb.141:                              ;   in Loop: Header=BB169_17 Depth=1
	flat_load_ubyte v0, v[0:1]
	s_movk_i32 vcc_lo, 0xff
	s_waitcnt vmcnt(0) lgkmcnt(0)
	v_lshlrev_b32_e32 v1, 23, v0
	v_cmp_ne_u32_e32 vcc, vcc_lo, v0
	v_cndmask_b32_e32 v1, v19, v1, vcc
	v_cmp_ne_u32_e32 vcc, 0, v0
	v_cndmask_b32_e32 v52, v20, v1, vcc
	s_or_b64 vcc, s[38:39], exec
.LBB169_142:                            ;   in Loop: Header=BB169_17 Depth=1
	s_or_b64 exec, exec, s[42:43]
	s_andn2_b64 s[38:39], s[38:39], exec
	s_and_b64 vcc, vcc, exec
	s_or_b64 s[34:35], s[34:35], exec
	s_andn2_b64 s[30:31], s[30:31], exec
	s_or_b64 s[38:39], s[38:39], vcc
.LBB169_143:                            ;   in Loop: Header=BB169_17 Depth=1
	s_or_b64 exec, exec, s[40:41]
	s_and_b64 s[34:35], s[34:35], exec
	s_and_b64 vcc, s[30:31], exec
	s_and_b64 s[30:31], s[38:39], exec
                                        ; implicit-def: $vgpr0_vgpr1
.LBB169_144:                            ;   in Loop: Header=BB169_17 Depth=1
	s_andn2_saveexec_b64 s[28:29], s[28:29]
	s_cbranch_execz .LBB169_148
; %bb.145:                              ;   in Loop: Header=BB169_17 Depth=1
	v_cmp_eq_u16_sdwa s[42:43], v8, v21 src0_sel:BYTE_0 src1_sel:DWORD
	s_mov_b64 s[40:41], s[30:31]
                                        ; implicit-def: $vgpr52
	s_and_saveexec_b64 s[38:39], s[42:43]
	s_cbranch_execz .LBB169_147
; %bb.146:                              ;   in Loop: Header=BB169_17 Depth=1
	flat_load_dwordx2 v[0:1], v[0:1]
	s_or_b64 s[40:41], s[30:31], exec
	s_waitcnt vmcnt(0) lgkmcnt(0)
	v_ffbh_u32_e32 v52, v1
	v_min_u32_e32 v52, 32, v52
	v_lshlrev_b64 v[0:1], v52, v[0:1]
	v_min_u32_e32 v0, 1, v0
	v_or_b32_e32 v0, v1, v0
	v_cvt_f32_u32_e32 v0, v0
	v_sub_u32_e32 v1, 32, v52
	v_ldexp_f32 v52, v0, v1
.LBB169_147:                            ;   in Loop: Header=BB169_17 Depth=1
	s_or_b64 exec, exec, s[38:39]
	s_andn2_b64 s[30:31], s[30:31], exec
	s_and_b64 s[38:39], s[40:41], exec
	s_or_b64 s[34:35], s[34:35], exec
	s_andn2_b64 vcc, vcc, exec
	s_or_b64 s[30:31], s[30:31], s[38:39]
.LBB169_148:                            ;   in Loop: Header=BB169_17 Depth=1
	s_or_b64 exec, exec, s[28:29]
	s_and_b64 s[28:29], s[34:35], exec
	s_and_b64 s[34:35], vcc, exec
	s_and_b64 s[30:31], s[30:31], exec
                                        ; implicit-def: $vgpr0_vgpr1
.LBB169_149:                            ;   in Loop: Header=BB169_17 Depth=1
	s_andn2_saveexec_b64 s[36:37], s[36:37]
	s_cbranch_execz .LBB169_163
; %bb.150:                              ;   in Loop: Header=BB169_17 Depth=1
	v_cmp_gt_i16_sdwa vcc, v8, v22 src0_sel:BYTE_0 src1_sel:DWORD
                                        ; implicit-def: $vgpr52
	s_and_saveexec_b64 s[38:39], vcc
	s_xor_b64 vcc, exec, s[38:39]
	s_cbranch_execz .LBB169_156
; %bb.151:                              ;   in Loop: Header=BB169_17 Depth=1
	v_cmp_gt_i16_sdwa s[38:39], v8, v23 src0_sel:BYTE_0 src1_sel:DWORD
                                        ; implicit-def: $vgpr52
	s_and_saveexec_b64 s[40:41], s[38:39]
	s_xor_b64 s[38:39], exec, s[40:41]
	s_cbranch_execz .LBB169_153
; %bb.152:                              ;   in Loop: Header=BB169_17 Depth=1
	flat_load_dword v0, v[0:1]
	s_waitcnt vmcnt(0) lgkmcnt(0)
	v_cvt_f32_u32_e32 v52, v0
                                        ; implicit-def: $vgpr0_vgpr1
.LBB169_153:                            ;   in Loop: Header=BB169_17 Depth=1
	s_andn2_saveexec_b64 s[38:39], s[38:39]
	s_cbranch_execz .LBB169_155
; %bb.154:                              ;   in Loop: Header=BB169_17 Depth=1
	flat_load_ushort v0, v[0:1]
	s_waitcnt vmcnt(0) lgkmcnt(0)
	v_cvt_f32_u32_e32 v52, v0
.LBB169_155:                            ;   in Loop: Header=BB169_17 Depth=1
	s_or_b64 exec, exec, s[38:39]
                                        ; implicit-def: $vgpr0_vgpr1
.LBB169_156:                            ;   in Loop: Header=BB169_17 Depth=1
	s_andn2_saveexec_b64 s[38:39], vcc
	s_cbranch_execz .LBB169_162
; %bb.157:                              ;   in Loop: Header=BB169_17 Depth=1
	flat_load_ubyte v0, v[0:1]
	s_movk_i32 vcc_lo, 0x7f
	s_mov_b64 s[40:41], 0
                                        ; implicit-def: $sgpr46
	s_waitcnt vmcnt(0) lgkmcnt(0)
	v_cmp_lt_i16_e32 vcc, vcc_lo, v0
	s_and_saveexec_b64 s[42:43], vcc
	s_xor_b64 s[42:43], exec, s[42:43]
	s_cbranch_execnz .LBB169_984
; %bb.158:                              ;   in Loop: Header=BB169_17 Depth=1
	s_or_saveexec_b64 s[42:43], s[42:43]
	v_mov_b32_e32 v52, s46
	s_xor_b64 exec, exec, s[42:43]
	s_cbranch_execnz .LBB169_987
.LBB169_159:                            ;   in Loop: Header=BB169_17 Depth=1
	s_or_b64 exec, exec, s[42:43]
	s_and_saveexec_b64 s[42:43], s[40:41]
	s_cbranch_execz .LBB169_161
.LBB169_160:                            ;   in Loop: Header=BB169_17 Depth=1
	v_lshlrev_b32_e32 v1, 24, v0
	v_and_b32_e32 v0, 0xffff, v0
	v_and_b32_e32 v52, 7, v0
	v_ffbh_u32_e32 v55, v52
	v_min_u32_e32 v55, 32, v55
	v_subrev_u32_e32 v64, 28, v55
	v_bfe_u32 v54, v0, 3, 4
	v_lshlrev_b32_e32 v0, v64, v0
	v_sub_u32_e32 v55, 29, v55
	v_and_b32_e32 v0, 7, v0
	v_cmp_eq_u32_e32 vcc, 0, v54
	v_cndmask_b32_e32 v54, v54, v55, vcc
	v_cndmask_b32_e32 v0, v52, v0, vcc
	v_lshlrev_b32_e32 v0, 20, v0
	v_and_b32_e32 v1, 0x80000000, v1
	v_lshl_add_u32 v52, v54, 23, v24
	v_or3_b32 v52, v1, v52, v0
.LBB169_161:                            ;   in Loop: Header=BB169_17 Depth=1
	s_or_b64 exec, exec, s[42:43]
.LBB169_162:                            ;   in Loop: Header=BB169_17 Depth=1
	s_or_b64 exec, exec, s[38:39]
	s_andn2_b64 s[28:29], s[28:29], exec
	s_andn2_b64 s[34:35], s[34:35], exec
	s_or_b64 s[30:31], s[30:31], exec
.LBB169_163:                            ;   in Loop: Header=BB169_17 Depth=1
	s_or_b64 exec, exec, s[36:37]
	s_and_b64 s[28:29], s[28:29], exec
	s_and_b64 s[34:35], s[34:35], exec
	;; [unrolled: 1-line block ×3, first 2 shown]
                                        ; implicit-def: $vgpr0_vgpr1
.LBB169_164:                            ;   in Loop: Header=BB169_17 Depth=1
	s_andn2_saveexec_b64 s[26:27], s[26:27]
	s_cbranch_execz .LBB169_190
; %bb.165:                              ;   in Loop: Header=BB169_17 Depth=1
	v_cmp_gt_i16_sdwa vcc, v8, v25 src0_sel:BYTE_0 src1_sel:DWORD
	s_mov_b64 s[38:39], s[30:31]
                                        ; implicit-def: $vgpr52
	s_and_saveexec_b64 s[36:37], vcc
	s_xor_b64 s[36:37], exec, s[36:37]
	s_cbranch_execz .LBB169_179
; %bb.166:                              ;   in Loop: Header=BB169_17 Depth=1
	v_cmp_gt_i16_sdwa vcc, v8, v26 src0_sel:BYTE_0 src1_sel:DWORD
                                        ; implicit-def: $vgpr52
	s_and_saveexec_b64 s[38:39], vcc
	s_xor_b64 s[38:39], exec, s[38:39]
	s_cbranch_execz .LBB169_176
; %bb.167:                              ;   in Loop: Header=BB169_17 Depth=1
	v_cmp_gt_i16_sdwa vcc, v8, v27 src0_sel:BYTE_0 src1_sel:DWORD
                                        ; implicit-def: $vgpr52
	s_and_saveexec_b64 s[40:41], vcc
	s_xor_b64 s[40:41], exec, s[40:41]
	s_cbranch_execz .LBB169_173
; %bb.168:                              ;   in Loop: Header=BB169_17 Depth=1
	flat_load_ubyte v0, v[0:1]
	s_movk_i32 vcc_lo, 0x7f
	s_mov_b64 s[42:43], 0
                                        ; implicit-def: $sgpr48
	s_waitcnt vmcnt(0) lgkmcnt(0)
	v_cmp_lt_i16_e32 vcc, vcc_lo, v0
	s_and_saveexec_b64 s[44:45], vcc
	s_xor_b64 s[44:45], exec, s[44:45]
	s_cbranch_execnz .LBB169_1203
; %bb.169:                              ;   in Loop: Header=BB169_17 Depth=1
	s_or_saveexec_b64 s[44:45], s[44:45]
	v_mov_b32_e32 v52, s48
	s_xor_b64 exec, exec, s[44:45]
	s_cbranch_execnz .LBB169_1206
.LBB169_170:                            ;   in Loop: Header=BB169_17 Depth=1
	s_or_b64 exec, exec, s[44:45]
	s_and_saveexec_b64 s[44:45], s[42:43]
	s_cbranch_execz .LBB169_172
.LBB169_171:                            ;   in Loop: Header=BB169_17 Depth=1
	v_lshlrev_b32_e32 v1, 24, v0
	v_and_b32_e32 v0, 0xffff, v0
	v_and_b32_e32 v52, 3, v0
	v_ffbh_u32_e32 v55, v52
	v_min_u32_e32 v55, 32, v55
	v_subrev_u32_e32 v64, 29, v55
	v_bfe_u32 v54, v0, 2, 5
	v_lshlrev_b32_e32 v0, v64, v0
	v_sub_u32_e32 v55, 30, v55
	v_and_b32_e32 v0, 3, v0
	v_cmp_eq_u32_e32 vcc, 0, v54
	v_cndmask_b32_e32 v54, v54, v55, vcc
	v_cndmask_b32_e32 v0, v52, v0, vcc
	v_lshlrev_b32_e32 v0, 21, v0
	v_and_b32_e32 v1, 0x80000000, v1
	v_lshl_add_u32 v52, v54, 23, v28
	v_or3_b32 v52, v1, v52, v0
.LBB169_172:                            ;   in Loop: Header=BB169_17 Depth=1
	s_or_b64 exec, exec, s[44:45]
                                        ; implicit-def: $vgpr0_vgpr1
.LBB169_173:                            ;   in Loop: Header=BB169_17 Depth=1
	s_andn2_saveexec_b64 s[40:41], s[40:41]
	s_cbranch_execz .LBB169_175
; %bb.174:                              ;   in Loop: Header=BB169_17 Depth=1
	flat_load_ubyte v0, v[0:1]
	s_mov_b32 vcc_lo, 0x7f800000
	s_waitcnt vmcnt(0) lgkmcnt(0)
	v_lshlrev_b32_e32 v0, 24, v0
	v_and_b32_e32 v1, 0x7f000000, v0
	v_ffbh_u32_e32 v52, v1
	v_min_u32_e32 v52, 32, v52
	v_sub_u32_e64 v52, v52, 4 clamp
	v_lshlrev_b32_e32 v55, v52, v1
	v_lshlrev_b32_e32 v52, 23, v52
	v_lshrrev_b32_e32 v55, 4, v55
	v_add_u32_e32 v54, 0x1000000, v1
	v_sub_u32_e32 v52, v55, v52
	v_ashrrev_i32_e32 v54, 8, v54
	v_add_u32_e32 v52, 0x3c000000, v52
	v_and_or_b32 v52, v54, vcc_lo, v52
	v_cmp_ne_u32_e32 vcc, 0, v1
	v_cndmask_b32_e32 v1, 0, v52, vcc
	s_brev_b32 vcc_lo, 1
	v_and_or_b32 v52, v0, vcc_lo, v1
.LBB169_175:                            ;   in Loop: Header=BB169_17 Depth=1
	s_or_b64 exec, exec, s[40:41]
                                        ; implicit-def: $vgpr0_vgpr1
.LBB169_176:                            ;   in Loop: Header=BB169_17 Depth=1
	s_andn2_saveexec_b64 s[38:39], s[38:39]
	s_cbranch_execz .LBB169_178
; %bb.177:                              ;   in Loop: Header=BB169_17 Depth=1
	flat_load_ubyte v0, v[0:1]
	s_movk_i32 vcc_lo, 0x7f00
	s_waitcnt vmcnt(0) lgkmcnt(0)
	v_lshlrev_b16_e32 v1, 8, v0
	v_lshlrev_b32_e32 v0, 25, v0
	v_lshrrev_b32_e32 v52, 4, v0
	v_and_or_b32 v54, v1, vcc_lo, 0.5
	v_or_b32_e32 v52, 0x70000000, v52
	s_brev_b32 vcc_lo, 16
	v_add_f32_e32 v54, -0.5, v54
	v_mul_f32_e32 v52, 0x7800000, v52
	v_cmp_gt_u32_e32 vcc, vcc_lo, v0
	v_cndmask_b32_e32 v0, v52, v54, vcc
	v_bfe_i32 v1, v1, 0, 16
	s_brev_b32 vcc_lo, 1
	v_and_or_b32 v52, v1, vcc_lo, v0
.LBB169_178:                            ;   in Loop: Header=BB169_17 Depth=1
	s_or_b64 exec, exec, s[38:39]
	s_or_b64 s[38:39], s[30:31], exec
                                        ; implicit-def: $vgpr0_vgpr1
.LBB169_179:                            ;   in Loop: Header=BB169_17 Depth=1
	s_or_saveexec_b64 s[36:37], s[36:37]
                                        ; implicit-def: $vcc
                                        ; implicit-def: $sgpr44_sgpr45
	s_xor_b64 exec, exec, s[36:37]
	s_cbranch_execz .LBB169_189
; %bb.180:                              ;   in Loop: Header=BB169_17 Depth=1
	v_cmp_gt_i16_sdwa vcc, v8, v29 src0_sel:BYTE_0 src1_sel:DWORD
	s_mov_b64 s[42:43], s[38:39]
                                        ; implicit-def: $sgpr44_sgpr45
                                        ; implicit-def: $sgpr40_sgpr41
                                        ; implicit-def: $vgpr52
	s_and_saveexec_b64 s[46:47], vcc
	s_xor_b64 vcc, exec, s[46:47]
	s_cbranch_execz .LBB169_184
; %bb.181:                              ;   in Loop: Header=BB169_17 Depth=1
	v_cmp_eq_u16_sdwa s[44:45], v8, v32 src0_sel:BYTE_0 src1_sel:DWORD
	s_mov_b64 s[42:43], s[38:39]
                                        ; implicit-def: $vgpr52
	s_and_saveexec_b64 s[40:41], s[44:45]
	s_cbranch_execz .LBB169_183
; %bb.182:                              ;   in Loop: Header=BB169_17 Depth=1
	flat_load_ushort v0, v[0:1]
	s_or_b64 s[42:43], s[38:39], exec
	s_waitcnt vmcnt(0) lgkmcnt(0)
	v_lshlrev_b32_e32 v52, 16, v0
.LBB169_183:                            ;   in Loop: Header=BB169_17 Depth=1
	s_or_b64 exec, exec, s[40:41]
	s_andn2_b64 s[46:47], s[38:39], exec
	s_and_b64 s[42:43], s[42:43], exec
	s_mov_b64 s[40:41], 0
	s_mov_b64 s[44:45], -1
	s_or_b64 s[42:43], s[46:47], s[42:43]
                                        ; implicit-def: $vgpr0_vgpr1
.LBB169_184:                            ;   in Loop: Header=BB169_17 Depth=1
	s_andn2_saveexec_b64 s[46:47], vcc
	s_cbranch_execz .LBB169_188
; %bb.185:                              ;   in Loop: Header=BB169_17 Depth=1
	v_cmp_eq_u16_sdwa s[50:51], v8, v33 src0_sel:BYTE_0 src1_sel:DWORD
	s_mov_b64 vcc, s[42:43]
                                        ; implicit-def: $vgpr52
	s_and_saveexec_b64 s[48:49], s[50:51]
	s_cbranch_execz .LBB169_187
; %bb.186:                              ;   in Loop: Header=BB169_17 Depth=1
	flat_load_ubyte v0, v[0:1]
	s_waitcnt vmcnt(0) lgkmcnt(0)
	v_cmp_ne_u16_e32 vcc, 0, v0
	v_cndmask_b32_e64 v52, 0, 1.0, vcc
	s_or_b64 vcc, s[42:43], exec
.LBB169_187:                            ;   in Loop: Header=BB169_17 Depth=1
	s_or_b64 exec, exec, s[48:49]
	s_andn2_b64 s[42:43], s[42:43], exec
	s_and_b64 vcc, vcc, exec
	s_or_b64 s[44:45], s[44:45], exec
	s_andn2_b64 s[40:41], s[40:41], exec
	s_or_b64 s[42:43], s[42:43], vcc
.LBB169_188:                            ;   in Loop: Header=BB169_17 Depth=1
	s_or_b64 exec, exec, s[46:47]
	s_and_b64 vcc, s[40:41], exec
	s_andn2_b64 s[38:39], s[38:39], exec
	s_and_b64 s[40:41], s[42:43], exec
	s_and_b64 s[44:45], s[44:45], exec
	s_or_b64 s[38:39], s[38:39], s[40:41]
.LBB169_189:                            ;   in Loop: Header=BB169_17 Depth=1
	s_or_b64 exec, exec, s[36:37]
	s_andn2_b64 s[34:35], s[34:35], exec
	s_and_b64 vcc, vcc, exec
	s_andn2_b64 s[28:29], s[28:29], exec
	s_and_b64 s[36:37], s[44:45], exec
	s_or_b64 s[34:35], s[34:35], vcc
	s_andn2_b64 vcc, s[30:31], exec
	s_and_b64 s[30:31], s[38:39], exec
	s_or_b64 s[28:29], s[28:29], s[36:37]
	s_or_b64 s[30:31], vcc, s[30:31]
.LBB169_190:                            ;   in Loop: Header=BB169_17 Depth=1
	s_or_b64 exec, exec, s[26:27]
	s_and_b64 s[28:29], s[28:29], exec
	s_and_b64 s[26:27], s[34:35], exec
	s_and_b64 vcc, s[30:31], exec
                                        ; implicit-def: $vgpr0_vgpr1
	s_andn2_saveexec_b64 s[24:25], s[24:25]
	s_cbranch_execz .LBB169_123
.LBB169_191:                            ;   in Loop: Header=BB169_17 Depth=1
	v_cmp_gt_i16_sdwa s[30:31], v8, v34 src0_sel:BYTE_0 src1_sel:DWORD
                                        ; implicit-def: $vgpr52
	s_and_saveexec_b64 s[34:35], s[30:31]
	s_xor_b64 s[30:31], exec, s[34:35]
	s_cbranch_execz .LBB169_213
; %bb.192:                              ;   in Loop: Header=BB169_17 Depth=1
	v_cmp_gt_i16_sdwa s[34:35], v8, v35 src0_sel:BYTE_0 src1_sel:DWORD
                                        ; implicit-def: $vgpr52
	s_and_saveexec_b64 s[36:37], s[34:35]
	s_xor_b64 s[34:35], exec, s[36:37]
	s_cbranch_execz .LBB169_202
; %bb.193:                              ;   in Loop: Header=BB169_17 Depth=1
	;; [unrolled: 6-line block ×4, first 2 shown]
	flat_load_dwordx2 v[0:1], v[0:1]
	s_waitcnt vmcnt(0) lgkmcnt(0)
	v_cvt_f32_f64_e32 v52, v[0:1]
                                        ; implicit-def: $vgpr0_vgpr1
.LBB169_196:                            ;   in Loop: Header=BB169_17 Depth=1
	s_andn2_saveexec_b64 s[38:39], s[38:39]
	s_cbranch_execz .LBB169_198
; %bb.197:                              ;   in Loop: Header=BB169_17 Depth=1
	flat_load_dword v52, v[0:1]
.LBB169_198:                            ;   in Loop: Header=BB169_17 Depth=1
	s_or_b64 exec, exec, s[38:39]
                                        ; implicit-def: $vgpr0_vgpr1
.LBB169_199:                            ;   in Loop: Header=BB169_17 Depth=1
	s_andn2_saveexec_b64 s[36:37], s[36:37]
	s_cbranch_execz .LBB169_201
; %bb.200:                              ;   in Loop: Header=BB169_17 Depth=1
	flat_load_dword v0, v[0:1]
	s_waitcnt vmcnt(0) lgkmcnt(0)
	v_cvt_f32_f16_e32 v52, v0
.LBB169_201:                            ;   in Loop: Header=BB169_17 Depth=1
	s_or_b64 exec, exec, s[36:37]
                                        ; implicit-def: $vgpr0_vgpr1
.LBB169_202:                            ;   in Loop: Header=BB169_17 Depth=1
	s_andn2_saveexec_b64 s[34:35], s[34:35]
	s_cbranch_execz .LBB169_212
; %bb.203:                              ;   in Loop: Header=BB169_17 Depth=1
	v_cmp_gt_i16_sdwa s[36:37], v8, v38 src0_sel:BYTE_0 src1_sel:DWORD
                                        ; implicit-def: $vgpr52
	s_and_saveexec_b64 s[38:39], s[36:37]
	s_xor_b64 s[36:37], exec, s[38:39]
	s_cbranch_execz .LBB169_209
; %bb.204:                              ;   in Loop: Header=BB169_17 Depth=1
	v_cmp_gt_i16_sdwa s[38:39], v8, v39 src0_sel:BYTE_0 src1_sel:DWORD
                                        ; implicit-def: $vgpr52
	s_and_saveexec_b64 s[40:41], s[38:39]
	s_xor_b64 s[38:39], exec, s[40:41]
	s_cbranch_execz .LBB169_206
; %bb.205:                              ;   in Loop: Header=BB169_17 Depth=1
	flat_load_dwordx2 v[0:1], v[0:1]
	s_waitcnt vmcnt(0) lgkmcnt(0)
	v_cvt_f32_f64_e32 v52, v[0:1]
                                        ; implicit-def: $vgpr0_vgpr1
.LBB169_206:                            ;   in Loop: Header=BB169_17 Depth=1
	s_andn2_saveexec_b64 s[38:39], s[38:39]
	s_cbranch_execz .LBB169_208
; %bb.207:                              ;   in Loop: Header=BB169_17 Depth=1
	s_waitcnt vmcnt(0) lgkmcnt(0)
	flat_load_dword v52, v[0:1]
.LBB169_208:                            ;   in Loop: Header=BB169_17 Depth=1
	s_or_b64 exec, exec, s[38:39]
                                        ; implicit-def: $vgpr0_vgpr1
.LBB169_209:                            ;   in Loop: Header=BB169_17 Depth=1
	s_andn2_saveexec_b64 s[36:37], s[36:37]
	s_cbranch_execz .LBB169_211
; %bb.210:                              ;   in Loop: Header=BB169_17 Depth=1
	flat_load_ushort v0, v[0:1]
	s_waitcnt vmcnt(0) lgkmcnt(0)
	v_cvt_f32_f16_e32 v52, v0
.LBB169_211:                            ;   in Loop: Header=BB169_17 Depth=1
	s_or_b64 exec, exec, s[36:37]
.LBB169_212:                            ;   in Loop: Header=BB169_17 Depth=1
	s_or_b64 exec, exec, s[34:35]
                                        ; implicit-def: $vgpr0_vgpr1
.LBB169_213:                            ;   in Loop: Header=BB169_17 Depth=1
	s_andn2_saveexec_b64 s[30:31], s[30:31]
	s_cbranch_execz .LBB169_231
; %bb.214:                              ;   in Loop: Header=BB169_17 Depth=1
	v_cmp_gt_i16_sdwa s[34:35], v8, v48 src0_sel:BYTE_0 src1_sel:DWORD
                                        ; implicit-def: $vgpr52
	s_and_saveexec_b64 s[36:37], s[34:35]
	s_xor_b64 s[34:35], exec, s[36:37]
	s_cbranch_execz .LBB169_224
; %bb.215:                              ;   in Loop: Header=BB169_17 Depth=1
	v_cmp_gt_i16_sdwa s[36:37], v8, v49 src0_sel:BYTE_0 src1_sel:DWORD
                                        ; implicit-def: $vgpr52
	s_and_saveexec_b64 s[38:39], s[36:37]
	s_xor_b64 s[36:37], exec, s[38:39]
	;; [unrolled: 6-line block ×3, first 2 shown]
	s_cbranch_execz .LBB169_218
; %bb.217:                              ;   in Loop: Header=BB169_17 Depth=1
	flat_load_dwordx2 v[0:1], v[0:1]
	s_waitcnt vmcnt(0) lgkmcnt(0)
	v_xor_b32_e32 v54, v0, v1
	v_ffbh_i32_e32 v52, v1
	v_ashrrev_i32_e32 v54, 31, v54
	v_add_u32_e32 v52, -1, v52
	v_add_u32_e32 v54, 32, v54
	v_min_u32_e32 v52, v52, v54
	v_lshlrev_b64 v[0:1], v52, v[0:1]
	v_min_u32_e32 v0, 1, v0
	v_or_b32_e32 v0, v1, v0
	v_cvt_f32_i32_e32 v0, v0
	v_sub_u32_e32 v1, 32, v52
	v_ldexp_f32 v52, v0, v1
                                        ; implicit-def: $vgpr0_vgpr1
.LBB169_218:                            ;   in Loop: Header=BB169_17 Depth=1
	s_andn2_saveexec_b64 s[38:39], s[38:39]
	s_cbranch_execz .LBB169_220
; %bb.219:                              ;   in Loop: Header=BB169_17 Depth=1
	flat_load_dword v0, v[0:1]
	s_waitcnt vmcnt(0) lgkmcnt(0)
	v_cvt_f32_i32_e32 v52, v0
.LBB169_220:                            ;   in Loop: Header=BB169_17 Depth=1
	s_or_b64 exec, exec, s[38:39]
                                        ; implicit-def: $vgpr0_vgpr1
.LBB169_221:                            ;   in Loop: Header=BB169_17 Depth=1
	s_andn2_saveexec_b64 s[36:37], s[36:37]
	s_cbranch_execz .LBB169_223
; %bb.222:                              ;   in Loop: Header=BB169_17 Depth=1
	flat_load_sshort v0, v[0:1]
	s_waitcnt vmcnt(0) lgkmcnt(0)
	v_cvt_f32_i32_e32 v52, v0
.LBB169_223:                            ;   in Loop: Header=BB169_17 Depth=1
	s_or_b64 exec, exec, s[36:37]
                                        ; implicit-def: $vgpr0_vgpr1
.LBB169_224:                            ;   in Loop: Header=BB169_17 Depth=1
	s_andn2_saveexec_b64 s[34:35], s[34:35]
	s_cbranch_execz .LBB169_230
; %bb.225:                              ;   in Loop: Header=BB169_17 Depth=1
	v_cmp_gt_i16_sdwa s[36:37], v8, v6 src0_sel:BYTE_0 src1_sel:DWORD
                                        ; implicit-def: $vgpr52
	s_and_saveexec_b64 s[38:39], s[36:37]
	s_xor_b64 s[36:37], exec, s[38:39]
	s_cbranch_execz .LBB169_227
; %bb.226:                              ;   in Loop: Header=BB169_17 Depth=1
	flat_load_sbyte v0, v[0:1]
	s_waitcnt vmcnt(0) lgkmcnt(0)
	v_cvt_f32_i32_e32 v52, v0
                                        ; implicit-def: $vgpr0_vgpr1
.LBB169_227:                            ;   in Loop: Header=BB169_17 Depth=1
	s_andn2_saveexec_b64 s[36:37], s[36:37]
	s_cbranch_execz .LBB169_229
; %bb.228:                              ;   in Loop: Header=BB169_17 Depth=1
	flat_load_ubyte v0, v[0:1]
	s_waitcnt vmcnt(0) lgkmcnt(0)
	v_cvt_f32_ubyte0_e32 v52, v0
.LBB169_229:                            ;   in Loop: Header=BB169_17 Depth=1
	s_or_b64 exec, exec, s[36:37]
.LBB169_230:                            ;   in Loop: Header=BB169_17 Depth=1
	s_or_b64 exec, exec, s[34:35]
.LBB169_231:                            ;   in Loop: Header=BB169_17 Depth=1
	s_or_b64 exec, exec, s[30:31]
	s_andn2_b64 s[28:29], s[28:29], exec
	s_andn2_b64 s[26:27], s[26:27], exec
	s_or_b64 vcc, vcc, exec
	s_or_b64 exec, exec, s[24:25]
	s_mov_b64 s[24:25], 0
	s_and_saveexec_b64 s[30:31], vcc
	s_cbranch_execnz .LBB169_124
	s_branch .LBB169_125
.LBB169_232:                            ;   in Loop: Header=BB169_17 Depth=1
	v_cmp_gt_i16_sdwa s[16:17], v7, v13 src0_sel:BYTE_0 src1_sel:DWORD
                                        ; implicit-def: $sgpr28_sgpr29
                                        ; implicit-def: $sgpr18_sgpr19
                                        ; implicit-def: $vgpr54
	s_and_saveexec_b64 vcc, s[16:17]
	s_xor_b64 s[16:17], exec, vcc
	s_cbranch_execz .LBB169_264
; %bb.233:                              ;   in Loop: Header=BB169_17 Depth=1
	v_cmp_gt_i16_sdwa s[18:19], v7, v14 src0_sel:BYTE_0 src1_sel:DWORD
                                        ; implicit-def: $sgpr28_sgpr29
                                        ; implicit-def: $sgpr30_sgpr31
                                        ; implicit-def: $vgpr54
	s_and_saveexec_b64 vcc, s[18:19]
	s_xor_b64 s[18:19], exec, vcc
	s_cbranch_execz .LBB169_249
; %bb.234:                              ;   in Loop: Header=BB169_17 Depth=1
	v_cmp_gt_i16_sdwa s[26:27], v7, v15 src0_sel:BYTE_0 src1_sel:DWORD
	s_mov_b64 vcc, 0
                                        ; implicit-def: $sgpr28_sgpr29
                                        ; implicit-def: $sgpr30_sgpr31
                                        ; implicit-def: $vgpr54
	s_and_saveexec_b64 s[34:35], s[26:27]
	s_xor_b64 s[26:27], exec, s[34:35]
	s_cbranch_execz .LBB169_244
; %bb.235:                              ;   in Loop: Header=BB169_17 Depth=1
	v_cmp_gt_i16_sdwa vcc, v7, v16 src0_sel:BYTE_0 src1_sel:DWORD
	s_mov_b64 s[34:35], 0
                                        ; implicit-def: $sgpr28_sgpr29
                                        ; implicit-def: $sgpr36_sgpr37
                                        ; implicit-def: $vgpr54
	s_and_saveexec_b64 s[30:31], vcc
	s_xor_b64 vcc, exec, s[30:31]
	s_cbranch_execz .LBB169_239
; %bb.236:                              ;   in Loop: Header=BB169_17 Depth=1
	v_cmp_eq_u16_sdwa s[36:37], v7, v17 src0_sel:BYTE_0 src1_sel:DWORD
	s_mov_b64 s[28:29], 0
	s_mov_b64 s[30:31], 0
                                        ; implicit-def: $vgpr54
	s_and_saveexec_b64 s[34:35], s[36:37]
	s_cbranch_execz .LBB169_238
; %bb.237:                              ;   in Loop: Header=BB169_17 Depth=1
	flat_load_dword v0, v[0:1]
	s_mov_b64 s[30:31], exec
	s_waitcnt vmcnt(0) lgkmcnt(0)
	v_lshlrev_b32_e32 v54, 16, v0
.LBB169_238:                            ;   in Loop: Header=BB169_17 Depth=1
	s_or_b64 exec, exec, s[34:35]
	s_mov_b64 s[36:37], -1
	s_and_b64 s[34:35], s[30:31], exec
                                        ; implicit-def: $vgpr0_vgpr1
.LBB169_239:                            ;   in Loop: Header=BB169_17 Depth=1
	s_andn2_saveexec_b64 s[30:31], vcc
	s_cbranch_execz .LBB169_243
; %bb.240:                              ;   in Loop: Header=BB169_17 Depth=1
	v_cmp_eq_u16_sdwa s[40:41], v7, v18 src0_sel:BYTE_0 src1_sel:DWORD
	s_mov_b64 vcc, s[34:35]
                                        ; implicit-def: $vgpr54
	s_and_saveexec_b64 s[38:39], s[40:41]
	s_cbranch_execz .LBB169_242
; %bb.241:                              ;   in Loop: Header=BB169_17 Depth=1
	flat_load_ubyte v0, v[0:1]
	s_movk_i32 vcc_lo, 0xff
	s_waitcnt vmcnt(0) lgkmcnt(0)
	v_lshlrev_b32_e32 v1, 23, v0
	v_cmp_ne_u32_e32 vcc, vcc_lo, v0
	v_cndmask_b32_e32 v1, v19, v1, vcc
	v_cmp_ne_u32_e32 vcc, 0, v0
	v_cndmask_b32_e32 v54, v20, v1, vcc
	s_or_b64 vcc, s[34:35], exec
.LBB169_242:                            ;   in Loop: Header=BB169_17 Depth=1
	s_or_b64 exec, exec, s[38:39]
	s_andn2_b64 s[34:35], s[34:35], exec
	s_and_b64 vcc, vcc, exec
	s_andn2_b64 s[28:29], s[28:29], exec
	s_or_b64 s[36:37], s[36:37], exec
	s_or_b64 s[34:35], s[34:35], vcc
.LBB169_243:                            ;   in Loop: Header=BB169_17 Depth=1
	s_or_b64 exec, exec, s[30:31]
	s_and_b64 s[30:31], s[28:29], exec
	s_and_b64 s[28:29], s[36:37], exec
	s_and_b64 vcc, s[34:35], exec
                                        ; implicit-def: $vgpr0_vgpr1
.LBB169_244:                            ;   in Loop: Header=BB169_17 Depth=1
	s_andn2_saveexec_b64 s[26:27], s[26:27]
	s_cbranch_execz .LBB169_248
; %bb.245:                              ;   in Loop: Header=BB169_17 Depth=1
	v_cmp_eq_u16_sdwa s[38:39], v7, v21 src0_sel:BYTE_0 src1_sel:DWORD
	s_mov_b64 s[36:37], vcc
                                        ; implicit-def: $vgpr54
	s_and_saveexec_b64 s[34:35], s[38:39]
	s_cbranch_execz .LBB169_247
; %bb.246:                              ;   in Loop: Header=BB169_17 Depth=1
	flat_load_dwordx2 v[0:1], v[0:1]
	s_or_b64 s[36:37], vcc, exec
	s_waitcnt vmcnt(0) lgkmcnt(0)
	v_ffbh_u32_e32 v53, v1
	v_min_u32_e32 v53, 32, v53
	v_lshlrev_b64 v[0:1], v53, v[0:1]
	v_min_u32_e32 v0, 1, v0
	v_or_b32_e32 v0, v1, v0
	v_cvt_f32_u32_e32 v0, v0
	v_sub_u32_e32 v1, 32, v53
	v_ldexp_f32 v54, v0, v1
.LBB169_247:                            ;   in Loop: Header=BB169_17 Depth=1
	s_or_b64 exec, exec, s[34:35]
	s_andn2_b64 vcc, vcc, exec
	s_and_b64 s[34:35], s[36:37], exec
	s_andn2_b64 s[30:31], s[30:31], exec
	s_or_b64 s[28:29], s[28:29], exec
	s_or_b64 vcc, vcc, s[34:35]
.LBB169_248:                            ;   in Loop: Header=BB169_17 Depth=1
	s_or_b64 exec, exec, s[26:27]
	s_and_b64 s[30:31], s[30:31], exec
	s_and_b64 s[28:29], s[28:29], exec
	s_and_b64 s[26:27], vcc, exec
                                        ; implicit-def: $vgpr0_vgpr1
.LBB169_249:                            ;   in Loop: Header=BB169_17 Depth=1
	s_andn2_saveexec_b64 s[18:19], s[18:19]
	s_cbranch_execz .LBB169_263
; %bb.250:                              ;   in Loop: Header=BB169_17 Depth=1
	v_cmp_gt_i16_sdwa vcc, v7, v22 src0_sel:BYTE_0 src1_sel:DWORD
                                        ; implicit-def: $vgpr54
	s_and_saveexec_b64 s[34:35], vcc
	s_xor_b64 vcc, exec, s[34:35]
	s_cbranch_execz .LBB169_256
; %bb.251:                              ;   in Loop: Header=BB169_17 Depth=1
	v_cmp_gt_i16_sdwa s[34:35], v7, v23 src0_sel:BYTE_0 src1_sel:DWORD
                                        ; implicit-def: $vgpr54
	s_and_saveexec_b64 s[36:37], s[34:35]
	s_xor_b64 s[34:35], exec, s[36:37]
	s_cbranch_execz .LBB169_253
; %bb.252:                              ;   in Loop: Header=BB169_17 Depth=1
	flat_load_dword v0, v[0:1]
	s_waitcnt vmcnt(0) lgkmcnt(0)
	v_cvt_f32_u32_e32 v54, v0
                                        ; implicit-def: $vgpr0_vgpr1
.LBB169_253:                            ;   in Loop: Header=BB169_17 Depth=1
	s_andn2_saveexec_b64 s[34:35], s[34:35]
	s_cbranch_execz .LBB169_255
; %bb.254:                              ;   in Loop: Header=BB169_17 Depth=1
	flat_load_ushort v0, v[0:1]
	s_waitcnt vmcnt(0) lgkmcnt(0)
	v_cvt_f32_u32_e32 v54, v0
.LBB169_255:                            ;   in Loop: Header=BB169_17 Depth=1
	s_or_b64 exec, exec, s[34:35]
                                        ; implicit-def: $vgpr0_vgpr1
.LBB169_256:                            ;   in Loop: Header=BB169_17 Depth=1
	s_andn2_saveexec_b64 s[34:35], vcc
	s_cbranch_execz .LBB169_262
; %bb.257:                              ;   in Loop: Header=BB169_17 Depth=1
	flat_load_ubyte v0, v[0:1]
	s_movk_i32 vcc_lo, 0x7f
	s_mov_b64 s[36:37], 0
                                        ; implicit-def: $sgpr42
	s_waitcnt vmcnt(0) lgkmcnt(0)
	v_cmp_lt_i16_e32 vcc, vcc_lo, v0
	s_and_saveexec_b64 s[38:39], vcc
	s_xor_b64 s[38:39], exec, s[38:39]
	s_cbranch_execnz .LBB169_988
; %bb.258:                              ;   in Loop: Header=BB169_17 Depth=1
	s_or_saveexec_b64 s[38:39], s[38:39]
	v_mov_b32_e32 v54, s42
	s_xor_b64 exec, exec, s[38:39]
	s_cbranch_execnz .LBB169_991
.LBB169_259:                            ;   in Loop: Header=BB169_17 Depth=1
	s_or_b64 exec, exec, s[38:39]
	s_and_saveexec_b64 s[38:39], s[36:37]
	s_cbranch_execz .LBB169_261
.LBB169_260:                            ;   in Loop: Header=BB169_17 Depth=1
	v_lshlrev_b32_e32 v1, 24, v0
	v_and_b32_e32 v0, 0xffff, v0
	v_and_b32_e32 v53, 7, v0
	v_ffbh_u32_e32 v55, v53
	v_min_u32_e32 v55, 32, v55
	v_subrev_u32_e32 v64, 28, v55
	v_bfe_u32 v54, v0, 3, 4
	v_lshlrev_b32_e32 v0, v64, v0
	v_sub_u32_e32 v55, 29, v55
	v_and_b32_e32 v0, 7, v0
	v_cmp_eq_u32_e32 vcc, 0, v54
	v_cndmask_b32_e32 v54, v54, v55, vcc
	v_cndmask_b32_e32 v0, v53, v0, vcc
	v_lshlrev_b32_e32 v0, 20, v0
	v_and_b32_e32 v1, 0x80000000, v1
	v_lshl_add_u32 v53, v54, 23, v24
	v_or3_b32 v54, v1, v53, v0
.LBB169_261:                            ;   in Loop: Header=BB169_17 Depth=1
	s_or_b64 exec, exec, s[38:39]
.LBB169_262:                            ;   in Loop: Header=BB169_17 Depth=1
	s_or_b64 exec, exec, s[34:35]
	s_andn2_b64 s[30:31], s[30:31], exec
	s_andn2_b64 s[28:29], s[28:29], exec
	s_or_b64 s[26:27], s[26:27], exec
.LBB169_263:                            ;   in Loop: Header=BB169_17 Depth=1
	s_or_b64 exec, exec, s[18:19]
	s_and_b64 s[18:19], s[30:31], exec
	s_and_b64 s[28:29], s[28:29], exec
	s_and_b64 s[26:27], s[26:27], exec
                                        ; implicit-def: $vgpr0_vgpr1
.LBB169_264:                            ;   in Loop: Header=BB169_17 Depth=1
	s_andn2_saveexec_b64 s[16:17], s[16:17]
	s_cbranch_execz .LBB169_290
; %bb.265:                              ;   in Loop: Header=BB169_17 Depth=1
	v_cmp_gt_i16_sdwa vcc, v7, v25 src0_sel:BYTE_0 src1_sel:DWORD
	s_mov_b64 s[34:35], s[26:27]
                                        ; implicit-def: $vgpr54
	s_and_saveexec_b64 s[30:31], vcc
	s_xor_b64 s[30:31], exec, s[30:31]
	s_cbranch_execz .LBB169_279
; %bb.266:                              ;   in Loop: Header=BB169_17 Depth=1
	v_cmp_gt_i16_sdwa vcc, v7, v26 src0_sel:BYTE_0 src1_sel:DWORD
                                        ; implicit-def: $vgpr54
	s_and_saveexec_b64 s[34:35], vcc
	s_xor_b64 s[34:35], exec, s[34:35]
	s_cbranch_execz .LBB169_276
; %bb.267:                              ;   in Loop: Header=BB169_17 Depth=1
	v_cmp_gt_i16_sdwa vcc, v7, v27 src0_sel:BYTE_0 src1_sel:DWORD
                                        ; implicit-def: $vgpr54
	s_and_saveexec_b64 s[36:37], vcc
	s_xor_b64 s[36:37], exec, s[36:37]
	s_cbranch_execz .LBB169_273
; %bb.268:                              ;   in Loop: Header=BB169_17 Depth=1
	flat_load_ubyte v0, v[0:1]
	s_movk_i32 vcc_lo, 0x7f
	s_mov_b64 s[38:39], 0
                                        ; implicit-def: $sgpr44
	s_waitcnt vmcnt(0) lgkmcnt(0)
	v_cmp_lt_i16_e32 vcc, vcc_lo, v0
	s_and_saveexec_b64 s[40:41], vcc
	s_xor_b64 s[40:41], exec, s[40:41]
	s_cbranch_execnz .LBB169_1207
; %bb.269:                              ;   in Loop: Header=BB169_17 Depth=1
	s_or_saveexec_b64 s[40:41], s[40:41]
	v_mov_b32_e32 v54, s44
	s_xor_b64 exec, exec, s[40:41]
	s_cbranch_execnz .LBB169_1210
.LBB169_270:                            ;   in Loop: Header=BB169_17 Depth=1
	s_or_b64 exec, exec, s[40:41]
	s_and_saveexec_b64 s[40:41], s[38:39]
	s_cbranch_execz .LBB169_272
.LBB169_271:                            ;   in Loop: Header=BB169_17 Depth=1
	v_lshlrev_b32_e32 v1, 24, v0
	v_and_b32_e32 v0, 0xffff, v0
	v_and_b32_e32 v53, 3, v0
	v_ffbh_u32_e32 v55, v53
	v_min_u32_e32 v55, 32, v55
	v_subrev_u32_e32 v64, 29, v55
	v_bfe_u32 v54, v0, 2, 5
	v_lshlrev_b32_e32 v0, v64, v0
	v_sub_u32_e32 v55, 30, v55
	v_and_b32_e32 v0, 3, v0
	v_cmp_eq_u32_e32 vcc, 0, v54
	v_cndmask_b32_e32 v54, v54, v55, vcc
	v_cndmask_b32_e32 v0, v53, v0, vcc
	v_lshlrev_b32_e32 v0, 21, v0
	v_and_b32_e32 v1, 0x80000000, v1
	v_lshl_add_u32 v53, v54, 23, v28
	v_or3_b32 v54, v1, v53, v0
.LBB169_272:                            ;   in Loop: Header=BB169_17 Depth=1
	s_or_b64 exec, exec, s[40:41]
                                        ; implicit-def: $vgpr0_vgpr1
.LBB169_273:                            ;   in Loop: Header=BB169_17 Depth=1
	s_andn2_saveexec_b64 s[36:37], s[36:37]
	s_cbranch_execz .LBB169_275
; %bb.274:                              ;   in Loop: Header=BB169_17 Depth=1
	flat_load_ubyte v0, v[0:1]
	s_mov_b32 vcc_lo, 0x7f800000
	s_waitcnt vmcnt(0) lgkmcnt(0)
	v_lshlrev_b32_e32 v0, 24, v0
	v_and_b32_e32 v1, 0x7f000000, v0
	v_ffbh_u32_e32 v53, v1
	v_min_u32_e32 v53, 32, v53
	v_sub_u32_e64 v53, v53, 4 clamp
	v_lshlrev_b32_e32 v55, v53, v1
	v_lshlrev_b32_e32 v53, 23, v53
	v_lshrrev_b32_e32 v55, 4, v55
	v_add_u32_e32 v54, 0x1000000, v1
	v_sub_u32_e32 v53, v55, v53
	v_ashrrev_i32_e32 v54, 8, v54
	v_add_u32_e32 v53, 0x3c000000, v53
	v_and_or_b32 v53, v54, vcc_lo, v53
	v_cmp_ne_u32_e32 vcc, 0, v1
	v_cndmask_b32_e32 v1, 0, v53, vcc
	s_brev_b32 vcc_lo, 1
	v_and_or_b32 v54, v0, vcc_lo, v1
.LBB169_275:                            ;   in Loop: Header=BB169_17 Depth=1
	s_or_b64 exec, exec, s[36:37]
                                        ; implicit-def: $vgpr0_vgpr1
.LBB169_276:                            ;   in Loop: Header=BB169_17 Depth=1
	s_andn2_saveexec_b64 s[34:35], s[34:35]
	s_cbranch_execz .LBB169_278
; %bb.277:                              ;   in Loop: Header=BB169_17 Depth=1
	flat_load_ubyte v0, v[0:1]
	s_movk_i32 vcc_lo, 0x7f00
	s_waitcnt vmcnt(0) lgkmcnt(0)
	v_lshlrev_b16_e32 v1, 8, v0
	v_lshlrev_b32_e32 v0, 25, v0
	v_lshrrev_b32_e32 v53, 4, v0
	v_and_or_b32 v54, v1, vcc_lo, 0.5
	v_or_b32_e32 v53, 0x70000000, v53
	s_brev_b32 vcc_lo, 16
	v_add_f32_e32 v54, -0.5, v54
	v_mul_f32_e32 v53, 0x7800000, v53
	v_cmp_gt_u32_e32 vcc, vcc_lo, v0
	v_cndmask_b32_e32 v0, v53, v54, vcc
	v_bfe_i32 v1, v1, 0, 16
	s_brev_b32 vcc_lo, 1
	v_and_or_b32 v54, v1, vcc_lo, v0
.LBB169_278:                            ;   in Loop: Header=BB169_17 Depth=1
	s_or_b64 exec, exec, s[34:35]
	s_or_b64 s[34:35], s[26:27], exec
                                        ; implicit-def: $vgpr0_vgpr1
.LBB169_279:                            ;   in Loop: Header=BB169_17 Depth=1
	s_or_saveexec_b64 s[30:31], s[30:31]
                                        ; implicit-def: $vcc
                                        ; implicit-def: $sgpr40_sgpr41
	s_xor_b64 exec, exec, s[30:31]
	s_cbranch_execz .LBB169_289
; %bb.280:                              ;   in Loop: Header=BB169_17 Depth=1
	v_cmp_gt_i16_sdwa vcc, v7, v29 src0_sel:BYTE_0 src1_sel:DWORD
	s_mov_b64 s[38:39], s[34:35]
                                        ; implicit-def: $sgpr40_sgpr41
                                        ; implicit-def: $sgpr36_sgpr37
                                        ; implicit-def: $vgpr54
	s_and_saveexec_b64 s[42:43], vcc
	s_xor_b64 vcc, exec, s[42:43]
	s_cbranch_execz .LBB169_284
; %bb.281:                              ;   in Loop: Header=BB169_17 Depth=1
	v_cmp_eq_u16_sdwa s[40:41], v7, v32 src0_sel:BYTE_0 src1_sel:DWORD
	s_mov_b64 s[38:39], s[34:35]
                                        ; implicit-def: $vgpr54
	s_and_saveexec_b64 s[36:37], s[40:41]
	s_cbranch_execz .LBB169_283
; %bb.282:                              ;   in Loop: Header=BB169_17 Depth=1
	flat_load_ushort v0, v[0:1]
	s_or_b64 s[38:39], s[34:35], exec
	s_waitcnt vmcnt(0) lgkmcnt(0)
	v_lshlrev_b32_e32 v54, 16, v0
.LBB169_283:                            ;   in Loop: Header=BB169_17 Depth=1
	s_or_b64 exec, exec, s[36:37]
	s_andn2_b64 s[42:43], s[34:35], exec
	s_and_b64 s[38:39], s[38:39], exec
	s_mov_b64 s[36:37], -1
	s_mov_b64 s[40:41], 0
	s_or_b64 s[38:39], s[42:43], s[38:39]
                                        ; implicit-def: $vgpr0_vgpr1
.LBB169_284:                            ;   in Loop: Header=BB169_17 Depth=1
	s_andn2_saveexec_b64 s[42:43], vcc
	s_cbranch_execz .LBB169_288
; %bb.285:                              ;   in Loop: Header=BB169_17 Depth=1
	v_cmp_eq_u16_sdwa s[46:47], v7, v33 src0_sel:BYTE_0 src1_sel:DWORD
	s_mov_b64 vcc, s[38:39]
                                        ; implicit-def: $vgpr54
	s_and_saveexec_b64 s[44:45], s[46:47]
	s_cbranch_execz .LBB169_287
; %bb.286:                              ;   in Loop: Header=BB169_17 Depth=1
	flat_load_ubyte v0, v[0:1]
	s_waitcnt vmcnt(0) lgkmcnt(0)
	v_cmp_ne_u16_e32 vcc, 0, v0
	v_cndmask_b32_e64 v54, 0, 1.0, vcc
	s_or_b64 vcc, s[38:39], exec
.LBB169_287:                            ;   in Loop: Header=BB169_17 Depth=1
	s_or_b64 exec, exec, s[44:45]
	s_andn2_b64 s[38:39], s[38:39], exec
	s_and_b64 vcc, vcc, exec
	s_andn2_b64 s[40:41], s[40:41], exec
	s_or_b64 s[36:37], s[36:37], exec
	s_or_b64 s[38:39], s[38:39], vcc
.LBB169_288:                            ;   in Loop: Header=BB169_17 Depth=1
	s_or_b64 exec, exec, s[42:43]
	s_and_b64 vcc, s[36:37], exec
	s_andn2_b64 s[34:35], s[34:35], exec
	s_and_b64 s[36:37], s[38:39], exec
	s_and_b64 s[40:41], s[40:41], exec
	s_or_b64 s[34:35], s[34:35], s[36:37]
.LBB169_289:                            ;   in Loop: Header=BB169_17 Depth=1
	s_or_b64 exec, exec, s[30:31]
	s_andn2_b64 s[28:29], s[28:29], exec
	s_and_b64 vcc, vcc, exec
	s_andn2_b64 s[18:19], s[18:19], exec
	s_and_b64 s[30:31], s[40:41], exec
	s_or_b64 s[28:29], s[28:29], vcc
	s_andn2_b64 s[26:27], s[26:27], exec
	s_and_b64 vcc, s[34:35], exec
	s_or_b64 s[18:19], s[18:19], s[30:31]
	s_or_b64 s[26:27], s[26:27], vcc
.LBB169_290:                            ;   in Loop: Header=BB169_17 Depth=1
	s_or_b64 exec, exec, s[16:17]
	s_and_b64 s[18:19], s[18:19], exec
	s_and_b64 s[16:17], s[28:29], exec
	s_and_b64 s[26:27], s[26:27], exec
                                        ; implicit-def: $vgpr0_vgpr1
	s_andn2_saveexec_b64 s[24:25], s[24:25]
	s_cbranch_execz .LBB169_131
.LBB169_291:                            ;   in Loop: Header=BB169_17 Depth=1
	v_cmp_gt_i16_sdwa s[28:29], v7, v34 src0_sel:BYTE_0 src1_sel:DWORD
                                        ; implicit-def: $vgpr54
	s_and_saveexec_b64 vcc, s[28:29]
	s_xor_b64 s[28:29], exec, vcc
	s_cbranch_execz .LBB169_313
; %bb.292:                              ;   in Loop: Header=BB169_17 Depth=1
	v_cmp_gt_i16_sdwa vcc, v7, v35 src0_sel:BYTE_0 src1_sel:DWORD
                                        ; implicit-def: $vgpr54
	s_and_saveexec_b64 s[30:31], vcc
	s_xor_b64 vcc, exec, s[30:31]
	s_cbranch_execz .LBB169_302
; %bb.293:                              ;   in Loop: Header=BB169_17 Depth=1
	v_cmp_gt_i16_sdwa s[30:31], v7, v36 src0_sel:BYTE_0 src1_sel:DWORD
                                        ; implicit-def: $vgpr54
	s_and_saveexec_b64 s[34:35], s[30:31]
	s_xor_b64 s[30:31], exec, s[34:35]
	s_cbranch_execz .LBB169_299
; %bb.294:                              ;   in Loop: Header=BB169_17 Depth=1
	v_cmp_gt_i16_sdwa s[34:35], v7, v37 src0_sel:BYTE_0 src1_sel:DWORD
                                        ; implicit-def: $vgpr54
	s_and_saveexec_b64 s[36:37], s[34:35]
	s_xor_b64 s[34:35], exec, s[36:37]
	s_cbranch_execz .LBB169_296
; %bb.295:                              ;   in Loop: Header=BB169_17 Depth=1
	flat_load_dwordx2 v[0:1], v[0:1]
	s_waitcnt vmcnt(0) lgkmcnt(0)
	v_cvt_f32_f64_e32 v54, v[0:1]
                                        ; implicit-def: $vgpr0_vgpr1
.LBB169_296:                            ;   in Loop: Header=BB169_17 Depth=1
	s_andn2_saveexec_b64 s[34:35], s[34:35]
	s_cbranch_execz .LBB169_298
; %bb.297:                              ;   in Loop: Header=BB169_17 Depth=1
	flat_load_dword v54, v[0:1]
.LBB169_298:                            ;   in Loop: Header=BB169_17 Depth=1
	s_or_b64 exec, exec, s[34:35]
                                        ; implicit-def: $vgpr0_vgpr1
.LBB169_299:                            ;   in Loop: Header=BB169_17 Depth=1
	s_andn2_saveexec_b64 s[30:31], s[30:31]
	s_cbranch_execz .LBB169_301
; %bb.300:                              ;   in Loop: Header=BB169_17 Depth=1
	flat_load_dword v0, v[0:1]
	s_waitcnt vmcnt(0) lgkmcnt(0)
	v_cvt_f32_f16_e32 v54, v0
.LBB169_301:                            ;   in Loop: Header=BB169_17 Depth=1
	s_or_b64 exec, exec, s[30:31]
                                        ; implicit-def: $vgpr0_vgpr1
.LBB169_302:                            ;   in Loop: Header=BB169_17 Depth=1
	s_andn2_saveexec_b64 vcc, vcc
	s_cbranch_execz .LBB169_312
; %bb.303:                              ;   in Loop: Header=BB169_17 Depth=1
	v_cmp_gt_i16_sdwa s[30:31], v7, v38 src0_sel:BYTE_0 src1_sel:DWORD
                                        ; implicit-def: $vgpr54
	s_and_saveexec_b64 s[34:35], s[30:31]
	s_xor_b64 s[30:31], exec, s[34:35]
	s_cbranch_execz .LBB169_309
; %bb.304:                              ;   in Loop: Header=BB169_17 Depth=1
	v_cmp_gt_i16_sdwa s[34:35], v7, v39 src0_sel:BYTE_0 src1_sel:DWORD
                                        ; implicit-def: $vgpr54
	s_and_saveexec_b64 s[36:37], s[34:35]
	s_xor_b64 s[34:35], exec, s[36:37]
	s_cbranch_execz .LBB169_306
; %bb.305:                              ;   in Loop: Header=BB169_17 Depth=1
	flat_load_dwordx2 v[0:1], v[0:1]
	s_waitcnt vmcnt(0) lgkmcnt(0)
	v_cvt_f32_f64_e32 v54, v[0:1]
                                        ; implicit-def: $vgpr0_vgpr1
.LBB169_306:                            ;   in Loop: Header=BB169_17 Depth=1
	s_andn2_saveexec_b64 s[34:35], s[34:35]
	s_cbranch_execz .LBB169_308
; %bb.307:                              ;   in Loop: Header=BB169_17 Depth=1
	s_waitcnt vmcnt(0) lgkmcnt(0)
	flat_load_dword v54, v[0:1]
.LBB169_308:                            ;   in Loop: Header=BB169_17 Depth=1
	s_or_b64 exec, exec, s[34:35]
                                        ; implicit-def: $vgpr0_vgpr1
.LBB169_309:                            ;   in Loop: Header=BB169_17 Depth=1
	s_andn2_saveexec_b64 s[30:31], s[30:31]
	s_cbranch_execz .LBB169_311
; %bb.310:                              ;   in Loop: Header=BB169_17 Depth=1
	flat_load_ushort v0, v[0:1]
	s_waitcnt vmcnt(0) lgkmcnt(0)
	v_cvt_f32_f16_e32 v54, v0
.LBB169_311:                            ;   in Loop: Header=BB169_17 Depth=1
	s_or_b64 exec, exec, s[30:31]
.LBB169_312:                            ;   in Loop: Header=BB169_17 Depth=1
	s_or_b64 exec, exec, vcc
                                        ; implicit-def: $vgpr0_vgpr1
.LBB169_313:                            ;   in Loop: Header=BB169_17 Depth=1
	s_andn2_saveexec_b64 s[28:29], s[28:29]
	s_cbranch_execz .LBB169_331
; %bb.314:                              ;   in Loop: Header=BB169_17 Depth=1
	v_cmp_gt_i16_sdwa vcc, v7, v48 src0_sel:BYTE_0 src1_sel:DWORD
                                        ; implicit-def: $vgpr54
	s_and_saveexec_b64 s[30:31], vcc
	s_xor_b64 vcc, exec, s[30:31]
	s_cbranch_execz .LBB169_324
; %bb.315:                              ;   in Loop: Header=BB169_17 Depth=1
	v_cmp_gt_i16_sdwa s[30:31], v7, v49 src0_sel:BYTE_0 src1_sel:DWORD
                                        ; implicit-def: $vgpr54
	s_and_saveexec_b64 s[34:35], s[30:31]
	s_xor_b64 s[30:31], exec, s[34:35]
	s_cbranch_execz .LBB169_321
; %bb.316:                              ;   in Loop: Header=BB169_17 Depth=1
	v_cmp_gt_i16_sdwa s[34:35], v7, v50 src0_sel:BYTE_0 src1_sel:DWORD
                                        ; implicit-def: $vgpr54
	s_and_saveexec_b64 s[36:37], s[34:35]
	s_xor_b64 s[34:35], exec, s[36:37]
	s_cbranch_execz .LBB169_318
; %bb.317:                              ;   in Loop: Header=BB169_17 Depth=1
	flat_load_dwordx2 v[0:1], v[0:1]
	s_waitcnt vmcnt(0) lgkmcnt(0)
	v_xor_b32_e32 v54, v0, v1
	v_ffbh_i32_e32 v53, v1
	v_ashrrev_i32_e32 v54, 31, v54
	v_add_u32_e32 v53, -1, v53
	v_add_u32_e32 v54, 32, v54
	v_min_u32_e32 v53, v53, v54
	v_lshlrev_b64 v[0:1], v53, v[0:1]
	v_min_u32_e32 v0, 1, v0
	v_or_b32_e32 v0, v1, v0
	v_cvt_f32_i32_e32 v0, v0
	v_sub_u32_e32 v1, 32, v53
	v_ldexp_f32 v54, v0, v1
                                        ; implicit-def: $vgpr0_vgpr1
.LBB169_318:                            ;   in Loop: Header=BB169_17 Depth=1
	s_andn2_saveexec_b64 s[34:35], s[34:35]
	s_cbranch_execz .LBB169_320
; %bb.319:                              ;   in Loop: Header=BB169_17 Depth=1
	flat_load_dword v0, v[0:1]
	s_waitcnt vmcnt(0) lgkmcnt(0)
	v_cvt_f32_i32_e32 v54, v0
.LBB169_320:                            ;   in Loop: Header=BB169_17 Depth=1
	s_or_b64 exec, exec, s[34:35]
                                        ; implicit-def: $vgpr0_vgpr1
.LBB169_321:                            ;   in Loop: Header=BB169_17 Depth=1
	s_andn2_saveexec_b64 s[30:31], s[30:31]
	s_cbranch_execz .LBB169_323
; %bb.322:                              ;   in Loop: Header=BB169_17 Depth=1
	flat_load_sshort v0, v[0:1]
	s_waitcnt vmcnt(0) lgkmcnt(0)
	v_cvt_f32_i32_e32 v54, v0
.LBB169_323:                            ;   in Loop: Header=BB169_17 Depth=1
	s_or_b64 exec, exec, s[30:31]
                                        ; implicit-def: $vgpr0_vgpr1
.LBB169_324:                            ;   in Loop: Header=BB169_17 Depth=1
	s_andn2_saveexec_b64 vcc, vcc
	s_cbranch_execz .LBB169_330
; %bb.325:                              ;   in Loop: Header=BB169_17 Depth=1
	v_cmp_gt_i16_sdwa s[30:31], v7, v6 src0_sel:BYTE_0 src1_sel:DWORD
                                        ; implicit-def: $vgpr54
	s_and_saveexec_b64 s[34:35], s[30:31]
	s_xor_b64 s[30:31], exec, s[34:35]
	s_cbranch_execz .LBB169_327
; %bb.326:                              ;   in Loop: Header=BB169_17 Depth=1
	flat_load_sbyte v0, v[0:1]
	s_waitcnt vmcnt(0) lgkmcnt(0)
	v_cvt_f32_i32_e32 v54, v0
                                        ; implicit-def: $vgpr0_vgpr1
.LBB169_327:                            ;   in Loop: Header=BB169_17 Depth=1
	s_andn2_saveexec_b64 s[30:31], s[30:31]
	s_cbranch_execz .LBB169_329
; %bb.328:                              ;   in Loop: Header=BB169_17 Depth=1
	flat_load_ubyte v0, v[0:1]
	s_waitcnt vmcnt(0) lgkmcnt(0)
	v_cvt_f32_ubyte0_e32 v54, v0
.LBB169_329:                            ;   in Loop: Header=BB169_17 Depth=1
	s_or_b64 exec, exec, s[30:31]
.LBB169_330:                            ;   in Loop: Header=BB169_17 Depth=1
	s_or_b64 exec, exec, vcc
.LBB169_331:                            ;   in Loop: Header=BB169_17 Depth=1
	s_or_b64 exec, exec, s[28:29]
	s_andn2_b64 s[18:19], s[18:19], exec
	s_andn2_b64 s[16:17], s[16:17], exec
	s_or_b64 s[26:27], s[26:27], exec
	s_or_b64 exec, exec, s[24:25]
	s_mov_b64 s[28:29], 0
	s_and_saveexec_b64 s[24:25], s[26:27]
	s_cbranch_execz .LBB169_337
.LBB169_332:                            ;   in Loop: Header=BB169_17 Depth=1
	v_mul_lo_u32 v0, v52, v10
	v_readlane_b32 s26, v78, 0
	v_add_co_u32_e32 v0, vcc, v4, v0
	v_add_u32_e32 v53, s26, v11
	v_addc_co_u32_e32 v1, vcc, 0, v5, vcc
	v_cmp_gt_i16_sdwa s[26:27], v8, v12 src0_sel:BYTE_0 src1_sel:DWORD
	s_mov_b64 s[30:31], 0
	s_waitcnt vmcnt(0) lgkmcnt(0)
	buffer_store_dword v54, v53, s[0:3], 0 offen offset:12
                                        ; implicit-def: $sgpr28_sgpr29
                                        ; implicit-def: $vcc
                                        ; implicit-def: $vgpr52
	s_and_saveexec_b64 s[34:35], s[26:27]
	s_xor_b64 s[26:27], exec, s[34:35]
	s_cbranch_execnz .LBB169_343
; %bb.333:                              ;   in Loop: Header=BB169_17 Depth=1
	s_andn2_saveexec_b64 s[26:27], s[26:27]
	s_cbranch_execnz .LBB169_402
.LBB169_334:                            ;   in Loop: Header=BB169_17 Depth=1
	s_or_b64 exec, exec, s[26:27]
	s_mov_b64 s[26:27], 0
	s_and_saveexec_b64 s[34:35], s[30:31]
	s_cbranch_execz .LBB169_336
.LBB169_335:                            ;   in Loop: Header=BB169_17 Depth=1
	s_mov_b64 s[26:27], exec
	v_add_u32_e32 v51, 0x200, v51
	s_andn2_b64 vcc, vcc, exec
	s_andn2_b64 s[28:29], s[28:29], exec
	s_waitcnt vmcnt(0) lgkmcnt(0)
	buffer_store_dword v52, v53, s[0:3], 0 offen offset:8
.LBB169_336:                            ;   in Loop: Header=BB169_17 Depth=1
	s_or_b64 exec, exec, s[34:35]
	s_andn2_b64 s[18:19], s[18:19], exec
	s_and_b64 vcc, vcc, exec
	s_andn2_b64 s[16:17], s[16:17], exec
	s_and_b64 s[28:29], s[28:29], exec
	s_or_b64 s[18:19], s[18:19], vcc
	s_or_b64 s[16:17], s[16:17], s[28:29]
	s_and_b64 s[28:29], s[26:27], exec
.LBB169_337:                            ;   in Loop: Header=BB169_17 Depth=1
	s_or_b64 exec, exec, s[24:25]
	s_and_b64 s[18:19], s[18:19], exec
	s_and_b64 s[16:17], s[16:17], exec
	s_orn2_b64 s[24:25], s[28:29], exec
.LBB169_338:                            ;   in Loop: Header=BB169_17 Depth=1
	s_or_b64 exec, exec, s[20:21]
	s_and_saveexec_b64 s[20:21], s[24:25]
	s_cbranch_execz .LBB169_15
; %bb.339:                              ;   in Loop: Header=BB169_17 Depth=1
	v_cmp_lt_i32_e32 vcc, v51, v72
	s_mov_b64 s[28:29], -1
	s_mov_b64 s[30:31], -1
                                        ; implicit-def: $sgpr22_sgpr23
                                        ; implicit-def: $sgpr24_sgpr25
	s_and_saveexec_b64 s[26:27], vcc
	s_cbranch_execz .LBB169_549
; %bb.340:                              ;   in Loop: Header=BB169_17 Depth=1
	v_readlane_b32 s22, v78, 1
	s_waitcnt vmcnt(0) lgkmcnt(0)
	v_add_u32_e32 v52, s22, v51
	v_mul_lo_u32 v0, v52, v9
	v_add_co_u32_e32 v0, vcc, v2, v0
	v_addc_co_u32_e32 v1, vcc, 0, v3, vcc
	v_cmp_gt_i16_sdwa s[30:31], v7, v12 src0_sel:BYTE_0 src1_sel:DWORD
	s_mov_b64 vcc, 0
                                        ; implicit-def: $sgpr22_sgpr23
                                        ; implicit-def: $sgpr24_sgpr25
                                        ; implicit-def: $vgpr54
	s_and_saveexec_b64 s[34:35], s[30:31]
	s_xor_b64 s[30:31], exec, s[34:35]
	s_cbranch_execnz .LBB169_443
; %bb.341:                              ;   in Loop: Header=BB169_17 Depth=1
	s_andn2_saveexec_b64 s[30:31], s[30:31]
	s_cbranch_execnz .LBB169_502
.LBB169_342:                            ;   in Loop: Header=BB169_17 Depth=1
	s_or_b64 exec, exec, s[30:31]
	s_mov_b64 s[34:35], 0
	s_and_saveexec_b64 s[30:31], vcc
	s_cbranch_execnz .LBB169_543
	s_branch .LBB169_548
.LBB169_343:                            ;   in Loop: Header=BB169_17 Depth=1
	v_cmp_gt_i16_sdwa s[28:29], v8, v13 src0_sel:BYTE_0 src1_sel:DWORD
                                        ; implicit-def: $sgpr34_sgpr35
                                        ; implicit-def: $sgpr36_sgpr37
                                        ; implicit-def: $vgpr52
	s_and_saveexec_b64 vcc, s[28:29]
	s_xor_b64 s[28:29], exec, vcc
	s_cbranch_execz .LBB169_375
; %bb.344:                              ;   in Loop: Header=BB169_17 Depth=1
	v_cmp_gt_i16_sdwa vcc, v8, v14 src0_sel:BYTE_0 src1_sel:DWORD
                                        ; implicit-def: $sgpr34_sgpr35
                                        ; implicit-def: $sgpr38_sgpr39
                                        ; implicit-def: $vgpr52
	s_and_saveexec_b64 s[36:37], vcc
	s_xor_b64 s[36:37], exec, s[36:37]
	s_cbranch_execz .LBB169_360
; %bb.345:                              ;   in Loop: Header=BB169_17 Depth=1
	v_cmp_gt_i16_sdwa s[30:31], v8, v15 src0_sel:BYTE_0 src1_sel:DWORD
	s_mov_b64 s[40:41], 0
                                        ; implicit-def: $vcc
                                        ; implicit-def: $sgpr38_sgpr39
                                        ; implicit-def: $vgpr52
	s_and_saveexec_b64 s[34:35], s[30:31]
	s_xor_b64 s[30:31], exec, s[34:35]
	s_cbranch_execz .LBB169_355
; %bb.346:                              ;   in Loop: Header=BB169_17 Depth=1
	v_cmp_gt_i16_sdwa vcc, v8, v16 src0_sel:BYTE_0 src1_sel:DWORD
                                        ; implicit-def: $sgpr38_sgpr39
                                        ; implicit-def: $sgpr34_sgpr35
                                        ; implicit-def: $vgpr52
	s_and_saveexec_b64 s[42:43], vcc
	s_xor_b64 vcc, exec, s[42:43]
	s_cbranch_execz .LBB169_350
; %bb.347:                              ;   in Loop: Header=BB169_17 Depth=1
	v_cmp_eq_u16_sdwa s[42:43], v8, v17 src0_sel:BYTE_0 src1_sel:DWORD
	s_mov_b64 s[34:35], 0
                                        ; implicit-def: $vgpr52
	s_and_saveexec_b64 s[38:39], s[42:43]
	s_cbranch_execz .LBB169_349
; %bb.348:                              ;   in Loop: Header=BB169_17 Depth=1
	flat_load_dword v0, v[0:1]
	s_mov_b64 s[40:41], exec
	s_waitcnt vmcnt(0) lgkmcnt(0)
	v_lshlrev_b32_e32 v52, 16, v0
.LBB169_349:                            ;   in Loop: Header=BB169_17 Depth=1
	s_or_b64 exec, exec, s[38:39]
	s_mov_b64 s[38:39], -1
	s_and_b64 s[40:41], s[40:41], exec
                                        ; implicit-def: $vgpr0_vgpr1
.LBB169_350:                            ;   in Loop: Header=BB169_17 Depth=1
	s_andn2_saveexec_b64 s[42:43], vcc
	s_cbranch_execz .LBB169_354
; %bb.351:                              ;   in Loop: Header=BB169_17 Depth=1
	v_cmp_eq_u16_sdwa s[46:47], v8, v18 src0_sel:BYTE_0 src1_sel:DWORD
	s_mov_b64 vcc, s[40:41]
                                        ; implicit-def: $vgpr52
	s_and_saveexec_b64 s[44:45], s[46:47]
	s_cbranch_execz .LBB169_353
; %bb.352:                              ;   in Loop: Header=BB169_17 Depth=1
	flat_load_ubyte v0, v[0:1]
	s_movk_i32 vcc_lo, 0xff
	s_waitcnt vmcnt(0) lgkmcnt(0)
	v_lshlrev_b32_e32 v1, 23, v0
	v_cmp_ne_u32_e32 vcc, vcc_lo, v0
	v_cndmask_b32_e32 v1, v19, v1, vcc
	v_cmp_ne_u32_e32 vcc, 0, v0
	v_cndmask_b32_e32 v52, v20, v1, vcc
	s_or_b64 vcc, s[40:41], exec
.LBB169_353:                            ;   in Loop: Header=BB169_17 Depth=1
	s_or_b64 exec, exec, s[44:45]
	s_andn2_b64 s[40:41], s[40:41], exec
	s_and_b64 vcc, vcc, exec
	s_or_b64 s[38:39], s[38:39], exec
	s_andn2_b64 s[34:35], s[34:35], exec
	s_or_b64 s[40:41], s[40:41], vcc
.LBB169_354:                            ;   in Loop: Header=BB169_17 Depth=1
	s_or_b64 exec, exec, s[42:43]
	s_and_b64 s[38:39], s[38:39], exec
	s_and_b64 vcc, s[34:35], exec
	s_and_b64 s[40:41], s[40:41], exec
                                        ; implicit-def: $vgpr0_vgpr1
.LBB169_355:                            ;   in Loop: Header=BB169_17 Depth=1
	s_andn2_saveexec_b64 s[30:31], s[30:31]
	s_cbranch_execz .LBB169_359
; %bb.356:                              ;   in Loop: Header=BB169_17 Depth=1
	v_cmp_eq_u16_sdwa s[44:45], v8, v21 src0_sel:BYTE_0 src1_sel:DWORD
	s_mov_b64 s[42:43], s[40:41]
                                        ; implicit-def: $vgpr52
	s_and_saveexec_b64 s[34:35], s[44:45]
	s_cbranch_execz .LBB169_358
; %bb.357:                              ;   in Loop: Header=BB169_17 Depth=1
	flat_load_dwordx2 v[0:1], v[0:1]
	s_or_b64 s[42:43], s[40:41], exec
	s_waitcnt vmcnt(0) lgkmcnt(0)
	v_ffbh_u32_e32 v52, v1
	v_min_u32_e32 v52, 32, v52
	v_lshlrev_b64 v[0:1], v52, v[0:1]
	v_min_u32_e32 v0, 1, v0
	v_or_b32_e32 v0, v1, v0
	v_cvt_f32_u32_e32 v0, v0
	v_sub_u32_e32 v1, 32, v52
	v_ldexp_f32 v52, v0, v1
.LBB169_358:                            ;   in Loop: Header=BB169_17 Depth=1
	s_or_b64 exec, exec, s[34:35]
	s_andn2_b64 s[34:35], s[40:41], exec
	s_and_b64 s[40:41], s[42:43], exec
	s_or_b64 s[38:39], s[38:39], exec
	s_andn2_b64 vcc, vcc, exec
	s_or_b64 s[40:41], s[34:35], s[40:41]
.LBB169_359:                            ;   in Loop: Header=BB169_17 Depth=1
	s_or_b64 exec, exec, s[30:31]
	s_and_b64 s[38:39], s[38:39], exec
	s_and_b64 s[34:35], vcc, exec
	s_and_b64 s[30:31], s[40:41], exec
                                        ; implicit-def: $vgpr0_vgpr1
.LBB169_360:                            ;   in Loop: Header=BB169_17 Depth=1
	s_andn2_saveexec_b64 s[36:37], s[36:37]
	s_cbranch_execz .LBB169_374
; %bb.361:                              ;   in Loop: Header=BB169_17 Depth=1
	v_cmp_gt_i16_sdwa vcc, v8, v22 src0_sel:BYTE_0 src1_sel:DWORD
                                        ; implicit-def: $vgpr52
	s_and_saveexec_b64 s[40:41], vcc
	s_xor_b64 vcc, exec, s[40:41]
	s_cbranch_execz .LBB169_367
; %bb.362:                              ;   in Loop: Header=BB169_17 Depth=1
	v_cmp_gt_i16_sdwa s[40:41], v8, v23 src0_sel:BYTE_0 src1_sel:DWORD
                                        ; implicit-def: $vgpr52
	s_and_saveexec_b64 s[42:43], s[40:41]
	s_xor_b64 s[40:41], exec, s[42:43]
	s_cbranch_execz .LBB169_364
; %bb.363:                              ;   in Loop: Header=BB169_17 Depth=1
	flat_load_dword v0, v[0:1]
	s_waitcnt vmcnt(0) lgkmcnt(0)
	v_cvt_f32_u32_e32 v52, v0
                                        ; implicit-def: $vgpr0_vgpr1
.LBB169_364:                            ;   in Loop: Header=BB169_17 Depth=1
	s_andn2_saveexec_b64 s[40:41], s[40:41]
	s_cbranch_execz .LBB169_366
; %bb.365:                              ;   in Loop: Header=BB169_17 Depth=1
	flat_load_ushort v0, v[0:1]
	s_waitcnt vmcnt(0) lgkmcnt(0)
	v_cvt_f32_u32_e32 v52, v0
.LBB169_366:                            ;   in Loop: Header=BB169_17 Depth=1
	s_or_b64 exec, exec, s[40:41]
                                        ; implicit-def: $vgpr0_vgpr1
.LBB169_367:                            ;   in Loop: Header=BB169_17 Depth=1
	s_andn2_saveexec_b64 s[40:41], vcc
	s_cbranch_execz .LBB169_373
; %bb.368:                              ;   in Loop: Header=BB169_17 Depth=1
	flat_load_ubyte v0, v[0:1]
	s_movk_i32 vcc_lo, 0x7f
	s_mov_b64 s[42:43], 0
                                        ; implicit-def: $sgpr48
	s_waitcnt vmcnt(0) lgkmcnt(0)
	v_cmp_lt_i16_e32 vcc, vcc_lo, v0
	s_and_saveexec_b64 s[44:45], vcc
	s_xor_b64 s[44:45], exec, s[44:45]
	s_cbranch_execnz .LBB169_1211
; %bb.369:                              ;   in Loop: Header=BB169_17 Depth=1
	s_or_saveexec_b64 s[44:45], s[44:45]
	v_mov_b32_e32 v52, s48
	s_xor_b64 exec, exec, s[44:45]
	s_cbranch_execnz .LBB169_1214
.LBB169_370:                            ;   in Loop: Header=BB169_17 Depth=1
	s_or_b64 exec, exec, s[44:45]
	s_and_saveexec_b64 s[44:45], s[42:43]
	s_cbranch_execz .LBB169_372
.LBB169_371:                            ;   in Loop: Header=BB169_17 Depth=1
	v_lshlrev_b32_e32 v1, 24, v0
	v_and_b32_e32 v0, 0xffff, v0
	v_and_b32_e32 v52, 7, v0
	v_ffbh_u32_e32 v55, v52
	v_min_u32_e32 v55, 32, v55
	v_subrev_u32_e32 v64, 28, v55
	v_bfe_u32 v54, v0, 3, 4
	v_lshlrev_b32_e32 v0, v64, v0
	v_sub_u32_e32 v55, 29, v55
	v_and_b32_e32 v0, 7, v0
	v_cmp_eq_u32_e32 vcc, 0, v54
	v_cndmask_b32_e32 v54, v54, v55, vcc
	v_cndmask_b32_e32 v0, v52, v0, vcc
	v_lshlrev_b32_e32 v0, 20, v0
	v_and_b32_e32 v1, 0x80000000, v1
	v_lshl_add_u32 v52, v54, 23, v24
	v_or3_b32 v52, v1, v52, v0
.LBB169_372:                            ;   in Loop: Header=BB169_17 Depth=1
	s_or_b64 exec, exec, s[44:45]
.LBB169_373:                            ;   in Loop: Header=BB169_17 Depth=1
	s_or_b64 exec, exec, s[40:41]
	s_andn2_b64 s[38:39], s[38:39], exec
	s_andn2_b64 s[34:35], s[34:35], exec
	s_or_b64 s[30:31], s[30:31], exec
.LBB169_374:                            ;   in Loop: Header=BB169_17 Depth=1
	s_or_b64 exec, exec, s[36:37]
	s_and_b64 s[36:37], s[38:39], exec
	s_and_b64 s[34:35], s[34:35], exec
	;; [unrolled: 1-line block ×3, first 2 shown]
                                        ; implicit-def: $vgpr0_vgpr1
.LBB169_375:                            ;   in Loop: Header=BB169_17 Depth=1
	s_andn2_saveexec_b64 s[28:29], s[28:29]
	s_cbranch_execz .LBB169_401
; %bb.376:                              ;   in Loop: Header=BB169_17 Depth=1
	v_cmp_gt_i16_sdwa vcc, v8, v25 src0_sel:BYTE_0 src1_sel:DWORD
	s_mov_b64 s[40:41], s[30:31]
                                        ; implicit-def: $vgpr52
	s_and_saveexec_b64 s[38:39], vcc
	s_xor_b64 s[38:39], exec, s[38:39]
	s_cbranch_execz .LBB169_390
; %bb.377:                              ;   in Loop: Header=BB169_17 Depth=1
	v_cmp_gt_i16_sdwa vcc, v8, v26 src0_sel:BYTE_0 src1_sel:DWORD
                                        ; implicit-def: $vgpr52
	s_and_saveexec_b64 s[40:41], vcc
	s_xor_b64 s[40:41], exec, s[40:41]
	s_cbranch_execz .LBB169_387
; %bb.378:                              ;   in Loop: Header=BB169_17 Depth=1
	v_cmp_gt_i16_sdwa vcc, v8, v27 src0_sel:BYTE_0 src1_sel:DWORD
                                        ; implicit-def: $vgpr52
	s_and_saveexec_b64 s[42:43], vcc
	s_xor_b64 s[42:43], exec, s[42:43]
	s_cbranch_execz .LBB169_384
; %bb.379:                              ;   in Loop: Header=BB169_17 Depth=1
	flat_load_ubyte v0, v[0:1]
	s_movk_i32 vcc_lo, 0x7f
	s_mov_b64 s[44:45], 0
                                        ; implicit-def: $sgpr50
	s_waitcnt vmcnt(0) lgkmcnt(0)
	v_cmp_lt_i16_e32 vcc, vcc_lo, v0
	s_and_saveexec_b64 s[46:47], vcc
	s_xor_b64 s[46:47], exec, s[46:47]
	s_cbranch_execnz .LBB169_1430
; %bb.380:                              ;   in Loop: Header=BB169_17 Depth=1
	s_or_saveexec_b64 s[46:47], s[46:47]
	v_mov_b32_e32 v52, s50
	s_xor_b64 exec, exec, s[46:47]
	s_cbranch_execnz .LBB169_1433
.LBB169_381:                            ;   in Loop: Header=BB169_17 Depth=1
	s_or_b64 exec, exec, s[46:47]
	s_and_saveexec_b64 s[46:47], s[44:45]
	s_cbranch_execz .LBB169_383
.LBB169_382:                            ;   in Loop: Header=BB169_17 Depth=1
	v_lshlrev_b32_e32 v1, 24, v0
	v_and_b32_e32 v0, 0xffff, v0
	v_and_b32_e32 v52, 3, v0
	v_ffbh_u32_e32 v55, v52
	v_min_u32_e32 v55, 32, v55
	v_subrev_u32_e32 v64, 29, v55
	v_bfe_u32 v54, v0, 2, 5
	v_lshlrev_b32_e32 v0, v64, v0
	v_sub_u32_e32 v55, 30, v55
	v_and_b32_e32 v0, 3, v0
	v_cmp_eq_u32_e32 vcc, 0, v54
	v_cndmask_b32_e32 v54, v54, v55, vcc
	v_cndmask_b32_e32 v0, v52, v0, vcc
	v_lshlrev_b32_e32 v0, 21, v0
	v_and_b32_e32 v1, 0x80000000, v1
	v_lshl_add_u32 v52, v54, 23, v28
	v_or3_b32 v52, v1, v52, v0
.LBB169_383:                            ;   in Loop: Header=BB169_17 Depth=1
	s_or_b64 exec, exec, s[46:47]
                                        ; implicit-def: $vgpr0_vgpr1
.LBB169_384:                            ;   in Loop: Header=BB169_17 Depth=1
	s_andn2_saveexec_b64 s[42:43], s[42:43]
	s_cbranch_execz .LBB169_386
; %bb.385:                              ;   in Loop: Header=BB169_17 Depth=1
	flat_load_ubyte v0, v[0:1]
	s_mov_b32 vcc_lo, 0x7f800000
	s_waitcnt vmcnt(0) lgkmcnt(0)
	v_lshlrev_b32_e32 v0, 24, v0
	v_and_b32_e32 v1, 0x7f000000, v0
	v_ffbh_u32_e32 v52, v1
	v_min_u32_e32 v52, 32, v52
	v_sub_u32_e64 v52, v52, 4 clamp
	v_lshlrev_b32_e32 v55, v52, v1
	v_lshlrev_b32_e32 v52, 23, v52
	v_lshrrev_b32_e32 v55, 4, v55
	v_add_u32_e32 v54, 0x1000000, v1
	v_sub_u32_e32 v52, v55, v52
	v_ashrrev_i32_e32 v54, 8, v54
	v_add_u32_e32 v52, 0x3c000000, v52
	v_and_or_b32 v52, v54, vcc_lo, v52
	v_cmp_ne_u32_e32 vcc, 0, v1
	v_cndmask_b32_e32 v1, 0, v52, vcc
	s_brev_b32 vcc_lo, 1
	v_and_or_b32 v52, v0, vcc_lo, v1
.LBB169_386:                            ;   in Loop: Header=BB169_17 Depth=1
	s_or_b64 exec, exec, s[42:43]
                                        ; implicit-def: $vgpr0_vgpr1
.LBB169_387:                            ;   in Loop: Header=BB169_17 Depth=1
	s_andn2_saveexec_b64 s[40:41], s[40:41]
	s_cbranch_execz .LBB169_389
; %bb.388:                              ;   in Loop: Header=BB169_17 Depth=1
	flat_load_ubyte v0, v[0:1]
	s_movk_i32 vcc_lo, 0x7f00
	s_waitcnt vmcnt(0) lgkmcnt(0)
	v_lshlrev_b16_e32 v1, 8, v0
	v_lshlrev_b32_e32 v0, 25, v0
	v_lshrrev_b32_e32 v52, 4, v0
	v_and_or_b32 v54, v1, vcc_lo, 0.5
	v_or_b32_e32 v52, 0x70000000, v52
	s_brev_b32 vcc_lo, 16
	v_add_f32_e32 v54, -0.5, v54
	v_mul_f32_e32 v52, 0x7800000, v52
	v_cmp_gt_u32_e32 vcc, vcc_lo, v0
	v_cndmask_b32_e32 v0, v52, v54, vcc
	v_bfe_i32 v1, v1, 0, 16
	s_brev_b32 vcc_lo, 1
	v_and_or_b32 v52, v1, vcc_lo, v0
.LBB169_389:                            ;   in Loop: Header=BB169_17 Depth=1
	s_or_b64 exec, exec, s[40:41]
	s_or_b64 s[40:41], s[30:31], exec
                                        ; implicit-def: $vgpr0_vgpr1
.LBB169_390:                            ;   in Loop: Header=BB169_17 Depth=1
	s_or_saveexec_b64 s[38:39], s[38:39]
                                        ; implicit-def: $vcc
                                        ; implicit-def: $sgpr46_sgpr47
	s_xor_b64 exec, exec, s[38:39]
	s_cbranch_execz .LBB169_400
; %bb.391:                              ;   in Loop: Header=BB169_17 Depth=1
	v_cmp_gt_i16_sdwa vcc, v8, v29 src0_sel:BYTE_0 src1_sel:DWORD
	s_mov_b64 s[44:45], s[40:41]
                                        ; implicit-def: $sgpr46_sgpr47
                                        ; implicit-def: $sgpr42_sgpr43
                                        ; implicit-def: $vgpr52
	s_and_saveexec_b64 s[48:49], vcc
	s_xor_b64 vcc, exec, s[48:49]
	s_cbranch_execz .LBB169_395
; %bb.392:                              ;   in Loop: Header=BB169_17 Depth=1
	v_cmp_eq_u16_sdwa s[46:47], v8, v32 src0_sel:BYTE_0 src1_sel:DWORD
	s_mov_b64 s[44:45], s[40:41]
                                        ; implicit-def: $vgpr52
	s_and_saveexec_b64 s[42:43], s[46:47]
	s_cbranch_execz .LBB169_394
; %bb.393:                              ;   in Loop: Header=BB169_17 Depth=1
	flat_load_ushort v0, v[0:1]
	s_or_b64 s[44:45], s[40:41], exec
	s_waitcnt vmcnt(0) lgkmcnt(0)
	v_lshlrev_b32_e32 v52, 16, v0
.LBB169_394:                            ;   in Loop: Header=BB169_17 Depth=1
	s_or_b64 exec, exec, s[42:43]
	s_andn2_b64 s[48:49], s[40:41], exec
	s_and_b64 s[44:45], s[44:45], exec
	s_mov_b64 s[42:43], 0
	s_mov_b64 s[46:47], -1
	s_or_b64 s[44:45], s[48:49], s[44:45]
                                        ; implicit-def: $vgpr0_vgpr1
.LBB169_395:                            ;   in Loop: Header=BB169_17 Depth=1
	s_andn2_saveexec_b64 s[48:49], vcc
	s_cbranch_execz .LBB169_399
; %bb.396:                              ;   in Loop: Header=BB169_17 Depth=1
	v_cmp_eq_u16_sdwa s[52:53], v8, v33 src0_sel:BYTE_0 src1_sel:DWORD
	s_mov_b64 vcc, s[44:45]
                                        ; implicit-def: $vgpr52
	s_and_saveexec_b64 s[50:51], s[52:53]
	s_cbranch_execz .LBB169_398
; %bb.397:                              ;   in Loop: Header=BB169_17 Depth=1
	flat_load_ubyte v0, v[0:1]
	s_waitcnt vmcnt(0) lgkmcnt(0)
	v_cmp_ne_u16_e32 vcc, 0, v0
	v_cndmask_b32_e64 v52, 0, 1.0, vcc
	s_or_b64 vcc, s[44:45], exec
.LBB169_398:                            ;   in Loop: Header=BB169_17 Depth=1
	s_or_b64 exec, exec, s[50:51]
	s_andn2_b64 s[44:45], s[44:45], exec
	s_and_b64 vcc, vcc, exec
	s_or_b64 s[46:47], s[46:47], exec
	s_andn2_b64 s[42:43], s[42:43], exec
	s_or_b64 s[44:45], s[44:45], vcc
.LBB169_399:                            ;   in Loop: Header=BB169_17 Depth=1
	s_or_b64 exec, exec, s[48:49]
	s_and_b64 vcc, s[42:43], exec
	s_andn2_b64 s[40:41], s[40:41], exec
	s_and_b64 s[42:43], s[44:45], exec
	s_and_b64 s[46:47], s[46:47], exec
	s_or_b64 s[40:41], s[40:41], s[42:43]
.LBB169_400:                            ;   in Loop: Header=BB169_17 Depth=1
	s_or_b64 exec, exec, s[38:39]
	s_andn2_b64 s[34:35], s[34:35], exec
	s_and_b64 vcc, vcc, exec
	s_andn2_b64 s[36:37], s[36:37], exec
	s_and_b64 s[38:39], s[46:47], exec
	s_or_b64 s[34:35], s[34:35], vcc
	s_andn2_b64 vcc, s[30:31], exec
	s_and_b64 s[30:31], s[40:41], exec
	s_or_b64 s[36:37], s[36:37], s[38:39]
	s_or_b64 s[30:31], vcc, s[30:31]
.LBB169_401:                            ;   in Loop: Header=BB169_17 Depth=1
	s_or_b64 exec, exec, s[28:29]
	s_and_b64 vcc, s[36:37], exec
	s_and_b64 s[28:29], s[34:35], exec
	s_and_b64 s[30:31], s[30:31], exec
                                        ; implicit-def: $vgpr0_vgpr1
	s_andn2_saveexec_b64 s[26:27], s[26:27]
	s_cbranch_execz .LBB169_334
.LBB169_402:                            ;   in Loop: Header=BB169_17 Depth=1
	v_cmp_gt_i16_sdwa s[34:35], v8, v34 src0_sel:BYTE_0 src1_sel:DWORD
                                        ; implicit-def: $vgpr52
	s_and_saveexec_b64 s[36:37], s[34:35]
	s_xor_b64 s[34:35], exec, s[36:37]
	s_cbranch_execz .LBB169_424
; %bb.403:                              ;   in Loop: Header=BB169_17 Depth=1
	v_cmp_gt_i16_sdwa s[36:37], v8, v35 src0_sel:BYTE_0 src1_sel:DWORD
                                        ; implicit-def: $vgpr52
	s_and_saveexec_b64 s[38:39], s[36:37]
	s_xor_b64 s[36:37], exec, s[38:39]
	s_cbranch_execz .LBB169_413
; %bb.404:                              ;   in Loop: Header=BB169_17 Depth=1
	;; [unrolled: 6-line block ×4, first 2 shown]
	flat_load_dwordx2 v[0:1], v[0:1]
	s_waitcnt vmcnt(0) lgkmcnt(0)
	v_cvt_f32_f64_e32 v52, v[0:1]
                                        ; implicit-def: $vgpr0_vgpr1
.LBB169_407:                            ;   in Loop: Header=BB169_17 Depth=1
	s_andn2_saveexec_b64 s[40:41], s[40:41]
	s_cbranch_execz .LBB169_409
; %bb.408:                              ;   in Loop: Header=BB169_17 Depth=1
	flat_load_dword v52, v[0:1]
.LBB169_409:                            ;   in Loop: Header=BB169_17 Depth=1
	s_or_b64 exec, exec, s[40:41]
                                        ; implicit-def: $vgpr0_vgpr1
.LBB169_410:                            ;   in Loop: Header=BB169_17 Depth=1
	s_andn2_saveexec_b64 s[38:39], s[38:39]
	s_cbranch_execz .LBB169_412
; %bb.411:                              ;   in Loop: Header=BB169_17 Depth=1
	flat_load_dword v0, v[0:1]
	s_waitcnt vmcnt(0) lgkmcnt(0)
	v_cvt_f32_f16_e32 v52, v0
.LBB169_412:                            ;   in Loop: Header=BB169_17 Depth=1
	s_or_b64 exec, exec, s[38:39]
                                        ; implicit-def: $vgpr0_vgpr1
.LBB169_413:                            ;   in Loop: Header=BB169_17 Depth=1
	s_andn2_saveexec_b64 s[36:37], s[36:37]
	s_cbranch_execz .LBB169_423
; %bb.414:                              ;   in Loop: Header=BB169_17 Depth=1
	v_cmp_gt_i16_sdwa s[38:39], v8, v38 src0_sel:BYTE_0 src1_sel:DWORD
                                        ; implicit-def: $vgpr52
	s_and_saveexec_b64 s[40:41], s[38:39]
	s_xor_b64 s[38:39], exec, s[40:41]
	s_cbranch_execz .LBB169_420
; %bb.415:                              ;   in Loop: Header=BB169_17 Depth=1
	v_cmp_gt_i16_sdwa s[40:41], v8, v39 src0_sel:BYTE_0 src1_sel:DWORD
                                        ; implicit-def: $vgpr52
	s_and_saveexec_b64 s[42:43], s[40:41]
	s_xor_b64 s[40:41], exec, s[42:43]
	s_cbranch_execz .LBB169_417
; %bb.416:                              ;   in Loop: Header=BB169_17 Depth=1
	flat_load_dwordx2 v[0:1], v[0:1]
	s_waitcnt vmcnt(0) lgkmcnt(0)
	v_cvt_f32_f64_e32 v52, v[0:1]
                                        ; implicit-def: $vgpr0_vgpr1
.LBB169_417:                            ;   in Loop: Header=BB169_17 Depth=1
	s_andn2_saveexec_b64 s[40:41], s[40:41]
	s_cbranch_execz .LBB169_419
; %bb.418:                              ;   in Loop: Header=BB169_17 Depth=1
	s_waitcnt vmcnt(0) lgkmcnt(0)
	flat_load_dword v52, v[0:1]
.LBB169_419:                            ;   in Loop: Header=BB169_17 Depth=1
	s_or_b64 exec, exec, s[40:41]
                                        ; implicit-def: $vgpr0_vgpr1
.LBB169_420:                            ;   in Loop: Header=BB169_17 Depth=1
	s_andn2_saveexec_b64 s[38:39], s[38:39]
	s_cbranch_execz .LBB169_422
; %bb.421:                              ;   in Loop: Header=BB169_17 Depth=1
	flat_load_ushort v0, v[0:1]
	s_waitcnt vmcnt(0) lgkmcnt(0)
	v_cvt_f32_f16_e32 v52, v0
.LBB169_422:                            ;   in Loop: Header=BB169_17 Depth=1
	s_or_b64 exec, exec, s[38:39]
.LBB169_423:                            ;   in Loop: Header=BB169_17 Depth=1
	s_or_b64 exec, exec, s[36:37]
                                        ; implicit-def: $vgpr0_vgpr1
.LBB169_424:                            ;   in Loop: Header=BB169_17 Depth=1
	s_andn2_saveexec_b64 s[34:35], s[34:35]
	s_cbranch_execz .LBB169_442
; %bb.425:                              ;   in Loop: Header=BB169_17 Depth=1
	v_cmp_gt_i16_sdwa s[36:37], v8, v48 src0_sel:BYTE_0 src1_sel:DWORD
                                        ; implicit-def: $vgpr52
	s_and_saveexec_b64 s[38:39], s[36:37]
	s_xor_b64 s[36:37], exec, s[38:39]
	s_cbranch_execz .LBB169_435
; %bb.426:                              ;   in Loop: Header=BB169_17 Depth=1
	v_cmp_gt_i16_sdwa s[38:39], v8, v49 src0_sel:BYTE_0 src1_sel:DWORD
                                        ; implicit-def: $vgpr52
	s_and_saveexec_b64 s[40:41], s[38:39]
	s_xor_b64 s[38:39], exec, s[40:41]
	;; [unrolled: 6-line block ×3, first 2 shown]
	s_cbranch_execz .LBB169_429
; %bb.428:                              ;   in Loop: Header=BB169_17 Depth=1
	flat_load_dwordx2 v[0:1], v[0:1]
	s_waitcnt vmcnt(0) lgkmcnt(0)
	v_xor_b32_e32 v54, v0, v1
	v_ffbh_i32_e32 v52, v1
	v_ashrrev_i32_e32 v54, 31, v54
	v_add_u32_e32 v52, -1, v52
	v_add_u32_e32 v54, 32, v54
	v_min_u32_e32 v52, v52, v54
	v_lshlrev_b64 v[0:1], v52, v[0:1]
	v_min_u32_e32 v0, 1, v0
	v_or_b32_e32 v0, v1, v0
	v_cvt_f32_i32_e32 v0, v0
	v_sub_u32_e32 v1, 32, v52
	v_ldexp_f32 v52, v0, v1
                                        ; implicit-def: $vgpr0_vgpr1
.LBB169_429:                            ;   in Loop: Header=BB169_17 Depth=1
	s_andn2_saveexec_b64 s[40:41], s[40:41]
	s_cbranch_execz .LBB169_431
; %bb.430:                              ;   in Loop: Header=BB169_17 Depth=1
	flat_load_dword v0, v[0:1]
	s_waitcnt vmcnt(0) lgkmcnt(0)
	v_cvt_f32_i32_e32 v52, v0
.LBB169_431:                            ;   in Loop: Header=BB169_17 Depth=1
	s_or_b64 exec, exec, s[40:41]
                                        ; implicit-def: $vgpr0_vgpr1
.LBB169_432:                            ;   in Loop: Header=BB169_17 Depth=1
	s_andn2_saveexec_b64 s[38:39], s[38:39]
	s_cbranch_execz .LBB169_434
; %bb.433:                              ;   in Loop: Header=BB169_17 Depth=1
	flat_load_sshort v0, v[0:1]
	s_waitcnt vmcnt(0) lgkmcnt(0)
	v_cvt_f32_i32_e32 v52, v0
.LBB169_434:                            ;   in Loop: Header=BB169_17 Depth=1
	s_or_b64 exec, exec, s[38:39]
                                        ; implicit-def: $vgpr0_vgpr1
.LBB169_435:                            ;   in Loop: Header=BB169_17 Depth=1
	s_andn2_saveexec_b64 s[36:37], s[36:37]
	s_cbranch_execz .LBB169_441
; %bb.436:                              ;   in Loop: Header=BB169_17 Depth=1
	v_cmp_gt_i16_sdwa s[38:39], v8, v6 src0_sel:BYTE_0 src1_sel:DWORD
                                        ; implicit-def: $vgpr52
	s_and_saveexec_b64 s[40:41], s[38:39]
	s_xor_b64 s[38:39], exec, s[40:41]
	s_cbranch_execz .LBB169_438
; %bb.437:                              ;   in Loop: Header=BB169_17 Depth=1
	flat_load_sbyte v0, v[0:1]
	s_waitcnt vmcnt(0) lgkmcnt(0)
	v_cvt_f32_i32_e32 v52, v0
                                        ; implicit-def: $vgpr0_vgpr1
.LBB169_438:                            ;   in Loop: Header=BB169_17 Depth=1
	s_andn2_saveexec_b64 s[38:39], s[38:39]
	s_cbranch_execz .LBB169_440
; %bb.439:                              ;   in Loop: Header=BB169_17 Depth=1
	flat_load_ubyte v0, v[0:1]
	s_waitcnt vmcnt(0) lgkmcnt(0)
	v_cvt_f32_ubyte0_e32 v52, v0
.LBB169_440:                            ;   in Loop: Header=BB169_17 Depth=1
	s_or_b64 exec, exec, s[38:39]
.LBB169_441:                            ;   in Loop: Header=BB169_17 Depth=1
	s_or_b64 exec, exec, s[36:37]
.LBB169_442:                            ;   in Loop: Header=BB169_17 Depth=1
	s_or_b64 exec, exec, s[34:35]
	s_andn2_b64 vcc, vcc, exec
	s_andn2_b64 s[28:29], s[28:29], exec
	s_or_b64 s[30:31], s[30:31], exec
	s_or_b64 exec, exec, s[26:27]
	s_mov_b64 s[26:27], 0
	s_and_saveexec_b64 s[34:35], s[30:31]
	s_cbranch_execnz .LBB169_335
	s_branch .LBB169_336
.LBB169_443:                            ;   in Loop: Header=BB169_17 Depth=1
	v_cmp_gt_i16_sdwa s[22:23], v7, v13 src0_sel:BYTE_0 src1_sel:DWORD
	s_mov_b64 s[34:35], 0
                                        ; implicit-def: $sgpr36_sgpr37
                                        ; implicit-def: $sgpr24_sgpr25
                                        ; implicit-def: $vgpr54
	s_and_saveexec_b64 vcc, s[22:23]
	s_xor_b64 s[22:23], exec, vcc
	s_cbranch_execz .LBB169_475
; %bb.444:                              ;   in Loop: Header=BB169_17 Depth=1
	v_cmp_gt_i16_sdwa s[24:25], v7, v14 src0_sel:BYTE_0 src1_sel:DWORD
                                        ; implicit-def: $sgpr36_sgpr37
                                        ; implicit-def: $sgpr38_sgpr39
                                        ; implicit-def: $vgpr54
	s_and_saveexec_b64 vcc, s[24:25]
	s_xor_b64 s[24:25], exec, vcc
	s_cbranch_execz .LBB169_460
; %bb.445:                              ;   in Loop: Header=BB169_17 Depth=1
	v_cmp_gt_i16_sdwa s[34:35], v7, v15 src0_sel:BYTE_0 src1_sel:DWORD
	s_mov_b64 s[40:41], 0
                                        ; implicit-def: $vcc
                                        ; implicit-def: $sgpr36_sgpr37
                                        ; implicit-def: $vgpr54
	s_and_saveexec_b64 s[38:39], s[34:35]
	s_xor_b64 s[34:35], exec, s[38:39]
	s_cbranch_execz .LBB169_455
; %bb.446:                              ;   in Loop: Header=BB169_17 Depth=1
	v_cmp_gt_i16_sdwa vcc, v7, v16 src0_sel:BYTE_0 src1_sel:DWORD
	s_mov_b64 s[38:39], 0
                                        ; implicit-def: $sgpr36_sgpr37
                                        ; implicit-def: $sgpr40_sgpr41
                                        ; implicit-def: $vgpr54
	s_and_saveexec_b64 s[42:43], vcc
	s_xor_b64 vcc, exec, s[42:43]
	s_cbranch_execz .LBB169_450
; %bb.447:                              ;   in Loop: Header=BB169_17 Depth=1
	v_cmp_eq_u16_sdwa s[42:43], v7, v17 src0_sel:BYTE_0 src1_sel:DWORD
	s_mov_b64 s[36:37], 0
                                        ; implicit-def: $vgpr54
	s_and_saveexec_b64 s[40:41], s[42:43]
	s_cbranch_execz .LBB169_449
; %bb.448:                              ;   in Loop: Header=BB169_17 Depth=1
	flat_load_dword v0, v[0:1]
	s_mov_b64 s[38:39], exec
	s_waitcnt vmcnt(0) lgkmcnt(0)
	v_lshlrev_b32_e32 v54, 16, v0
.LBB169_449:                            ;   in Loop: Header=BB169_17 Depth=1
	s_or_b64 exec, exec, s[40:41]
	s_mov_b64 s[40:41], -1
	s_and_b64 s[38:39], s[38:39], exec
                                        ; implicit-def: $vgpr0_vgpr1
.LBB169_450:                            ;   in Loop: Header=BB169_17 Depth=1
	s_andn2_saveexec_b64 s[42:43], vcc
	s_cbranch_execz .LBB169_454
; %bb.451:                              ;   in Loop: Header=BB169_17 Depth=1
	v_cmp_eq_u16_sdwa s[46:47], v7, v18 src0_sel:BYTE_0 src1_sel:DWORD
	s_mov_b64 vcc, s[38:39]
                                        ; implicit-def: $vgpr54
	s_and_saveexec_b64 s[44:45], s[46:47]
	s_cbranch_execz .LBB169_453
; %bb.452:                              ;   in Loop: Header=BB169_17 Depth=1
	flat_load_ubyte v0, v[0:1]
	s_movk_i32 vcc_lo, 0xff
	s_waitcnt vmcnt(0) lgkmcnt(0)
	v_lshlrev_b32_e32 v1, 23, v0
	v_cmp_ne_u32_e32 vcc, vcc_lo, v0
	v_cndmask_b32_e32 v1, v19, v1, vcc
	v_cmp_ne_u32_e32 vcc, 0, v0
	v_cndmask_b32_e32 v54, v20, v1, vcc
	s_or_b64 vcc, s[38:39], exec
.LBB169_453:                            ;   in Loop: Header=BB169_17 Depth=1
	s_or_b64 exec, exec, s[44:45]
	s_andn2_b64 s[38:39], s[38:39], exec
	s_and_b64 vcc, vcc, exec
	s_andn2_b64 s[36:37], s[36:37], exec
	s_or_b64 s[40:41], s[40:41], exec
	s_or_b64 s[38:39], s[38:39], vcc
.LBB169_454:                            ;   in Loop: Header=BB169_17 Depth=1
	s_or_b64 exec, exec, s[42:43]
	s_and_b64 s[36:37], s[36:37], exec
	s_and_b64 vcc, s[40:41], exec
	s_and_b64 s[40:41], s[38:39], exec
                                        ; implicit-def: $vgpr0_vgpr1
.LBB169_455:                            ;   in Loop: Header=BB169_17 Depth=1
	s_andn2_saveexec_b64 s[34:35], s[34:35]
	s_cbranch_execz .LBB169_459
; %bb.456:                              ;   in Loop: Header=BB169_17 Depth=1
	v_cmp_eq_u16_sdwa s[44:45], v7, v21 src0_sel:BYTE_0 src1_sel:DWORD
	s_mov_b64 s[42:43], s[40:41]
                                        ; implicit-def: $vgpr54
	s_and_saveexec_b64 s[38:39], s[44:45]
	s_cbranch_execz .LBB169_458
; %bb.457:                              ;   in Loop: Header=BB169_17 Depth=1
	flat_load_dwordx2 v[0:1], v[0:1]
	s_or_b64 s[42:43], s[40:41], exec
	s_waitcnt vmcnt(0) lgkmcnt(0)
	v_ffbh_u32_e32 v53, v1
	v_min_u32_e32 v53, 32, v53
	v_lshlrev_b64 v[0:1], v53, v[0:1]
	v_min_u32_e32 v0, 1, v0
	v_or_b32_e32 v0, v1, v0
	v_cvt_f32_u32_e32 v0, v0
	v_sub_u32_e32 v1, 32, v53
	v_ldexp_f32 v54, v0, v1
.LBB169_458:                            ;   in Loop: Header=BB169_17 Depth=1
	s_or_b64 exec, exec, s[38:39]
	s_andn2_b64 s[38:39], s[40:41], exec
	s_and_b64 s[40:41], s[42:43], exec
	s_andn2_b64 s[36:37], s[36:37], exec
	s_or_b64 vcc, vcc, exec
	s_or_b64 s[40:41], s[38:39], s[40:41]
.LBB169_459:                            ;   in Loop: Header=BB169_17 Depth=1
	s_or_b64 exec, exec, s[34:35]
	s_and_b64 s[38:39], s[36:37], exec
	s_and_b64 s[36:37], vcc, exec
	s_and_b64 s[34:35], s[40:41], exec
                                        ; implicit-def: $vgpr0_vgpr1
.LBB169_460:                            ;   in Loop: Header=BB169_17 Depth=1
	s_andn2_saveexec_b64 s[24:25], s[24:25]
	s_cbranch_execz .LBB169_474
; %bb.461:                              ;   in Loop: Header=BB169_17 Depth=1
	v_cmp_gt_i16_sdwa vcc, v7, v22 src0_sel:BYTE_0 src1_sel:DWORD
                                        ; implicit-def: $vgpr54
	s_and_saveexec_b64 s[40:41], vcc
	s_xor_b64 vcc, exec, s[40:41]
	s_cbranch_execz .LBB169_467
; %bb.462:                              ;   in Loop: Header=BB169_17 Depth=1
	v_cmp_gt_i16_sdwa s[40:41], v7, v23 src0_sel:BYTE_0 src1_sel:DWORD
                                        ; implicit-def: $vgpr54
	s_and_saveexec_b64 s[42:43], s[40:41]
	s_xor_b64 s[40:41], exec, s[42:43]
	s_cbranch_execz .LBB169_464
; %bb.463:                              ;   in Loop: Header=BB169_17 Depth=1
	flat_load_dword v0, v[0:1]
	s_waitcnt vmcnt(0) lgkmcnt(0)
	v_cvt_f32_u32_e32 v54, v0
                                        ; implicit-def: $vgpr0_vgpr1
.LBB169_464:                            ;   in Loop: Header=BB169_17 Depth=1
	s_andn2_saveexec_b64 s[40:41], s[40:41]
	s_cbranch_execz .LBB169_466
; %bb.465:                              ;   in Loop: Header=BB169_17 Depth=1
	flat_load_ushort v0, v[0:1]
	s_waitcnt vmcnt(0) lgkmcnt(0)
	v_cvt_f32_u32_e32 v54, v0
.LBB169_466:                            ;   in Loop: Header=BB169_17 Depth=1
	s_or_b64 exec, exec, s[40:41]
                                        ; implicit-def: $vgpr0_vgpr1
.LBB169_467:                            ;   in Loop: Header=BB169_17 Depth=1
	s_andn2_saveexec_b64 s[40:41], vcc
	s_cbranch_execz .LBB169_473
; %bb.468:                              ;   in Loop: Header=BB169_17 Depth=1
	flat_load_ubyte v0, v[0:1]
	s_movk_i32 vcc_lo, 0x7f
	s_mov_b64 s[42:43], 0
                                        ; implicit-def: $sgpr48
	s_waitcnt vmcnt(0) lgkmcnt(0)
	v_cmp_lt_i16_e32 vcc, vcc_lo, v0
	s_and_saveexec_b64 s[44:45], vcc
	s_xor_b64 s[44:45], exec, s[44:45]
	s_cbranch_execnz .LBB169_1215
; %bb.469:                              ;   in Loop: Header=BB169_17 Depth=1
	s_or_saveexec_b64 s[44:45], s[44:45]
	v_mov_b32_e32 v54, s48
	s_xor_b64 exec, exec, s[44:45]
	s_cbranch_execnz .LBB169_1218
.LBB169_470:                            ;   in Loop: Header=BB169_17 Depth=1
	s_or_b64 exec, exec, s[44:45]
	s_and_saveexec_b64 s[44:45], s[42:43]
	s_cbranch_execz .LBB169_472
.LBB169_471:                            ;   in Loop: Header=BB169_17 Depth=1
	v_lshlrev_b32_e32 v1, 24, v0
	v_and_b32_e32 v0, 0xffff, v0
	v_and_b32_e32 v53, 7, v0
	v_ffbh_u32_e32 v55, v53
	v_min_u32_e32 v55, 32, v55
	v_subrev_u32_e32 v64, 28, v55
	v_bfe_u32 v54, v0, 3, 4
	v_lshlrev_b32_e32 v0, v64, v0
	v_sub_u32_e32 v55, 29, v55
	v_and_b32_e32 v0, 7, v0
	v_cmp_eq_u32_e32 vcc, 0, v54
	v_cndmask_b32_e32 v54, v54, v55, vcc
	v_cndmask_b32_e32 v0, v53, v0, vcc
	v_lshlrev_b32_e32 v0, 20, v0
	v_and_b32_e32 v1, 0x80000000, v1
	v_lshl_add_u32 v53, v54, 23, v24
	v_or3_b32 v54, v1, v53, v0
.LBB169_472:                            ;   in Loop: Header=BB169_17 Depth=1
	s_or_b64 exec, exec, s[44:45]
.LBB169_473:                            ;   in Loop: Header=BB169_17 Depth=1
	s_or_b64 exec, exec, s[40:41]
	s_andn2_b64 s[38:39], s[38:39], exec
	s_andn2_b64 s[36:37], s[36:37], exec
	s_or_b64 s[34:35], s[34:35], exec
.LBB169_474:                            ;   in Loop: Header=BB169_17 Depth=1
	s_or_b64 exec, exec, s[24:25]
	s_and_b64 s[24:25], s[38:39], exec
	s_and_b64 s[36:37], s[36:37], exec
	s_and_b64 s[34:35], s[34:35], exec
                                        ; implicit-def: $vgpr0_vgpr1
.LBB169_475:                            ;   in Loop: Header=BB169_17 Depth=1
	s_andn2_saveexec_b64 s[22:23], s[22:23]
	s_cbranch_execz .LBB169_501
; %bb.476:                              ;   in Loop: Header=BB169_17 Depth=1
	v_cmp_gt_i16_sdwa vcc, v7, v25 src0_sel:BYTE_0 src1_sel:DWORD
	s_mov_b64 s[40:41], s[34:35]
                                        ; implicit-def: $vgpr54
	s_and_saveexec_b64 s[38:39], vcc
	s_xor_b64 s[38:39], exec, s[38:39]
	s_cbranch_execz .LBB169_490
; %bb.477:                              ;   in Loop: Header=BB169_17 Depth=1
	v_cmp_gt_i16_sdwa vcc, v7, v26 src0_sel:BYTE_0 src1_sel:DWORD
                                        ; implicit-def: $vgpr54
	s_and_saveexec_b64 s[40:41], vcc
	s_xor_b64 s[40:41], exec, s[40:41]
	s_cbranch_execz .LBB169_487
; %bb.478:                              ;   in Loop: Header=BB169_17 Depth=1
	v_cmp_gt_i16_sdwa vcc, v7, v27 src0_sel:BYTE_0 src1_sel:DWORD
                                        ; implicit-def: $vgpr54
	s_and_saveexec_b64 s[42:43], vcc
	s_xor_b64 s[42:43], exec, s[42:43]
	s_cbranch_execz .LBB169_484
; %bb.479:                              ;   in Loop: Header=BB169_17 Depth=1
	flat_load_ubyte v0, v[0:1]
	s_movk_i32 vcc_lo, 0x7f
	s_mov_b64 s[44:45], 0
                                        ; implicit-def: $sgpr50
	s_waitcnt vmcnt(0) lgkmcnt(0)
	v_cmp_lt_i16_e32 vcc, vcc_lo, v0
	s_and_saveexec_b64 s[46:47], vcc
	s_xor_b64 s[46:47], exec, s[46:47]
	s_cbranch_execnz .LBB169_1434
; %bb.480:                              ;   in Loop: Header=BB169_17 Depth=1
	s_or_saveexec_b64 s[46:47], s[46:47]
	v_mov_b32_e32 v54, s50
	s_xor_b64 exec, exec, s[46:47]
	s_cbranch_execnz .LBB169_1437
.LBB169_481:                            ;   in Loop: Header=BB169_17 Depth=1
	s_or_b64 exec, exec, s[46:47]
	s_and_saveexec_b64 s[46:47], s[44:45]
	s_cbranch_execz .LBB169_483
.LBB169_482:                            ;   in Loop: Header=BB169_17 Depth=1
	v_lshlrev_b32_e32 v1, 24, v0
	v_and_b32_e32 v0, 0xffff, v0
	v_and_b32_e32 v53, 3, v0
	v_ffbh_u32_e32 v55, v53
	v_min_u32_e32 v55, 32, v55
	v_subrev_u32_e32 v64, 29, v55
	v_bfe_u32 v54, v0, 2, 5
	v_lshlrev_b32_e32 v0, v64, v0
	v_sub_u32_e32 v55, 30, v55
	v_and_b32_e32 v0, 3, v0
	v_cmp_eq_u32_e32 vcc, 0, v54
	v_cndmask_b32_e32 v54, v54, v55, vcc
	v_cndmask_b32_e32 v0, v53, v0, vcc
	v_lshlrev_b32_e32 v0, 21, v0
	v_and_b32_e32 v1, 0x80000000, v1
	v_lshl_add_u32 v53, v54, 23, v28
	v_or3_b32 v54, v1, v53, v0
.LBB169_483:                            ;   in Loop: Header=BB169_17 Depth=1
	s_or_b64 exec, exec, s[46:47]
                                        ; implicit-def: $vgpr0_vgpr1
.LBB169_484:                            ;   in Loop: Header=BB169_17 Depth=1
	s_andn2_saveexec_b64 s[42:43], s[42:43]
	s_cbranch_execz .LBB169_486
; %bb.485:                              ;   in Loop: Header=BB169_17 Depth=1
	flat_load_ubyte v0, v[0:1]
	s_mov_b32 vcc_lo, 0x7f800000
	s_waitcnt vmcnt(0) lgkmcnt(0)
	v_lshlrev_b32_e32 v0, 24, v0
	v_and_b32_e32 v1, 0x7f000000, v0
	v_ffbh_u32_e32 v53, v1
	v_min_u32_e32 v53, 32, v53
	v_sub_u32_e64 v53, v53, 4 clamp
	v_lshlrev_b32_e32 v55, v53, v1
	v_lshlrev_b32_e32 v53, 23, v53
	v_lshrrev_b32_e32 v55, 4, v55
	v_add_u32_e32 v54, 0x1000000, v1
	v_sub_u32_e32 v53, v55, v53
	v_ashrrev_i32_e32 v54, 8, v54
	v_add_u32_e32 v53, 0x3c000000, v53
	v_and_or_b32 v53, v54, vcc_lo, v53
	v_cmp_ne_u32_e32 vcc, 0, v1
	v_cndmask_b32_e32 v1, 0, v53, vcc
	s_brev_b32 vcc_lo, 1
	v_and_or_b32 v54, v0, vcc_lo, v1
.LBB169_486:                            ;   in Loop: Header=BB169_17 Depth=1
	s_or_b64 exec, exec, s[42:43]
                                        ; implicit-def: $vgpr0_vgpr1
.LBB169_487:                            ;   in Loop: Header=BB169_17 Depth=1
	s_andn2_saveexec_b64 s[40:41], s[40:41]
	s_cbranch_execz .LBB169_489
; %bb.488:                              ;   in Loop: Header=BB169_17 Depth=1
	flat_load_ubyte v0, v[0:1]
	s_movk_i32 vcc_lo, 0x7f00
	s_waitcnt vmcnt(0) lgkmcnt(0)
	v_lshlrev_b16_e32 v1, 8, v0
	v_lshlrev_b32_e32 v0, 25, v0
	v_lshrrev_b32_e32 v53, 4, v0
	v_and_or_b32 v54, v1, vcc_lo, 0.5
	v_or_b32_e32 v53, 0x70000000, v53
	s_brev_b32 vcc_lo, 16
	v_add_f32_e32 v54, -0.5, v54
	v_mul_f32_e32 v53, 0x7800000, v53
	v_cmp_gt_u32_e32 vcc, vcc_lo, v0
	v_cndmask_b32_e32 v0, v53, v54, vcc
	v_bfe_i32 v1, v1, 0, 16
	s_brev_b32 vcc_lo, 1
	v_and_or_b32 v54, v1, vcc_lo, v0
.LBB169_489:                            ;   in Loop: Header=BB169_17 Depth=1
	s_or_b64 exec, exec, s[40:41]
	s_or_b64 s[40:41], s[34:35], exec
                                        ; implicit-def: $vgpr0_vgpr1
.LBB169_490:                            ;   in Loop: Header=BB169_17 Depth=1
	s_or_saveexec_b64 s[38:39], s[38:39]
                                        ; implicit-def: $vcc
                                        ; implicit-def: $sgpr46_sgpr47
	s_xor_b64 exec, exec, s[38:39]
	s_cbranch_execz .LBB169_500
; %bb.491:                              ;   in Loop: Header=BB169_17 Depth=1
	v_cmp_gt_i16_sdwa vcc, v7, v29 src0_sel:BYTE_0 src1_sel:DWORD
	s_mov_b64 s[44:45], s[40:41]
                                        ; implicit-def: $sgpr46_sgpr47
                                        ; implicit-def: $sgpr42_sgpr43
                                        ; implicit-def: $vgpr54
	s_and_saveexec_b64 s[48:49], vcc
	s_xor_b64 vcc, exec, s[48:49]
	s_cbranch_execz .LBB169_495
; %bb.492:                              ;   in Loop: Header=BB169_17 Depth=1
	v_cmp_eq_u16_sdwa s[46:47], v7, v32 src0_sel:BYTE_0 src1_sel:DWORD
	s_mov_b64 s[44:45], s[40:41]
                                        ; implicit-def: $vgpr54
	s_and_saveexec_b64 s[42:43], s[46:47]
	s_cbranch_execz .LBB169_494
; %bb.493:                              ;   in Loop: Header=BB169_17 Depth=1
	flat_load_ushort v0, v[0:1]
	s_or_b64 s[44:45], s[40:41], exec
	s_waitcnt vmcnt(0) lgkmcnt(0)
	v_lshlrev_b32_e32 v54, 16, v0
.LBB169_494:                            ;   in Loop: Header=BB169_17 Depth=1
	s_or_b64 exec, exec, s[42:43]
	s_andn2_b64 s[48:49], s[40:41], exec
	s_and_b64 s[44:45], s[44:45], exec
	s_mov_b64 s[42:43], -1
	s_mov_b64 s[46:47], 0
	s_or_b64 s[44:45], s[48:49], s[44:45]
                                        ; implicit-def: $vgpr0_vgpr1
.LBB169_495:                            ;   in Loop: Header=BB169_17 Depth=1
	s_andn2_saveexec_b64 s[48:49], vcc
	s_cbranch_execz .LBB169_499
; %bb.496:                              ;   in Loop: Header=BB169_17 Depth=1
	v_cmp_eq_u16_sdwa s[52:53], v7, v33 src0_sel:BYTE_0 src1_sel:DWORD
	s_mov_b64 vcc, s[44:45]
                                        ; implicit-def: $vgpr54
	s_and_saveexec_b64 s[50:51], s[52:53]
	s_cbranch_execz .LBB169_498
; %bb.497:                              ;   in Loop: Header=BB169_17 Depth=1
	flat_load_ubyte v0, v[0:1]
	s_waitcnt vmcnt(0) lgkmcnt(0)
	v_cmp_ne_u16_e32 vcc, 0, v0
	v_cndmask_b32_e64 v54, 0, 1.0, vcc
	s_or_b64 vcc, s[44:45], exec
.LBB169_498:                            ;   in Loop: Header=BB169_17 Depth=1
	s_or_b64 exec, exec, s[50:51]
	s_andn2_b64 s[44:45], s[44:45], exec
	s_and_b64 vcc, vcc, exec
	s_andn2_b64 s[46:47], s[46:47], exec
	s_or_b64 s[42:43], s[42:43], exec
	s_or_b64 s[44:45], s[44:45], vcc
.LBB169_499:                            ;   in Loop: Header=BB169_17 Depth=1
	s_or_b64 exec, exec, s[48:49]
	s_and_b64 vcc, s[42:43], exec
	s_andn2_b64 s[40:41], s[40:41], exec
	s_and_b64 s[42:43], s[44:45], exec
	s_and_b64 s[46:47], s[46:47], exec
	s_or_b64 s[40:41], s[40:41], s[42:43]
.LBB169_500:                            ;   in Loop: Header=BB169_17 Depth=1
	s_or_b64 exec, exec, s[38:39]
	s_andn2_b64 s[36:37], s[36:37], exec
	s_and_b64 vcc, vcc, exec
	s_andn2_b64 s[24:25], s[24:25], exec
	s_and_b64 s[38:39], s[46:47], exec
	s_or_b64 s[36:37], s[36:37], vcc
	s_andn2_b64 vcc, s[34:35], exec
	s_and_b64 s[34:35], s[40:41], exec
	s_or_b64 s[24:25], s[24:25], s[38:39]
	s_or_b64 s[34:35], vcc, s[34:35]
.LBB169_501:                            ;   in Loop: Header=BB169_17 Depth=1
	s_or_b64 exec, exec, s[22:23]
	s_and_b64 s[24:25], s[24:25], exec
	s_and_b64 s[22:23], s[36:37], exec
	s_and_b64 vcc, s[34:35], exec
                                        ; implicit-def: $vgpr0_vgpr1
	s_andn2_saveexec_b64 s[30:31], s[30:31]
	s_cbranch_execz .LBB169_342
.LBB169_502:                            ;   in Loop: Header=BB169_17 Depth=1
	v_cmp_gt_i16_sdwa s[34:35], v7, v34 src0_sel:BYTE_0 src1_sel:DWORD
                                        ; implicit-def: $vgpr54
	s_and_saveexec_b64 s[36:37], s[34:35]
	s_xor_b64 s[34:35], exec, s[36:37]
	s_cbranch_execz .LBB169_524
; %bb.503:                              ;   in Loop: Header=BB169_17 Depth=1
	v_cmp_gt_i16_sdwa s[36:37], v7, v35 src0_sel:BYTE_0 src1_sel:DWORD
                                        ; implicit-def: $vgpr54
	s_and_saveexec_b64 s[38:39], s[36:37]
	s_xor_b64 s[36:37], exec, s[38:39]
	s_cbranch_execz .LBB169_513
; %bb.504:                              ;   in Loop: Header=BB169_17 Depth=1
	;; [unrolled: 6-line block ×4, first 2 shown]
	flat_load_dwordx2 v[0:1], v[0:1]
	s_waitcnt vmcnt(0) lgkmcnt(0)
	v_cvt_f32_f64_e32 v54, v[0:1]
                                        ; implicit-def: $vgpr0_vgpr1
.LBB169_507:                            ;   in Loop: Header=BB169_17 Depth=1
	s_andn2_saveexec_b64 s[40:41], s[40:41]
	s_cbranch_execz .LBB169_509
; %bb.508:                              ;   in Loop: Header=BB169_17 Depth=1
	flat_load_dword v54, v[0:1]
.LBB169_509:                            ;   in Loop: Header=BB169_17 Depth=1
	s_or_b64 exec, exec, s[40:41]
                                        ; implicit-def: $vgpr0_vgpr1
.LBB169_510:                            ;   in Loop: Header=BB169_17 Depth=1
	s_andn2_saveexec_b64 s[38:39], s[38:39]
	s_cbranch_execz .LBB169_512
; %bb.511:                              ;   in Loop: Header=BB169_17 Depth=1
	flat_load_dword v0, v[0:1]
	s_waitcnt vmcnt(0) lgkmcnt(0)
	v_cvt_f32_f16_e32 v54, v0
.LBB169_512:                            ;   in Loop: Header=BB169_17 Depth=1
	s_or_b64 exec, exec, s[38:39]
                                        ; implicit-def: $vgpr0_vgpr1
.LBB169_513:                            ;   in Loop: Header=BB169_17 Depth=1
	s_andn2_saveexec_b64 s[36:37], s[36:37]
	s_cbranch_execz .LBB169_523
; %bb.514:                              ;   in Loop: Header=BB169_17 Depth=1
	v_cmp_gt_i16_sdwa s[38:39], v7, v38 src0_sel:BYTE_0 src1_sel:DWORD
                                        ; implicit-def: $vgpr54
	s_and_saveexec_b64 s[40:41], s[38:39]
	s_xor_b64 s[38:39], exec, s[40:41]
	s_cbranch_execz .LBB169_520
; %bb.515:                              ;   in Loop: Header=BB169_17 Depth=1
	v_cmp_gt_i16_sdwa s[40:41], v7, v39 src0_sel:BYTE_0 src1_sel:DWORD
                                        ; implicit-def: $vgpr54
	s_and_saveexec_b64 s[42:43], s[40:41]
	s_xor_b64 s[40:41], exec, s[42:43]
	s_cbranch_execz .LBB169_517
; %bb.516:                              ;   in Loop: Header=BB169_17 Depth=1
	flat_load_dwordx2 v[0:1], v[0:1]
	s_waitcnt vmcnt(0) lgkmcnt(0)
	v_cvt_f32_f64_e32 v54, v[0:1]
                                        ; implicit-def: $vgpr0_vgpr1
.LBB169_517:                            ;   in Loop: Header=BB169_17 Depth=1
	s_andn2_saveexec_b64 s[40:41], s[40:41]
	s_cbranch_execz .LBB169_519
; %bb.518:                              ;   in Loop: Header=BB169_17 Depth=1
	s_waitcnt vmcnt(0) lgkmcnt(0)
	flat_load_dword v54, v[0:1]
.LBB169_519:                            ;   in Loop: Header=BB169_17 Depth=1
	s_or_b64 exec, exec, s[40:41]
                                        ; implicit-def: $vgpr0_vgpr1
.LBB169_520:                            ;   in Loop: Header=BB169_17 Depth=1
	s_andn2_saveexec_b64 s[38:39], s[38:39]
	s_cbranch_execz .LBB169_522
; %bb.521:                              ;   in Loop: Header=BB169_17 Depth=1
	flat_load_ushort v0, v[0:1]
	s_waitcnt vmcnt(0) lgkmcnt(0)
	v_cvt_f32_f16_e32 v54, v0
.LBB169_522:                            ;   in Loop: Header=BB169_17 Depth=1
	s_or_b64 exec, exec, s[38:39]
.LBB169_523:                            ;   in Loop: Header=BB169_17 Depth=1
	s_or_b64 exec, exec, s[36:37]
                                        ; implicit-def: $vgpr0_vgpr1
.LBB169_524:                            ;   in Loop: Header=BB169_17 Depth=1
	s_andn2_saveexec_b64 s[34:35], s[34:35]
	s_cbranch_execz .LBB169_542
; %bb.525:                              ;   in Loop: Header=BB169_17 Depth=1
	v_cmp_gt_i16_sdwa s[36:37], v7, v48 src0_sel:BYTE_0 src1_sel:DWORD
                                        ; implicit-def: $vgpr54
	s_and_saveexec_b64 s[38:39], s[36:37]
	s_xor_b64 s[36:37], exec, s[38:39]
	s_cbranch_execz .LBB169_535
; %bb.526:                              ;   in Loop: Header=BB169_17 Depth=1
	v_cmp_gt_i16_sdwa s[38:39], v7, v49 src0_sel:BYTE_0 src1_sel:DWORD
                                        ; implicit-def: $vgpr54
	s_and_saveexec_b64 s[40:41], s[38:39]
	s_xor_b64 s[38:39], exec, s[40:41]
	;; [unrolled: 6-line block ×3, first 2 shown]
	s_cbranch_execz .LBB169_529
; %bb.528:                              ;   in Loop: Header=BB169_17 Depth=1
	flat_load_dwordx2 v[0:1], v[0:1]
	s_waitcnt vmcnt(0) lgkmcnt(0)
	v_xor_b32_e32 v54, v0, v1
	v_ffbh_i32_e32 v53, v1
	v_ashrrev_i32_e32 v54, 31, v54
	v_add_u32_e32 v53, -1, v53
	v_add_u32_e32 v54, 32, v54
	v_min_u32_e32 v53, v53, v54
	v_lshlrev_b64 v[0:1], v53, v[0:1]
	v_min_u32_e32 v0, 1, v0
	v_or_b32_e32 v0, v1, v0
	v_cvt_f32_i32_e32 v0, v0
	v_sub_u32_e32 v1, 32, v53
	v_ldexp_f32 v54, v0, v1
                                        ; implicit-def: $vgpr0_vgpr1
.LBB169_529:                            ;   in Loop: Header=BB169_17 Depth=1
	s_andn2_saveexec_b64 s[40:41], s[40:41]
	s_cbranch_execz .LBB169_531
; %bb.530:                              ;   in Loop: Header=BB169_17 Depth=1
	flat_load_dword v0, v[0:1]
	s_waitcnt vmcnt(0) lgkmcnt(0)
	v_cvt_f32_i32_e32 v54, v0
.LBB169_531:                            ;   in Loop: Header=BB169_17 Depth=1
	s_or_b64 exec, exec, s[40:41]
                                        ; implicit-def: $vgpr0_vgpr1
.LBB169_532:                            ;   in Loop: Header=BB169_17 Depth=1
	s_andn2_saveexec_b64 s[38:39], s[38:39]
	s_cbranch_execz .LBB169_534
; %bb.533:                              ;   in Loop: Header=BB169_17 Depth=1
	flat_load_sshort v0, v[0:1]
	s_waitcnt vmcnt(0) lgkmcnt(0)
	v_cvt_f32_i32_e32 v54, v0
.LBB169_534:                            ;   in Loop: Header=BB169_17 Depth=1
	s_or_b64 exec, exec, s[38:39]
                                        ; implicit-def: $vgpr0_vgpr1
.LBB169_535:                            ;   in Loop: Header=BB169_17 Depth=1
	s_andn2_saveexec_b64 s[36:37], s[36:37]
	s_cbranch_execz .LBB169_541
; %bb.536:                              ;   in Loop: Header=BB169_17 Depth=1
	v_cmp_gt_i16_sdwa s[38:39], v7, v6 src0_sel:BYTE_0 src1_sel:DWORD
                                        ; implicit-def: $vgpr54
	s_and_saveexec_b64 s[40:41], s[38:39]
	s_xor_b64 s[38:39], exec, s[40:41]
	s_cbranch_execz .LBB169_538
; %bb.537:                              ;   in Loop: Header=BB169_17 Depth=1
	flat_load_sbyte v0, v[0:1]
	s_waitcnt vmcnt(0) lgkmcnt(0)
	v_cvt_f32_i32_e32 v54, v0
                                        ; implicit-def: $vgpr0_vgpr1
.LBB169_538:                            ;   in Loop: Header=BB169_17 Depth=1
	s_andn2_saveexec_b64 s[38:39], s[38:39]
	s_cbranch_execz .LBB169_540
; %bb.539:                              ;   in Loop: Header=BB169_17 Depth=1
	flat_load_ubyte v0, v[0:1]
	s_waitcnt vmcnt(0) lgkmcnt(0)
	v_cvt_f32_ubyte0_e32 v54, v0
.LBB169_540:                            ;   in Loop: Header=BB169_17 Depth=1
	s_or_b64 exec, exec, s[38:39]
.LBB169_541:                            ;   in Loop: Header=BB169_17 Depth=1
	s_or_b64 exec, exec, s[36:37]
.LBB169_542:                            ;   in Loop: Header=BB169_17 Depth=1
	s_or_b64 exec, exec, s[34:35]
	s_andn2_b64 s[24:25], s[24:25], exec
	s_andn2_b64 s[22:23], s[22:23], exec
	s_or_b64 vcc, vcc, exec
	s_or_b64 exec, exec, s[30:31]
	s_mov_b64 s[34:35], 0
	s_and_saveexec_b64 s[30:31], vcc
	s_cbranch_execz .LBB169_548
.LBB169_543:                            ;   in Loop: Header=BB169_17 Depth=1
	v_mul_lo_u32 v0, v52, v10
	v_readlane_b32 s34, v78, 0
	v_add_co_u32_e32 v0, vcc, v4, v0
	v_add_u32_e32 v53, s34, v11
	v_addc_co_u32_e32 v1, vcc, 0, v5, vcc
	v_cmp_gt_i16_sdwa s[34:35], v8, v12 src0_sel:BYTE_0 src1_sel:DWORD
	s_mov_b64 s[38:39], 0
	s_waitcnt vmcnt(0) lgkmcnt(0)
	buffer_store_dword v54, v53, s[0:3], 0 offen offset:20
                                        ; implicit-def: $vcc
                                        ; implicit-def: $sgpr36_sgpr37
                                        ; implicit-def: $vgpr52
	s_and_saveexec_b64 s[40:41], s[34:35]
	s_xor_b64 s[34:35], exec, s[40:41]
	s_cbranch_execnz .LBB169_554
; %bb.544:                              ;   in Loop: Header=BB169_17 Depth=1
	s_andn2_saveexec_b64 s[34:35], s[34:35]
	s_cbranch_execnz .LBB169_613
.LBB169_545:                            ;   in Loop: Header=BB169_17 Depth=1
	s_or_b64 exec, exec, s[34:35]
	s_mov_b64 s[34:35], 0
	s_and_saveexec_b64 s[40:41], s[38:39]
	s_cbranch_execz .LBB169_547
.LBB169_546:                            ;   in Loop: Header=BB169_17 Depth=1
	s_mov_b64 s[34:35], exec
	v_add_u32_e32 v51, 0x200, v51
	s_andn2_b64 s[36:37], s[36:37], exec
	s_andn2_b64 vcc, vcc, exec
	s_waitcnt vmcnt(0) lgkmcnt(0)
	buffer_store_dword v52, v53, s[0:3], 0 offen offset:16
.LBB169_547:                            ;   in Loop: Header=BB169_17 Depth=1
	s_or_b64 exec, exec, s[40:41]
	s_andn2_b64 s[24:25], s[24:25], exec
	s_and_b64 s[36:37], s[36:37], exec
	s_andn2_b64 s[22:23], s[22:23], exec
	s_and_b64 vcc, vcc, exec
	s_or_b64 s[24:25], s[24:25], s[36:37]
	s_or_b64 s[22:23], s[22:23], vcc
	s_and_b64 s[34:35], s[34:35], exec
.LBB169_548:                            ;   in Loop: Header=BB169_17 Depth=1
	s_or_b64 exec, exec, s[30:31]
	s_and_b64 s[24:25], s[24:25], exec
	s_and_b64 s[22:23], s[22:23], exec
	s_orn2_b64 s[30:31], s[34:35], exec
.LBB169_549:                            ;   in Loop: Header=BB169_17 Depth=1
	s_or_b64 exec, exec, s[26:27]
	s_and_saveexec_b64 s[26:27], s[30:31]
	s_cbranch_execz .LBB169_14
; %bb.550:                              ;   in Loop: Header=BB169_17 Depth=1
	v_cmp_lt_i32_e32 vcc, v51, v72
	s_mov_b64 s[36:37], -1
	s_mov_b64 s[38:39], -1
                                        ; implicit-def: $sgpr28_sgpr29
                                        ; implicit-def: $sgpr30_sgpr31
	s_and_saveexec_b64 s[34:35], vcc
	s_cbranch_execz .LBB169_760
; %bb.551:                              ;   in Loop: Header=BB169_17 Depth=1
	v_readlane_b32 s28, v78, 1
	s_waitcnt vmcnt(0) lgkmcnt(0)
	v_add_u32_e32 v52, s28, v51
	v_mul_lo_u32 v0, v52, v9
	v_add_co_u32_e32 v0, vcc, v2, v0
	v_addc_co_u32_e32 v1, vcc, 0, v3, vcc
	v_cmp_gt_i16_sdwa s[38:39], v7, v12 src0_sel:BYTE_0 src1_sel:DWORD
	s_mov_b64 vcc, 0
                                        ; implicit-def: $sgpr28_sgpr29
                                        ; implicit-def: $sgpr30_sgpr31
                                        ; implicit-def: $vgpr54
	s_and_saveexec_b64 s[40:41], s[38:39]
	s_xor_b64 s[38:39], exec, s[40:41]
	s_cbranch_execnz .LBB169_654
; %bb.552:                              ;   in Loop: Header=BB169_17 Depth=1
	s_andn2_saveexec_b64 s[38:39], s[38:39]
	s_cbranch_execnz .LBB169_713
.LBB169_553:                            ;   in Loop: Header=BB169_17 Depth=1
	s_or_b64 exec, exec, s[38:39]
	s_mov_b64 s[40:41], 0
	s_and_saveexec_b64 s[38:39], vcc
	s_cbranch_execnz .LBB169_754
	s_branch .LBB169_759
.LBB169_554:                            ;   in Loop: Header=BB169_17 Depth=1
	v_cmp_gt_i16_sdwa vcc, v8, v13 src0_sel:BYTE_0 src1_sel:DWORD
                                        ; implicit-def: $sgpr40_sgpr41
                                        ; implicit-def: $sgpr42_sgpr43
                                        ; implicit-def: $vgpr52
	s_and_saveexec_b64 s[36:37], vcc
	s_xor_b64 s[36:37], exec, s[36:37]
	s_cbranch_execz .LBB169_586
; %bb.555:                              ;   in Loop: Header=BB169_17 Depth=1
	v_cmp_gt_i16_sdwa vcc, v8, v14 src0_sel:BYTE_0 src1_sel:DWORD
                                        ; implicit-def: $sgpr40_sgpr41
                                        ; implicit-def: $sgpr44_sgpr45
                                        ; implicit-def: $vgpr52
	s_and_saveexec_b64 s[42:43], vcc
	s_xor_b64 s[42:43], exec, s[42:43]
	s_cbranch_execz .LBB169_571
; %bb.556:                              ;   in Loop: Header=BB169_17 Depth=1
	v_cmp_gt_i16_sdwa s[38:39], v8, v15 src0_sel:BYTE_0 src1_sel:DWORD
	s_mov_b64 s[46:47], 0
                                        ; implicit-def: $vcc
                                        ; implicit-def: $sgpr44_sgpr45
                                        ; implicit-def: $vgpr52
	s_and_saveexec_b64 s[40:41], s[38:39]
	s_xor_b64 s[38:39], exec, s[40:41]
	s_cbranch_execz .LBB169_566
; %bb.557:                              ;   in Loop: Header=BB169_17 Depth=1
	v_cmp_gt_i16_sdwa vcc, v8, v16 src0_sel:BYTE_0 src1_sel:DWORD
                                        ; implicit-def: $sgpr44_sgpr45
                                        ; implicit-def: $sgpr40_sgpr41
                                        ; implicit-def: $vgpr52
	s_and_saveexec_b64 s[48:49], vcc
	s_xor_b64 vcc, exec, s[48:49]
	s_cbranch_execz .LBB169_561
; %bb.558:                              ;   in Loop: Header=BB169_17 Depth=1
	v_cmp_eq_u16_sdwa s[48:49], v8, v17 src0_sel:BYTE_0 src1_sel:DWORD
	s_mov_b64 s[40:41], 0
                                        ; implicit-def: $vgpr52
	s_and_saveexec_b64 s[44:45], s[48:49]
	s_cbranch_execz .LBB169_560
; %bb.559:                              ;   in Loop: Header=BB169_17 Depth=1
	flat_load_dword v0, v[0:1]
	s_mov_b64 s[46:47], exec
	s_waitcnt vmcnt(0) lgkmcnt(0)
	v_lshlrev_b32_e32 v52, 16, v0
.LBB169_560:                            ;   in Loop: Header=BB169_17 Depth=1
	s_or_b64 exec, exec, s[44:45]
	s_mov_b64 s[44:45], -1
	s_and_b64 s[46:47], s[46:47], exec
                                        ; implicit-def: $vgpr0_vgpr1
.LBB169_561:                            ;   in Loop: Header=BB169_17 Depth=1
	s_andn2_saveexec_b64 s[48:49], vcc
	s_cbranch_execz .LBB169_565
; %bb.562:                              ;   in Loop: Header=BB169_17 Depth=1
	v_cmp_eq_u16_sdwa s[52:53], v8, v18 src0_sel:BYTE_0 src1_sel:DWORD
	s_mov_b64 vcc, s[46:47]
                                        ; implicit-def: $vgpr52
	s_and_saveexec_b64 s[50:51], s[52:53]
	s_cbranch_execz .LBB169_564
; %bb.563:                              ;   in Loop: Header=BB169_17 Depth=1
	flat_load_ubyte v0, v[0:1]
	s_movk_i32 vcc_lo, 0xff
	s_waitcnt vmcnt(0) lgkmcnt(0)
	v_lshlrev_b32_e32 v1, 23, v0
	v_cmp_ne_u32_e32 vcc, vcc_lo, v0
	v_cndmask_b32_e32 v1, v19, v1, vcc
	v_cmp_ne_u32_e32 vcc, 0, v0
	v_cndmask_b32_e32 v52, v20, v1, vcc
	s_or_b64 vcc, s[46:47], exec
.LBB169_564:                            ;   in Loop: Header=BB169_17 Depth=1
	s_or_b64 exec, exec, s[50:51]
	s_andn2_b64 s[46:47], s[46:47], exec
	s_and_b64 vcc, vcc, exec
	s_or_b64 s[44:45], s[44:45], exec
	s_andn2_b64 s[40:41], s[40:41], exec
	s_or_b64 s[46:47], s[46:47], vcc
.LBB169_565:                            ;   in Loop: Header=BB169_17 Depth=1
	s_or_b64 exec, exec, s[48:49]
	s_and_b64 s[44:45], s[44:45], exec
	s_and_b64 vcc, s[40:41], exec
	s_and_b64 s[46:47], s[46:47], exec
                                        ; implicit-def: $vgpr0_vgpr1
.LBB169_566:                            ;   in Loop: Header=BB169_17 Depth=1
	s_andn2_saveexec_b64 s[38:39], s[38:39]
	s_cbranch_execz .LBB169_570
; %bb.567:                              ;   in Loop: Header=BB169_17 Depth=1
	v_cmp_eq_u16_sdwa s[50:51], v8, v21 src0_sel:BYTE_0 src1_sel:DWORD
	s_mov_b64 s[48:49], s[46:47]
                                        ; implicit-def: $vgpr52
	s_and_saveexec_b64 s[40:41], s[50:51]
	s_cbranch_execz .LBB169_569
; %bb.568:                              ;   in Loop: Header=BB169_17 Depth=1
	flat_load_dwordx2 v[0:1], v[0:1]
	s_or_b64 s[48:49], s[46:47], exec
	s_waitcnt vmcnt(0) lgkmcnt(0)
	v_ffbh_u32_e32 v52, v1
	v_min_u32_e32 v52, 32, v52
	v_lshlrev_b64 v[0:1], v52, v[0:1]
	v_min_u32_e32 v0, 1, v0
	v_or_b32_e32 v0, v1, v0
	v_cvt_f32_u32_e32 v0, v0
	v_sub_u32_e32 v1, 32, v52
	v_ldexp_f32 v52, v0, v1
.LBB169_569:                            ;   in Loop: Header=BB169_17 Depth=1
	s_or_b64 exec, exec, s[40:41]
	s_andn2_b64 s[40:41], s[46:47], exec
	s_and_b64 s[46:47], s[48:49], exec
	s_or_b64 s[44:45], s[44:45], exec
	s_andn2_b64 vcc, vcc, exec
	s_or_b64 s[46:47], s[40:41], s[46:47]
.LBB169_570:                            ;   in Loop: Header=BB169_17 Depth=1
	s_or_b64 exec, exec, s[38:39]
	s_and_b64 s[44:45], s[44:45], exec
	s_and_b64 s[40:41], vcc, exec
	s_and_b64 s[38:39], s[46:47], exec
                                        ; implicit-def: $vgpr0_vgpr1
.LBB169_571:                            ;   in Loop: Header=BB169_17 Depth=1
	s_andn2_saveexec_b64 s[42:43], s[42:43]
	s_cbranch_execz .LBB169_585
; %bb.572:                              ;   in Loop: Header=BB169_17 Depth=1
	v_cmp_gt_i16_sdwa vcc, v8, v22 src0_sel:BYTE_0 src1_sel:DWORD
                                        ; implicit-def: $vgpr52
	s_and_saveexec_b64 s[46:47], vcc
	s_xor_b64 vcc, exec, s[46:47]
	s_cbranch_execz .LBB169_578
; %bb.573:                              ;   in Loop: Header=BB169_17 Depth=1
	v_cmp_gt_i16_sdwa s[46:47], v8, v23 src0_sel:BYTE_0 src1_sel:DWORD
                                        ; implicit-def: $vgpr52
	s_and_saveexec_b64 s[48:49], s[46:47]
	s_xor_b64 s[46:47], exec, s[48:49]
	s_cbranch_execz .LBB169_575
; %bb.574:                              ;   in Loop: Header=BB169_17 Depth=1
	flat_load_dword v0, v[0:1]
	s_waitcnt vmcnt(0) lgkmcnt(0)
	v_cvt_f32_u32_e32 v52, v0
                                        ; implicit-def: $vgpr0_vgpr1
.LBB169_575:                            ;   in Loop: Header=BB169_17 Depth=1
	s_andn2_saveexec_b64 s[46:47], s[46:47]
	s_cbranch_execz .LBB169_577
; %bb.576:                              ;   in Loop: Header=BB169_17 Depth=1
	flat_load_ushort v0, v[0:1]
	s_waitcnt vmcnt(0) lgkmcnt(0)
	v_cvt_f32_u32_e32 v52, v0
.LBB169_577:                            ;   in Loop: Header=BB169_17 Depth=1
	s_or_b64 exec, exec, s[46:47]
                                        ; implicit-def: $vgpr0_vgpr1
.LBB169_578:                            ;   in Loop: Header=BB169_17 Depth=1
	s_andn2_saveexec_b64 s[46:47], vcc
	s_cbranch_execz .LBB169_584
; %bb.579:                              ;   in Loop: Header=BB169_17 Depth=1
	flat_load_ubyte v0, v[0:1]
	s_movk_i32 vcc_lo, 0x7f
	s_mov_b64 s[48:49], 0
                                        ; implicit-def: $sgpr54
	s_waitcnt vmcnt(0) lgkmcnt(0)
	v_cmp_lt_i16_e32 vcc, vcc_lo, v0
	s_and_saveexec_b64 s[50:51], vcc
	s_xor_b64 s[50:51], exec, s[50:51]
	s_cbranch_execnz .LBB169_1438
; %bb.580:                              ;   in Loop: Header=BB169_17 Depth=1
	s_or_saveexec_b64 s[50:51], s[50:51]
	v_mov_b32_e32 v52, s54
	s_xor_b64 exec, exec, s[50:51]
	s_cbranch_execnz .LBB169_1441
.LBB169_581:                            ;   in Loop: Header=BB169_17 Depth=1
	s_or_b64 exec, exec, s[50:51]
	s_and_saveexec_b64 s[50:51], s[48:49]
	s_cbranch_execz .LBB169_583
.LBB169_582:                            ;   in Loop: Header=BB169_17 Depth=1
	v_lshlrev_b32_e32 v1, 24, v0
	v_and_b32_e32 v0, 0xffff, v0
	v_and_b32_e32 v52, 7, v0
	v_ffbh_u32_e32 v55, v52
	v_min_u32_e32 v55, 32, v55
	v_subrev_u32_e32 v64, 28, v55
	v_bfe_u32 v54, v0, 3, 4
	v_lshlrev_b32_e32 v0, v64, v0
	v_sub_u32_e32 v55, 29, v55
	v_and_b32_e32 v0, 7, v0
	v_cmp_eq_u32_e32 vcc, 0, v54
	v_cndmask_b32_e32 v54, v54, v55, vcc
	v_cndmask_b32_e32 v0, v52, v0, vcc
	v_lshlrev_b32_e32 v0, 20, v0
	v_and_b32_e32 v1, 0x80000000, v1
	v_lshl_add_u32 v52, v54, 23, v24
	v_or3_b32 v52, v1, v52, v0
.LBB169_583:                            ;   in Loop: Header=BB169_17 Depth=1
	s_or_b64 exec, exec, s[50:51]
.LBB169_584:                            ;   in Loop: Header=BB169_17 Depth=1
	s_or_b64 exec, exec, s[46:47]
	s_andn2_b64 s[44:45], s[44:45], exec
	s_andn2_b64 s[40:41], s[40:41], exec
	s_or_b64 s[38:39], s[38:39], exec
.LBB169_585:                            ;   in Loop: Header=BB169_17 Depth=1
	s_or_b64 exec, exec, s[42:43]
	s_and_b64 s[42:43], s[44:45], exec
	s_and_b64 s[40:41], s[40:41], exec
	s_and_b64 s[38:39], s[38:39], exec
                                        ; implicit-def: $vgpr0_vgpr1
.LBB169_586:                            ;   in Loop: Header=BB169_17 Depth=1
	s_andn2_saveexec_b64 s[36:37], s[36:37]
	s_cbranch_execz .LBB169_612
; %bb.587:                              ;   in Loop: Header=BB169_17 Depth=1
	v_cmp_gt_i16_sdwa vcc, v8, v25 src0_sel:BYTE_0 src1_sel:DWORD
	s_mov_b64 s[46:47], s[38:39]
                                        ; implicit-def: $vgpr52
	s_and_saveexec_b64 s[44:45], vcc
	s_xor_b64 s[44:45], exec, s[44:45]
	s_cbranch_execz .LBB169_601
; %bb.588:                              ;   in Loop: Header=BB169_17 Depth=1
	v_cmp_gt_i16_sdwa vcc, v8, v26 src0_sel:BYTE_0 src1_sel:DWORD
                                        ; implicit-def: $vgpr52
	s_and_saveexec_b64 s[46:47], vcc
	s_xor_b64 s[46:47], exec, s[46:47]
	s_cbranch_execz .LBB169_598
; %bb.589:                              ;   in Loop: Header=BB169_17 Depth=1
	v_cmp_gt_i16_sdwa vcc, v8, v27 src0_sel:BYTE_0 src1_sel:DWORD
                                        ; implicit-def: $vgpr52
	s_and_saveexec_b64 s[48:49], vcc
	s_xor_b64 s[48:49], exec, s[48:49]
	s_cbranch_execz .LBB169_595
; %bb.590:                              ;   in Loop: Header=BB169_17 Depth=1
	flat_load_ubyte v0, v[0:1]
	s_movk_i32 vcc_lo, 0x7f
	s_mov_b64 s[50:51], 0
                                        ; implicit-def: $sgpr56
	s_waitcnt vmcnt(0) lgkmcnt(0)
	v_cmp_lt_i16_e32 vcc, vcc_lo, v0
	s_and_saveexec_b64 s[52:53], vcc
	s_xor_b64 s[52:53], exec, s[52:53]
	s_cbranch_execnz .LBB169_1657
; %bb.591:                              ;   in Loop: Header=BB169_17 Depth=1
	s_or_saveexec_b64 s[52:53], s[52:53]
	v_mov_b32_e32 v52, s56
	s_xor_b64 exec, exec, s[52:53]
	s_cbranch_execnz .LBB169_1660
.LBB169_592:                            ;   in Loop: Header=BB169_17 Depth=1
	s_or_b64 exec, exec, s[52:53]
	s_and_saveexec_b64 s[52:53], s[50:51]
	s_cbranch_execz .LBB169_594
.LBB169_593:                            ;   in Loop: Header=BB169_17 Depth=1
	v_lshlrev_b32_e32 v1, 24, v0
	v_and_b32_e32 v0, 0xffff, v0
	v_and_b32_e32 v52, 3, v0
	v_ffbh_u32_e32 v55, v52
	v_min_u32_e32 v55, 32, v55
	v_subrev_u32_e32 v64, 29, v55
	v_bfe_u32 v54, v0, 2, 5
	v_lshlrev_b32_e32 v0, v64, v0
	v_sub_u32_e32 v55, 30, v55
	v_and_b32_e32 v0, 3, v0
	v_cmp_eq_u32_e32 vcc, 0, v54
	v_cndmask_b32_e32 v54, v54, v55, vcc
	v_cndmask_b32_e32 v0, v52, v0, vcc
	v_lshlrev_b32_e32 v0, 21, v0
	v_and_b32_e32 v1, 0x80000000, v1
	v_lshl_add_u32 v52, v54, 23, v28
	v_or3_b32 v52, v1, v52, v0
.LBB169_594:                            ;   in Loop: Header=BB169_17 Depth=1
	s_or_b64 exec, exec, s[52:53]
                                        ; implicit-def: $vgpr0_vgpr1
.LBB169_595:                            ;   in Loop: Header=BB169_17 Depth=1
	s_andn2_saveexec_b64 s[48:49], s[48:49]
	s_cbranch_execz .LBB169_597
; %bb.596:                              ;   in Loop: Header=BB169_17 Depth=1
	flat_load_ubyte v0, v[0:1]
	s_mov_b32 vcc_lo, 0x7f800000
	s_waitcnt vmcnt(0) lgkmcnt(0)
	v_lshlrev_b32_e32 v0, 24, v0
	v_and_b32_e32 v1, 0x7f000000, v0
	v_ffbh_u32_e32 v52, v1
	v_min_u32_e32 v52, 32, v52
	v_sub_u32_e64 v52, v52, 4 clamp
	v_lshlrev_b32_e32 v55, v52, v1
	v_lshlrev_b32_e32 v52, 23, v52
	v_lshrrev_b32_e32 v55, 4, v55
	v_add_u32_e32 v54, 0x1000000, v1
	v_sub_u32_e32 v52, v55, v52
	v_ashrrev_i32_e32 v54, 8, v54
	v_add_u32_e32 v52, 0x3c000000, v52
	v_and_or_b32 v52, v54, vcc_lo, v52
	v_cmp_ne_u32_e32 vcc, 0, v1
	v_cndmask_b32_e32 v1, 0, v52, vcc
	s_brev_b32 vcc_lo, 1
	v_and_or_b32 v52, v0, vcc_lo, v1
.LBB169_597:                            ;   in Loop: Header=BB169_17 Depth=1
	s_or_b64 exec, exec, s[48:49]
                                        ; implicit-def: $vgpr0_vgpr1
.LBB169_598:                            ;   in Loop: Header=BB169_17 Depth=1
	s_andn2_saveexec_b64 s[46:47], s[46:47]
	s_cbranch_execz .LBB169_600
; %bb.599:                              ;   in Loop: Header=BB169_17 Depth=1
	flat_load_ubyte v0, v[0:1]
	s_movk_i32 vcc_lo, 0x7f00
	s_waitcnt vmcnt(0) lgkmcnt(0)
	v_lshlrev_b16_e32 v1, 8, v0
	v_lshlrev_b32_e32 v0, 25, v0
	v_lshrrev_b32_e32 v52, 4, v0
	v_and_or_b32 v54, v1, vcc_lo, 0.5
	v_or_b32_e32 v52, 0x70000000, v52
	s_brev_b32 vcc_lo, 16
	v_add_f32_e32 v54, -0.5, v54
	v_mul_f32_e32 v52, 0x7800000, v52
	v_cmp_gt_u32_e32 vcc, vcc_lo, v0
	v_cndmask_b32_e32 v0, v52, v54, vcc
	v_bfe_i32 v1, v1, 0, 16
	s_brev_b32 vcc_lo, 1
	v_and_or_b32 v52, v1, vcc_lo, v0
.LBB169_600:                            ;   in Loop: Header=BB169_17 Depth=1
	s_or_b64 exec, exec, s[46:47]
	s_or_b64 s[46:47], s[38:39], exec
                                        ; implicit-def: $vgpr0_vgpr1
.LBB169_601:                            ;   in Loop: Header=BB169_17 Depth=1
	s_or_saveexec_b64 s[44:45], s[44:45]
                                        ; implicit-def: $vcc
                                        ; implicit-def: $sgpr52_sgpr53
	s_xor_b64 exec, exec, s[44:45]
	s_cbranch_execz .LBB169_611
; %bb.602:                              ;   in Loop: Header=BB169_17 Depth=1
	v_cmp_gt_i16_sdwa vcc, v8, v29 src0_sel:BYTE_0 src1_sel:DWORD
	s_mov_b64 s[50:51], s[46:47]
                                        ; implicit-def: $sgpr52_sgpr53
                                        ; implicit-def: $sgpr48_sgpr49
                                        ; implicit-def: $vgpr52
	s_and_saveexec_b64 s[54:55], vcc
	s_xor_b64 vcc, exec, s[54:55]
	s_cbranch_execz .LBB169_606
; %bb.603:                              ;   in Loop: Header=BB169_17 Depth=1
	v_cmp_eq_u16_sdwa s[52:53], v8, v32 src0_sel:BYTE_0 src1_sel:DWORD
	s_mov_b64 s[50:51], s[46:47]
                                        ; implicit-def: $vgpr52
	s_and_saveexec_b64 s[48:49], s[52:53]
	s_cbranch_execz .LBB169_605
; %bb.604:                              ;   in Loop: Header=BB169_17 Depth=1
	flat_load_ushort v0, v[0:1]
	s_or_b64 s[50:51], s[46:47], exec
	s_waitcnt vmcnt(0) lgkmcnt(0)
	v_lshlrev_b32_e32 v52, 16, v0
.LBB169_605:                            ;   in Loop: Header=BB169_17 Depth=1
	s_or_b64 exec, exec, s[48:49]
	s_andn2_b64 s[54:55], s[46:47], exec
	s_and_b64 s[50:51], s[50:51], exec
	s_mov_b64 s[48:49], 0
	s_mov_b64 s[52:53], -1
	s_or_b64 s[50:51], s[54:55], s[50:51]
                                        ; implicit-def: $vgpr0_vgpr1
.LBB169_606:                            ;   in Loop: Header=BB169_17 Depth=1
	s_andn2_saveexec_b64 s[54:55], vcc
	s_cbranch_execz .LBB169_610
; %bb.607:                              ;   in Loop: Header=BB169_17 Depth=1
	v_cmp_eq_u16_sdwa s[58:59], v8, v33 src0_sel:BYTE_0 src1_sel:DWORD
	s_mov_b64 vcc, s[50:51]
                                        ; implicit-def: $vgpr52
	s_and_saveexec_b64 s[56:57], s[58:59]
	s_cbranch_execz .LBB169_609
; %bb.608:                              ;   in Loop: Header=BB169_17 Depth=1
	flat_load_ubyte v0, v[0:1]
	s_waitcnt vmcnt(0) lgkmcnt(0)
	v_cmp_ne_u16_e32 vcc, 0, v0
	v_cndmask_b32_e64 v52, 0, 1.0, vcc
	s_or_b64 vcc, s[50:51], exec
.LBB169_609:                            ;   in Loop: Header=BB169_17 Depth=1
	s_or_b64 exec, exec, s[56:57]
	s_andn2_b64 s[50:51], s[50:51], exec
	s_and_b64 vcc, vcc, exec
	s_or_b64 s[52:53], s[52:53], exec
	s_andn2_b64 s[48:49], s[48:49], exec
	s_or_b64 s[50:51], s[50:51], vcc
.LBB169_610:                            ;   in Loop: Header=BB169_17 Depth=1
	s_or_b64 exec, exec, s[54:55]
	s_and_b64 vcc, s[48:49], exec
	s_andn2_b64 s[46:47], s[46:47], exec
	s_and_b64 s[48:49], s[50:51], exec
	s_and_b64 s[52:53], s[52:53], exec
	s_or_b64 s[46:47], s[46:47], s[48:49]
.LBB169_611:                            ;   in Loop: Header=BB169_17 Depth=1
	s_or_b64 exec, exec, s[44:45]
	s_andn2_b64 s[40:41], s[40:41], exec
	s_and_b64 vcc, vcc, exec
	s_andn2_b64 s[42:43], s[42:43], exec
	s_and_b64 s[44:45], s[52:53], exec
	s_or_b64 s[40:41], s[40:41], vcc
	s_andn2_b64 vcc, s[38:39], exec
	s_and_b64 s[38:39], s[46:47], exec
	s_or_b64 s[42:43], s[42:43], s[44:45]
	s_or_b64 s[38:39], vcc, s[38:39]
.LBB169_612:                            ;   in Loop: Header=BB169_17 Depth=1
	s_or_b64 exec, exec, s[36:37]
	s_and_b64 s[36:37], s[42:43], exec
	s_and_b64 vcc, s[40:41], exec
	s_and_b64 s[38:39], s[38:39], exec
                                        ; implicit-def: $vgpr0_vgpr1
	s_andn2_saveexec_b64 s[34:35], s[34:35]
	s_cbranch_execz .LBB169_545
.LBB169_613:                            ;   in Loop: Header=BB169_17 Depth=1
	v_cmp_gt_i16_sdwa s[40:41], v8, v34 src0_sel:BYTE_0 src1_sel:DWORD
                                        ; implicit-def: $vgpr52
	s_and_saveexec_b64 s[42:43], s[40:41]
	s_xor_b64 s[40:41], exec, s[42:43]
	s_cbranch_execz .LBB169_635
; %bb.614:                              ;   in Loop: Header=BB169_17 Depth=1
	v_cmp_gt_i16_sdwa s[42:43], v8, v35 src0_sel:BYTE_0 src1_sel:DWORD
                                        ; implicit-def: $vgpr52
	s_and_saveexec_b64 s[44:45], s[42:43]
	s_xor_b64 s[42:43], exec, s[44:45]
	s_cbranch_execz .LBB169_624
; %bb.615:                              ;   in Loop: Header=BB169_17 Depth=1
	v_cmp_gt_i16_sdwa s[44:45], v8, v36 src0_sel:BYTE_0 src1_sel:DWORD
                                        ; implicit-def: $vgpr52
	s_and_saveexec_b64 s[46:47], s[44:45]
	s_xor_b64 s[44:45], exec, s[46:47]
	s_cbranch_execz .LBB169_621
; %bb.616:                              ;   in Loop: Header=BB169_17 Depth=1
	v_cmp_gt_i16_sdwa s[46:47], v8, v37 src0_sel:BYTE_0 src1_sel:DWORD
                                        ; implicit-def: $vgpr52
	s_and_saveexec_b64 s[48:49], s[46:47]
	s_xor_b64 s[46:47], exec, s[48:49]
	s_cbranch_execz .LBB169_618
; %bb.617:                              ;   in Loop: Header=BB169_17 Depth=1
	flat_load_dwordx2 v[0:1], v[0:1]
	s_waitcnt vmcnt(0) lgkmcnt(0)
	v_cvt_f32_f64_e32 v52, v[0:1]
                                        ; implicit-def: $vgpr0_vgpr1
.LBB169_618:                            ;   in Loop: Header=BB169_17 Depth=1
	s_andn2_saveexec_b64 s[46:47], s[46:47]
	s_cbranch_execz .LBB169_620
; %bb.619:                              ;   in Loop: Header=BB169_17 Depth=1
	flat_load_dword v52, v[0:1]
.LBB169_620:                            ;   in Loop: Header=BB169_17 Depth=1
	s_or_b64 exec, exec, s[46:47]
                                        ; implicit-def: $vgpr0_vgpr1
.LBB169_621:                            ;   in Loop: Header=BB169_17 Depth=1
	s_andn2_saveexec_b64 s[44:45], s[44:45]
	s_cbranch_execz .LBB169_623
; %bb.622:                              ;   in Loop: Header=BB169_17 Depth=1
	flat_load_dword v0, v[0:1]
	s_waitcnt vmcnt(0) lgkmcnt(0)
	v_cvt_f32_f16_e32 v52, v0
.LBB169_623:                            ;   in Loop: Header=BB169_17 Depth=1
	s_or_b64 exec, exec, s[44:45]
                                        ; implicit-def: $vgpr0_vgpr1
.LBB169_624:                            ;   in Loop: Header=BB169_17 Depth=1
	s_andn2_saveexec_b64 s[42:43], s[42:43]
	s_cbranch_execz .LBB169_634
; %bb.625:                              ;   in Loop: Header=BB169_17 Depth=1
	v_cmp_gt_i16_sdwa s[44:45], v8, v38 src0_sel:BYTE_0 src1_sel:DWORD
                                        ; implicit-def: $vgpr52
	s_and_saveexec_b64 s[46:47], s[44:45]
	s_xor_b64 s[44:45], exec, s[46:47]
	s_cbranch_execz .LBB169_631
; %bb.626:                              ;   in Loop: Header=BB169_17 Depth=1
	v_cmp_gt_i16_sdwa s[46:47], v8, v39 src0_sel:BYTE_0 src1_sel:DWORD
                                        ; implicit-def: $vgpr52
	s_and_saveexec_b64 s[48:49], s[46:47]
	s_xor_b64 s[46:47], exec, s[48:49]
	s_cbranch_execz .LBB169_628
; %bb.627:                              ;   in Loop: Header=BB169_17 Depth=1
	flat_load_dwordx2 v[0:1], v[0:1]
	s_waitcnt vmcnt(0) lgkmcnt(0)
	v_cvt_f32_f64_e32 v52, v[0:1]
                                        ; implicit-def: $vgpr0_vgpr1
.LBB169_628:                            ;   in Loop: Header=BB169_17 Depth=1
	s_andn2_saveexec_b64 s[46:47], s[46:47]
	s_cbranch_execz .LBB169_630
; %bb.629:                              ;   in Loop: Header=BB169_17 Depth=1
	s_waitcnt vmcnt(0) lgkmcnt(0)
	flat_load_dword v52, v[0:1]
.LBB169_630:                            ;   in Loop: Header=BB169_17 Depth=1
	s_or_b64 exec, exec, s[46:47]
                                        ; implicit-def: $vgpr0_vgpr1
.LBB169_631:                            ;   in Loop: Header=BB169_17 Depth=1
	s_andn2_saveexec_b64 s[44:45], s[44:45]
	s_cbranch_execz .LBB169_633
; %bb.632:                              ;   in Loop: Header=BB169_17 Depth=1
	flat_load_ushort v0, v[0:1]
	s_waitcnt vmcnt(0) lgkmcnt(0)
	v_cvt_f32_f16_e32 v52, v0
.LBB169_633:                            ;   in Loop: Header=BB169_17 Depth=1
	s_or_b64 exec, exec, s[44:45]
.LBB169_634:                            ;   in Loop: Header=BB169_17 Depth=1
	s_or_b64 exec, exec, s[42:43]
                                        ; implicit-def: $vgpr0_vgpr1
.LBB169_635:                            ;   in Loop: Header=BB169_17 Depth=1
	s_andn2_saveexec_b64 s[40:41], s[40:41]
	s_cbranch_execz .LBB169_653
; %bb.636:                              ;   in Loop: Header=BB169_17 Depth=1
	v_cmp_gt_i16_sdwa s[42:43], v8, v48 src0_sel:BYTE_0 src1_sel:DWORD
                                        ; implicit-def: $vgpr52
	s_and_saveexec_b64 s[44:45], s[42:43]
	s_xor_b64 s[42:43], exec, s[44:45]
	s_cbranch_execz .LBB169_646
; %bb.637:                              ;   in Loop: Header=BB169_17 Depth=1
	v_cmp_gt_i16_sdwa s[44:45], v8, v49 src0_sel:BYTE_0 src1_sel:DWORD
                                        ; implicit-def: $vgpr52
	s_and_saveexec_b64 s[46:47], s[44:45]
	s_xor_b64 s[44:45], exec, s[46:47]
	;; [unrolled: 6-line block ×3, first 2 shown]
	s_cbranch_execz .LBB169_640
; %bb.639:                              ;   in Loop: Header=BB169_17 Depth=1
	flat_load_dwordx2 v[0:1], v[0:1]
	s_waitcnt vmcnt(0) lgkmcnt(0)
	v_xor_b32_e32 v54, v0, v1
	v_ffbh_i32_e32 v52, v1
	v_ashrrev_i32_e32 v54, 31, v54
	v_add_u32_e32 v52, -1, v52
	v_add_u32_e32 v54, 32, v54
	v_min_u32_e32 v52, v52, v54
	v_lshlrev_b64 v[0:1], v52, v[0:1]
	v_min_u32_e32 v0, 1, v0
	v_or_b32_e32 v0, v1, v0
	v_cvt_f32_i32_e32 v0, v0
	v_sub_u32_e32 v1, 32, v52
	v_ldexp_f32 v52, v0, v1
                                        ; implicit-def: $vgpr0_vgpr1
.LBB169_640:                            ;   in Loop: Header=BB169_17 Depth=1
	s_andn2_saveexec_b64 s[46:47], s[46:47]
	s_cbranch_execz .LBB169_642
; %bb.641:                              ;   in Loop: Header=BB169_17 Depth=1
	flat_load_dword v0, v[0:1]
	s_waitcnt vmcnt(0) lgkmcnt(0)
	v_cvt_f32_i32_e32 v52, v0
.LBB169_642:                            ;   in Loop: Header=BB169_17 Depth=1
	s_or_b64 exec, exec, s[46:47]
                                        ; implicit-def: $vgpr0_vgpr1
.LBB169_643:                            ;   in Loop: Header=BB169_17 Depth=1
	s_andn2_saveexec_b64 s[44:45], s[44:45]
	s_cbranch_execz .LBB169_645
; %bb.644:                              ;   in Loop: Header=BB169_17 Depth=1
	flat_load_sshort v0, v[0:1]
	s_waitcnt vmcnt(0) lgkmcnt(0)
	v_cvt_f32_i32_e32 v52, v0
.LBB169_645:                            ;   in Loop: Header=BB169_17 Depth=1
	s_or_b64 exec, exec, s[44:45]
                                        ; implicit-def: $vgpr0_vgpr1
.LBB169_646:                            ;   in Loop: Header=BB169_17 Depth=1
	s_andn2_saveexec_b64 s[42:43], s[42:43]
	s_cbranch_execz .LBB169_652
; %bb.647:                              ;   in Loop: Header=BB169_17 Depth=1
	v_cmp_gt_i16_sdwa s[44:45], v8, v6 src0_sel:BYTE_0 src1_sel:DWORD
                                        ; implicit-def: $vgpr52
	s_and_saveexec_b64 s[46:47], s[44:45]
	s_xor_b64 s[44:45], exec, s[46:47]
	s_cbranch_execz .LBB169_649
; %bb.648:                              ;   in Loop: Header=BB169_17 Depth=1
	flat_load_sbyte v0, v[0:1]
	s_waitcnt vmcnt(0) lgkmcnt(0)
	v_cvt_f32_i32_e32 v52, v0
                                        ; implicit-def: $vgpr0_vgpr1
.LBB169_649:                            ;   in Loop: Header=BB169_17 Depth=1
	s_andn2_saveexec_b64 s[44:45], s[44:45]
	s_cbranch_execz .LBB169_651
; %bb.650:                              ;   in Loop: Header=BB169_17 Depth=1
	flat_load_ubyte v0, v[0:1]
	s_waitcnt vmcnt(0) lgkmcnt(0)
	v_cvt_f32_ubyte0_e32 v52, v0
.LBB169_651:                            ;   in Loop: Header=BB169_17 Depth=1
	s_or_b64 exec, exec, s[44:45]
.LBB169_652:                            ;   in Loop: Header=BB169_17 Depth=1
	s_or_b64 exec, exec, s[42:43]
.LBB169_653:                            ;   in Loop: Header=BB169_17 Depth=1
	s_or_b64 exec, exec, s[40:41]
	s_andn2_b64 s[36:37], s[36:37], exec
	s_andn2_b64 vcc, vcc, exec
	s_or_b64 s[38:39], s[38:39], exec
	s_or_b64 exec, exec, s[34:35]
	s_mov_b64 s[34:35], 0
	s_and_saveexec_b64 s[40:41], s[38:39]
	s_cbranch_execnz .LBB169_546
	s_branch .LBB169_547
.LBB169_654:                            ;   in Loop: Header=BB169_17 Depth=1
	v_cmp_gt_i16_sdwa s[28:29], v7, v13 src0_sel:BYTE_0 src1_sel:DWORD
	s_mov_b64 s[40:41], 0
                                        ; implicit-def: $sgpr42_sgpr43
                                        ; implicit-def: $sgpr30_sgpr31
                                        ; implicit-def: $vgpr54
	s_and_saveexec_b64 vcc, s[28:29]
	s_xor_b64 s[28:29], exec, vcc
	s_cbranch_execz .LBB169_686
; %bb.655:                              ;   in Loop: Header=BB169_17 Depth=1
	v_cmp_gt_i16_sdwa vcc, v7, v14 src0_sel:BYTE_0 src1_sel:DWORD
                                        ; implicit-def: $sgpr42_sgpr43
                                        ; implicit-def: $sgpr44_sgpr45
                                        ; implicit-def: $vgpr54
	s_and_saveexec_b64 s[30:31], vcc
	s_xor_b64 s[30:31], exec, s[30:31]
	s_cbranch_execz .LBB169_671
; %bb.656:                              ;   in Loop: Header=BB169_17 Depth=1
	v_cmp_gt_i16_sdwa s[40:41], v7, v15 src0_sel:BYTE_0 src1_sel:DWORD
	s_mov_b64 s[46:47], 0
                                        ; implicit-def: $vcc
                                        ; implicit-def: $sgpr42_sgpr43
                                        ; implicit-def: $vgpr54
	s_and_saveexec_b64 s[44:45], s[40:41]
	s_xor_b64 s[40:41], exec, s[44:45]
	s_cbranch_execz .LBB169_666
; %bb.657:                              ;   in Loop: Header=BB169_17 Depth=1
	v_cmp_gt_i16_sdwa vcc, v7, v16 src0_sel:BYTE_0 src1_sel:DWORD
	s_mov_b64 s[44:45], 0
                                        ; implicit-def: $sgpr42_sgpr43
                                        ; implicit-def: $sgpr46_sgpr47
                                        ; implicit-def: $vgpr54
	s_and_saveexec_b64 s[48:49], vcc
	s_xor_b64 vcc, exec, s[48:49]
	s_cbranch_execz .LBB169_661
; %bb.658:                              ;   in Loop: Header=BB169_17 Depth=1
	v_cmp_eq_u16_sdwa s[48:49], v7, v17 src0_sel:BYTE_0 src1_sel:DWORD
	s_mov_b64 s[42:43], 0
                                        ; implicit-def: $vgpr54
	s_and_saveexec_b64 s[46:47], s[48:49]
	s_cbranch_execz .LBB169_660
; %bb.659:                              ;   in Loop: Header=BB169_17 Depth=1
	flat_load_dword v0, v[0:1]
	s_mov_b64 s[44:45], exec
	s_waitcnt vmcnt(0) lgkmcnt(0)
	v_lshlrev_b32_e32 v54, 16, v0
.LBB169_660:                            ;   in Loop: Header=BB169_17 Depth=1
	s_or_b64 exec, exec, s[46:47]
	s_mov_b64 s[46:47], -1
	s_and_b64 s[44:45], s[44:45], exec
                                        ; implicit-def: $vgpr0_vgpr1
.LBB169_661:                            ;   in Loop: Header=BB169_17 Depth=1
	s_andn2_saveexec_b64 s[48:49], vcc
	s_cbranch_execz .LBB169_665
; %bb.662:                              ;   in Loop: Header=BB169_17 Depth=1
	v_cmp_eq_u16_sdwa s[52:53], v7, v18 src0_sel:BYTE_0 src1_sel:DWORD
	s_mov_b64 vcc, s[44:45]
                                        ; implicit-def: $vgpr54
	s_and_saveexec_b64 s[50:51], s[52:53]
	s_cbranch_execz .LBB169_664
; %bb.663:                              ;   in Loop: Header=BB169_17 Depth=1
	flat_load_ubyte v0, v[0:1]
	s_movk_i32 vcc_lo, 0xff
	s_waitcnt vmcnt(0) lgkmcnt(0)
	v_lshlrev_b32_e32 v1, 23, v0
	v_cmp_ne_u32_e32 vcc, vcc_lo, v0
	v_cndmask_b32_e32 v1, v19, v1, vcc
	v_cmp_ne_u32_e32 vcc, 0, v0
	v_cndmask_b32_e32 v54, v20, v1, vcc
	s_or_b64 vcc, s[44:45], exec
.LBB169_664:                            ;   in Loop: Header=BB169_17 Depth=1
	s_or_b64 exec, exec, s[50:51]
	s_andn2_b64 s[44:45], s[44:45], exec
	s_and_b64 vcc, vcc, exec
	s_andn2_b64 s[42:43], s[42:43], exec
	s_or_b64 s[46:47], s[46:47], exec
	s_or_b64 s[44:45], s[44:45], vcc
.LBB169_665:                            ;   in Loop: Header=BB169_17 Depth=1
	s_or_b64 exec, exec, s[48:49]
	s_and_b64 s[42:43], s[42:43], exec
	s_and_b64 vcc, s[46:47], exec
	s_and_b64 s[46:47], s[44:45], exec
                                        ; implicit-def: $vgpr0_vgpr1
.LBB169_666:                            ;   in Loop: Header=BB169_17 Depth=1
	s_andn2_saveexec_b64 s[40:41], s[40:41]
	s_cbranch_execz .LBB169_670
; %bb.667:                              ;   in Loop: Header=BB169_17 Depth=1
	v_cmp_eq_u16_sdwa s[50:51], v7, v21 src0_sel:BYTE_0 src1_sel:DWORD
	s_mov_b64 s[48:49], s[46:47]
                                        ; implicit-def: $vgpr54
	s_and_saveexec_b64 s[44:45], s[50:51]
	s_cbranch_execz .LBB169_669
; %bb.668:                              ;   in Loop: Header=BB169_17 Depth=1
	flat_load_dwordx2 v[0:1], v[0:1]
	s_or_b64 s[48:49], s[46:47], exec
	s_waitcnt vmcnt(0) lgkmcnt(0)
	v_ffbh_u32_e32 v53, v1
	v_min_u32_e32 v53, 32, v53
	v_lshlrev_b64 v[0:1], v53, v[0:1]
	v_min_u32_e32 v0, 1, v0
	v_or_b32_e32 v0, v1, v0
	v_cvt_f32_u32_e32 v0, v0
	v_sub_u32_e32 v1, 32, v53
	v_ldexp_f32 v54, v0, v1
.LBB169_669:                            ;   in Loop: Header=BB169_17 Depth=1
	s_or_b64 exec, exec, s[44:45]
	s_andn2_b64 s[44:45], s[46:47], exec
	s_and_b64 s[46:47], s[48:49], exec
	s_andn2_b64 s[42:43], s[42:43], exec
	s_or_b64 vcc, vcc, exec
	s_or_b64 s[46:47], s[44:45], s[46:47]
.LBB169_670:                            ;   in Loop: Header=BB169_17 Depth=1
	s_or_b64 exec, exec, s[40:41]
	s_and_b64 s[44:45], s[42:43], exec
	s_and_b64 s[42:43], vcc, exec
	s_and_b64 s[40:41], s[46:47], exec
                                        ; implicit-def: $vgpr0_vgpr1
.LBB169_671:                            ;   in Loop: Header=BB169_17 Depth=1
	s_andn2_saveexec_b64 s[30:31], s[30:31]
	s_cbranch_execz .LBB169_685
; %bb.672:                              ;   in Loop: Header=BB169_17 Depth=1
	v_cmp_gt_i16_sdwa vcc, v7, v22 src0_sel:BYTE_0 src1_sel:DWORD
                                        ; implicit-def: $vgpr54
	s_and_saveexec_b64 s[46:47], vcc
	s_xor_b64 vcc, exec, s[46:47]
	s_cbranch_execz .LBB169_678
; %bb.673:                              ;   in Loop: Header=BB169_17 Depth=1
	v_cmp_gt_i16_sdwa s[46:47], v7, v23 src0_sel:BYTE_0 src1_sel:DWORD
                                        ; implicit-def: $vgpr54
	s_and_saveexec_b64 s[48:49], s[46:47]
	s_xor_b64 s[46:47], exec, s[48:49]
	s_cbranch_execz .LBB169_675
; %bb.674:                              ;   in Loop: Header=BB169_17 Depth=1
	flat_load_dword v0, v[0:1]
	s_waitcnt vmcnt(0) lgkmcnt(0)
	v_cvt_f32_u32_e32 v54, v0
                                        ; implicit-def: $vgpr0_vgpr1
.LBB169_675:                            ;   in Loop: Header=BB169_17 Depth=1
	s_andn2_saveexec_b64 s[46:47], s[46:47]
	s_cbranch_execz .LBB169_677
; %bb.676:                              ;   in Loop: Header=BB169_17 Depth=1
	flat_load_ushort v0, v[0:1]
	s_waitcnt vmcnt(0) lgkmcnt(0)
	v_cvt_f32_u32_e32 v54, v0
.LBB169_677:                            ;   in Loop: Header=BB169_17 Depth=1
	s_or_b64 exec, exec, s[46:47]
                                        ; implicit-def: $vgpr0_vgpr1
.LBB169_678:                            ;   in Loop: Header=BB169_17 Depth=1
	s_andn2_saveexec_b64 s[46:47], vcc
	s_cbranch_execz .LBB169_684
; %bb.679:                              ;   in Loop: Header=BB169_17 Depth=1
	flat_load_ubyte v0, v[0:1]
	s_movk_i32 vcc_lo, 0x7f
	s_mov_b64 s[48:49], 0
                                        ; implicit-def: $sgpr54
	s_waitcnt vmcnt(0) lgkmcnt(0)
	v_cmp_lt_i16_e32 vcc, vcc_lo, v0
	s_and_saveexec_b64 s[50:51], vcc
	s_xor_b64 s[50:51], exec, s[50:51]
	s_cbranch_execnz .LBB169_1442
; %bb.680:                              ;   in Loop: Header=BB169_17 Depth=1
	s_or_saveexec_b64 s[50:51], s[50:51]
	v_mov_b32_e32 v54, s54
	s_xor_b64 exec, exec, s[50:51]
	s_cbranch_execnz .LBB169_1445
.LBB169_681:                            ;   in Loop: Header=BB169_17 Depth=1
	s_or_b64 exec, exec, s[50:51]
	s_and_saveexec_b64 s[50:51], s[48:49]
	s_cbranch_execz .LBB169_683
.LBB169_682:                            ;   in Loop: Header=BB169_17 Depth=1
	v_lshlrev_b32_e32 v1, 24, v0
	v_and_b32_e32 v0, 0xffff, v0
	v_and_b32_e32 v53, 7, v0
	v_ffbh_u32_e32 v55, v53
	v_min_u32_e32 v55, 32, v55
	v_subrev_u32_e32 v64, 28, v55
	v_bfe_u32 v54, v0, 3, 4
	v_lshlrev_b32_e32 v0, v64, v0
	v_sub_u32_e32 v55, 29, v55
	v_and_b32_e32 v0, 7, v0
	v_cmp_eq_u32_e32 vcc, 0, v54
	v_cndmask_b32_e32 v54, v54, v55, vcc
	v_cndmask_b32_e32 v0, v53, v0, vcc
	v_lshlrev_b32_e32 v0, 20, v0
	v_and_b32_e32 v1, 0x80000000, v1
	v_lshl_add_u32 v53, v54, 23, v24
	v_or3_b32 v54, v1, v53, v0
.LBB169_683:                            ;   in Loop: Header=BB169_17 Depth=1
	s_or_b64 exec, exec, s[50:51]
.LBB169_684:                            ;   in Loop: Header=BB169_17 Depth=1
	s_or_b64 exec, exec, s[46:47]
	s_andn2_b64 s[44:45], s[44:45], exec
	s_andn2_b64 s[42:43], s[42:43], exec
	s_or_b64 s[40:41], s[40:41], exec
.LBB169_685:                            ;   in Loop: Header=BB169_17 Depth=1
	s_or_b64 exec, exec, s[30:31]
	s_and_b64 s[30:31], s[44:45], exec
	s_and_b64 s[42:43], s[42:43], exec
	;; [unrolled: 1-line block ×3, first 2 shown]
                                        ; implicit-def: $vgpr0_vgpr1
.LBB169_686:                            ;   in Loop: Header=BB169_17 Depth=1
	s_andn2_saveexec_b64 s[28:29], s[28:29]
	s_cbranch_execz .LBB169_712
; %bb.687:                              ;   in Loop: Header=BB169_17 Depth=1
	v_cmp_gt_i16_sdwa vcc, v7, v25 src0_sel:BYTE_0 src1_sel:DWORD
	s_mov_b64 s[46:47], s[40:41]
                                        ; implicit-def: $vgpr54
	s_and_saveexec_b64 s[44:45], vcc
	s_xor_b64 s[44:45], exec, s[44:45]
	s_cbranch_execz .LBB169_701
; %bb.688:                              ;   in Loop: Header=BB169_17 Depth=1
	v_cmp_gt_i16_sdwa vcc, v7, v26 src0_sel:BYTE_0 src1_sel:DWORD
                                        ; implicit-def: $vgpr54
	s_and_saveexec_b64 s[46:47], vcc
	s_xor_b64 s[46:47], exec, s[46:47]
	s_cbranch_execz .LBB169_698
; %bb.689:                              ;   in Loop: Header=BB169_17 Depth=1
	v_cmp_gt_i16_sdwa vcc, v7, v27 src0_sel:BYTE_0 src1_sel:DWORD
                                        ; implicit-def: $vgpr54
	s_and_saveexec_b64 s[48:49], vcc
	s_xor_b64 s[48:49], exec, s[48:49]
	s_cbranch_execz .LBB169_695
; %bb.690:                              ;   in Loop: Header=BB169_17 Depth=1
	flat_load_ubyte v0, v[0:1]
	s_movk_i32 vcc_lo, 0x7f
	s_mov_b64 s[50:51], 0
                                        ; implicit-def: $sgpr56
	s_waitcnt vmcnt(0) lgkmcnt(0)
	v_cmp_lt_i16_e32 vcc, vcc_lo, v0
	s_and_saveexec_b64 s[52:53], vcc
	s_xor_b64 s[52:53], exec, s[52:53]
	s_cbranch_execnz .LBB169_1661
; %bb.691:                              ;   in Loop: Header=BB169_17 Depth=1
	s_or_saveexec_b64 s[52:53], s[52:53]
	v_mov_b32_e32 v54, s56
	s_xor_b64 exec, exec, s[52:53]
	s_cbranch_execnz .LBB169_1664
.LBB169_692:                            ;   in Loop: Header=BB169_17 Depth=1
	s_or_b64 exec, exec, s[52:53]
	s_and_saveexec_b64 s[52:53], s[50:51]
	s_cbranch_execz .LBB169_694
.LBB169_693:                            ;   in Loop: Header=BB169_17 Depth=1
	v_lshlrev_b32_e32 v1, 24, v0
	v_and_b32_e32 v0, 0xffff, v0
	v_and_b32_e32 v53, 3, v0
	v_ffbh_u32_e32 v55, v53
	v_min_u32_e32 v55, 32, v55
	v_subrev_u32_e32 v64, 29, v55
	v_bfe_u32 v54, v0, 2, 5
	v_lshlrev_b32_e32 v0, v64, v0
	v_sub_u32_e32 v55, 30, v55
	v_and_b32_e32 v0, 3, v0
	v_cmp_eq_u32_e32 vcc, 0, v54
	v_cndmask_b32_e32 v54, v54, v55, vcc
	v_cndmask_b32_e32 v0, v53, v0, vcc
	v_lshlrev_b32_e32 v0, 21, v0
	v_and_b32_e32 v1, 0x80000000, v1
	v_lshl_add_u32 v53, v54, 23, v28
	v_or3_b32 v54, v1, v53, v0
.LBB169_694:                            ;   in Loop: Header=BB169_17 Depth=1
	s_or_b64 exec, exec, s[52:53]
                                        ; implicit-def: $vgpr0_vgpr1
.LBB169_695:                            ;   in Loop: Header=BB169_17 Depth=1
	s_andn2_saveexec_b64 s[48:49], s[48:49]
	s_cbranch_execz .LBB169_697
; %bb.696:                              ;   in Loop: Header=BB169_17 Depth=1
	flat_load_ubyte v0, v[0:1]
	s_mov_b32 vcc_lo, 0x7f800000
	s_waitcnt vmcnt(0) lgkmcnt(0)
	v_lshlrev_b32_e32 v0, 24, v0
	v_and_b32_e32 v1, 0x7f000000, v0
	v_ffbh_u32_e32 v53, v1
	v_min_u32_e32 v53, 32, v53
	v_sub_u32_e64 v53, v53, 4 clamp
	v_lshlrev_b32_e32 v55, v53, v1
	v_lshlrev_b32_e32 v53, 23, v53
	v_lshrrev_b32_e32 v55, 4, v55
	v_add_u32_e32 v54, 0x1000000, v1
	v_sub_u32_e32 v53, v55, v53
	v_ashrrev_i32_e32 v54, 8, v54
	v_add_u32_e32 v53, 0x3c000000, v53
	v_and_or_b32 v53, v54, vcc_lo, v53
	v_cmp_ne_u32_e32 vcc, 0, v1
	v_cndmask_b32_e32 v1, 0, v53, vcc
	s_brev_b32 vcc_lo, 1
	v_and_or_b32 v54, v0, vcc_lo, v1
.LBB169_697:                            ;   in Loop: Header=BB169_17 Depth=1
	s_or_b64 exec, exec, s[48:49]
                                        ; implicit-def: $vgpr0_vgpr1
.LBB169_698:                            ;   in Loop: Header=BB169_17 Depth=1
	s_andn2_saveexec_b64 s[46:47], s[46:47]
	s_cbranch_execz .LBB169_700
; %bb.699:                              ;   in Loop: Header=BB169_17 Depth=1
	flat_load_ubyte v0, v[0:1]
	s_movk_i32 vcc_lo, 0x7f00
	s_waitcnt vmcnt(0) lgkmcnt(0)
	v_lshlrev_b16_e32 v1, 8, v0
	v_lshlrev_b32_e32 v0, 25, v0
	v_lshrrev_b32_e32 v53, 4, v0
	v_and_or_b32 v54, v1, vcc_lo, 0.5
	v_or_b32_e32 v53, 0x70000000, v53
	s_brev_b32 vcc_lo, 16
	v_add_f32_e32 v54, -0.5, v54
	v_mul_f32_e32 v53, 0x7800000, v53
	v_cmp_gt_u32_e32 vcc, vcc_lo, v0
	v_cndmask_b32_e32 v0, v53, v54, vcc
	v_bfe_i32 v1, v1, 0, 16
	s_brev_b32 vcc_lo, 1
	v_and_or_b32 v54, v1, vcc_lo, v0
.LBB169_700:                            ;   in Loop: Header=BB169_17 Depth=1
	s_or_b64 exec, exec, s[46:47]
	s_or_b64 s[46:47], s[40:41], exec
                                        ; implicit-def: $vgpr0_vgpr1
.LBB169_701:                            ;   in Loop: Header=BB169_17 Depth=1
	s_or_saveexec_b64 s[44:45], s[44:45]
                                        ; implicit-def: $vcc
                                        ; implicit-def: $sgpr52_sgpr53
	s_xor_b64 exec, exec, s[44:45]
	s_cbranch_execz .LBB169_711
; %bb.702:                              ;   in Loop: Header=BB169_17 Depth=1
	v_cmp_gt_i16_sdwa vcc, v7, v29 src0_sel:BYTE_0 src1_sel:DWORD
	s_mov_b64 s[50:51], s[46:47]
                                        ; implicit-def: $sgpr52_sgpr53
                                        ; implicit-def: $sgpr48_sgpr49
                                        ; implicit-def: $vgpr54
	s_and_saveexec_b64 s[54:55], vcc
	s_xor_b64 vcc, exec, s[54:55]
	s_cbranch_execz .LBB169_706
; %bb.703:                              ;   in Loop: Header=BB169_17 Depth=1
	v_cmp_eq_u16_sdwa s[52:53], v7, v32 src0_sel:BYTE_0 src1_sel:DWORD
	s_mov_b64 s[50:51], s[46:47]
                                        ; implicit-def: $vgpr54
	s_and_saveexec_b64 s[48:49], s[52:53]
	s_cbranch_execz .LBB169_705
; %bb.704:                              ;   in Loop: Header=BB169_17 Depth=1
	flat_load_ushort v0, v[0:1]
	s_or_b64 s[50:51], s[46:47], exec
	s_waitcnt vmcnt(0) lgkmcnt(0)
	v_lshlrev_b32_e32 v54, 16, v0
.LBB169_705:                            ;   in Loop: Header=BB169_17 Depth=1
	s_or_b64 exec, exec, s[48:49]
	s_andn2_b64 s[54:55], s[46:47], exec
	s_and_b64 s[50:51], s[50:51], exec
	s_mov_b64 s[48:49], -1
	s_mov_b64 s[52:53], 0
	s_or_b64 s[50:51], s[54:55], s[50:51]
                                        ; implicit-def: $vgpr0_vgpr1
.LBB169_706:                            ;   in Loop: Header=BB169_17 Depth=1
	s_andn2_saveexec_b64 s[54:55], vcc
	s_cbranch_execz .LBB169_710
; %bb.707:                              ;   in Loop: Header=BB169_17 Depth=1
	v_cmp_eq_u16_sdwa s[58:59], v7, v33 src0_sel:BYTE_0 src1_sel:DWORD
	s_mov_b64 vcc, s[50:51]
                                        ; implicit-def: $vgpr54
	s_and_saveexec_b64 s[56:57], s[58:59]
	s_cbranch_execz .LBB169_709
; %bb.708:                              ;   in Loop: Header=BB169_17 Depth=1
	flat_load_ubyte v0, v[0:1]
	s_waitcnt vmcnt(0) lgkmcnt(0)
	v_cmp_ne_u16_e32 vcc, 0, v0
	v_cndmask_b32_e64 v54, 0, 1.0, vcc
	s_or_b64 vcc, s[50:51], exec
.LBB169_709:                            ;   in Loop: Header=BB169_17 Depth=1
	s_or_b64 exec, exec, s[56:57]
	s_andn2_b64 s[50:51], s[50:51], exec
	s_and_b64 vcc, vcc, exec
	s_andn2_b64 s[52:53], s[52:53], exec
	s_or_b64 s[48:49], s[48:49], exec
	s_or_b64 s[50:51], s[50:51], vcc
.LBB169_710:                            ;   in Loop: Header=BB169_17 Depth=1
	s_or_b64 exec, exec, s[54:55]
	s_and_b64 vcc, s[48:49], exec
	s_andn2_b64 s[46:47], s[46:47], exec
	s_and_b64 s[48:49], s[50:51], exec
	s_and_b64 s[52:53], s[52:53], exec
	s_or_b64 s[46:47], s[46:47], s[48:49]
.LBB169_711:                            ;   in Loop: Header=BB169_17 Depth=1
	s_or_b64 exec, exec, s[44:45]
	s_andn2_b64 s[42:43], s[42:43], exec
	s_and_b64 vcc, vcc, exec
	s_andn2_b64 s[30:31], s[30:31], exec
	s_and_b64 s[44:45], s[52:53], exec
	s_or_b64 s[42:43], s[42:43], vcc
	s_andn2_b64 vcc, s[40:41], exec
	s_and_b64 s[40:41], s[46:47], exec
	s_or_b64 s[30:31], s[30:31], s[44:45]
	s_or_b64 s[40:41], vcc, s[40:41]
.LBB169_712:                            ;   in Loop: Header=BB169_17 Depth=1
	s_or_b64 exec, exec, s[28:29]
	s_and_b64 s[30:31], s[30:31], exec
	s_and_b64 s[28:29], s[42:43], exec
	s_and_b64 vcc, s[40:41], exec
                                        ; implicit-def: $vgpr0_vgpr1
	s_andn2_saveexec_b64 s[38:39], s[38:39]
	s_cbranch_execz .LBB169_553
.LBB169_713:                            ;   in Loop: Header=BB169_17 Depth=1
	v_cmp_gt_i16_sdwa s[40:41], v7, v34 src0_sel:BYTE_0 src1_sel:DWORD
                                        ; implicit-def: $vgpr54
	s_and_saveexec_b64 s[42:43], s[40:41]
	s_xor_b64 s[40:41], exec, s[42:43]
	s_cbranch_execz .LBB169_735
; %bb.714:                              ;   in Loop: Header=BB169_17 Depth=1
	v_cmp_gt_i16_sdwa s[42:43], v7, v35 src0_sel:BYTE_0 src1_sel:DWORD
                                        ; implicit-def: $vgpr54
	s_and_saveexec_b64 s[44:45], s[42:43]
	s_xor_b64 s[42:43], exec, s[44:45]
	s_cbranch_execz .LBB169_724
; %bb.715:                              ;   in Loop: Header=BB169_17 Depth=1
	;; [unrolled: 6-line block ×4, first 2 shown]
	flat_load_dwordx2 v[0:1], v[0:1]
	s_waitcnt vmcnt(0) lgkmcnt(0)
	v_cvt_f32_f64_e32 v54, v[0:1]
                                        ; implicit-def: $vgpr0_vgpr1
.LBB169_718:                            ;   in Loop: Header=BB169_17 Depth=1
	s_andn2_saveexec_b64 s[46:47], s[46:47]
	s_cbranch_execz .LBB169_720
; %bb.719:                              ;   in Loop: Header=BB169_17 Depth=1
	flat_load_dword v54, v[0:1]
.LBB169_720:                            ;   in Loop: Header=BB169_17 Depth=1
	s_or_b64 exec, exec, s[46:47]
                                        ; implicit-def: $vgpr0_vgpr1
.LBB169_721:                            ;   in Loop: Header=BB169_17 Depth=1
	s_andn2_saveexec_b64 s[44:45], s[44:45]
	s_cbranch_execz .LBB169_723
; %bb.722:                              ;   in Loop: Header=BB169_17 Depth=1
	flat_load_dword v0, v[0:1]
	s_waitcnt vmcnt(0) lgkmcnt(0)
	v_cvt_f32_f16_e32 v54, v0
.LBB169_723:                            ;   in Loop: Header=BB169_17 Depth=1
	s_or_b64 exec, exec, s[44:45]
                                        ; implicit-def: $vgpr0_vgpr1
.LBB169_724:                            ;   in Loop: Header=BB169_17 Depth=1
	s_andn2_saveexec_b64 s[42:43], s[42:43]
	s_cbranch_execz .LBB169_734
; %bb.725:                              ;   in Loop: Header=BB169_17 Depth=1
	v_cmp_gt_i16_sdwa s[44:45], v7, v38 src0_sel:BYTE_0 src1_sel:DWORD
                                        ; implicit-def: $vgpr54
	s_and_saveexec_b64 s[46:47], s[44:45]
	s_xor_b64 s[44:45], exec, s[46:47]
	s_cbranch_execz .LBB169_731
; %bb.726:                              ;   in Loop: Header=BB169_17 Depth=1
	v_cmp_gt_i16_sdwa s[46:47], v7, v39 src0_sel:BYTE_0 src1_sel:DWORD
                                        ; implicit-def: $vgpr54
	s_and_saveexec_b64 s[48:49], s[46:47]
	s_xor_b64 s[46:47], exec, s[48:49]
	s_cbranch_execz .LBB169_728
; %bb.727:                              ;   in Loop: Header=BB169_17 Depth=1
	flat_load_dwordx2 v[0:1], v[0:1]
	s_waitcnt vmcnt(0) lgkmcnt(0)
	v_cvt_f32_f64_e32 v54, v[0:1]
                                        ; implicit-def: $vgpr0_vgpr1
.LBB169_728:                            ;   in Loop: Header=BB169_17 Depth=1
	s_andn2_saveexec_b64 s[46:47], s[46:47]
	s_cbranch_execz .LBB169_730
; %bb.729:                              ;   in Loop: Header=BB169_17 Depth=1
	s_waitcnt vmcnt(0) lgkmcnt(0)
	flat_load_dword v54, v[0:1]
.LBB169_730:                            ;   in Loop: Header=BB169_17 Depth=1
	s_or_b64 exec, exec, s[46:47]
                                        ; implicit-def: $vgpr0_vgpr1
.LBB169_731:                            ;   in Loop: Header=BB169_17 Depth=1
	s_andn2_saveexec_b64 s[44:45], s[44:45]
	s_cbranch_execz .LBB169_733
; %bb.732:                              ;   in Loop: Header=BB169_17 Depth=1
	flat_load_ushort v0, v[0:1]
	s_waitcnt vmcnt(0) lgkmcnt(0)
	v_cvt_f32_f16_e32 v54, v0
.LBB169_733:                            ;   in Loop: Header=BB169_17 Depth=1
	s_or_b64 exec, exec, s[44:45]
.LBB169_734:                            ;   in Loop: Header=BB169_17 Depth=1
	s_or_b64 exec, exec, s[42:43]
                                        ; implicit-def: $vgpr0_vgpr1
.LBB169_735:                            ;   in Loop: Header=BB169_17 Depth=1
	s_andn2_saveexec_b64 s[40:41], s[40:41]
	s_cbranch_execz .LBB169_753
; %bb.736:                              ;   in Loop: Header=BB169_17 Depth=1
	v_cmp_gt_i16_sdwa s[42:43], v7, v48 src0_sel:BYTE_0 src1_sel:DWORD
                                        ; implicit-def: $vgpr54
	s_and_saveexec_b64 s[44:45], s[42:43]
	s_xor_b64 s[42:43], exec, s[44:45]
	s_cbranch_execz .LBB169_746
; %bb.737:                              ;   in Loop: Header=BB169_17 Depth=1
	v_cmp_gt_i16_sdwa s[44:45], v7, v49 src0_sel:BYTE_0 src1_sel:DWORD
                                        ; implicit-def: $vgpr54
	s_and_saveexec_b64 s[46:47], s[44:45]
	s_xor_b64 s[44:45], exec, s[46:47]
	;; [unrolled: 6-line block ×3, first 2 shown]
	s_cbranch_execz .LBB169_740
; %bb.739:                              ;   in Loop: Header=BB169_17 Depth=1
	flat_load_dwordx2 v[0:1], v[0:1]
	s_waitcnt vmcnt(0) lgkmcnt(0)
	v_xor_b32_e32 v54, v0, v1
	v_ffbh_i32_e32 v53, v1
	v_ashrrev_i32_e32 v54, 31, v54
	v_add_u32_e32 v53, -1, v53
	v_add_u32_e32 v54, 32, v54
	v_min_u32_e32 v53, v53, v54
	v_lshlrev_b64 v[0:1], v53, v[0:1]
	v_min_u32_e32 v0, 1, v0
	v_or_b32_e32 v0, v1, v0
	v_cvt_f32_i32_e32 v0, v0
	v_sub_u32_e32 v1, 32, v53
	v_ldexp_f32 v54, v0, v1
                                        ; implicit-def: $vgpr0_vgpr1
.LBB169_740:                            ;   in Loop: Header=BB169_17 Depth=1
	s_andn2_saveexec_b64 s[46:47], s[46:47]
	s_cbranch_execz .LBB169_742
; %bb.741:                              ;   in Loop: Header=BB169_17 Depth=1
	flat_load_dword v0, v[0:1]
	s_waitcnt vmcnt(0) lgkmcnt(0)
	v_cvt_f32_i32_e32 v54, v0
.LBB169_742:                            ;   in Loop: Header=BB169_17 Depth=1
	s_or_b64 exec, exec, s[46:47]
                                        ; implicit-def: $vgpr0_vgpr1
.LBB169_743:                            ;   in Loop: Header=BB169_17 Depth=1
	s_andn2_saveexec_b64 s[44:45], s[44:45]
	s_cbranch_execz .LBB169_745
; %bb.744:                              ;   in Loop: Header=BB169_17 Depth=1
	flat_load_sshort v0, v[0:1]
	s_waitcnt vmcnt(0) lgkmcnt(0)
	v_cvt_f32_i32_e32 v54, v0
.LBB169_745:                            ;   in Loop: Header=BB169_17 Depth=1
	s_or_b64 exec, exec, s[44:45]
                                        ; implicit-def: $vgpr0_vgpr1
.LBB169_746:                            ;   in Loop: Header=BB169_17 Depth=1
	s_andn2_saveexec_b64 s[42:43], s[42:43]
	s_cbranch_execz .LBB169_752
; %bb.747:                              ;   in Loop: Header=BB169_17 Depth=1
	v_cmp_gt_i16_sdwa s[44:45], v7, v6 src0_sel:BYTE_0 src1_sel:DWORD
                                        ; implicit-def: $vgpr54
	s_and_saveexec_b64 s[46:47], s[44:45]
	s_xor_b64 s[44:45], exec, s[46:47]
	s_cbranch_execz .LBB169_749
; %bb.748:                              ;   in Loop: Header=BB169_17 Depth=1
	flat_load_sbyte v0, v[0:1]
	s_waitcnt vmcnt(0) lgkmcnt(0)
	v_cvt_f32_i32_e32 v54, v0
                                        ; implicit-def: $vgpr0_vgpr1
.LBB169_749:                            ;   in Loop: Header=BB169_17 Depth=1
	s_andn2_saveexec_b64 s[44:45], s[44:45]
	s_cbranch_execz .LBB169_751
; %bb.750:                              ;   in Loop: Header=BB169_17 Depth=1
	flat_load_ubyte v0, v[0:1]
	s_waitcnt vmcnt(0) lgkmcnt(0)
	v_cvt_f32_ubyte0_e32 v54, v0
.LBB169_751:                            ;   in Loop: Header=BB169_17 Depth=1
	s_or_b64 exec, exec, s[44:45]
.LBB169_752:                            ;   in Loop: Header=BB169_17 Depth=1
	s_or_b64 exec, exec, s[42:43]
.LBB169_753:                            ;   in Loop: Header=BB169_17 Depth=1
	s_or_b64 exec, exec, s[40:41]
	s_andn2_b64 s[30:31], s[30:31], exec
	s_andn2_b64 s[28:29], s[28:29], exec
	s_or_b64 vcc, vcc, exec
	s_or_b64 exec, exec, s[38:39]
	s_mov_b64 s[40:41], 0
	s_and_saveexec_b64 s[38:39], vcc
	s_cbranch_execz .LBB169_759
.LBB169_754:                            ;   in Loop: Header=BB169_17 Depth=1
	v_mul_lo_u32 v0, v52, v10
	v_readlane_b32 s40, v78, 0
	v_add_co_u32_e32 v0, vcc, v4, v0
	v_add_u32_e32 v53, s40, v11
	v_addc_co_u32_e32 v1, vcc, 0, v5, vcc
	v_cmp_gt_i16_sdwa s[40:41], v8, v12 src0_sel:BYTE_0 src1_sel:DWORD
	s_mov_b64 s[44:45], 0
	s_waitcnt vmcnt(0) lgkmcnt(0)
	buffer_store_dword v54, v53, s[0:3], 0 offen offset:28
                                        ; implicit-def: $vcc
                                        ; implicit-def: $sgpr42_sgpr43
                                        ; implicit-def: $vgpr52
	s_and_saveexec_b64 s[46:47], s[40:41]
	s_xor_b64 s[40:41], exec, s[46:47]
	s_cbranch_execnz .LBB169_769
; %bb.755:                              ;   in Loop: Header=BB169_17 Depth=1
	s_andn2_saveexec_b64 s[40:41], s[40:41]
	s_cbranch_execnz .LBB169_828
.LBB169_756:                            ;   in Loop: Header=BB169_17 Depth=1
	s_or_b64 exec, exec, s[40:41]
	s_mov_b64 s[40:41], 0
	s_and_saveexec_b64 s[46:47], s[44:45]
	s_cbranch_execz .LBB169_758
.LBB169_757:                            ;   in Loop: Header=BB169_17 Depth=1
	s_mov_b64 s[40:41], exec
	v_add_u32_e32 v51, 0x200, v51
	s_andn2_b64 s[42:43], s[42:43], exec
	s_andn2_b64 vcc, vcc, exec
	s_waitcnt vmcnt(0) lgkmcnt(0)
	buffer_store_dword v52, v53, s[0:3], 0 offen offset:24
.LBB169_758:                            ;   in Loop: Header=BB169_17 Depth=1
	s_or_b64 exec, exec, s[46:47]
	s_andn2_b64 s[30:31], s[30:31], exec
	s_and_b64 s[42:43], s[42:43], exec
	s_andn2_b64 s[28:29], s[28:29], exec
	s_and_b64 vcc, vcc, exec
	s_or_b64 s[30:31], s[30:31], s[42:43]
	s_or_b64 s[28:29], s[28:29], vcc
	s_and_b64 s[40:41], s[40:41], exec
.LBB169_759:                            ;   in Loop: Header=BB169_17 Depth=1
	s_or_b64 exec, exec, s[38:39]
	s_and_b64 s[30:31], s[30:31], exec
	s_and_b64 s[28:29], s[28:29], exec
	s_orn2_b64 s[38:39], s[40:41], exec
.LBB169_760:                            ;   in Loop: Header=BB169_17 Depth=1
	s_or_b64 exec, exec, s[34:35]
	s_and_saveexec_b64 s[34:35], s[38:39]
	s_cbranch_execz .LBB169_13
; %bb.761:                              ;   in Loop: Header=BB169_17 Depth=1
	v_cmp_lt_i32_e32 vcc, v51, v72
	s_mov_b64 s[42:43], -1
	s_mov_b64 s[44:45], -1
                                        ; implicit-def: $sgpr36_sgpr37
                                        ; implicit-def: $sgpr38_sgpr39
	s_and_saveexec_b64 s[40:41], vcc
	s_cbranch_execz .LBB169_975
; %bb.762:                              ;   in Loop: Header=BB169_17 Depth=1
	v_readlane_b32 vcc_lo, v78, 1
	s_waitcnt vmcnt(0) lgkmcnt(0)
	v_add_u32_e32 v52, vcc_lo, v51
	v_mul_lo_u32 v0, v52, v9
	v_add_co_u32_e32 v0, vcc, v2, v0
	v_addc_co_u32_e32 v1, vcc, 0, v3, vcc
	v_cmp_gt_i16_sdwa s[44:45], v7, v12 src0_sel:BYTE_0 src1_sel:DWORD
	s_mov_b64 vcc, 0
                                        ; implicit-def: $sgpr36_sgpr37
                                        ; implicit-def: $sgpr38_sgpr39
                                        ; implicit-def: $vgpr54
	s_and_saveexec_b64 s[46:47], s[44:45]
	s_xor_b64 s[44:45], exec, s[46:47]
	s_cbranch_execnz .LBB169_869
; %bb.763:                              ;   in Loop: Header=BB169_17 Depth=1
	s_andn2_saveexec_b64 s[44:45], s[44:45]
	s_cbranch_execnz .LBB169_928
.LBB169_764:                            ;   in Loop: Header=BB169_17 Depth=1
	s_or_b64 exec, exec, s[44:45]
	s_mov_b64 s[46:47], 0
	s_and_saveexec_b64 s[44:45], vcc
	s_cbranch_execnz .LBB169_969
	s_branch .LBB169_974
.LBB169_765:                            ;   in Loop: Header=BB169_17 Depth=1
	s_movk_i32 vcc_lo, 0x80
	v_cmp_eq_u16_e32 vcc, vcc_lo, v0
	s_mov_b64 s[34:35], -1
                                        ; implicit-def: $sgpr40
	s_and_saveexec_b64 s[38:39], vcc
; %bb.766:                              ;   in Loop: Header=BB169_17 Depth=1
	s_mov_b32 s40, 0x7f800001
	s_xor_b64 s[34:35], exec, -1
; %bb.767:                              ;   in Loop: Header=BB169_17 Depth=1
	s_or_b64 exec, exec, s[38:39]
	s_and_b64 s[34:35], s[34:35], exec
	s_or_saveexec_b64 s[36:37], s[36:37]
	v_mov_b32_e32 v54, s40
	s_xor_b64 exec, exec, s[36:37]
	s_cbranch_execz .LBB169_48
.LBB169_768:                            ;   in Loop: Header=BB169_17 Depth=1
	v_cmp_ne_u16_e32 vcc, 0, v0
	s_andn2_b64 s[34:35], s[34:35], exec
	s_and_b64 vcc, vcc, exec
	v_mov_b32_e32 v54, 0
	s_or_b64 s[34:35], s[34:35], vcc
	s_or_b64 exec, exec, s[36:37]
	s_and_saveexec_b64 s[36:37], s[34:35]
	s_cbranch_execnz .LBB169_49
	s_branch .LBB169_50
.LBB169_769:                            ;   in Loop: Header=BB169_17 Depth=1
	v_cmp_gt_i16_sdwa vcc, v8, v13 src0_sel:BYTE_0 src1_sel:DWORD
                                        ; implicit-def: $sgpr46_sgpr47
                                        ; implicit-def: $sgpr48_sgpr49
                                        ; implicit-def: $vgpr52
	s_and_saveexec_b64 s[42:43], vcc
	s_xor_b64 s[42:43], exec, s[42:43]
	s_cbranch_execz .LBB169_801
; %bb.770:                              ;   in Loop: Header=BB169_17 Depth=1
	v_cmp_gt_i16_sdwa vcc, v8, v14 src0_sel:BYTE_0 src1_sel:DWORD
                                        ; implicit-def: $sgpr46_sgpr47
                                        ; implicit-def: $sgpr50_sgpr51
                                        ; implicit-def: $vgpr52
	s_and_saveexec_b64 s[48:49], vcc
	s_xor_b64 s[48:49], exec, s[48:49]
	s_cbranch_execz .LBB169_786
; %bb.771:                              ;   in Loop: Header=BB169_17 Depth=1
	v_cmp_gt_i16_sdwa s[44:45], v8, v15 src0_sel:BYTE_0 src1_sel:DWORD
	s_mov_b64 s[52:53], 0
                                        ; implicit-def: $vcc
                                        ; implicit-def: $sgpr50_sgpr51
                                        ; implicit-def: $vgpr52
	s_and_saveexec_b64 s[46:47], s[44:45]
	s_xor_b64 s[44:45], exec, s[46:47]
	s_cbranch_execz .LBB169_781
; %bb.772:                              ;   in Loop: Header=BB169_17 Depth=1
	v_cmp_gt_i16_sdwa vcc, v8, v16 src0_sel:BYTE_0 src1_sel:DWORD
                                        ; implicit-def: $sgpr50_sgpr51
                                        ; implicit-def: $sgpr46_sgpr47
                                        ; implicit-def: $vgpr52
	s_and_saveexec_b64 s[54:55], vcc
	s_xor_b64 vcc, exec, s[54:55]
	s_cbranch_execz .LBB169_776
; %bb.773:                              ;   in Loop: Header=BB169_17 Depth=1
	v_cmp_eq_u16_sdwa s[54:55], v8, v17 src0_sel:BYTE_0 src1_sel:DWORD
	s_mov_b64 s[46:47], 0
                                        ; implicit-def: $vgpr52
	s_and_saveexec_b64 s[50:51], s[54:55]
	s_cbranch_execz .LBB169_775
; %bb.774:                              ;   in Loop: Header=BB169_17 Depth=1
	flat_load_dword v0, v[0:1]
	s_mov_b64 s[52:53], exec
	s_waitcnt vmcnt(0) lgkmcnt(0)
	v_lshlrev_b32_e32 v52, 16, v0
.LBB169_775:                            ;   in Loop: Header=BB169_17 Depth=1
	s_or_b64 exec, exec, s[50:51]
	s_mov_b64 s[50:51], -1
	s_and_b64 s[52:53], s[52:53], exec
                                        ; implicit-def: $vgpr0_vgpr1
.LBB169_776:                            ;   in Loop: Header=BB169_17 Depth=1
	s_andn2_saveexec_b64 s[54:55], vcc
	s_cbranch_execz .LBB169_780
; %bb.777:                              ;   in Loop: Header=BB169_17 Depth=1
	v_cmp_eq_u16_sdwa s[58:59], v8, v18 src0_sel:BYTE_0 src1_sel:DWORD
	s_mov_b64 vcc, s[52:53]
                                        ; implicit-def: $vgpr52
	s_and_saveexec_b64 s[56:57], s[58:59]
	s_cbranch_execz .LBB169_779
; %bb.778:                              ;   in Loop: Header=BB169_17 Depth=1
	flat_load_ubyte v0, v[0:1]
	s_movk_i32 vcc_lo, 0xff
	s_waitcnt vmcnt(0) lgkmcnt(0)
	v_lshlrev_b32_e32 v1, 23, v0
	v_cmp_ne_u32_e32 vcc, vcc_lo, v0
	v_cndmask_b32_e32 v1, v19, v1, vcc
	v_cmp_ne_u32_e32 vcc, 0, v0
	v_cndmask_b32_e32 v52, v20, v1, vcc
	s_or_b64 vcc, s[52:53], exec
.LBB169_779:                            ;   in Loop: Header=BB169_17 Depth=1
	s_or_b64 exec, exec, s[56:57]
	s_andn2_b64 s[52:53], s[52:53], exec
	s_and_b64 vcc, vcc, exec
	s_or_b64 s[50:51], s[50:51], exec
	s_andn2_b64 s[46:47], s[46:47], exec
	s_or_b64 s[52:53], s[52:53], vcc
.LBB169_780:                            ;   in Loop: Header=BB169_17 Depth=1
	s_or_b64 exec, exec, s[54:55]
	s_and_b64 s[50:51], s[50:51], exec
	s_and_b64 vcc, s[46:47], exec
	s_and_b64 s[52:53], s[52:53], exec
                                        ; implicit-def: $vgpr0_vgpr1
.LBB169_781:                            ;   in Loop: Header=BB169_17 Depth=1
	s_andn2_saveexec_b64 s[44:45], s[44:45]
	s_cbranch_execz .LBB169_785
; %bb.782:                              ;   in Loop: Header=BB169_17 Depth=1
	v_cmp_eq_u16_sdwa s[56:57], v8, v21 src0_sel:BYTE_0 src1_sel:DWORD
	s_mov_b64 s[54:55], s[52:53]
                                        ; implicit-def: $vgpr52
	s_and_saveexec_b64 s[46:47], s[56:57]
	s_cbranch_execz .LBB169_784
; %bb.783:                              ;   in Loop: Header=BB169_17 Depth=1
	flat_load_dwordx2 v[0:1], v[0:1]
	s_or_b64 s[54:55], s[52:53], exec
	s_waitcnt vmcnt(0) lgkmcnt(0)
	v_ffbh_u32_e32 v52, v1
	v_min_u32_e32 v52, 32, v52
	v_lshlrev_b64 v[0:1], v52, v[0:1]
	v_min_u32_e32 v0, 1, v0
	v_or_b32_e32 v0, v1, v0
	v_cvt_f32_u32_e32 v0, v0
	v_sub_u32_e32 v1, 32, v52
	v_ldexp_f32 v52, v0, v1
.LBB169_784:                            ;   in Loop: Header=BB169_17 Depth=1
	s_or_b64 exec, exec, s[46:47]
	s_andn2_b64 s[46:47], s[52:53], exec
	s_and_b64 s[52:53], s[54:55], exec
	s_or_b64 s[50:51], s[50:51], exec
	s_andn2_b64 vcc, vcc, exec
	s_or_b64 s[52:53], s[46:47], s[52:53]
.LBB169_785:                            ;   in Loop: Header=BB169_17 Depth=1
	s_or_b64 exec, exec, s[44:45]
	s_and_b64 s[50:51], s[50:51], exec
	s_and_b64 s[46:47], vcc, exec
	s_and_b64 s[44:45], s[52:53], exec
                                        ; implicit-def: $vgpr0_vgpr1
.LBB169_786:                            ;   in Loop: Header=BB169_17 Depth=1
	s_andn2_saveexec_b64 s[48:49], s[48:49]
	s_cbranch_execz .LBB169_800
; %bb.787:                              ;   in Loop: Header=BB169_17 Depth=1
	v_cmp_gt_i16_sdwa vcc, v8, v22 src0_sel:BYTE_0 src1_sel:DWORD
                                        ; implicit-def: $vgpr52
	s_and_saveexec_b64 s[52:53], vcc
	s_xor_b64 vcc, exec, s[52:53]
	s_cbranch_execz .LBB169_793
; %bb.788:                              ;   in Loop: Header=BB169_17 Depth=1
	v_cmp_gt_i16_sdwa s[52:53], v8, v23 src0_sel:BYTE_0 src1_sel:DWORD
                                        ; implicit-def: $vgpr52
	s_and_saveexec_b64 s[54:55], s[52:53]
	s_xor_b64 s[52:53], exec, s[54:55]
	s_cbranch_execz .LBB169_790
; %bb.789:                              ;   in Loop: Header=BB169_17 Depth=1
	flat_load_dword v0, v[0:1]
	s_waitcnt vmcnt(0) lgkmcnt(0)
	v_cvt_f32_u32_e32 v52, v0
                                        ; implicit-def: $vgpr0_vgpr1
.LBB169_790:                            ;   in Loop: Header=BB169_17 Depth=1
	s_andn2_saveexec_b64 s[52:53], s[52:53]
	s_cbranch_execz .LBB169_792
; %bb.791:                              ;   in Loop: Header=BB169_17 Depth=1
	flat_load_ushort v0, v[0:1]
	s_waitcnt vmcnt(0) lgkmcnt(0)
	v_cvt_f32_u32_e32 v52, v0
.LBB169_792:                            ;   in Loop: Header=BB169_17 Depth=1
	s_or_b64 exec, exec, s[52:53]
                                        ; implicit-def: $vgpr0_vgpr1
.LBB169_793:                            ;   in Loop: Header=BB169_17 Depth=1
	s_andn2_saveexec_b64 s[52:53], vcc
	s_cbranch_execz .LBB169_799
; %bb.794:                              ;   in Loop: Header=BB169_17 Depth=1
	flat_load_ubyte v0, v[0:1]
	s_movk_i32 vcc_lo, 0x7f
	s_mov_b64 s[54:55], 0
                                        ; implicit-def: $sgpr60
	s_waitcnt vmcnt(0) lgkmcnt(0)
	v_cmp_lt_i16_e32 vcc, vcc_lo, v0
	s_and_saveexec_b64 s[56:57], vcc
	s_xor_b64 s[56:57], exec, s[56:57]
	s_cbranch_execnz .LBB169_1665
; %bb.795:                              ;   in Loop: Header=BB169_17 Depth=1
	s_or_saveexec_b64 s[56:57], s[56:57]
	v_mov_b32_e32 v52, s60
	s_xor_b64 exec, exec, s[56:57]
	s_cbranch_execnz .LBB169_1668
.LBB169_796:                            ;   in Loop: Header=BB169_17 Depth=1
	s_or_b64 exec, exec, s[56:57]
	s_and_saveexec_b64 s[56:57], s[54:55]
	s_cbranch_execz .LBB169_798
.LBB169_797:                            ;   in Loop: Header=BB169_17 Depth=1
	v_lshlrev_b32_e32 v1, 24, v0
	v_and_b32_e32 v0, 0xffff, v0
	v_and_b32_e32 v52, 7, v0
	v_ffbh_u32_e32 v55, v52
	v_min_u32_e32 v55, 32, v55
	v_subrev_u32_e32 v64, 28, v55
	v_bfe_u32 v54, v0, 3, 4
	v_lshlrev_b32_e32 v0, v64, v0
	v_sub_u32_e32 v55, 29, v55
	v_and_b32_e32 v0, 7, v0
	v_cmp_eq_u32_e32 vcc, 0, v54
	v_cndmask_b32_e32 v54, v54, v55, vcc
	v_cndmask_b32_e32 v0, v52, v0, vcc
	v_lshlrev_b32_e32 v0, 20, v0
	v_and_b32_e32 v1, 0x80000000, v1
	v_lshl_add_u32 v52, v54, 23, v24
	v_or3_b32 v52, v1, v52, v0
.LBB169_798:                            ;   in Loop: Header=BB169_17 Depth=1
	s_or_b64 exec, exec, s[56:57]
.LBB169_799:                            ;   in Loop: Header=BB169_17 Depth=1
	s_or_b64 exec, exec, s[52:53]
	s_andn2_b64 s[50:51], s[50:51], exec
	s_andn2_b64 s[46:47], s[46:47], exec
	s_or_b64 s[44:45], s[44:45], exec
.LBB169_800:                            ;   in Loop: Header=BB169_17 Depth=1
	s_or_b64 exec, exec, s[48:49]
	s_and_b64 s[48:49], s[50:51], exec
	s_and_b64 s[46:47], s[46:47], exec
	;; [unrolled: 1-line block ×3, first 2 shown]
                                        ; implicit-def: $vgpr0_vgpr1
.LBB169_801:                            ;   in Loop: Header=BB169_17 Depth=1
	s_andn2_saveexec_b64 s[42:43], s[42:43]
	s_cbranch_execz .LBB169_827
; %bb.802:                              ;   in Loop: Header=BB169_17 Depth=1
	v_cmp_gt_i16_sdwa vcc, v8, v25 src0_sel:BYTE_0 src1_sel:DWORD
	s_mov_b64 s[52:53], s[44:45]
                                        ; implicit-def: $vgpr52
	s_and_saveexec_b64 s[50:51], vcc
	s_xor_b64 s[50:51], exec, s[50:51]
	s_cbranch_execz .LBB169_816
; %bb.803:                              ;   in Loop: Header=BB169_17 Depth=1
	v_cmp_gt_i16_sdwa vcc, v8, v26 src0_sel:BYTE_0 src1_sel:DWORD
                                        ; implicit-def: $vgpr52
	s_and_saveexec_b64 s[52:53], vcc
	s_xor_b64 s[52:53], exec, s[52:53]
	s_cbranch_execz .LBB169_813
; %bb.804:                              ;   in Loop: Header=BB169_17 Depth=1
	v_cmp_gt_i16_sdwa vcc, v8, v27 src0_sel:BYTE_0 src1_sel:DWORD
                                        ; implicit-def: $vgpr52
	s_and_saveexec_b64 s[54:55], vcc
	s_xor_b64 s[54:55], exec, s[54:55]
	s_cbranch_execz .LBB169_810
; %bb.805:                              ;   in Loop: Header=BB169_17 Depth=1
	flat_load_ubyte v0, v[0:1]
	s_movk_i32 vcc_lo, 0x7f
	s_mov_b64 s[56:57], 0
                                        ; implicit-def: $sgpr62
	s_waitcnt vmcnt(0) lgkmcnt(0)
	v_cmp_lt_i16_e32 vcc, vcc_lo, v0
	s_and_saveexec_b64 s[58:59], vcc
	s_xor_b64 s[58:59], exec, s[58:59]
	s_cbranch_execnz .LBB169_1884
; %bb.806:                              ;   in Loop: Header=BB169_17 Depth=1
	s_or_saveexec_b64 s[58:59], s[58:59]
	v_mov_b32_e32 v52, s62
	s_xor_b64 exec, exec, s[58:59]
	s_cbranch_execnz .LBB169_1887
.LBB169_807:                            ;   in Loop: Header=BB169_17 Depth=1
	s_or_b64 exec, exec, s[58:59]
	s_and_saveexec_b64 s[58:59], s[56:57]
	s_cbranch_execz .LBB169_809
.LBB169_808:                            ;   in Loop: Header=BB169_17 Depth=1
	v_lshlrev_b32_e32 v1, 24, v0
	v_and_b32_e32 v0, 0xffff, v0
	v_and_b32_e32 v52, 3, v0
	v_ffbh_u32_e32 v55, v52
	v_min_u32_e32 v55, 32, v55
	v_subrev_u32_e32 v64, 29, v55
	v_bfe_u32 v54, v0, 2, 5
	v_lshlrev_b32_e32 v0, v64, v0
	v_sub_u32_e32 v55, 30, v55
	v_and_b32_e32 v0, 3, v0
	v_cmp_eq_u32_e32 vcc, 0, v54
	v_cndmask_b32_e32 v54, v54, v55, vcc
	v_cndmask_b32_e32 v0, v52, v0, vcc
	v_lshlrev_b32_e32 v0, 21, v0
	v_and_b32_e32 v1, 0x80000000, v1
	v_lshl_add_u32 v52, v54, 23, v28
	v_or3_b32 v52, v1, v52, v0
.LBB169_809:                            ;   in Loop: Header=BB169_17 Depth=1
	s_or_b64 exec, exec, s[58:59]
                                        ; implicit-def: $vgpr0_vgpr1
.LBB169_810:                            ;   in Loop: Header=BB169_17 Depth=1
	s_andn2_saveexec_b64 s[54:55], s[54:55]
	s_cbranch_execz .LBB169_812
; %bb.811:                              ;   in Loop: Header=BB169_17 Depth=1
	flat_load_ubyte v0, v[0:1]
	s_mov_b32 vcc_lo, 0x7f800000
	s_waitcnt vmcnt(0) lgkmcnt(0)
	v_lshlrev_b32_e32 v0, 24, v0
	v_and_b32_e32 v1, 0x7f000000, v0
	v_ffbh_u32_e32 v52, v1
	v_min_u32_e32 v52, 32, v52
	v_sub_u32_e64 v52, v52, 4 clamp
	v_lshlrev_b32_e32 v55, v52, v1
	v_lshlrev_b32_e32 v52, 23, v52
	v_lshrrev_b32_e32 v55, 4, v55
	v_add_u32_e32 v54, 0x1000000, v1
	v_sub_u32_e32 v52, v55, v52
	v_ashrrev_i32_e32 v54, 8, v54
	v_add_u32_e32 v52, 0x3c000000, v52
	v_and_or_b32 v52, v54, vcc_lo, v52
	v_cmp_ne_u32_e32 vcc, 0, v1
	v_cndmask_b32_e32 v1, 0, v52, vcc
	s_brev_b32 vcc_lo, 1
	v_and_or_b32 v52, v0, vcc_lo, v1
.LBB169_812:                            ;   in Loop: Header=BB169_17 Depth=1
	s_or_b64 exec, exec, s[54:55]
                                        ; implicit-def: $vgpr0_vgpr1
.LBB169_813:                            ;   in Loop: Header=BB169_17 Depth=1
	s_andn2_saveexec_b64 s[52:53], s[52:53]
	s_cbranch_execz .LBB169_815
; %bb.814:                              ;   in Loop: Header=BB169_17 Depth=1
	flat_load_ubyte v0, v[0:1]
	s_movk_i32 vcc_lo, 0x7f00
	s_waitcnt vmcnt(0) lgkmcnt(0)
	v_lshlrev_b16_e32 v1, 8, v0
	v_lshlrev_b32_e32 v0, 25, v0
	v_lshrrev_b32_e32 v52, 4, v0
	v_and_or_b32 v54, v1, vcc_lo, 0.5
	v_or_b32_e32 v52, 0x70000000, v52
	s_brev_b32 vcc_lo, 16
	v_add_f32_e32 v54, -0.5, v54
	v_mul_f32_e32 v52, 0x7800000, v52
	v_cmp_gt_u32_e32 vcc, vcc_lo, v0
	v_cndmask_b32_e32 v0, v52, v54, vcc
	v_bfe_i32 v1, v1, 0, 16
	s_brev_b32 vcc_lo, 1
	v_and_or_b32 v52, v1, vcc_lo, v0
.LBB169_815:                            ;   in Loop: Header=BB169_17 Depth=1
	s_or_b64 exec, exec, s[52:53]
	s_or_b64 s[52:53], s[44:45], exec
                                        ; implicit-def: $vgpr0_vgpr1
.LBB169_816:                            ;   in Loop: Header=BB169_17 Depth=1
	s_or_saveexec_b64 s[50:51], s[50:51]
                                        ; implicit-def: $vcc
                                        ; implicit-def: $sgpr58_sgpr59
	s_xor_b64 exec, exec, s[50:51]
	s_cbranch_execz .LBB169_826
; %bb.817:                              ;   in Loop: Header=BB169_17 Depth=1
	v_cmp_gt_i16_sdwa vcc, v8, v29 src0_sel:BYTE_0 src1_sel:DWORD
	s_mov_b64 s[56:57], s[52:53]
                                        ; implicit-def: $sgpr58_sgpr59
                                        ; implicit-def: $sgpr54_sgpr55
                                        ; implicit-def: $vgpr52
	s_and_saveexec_b64 s[60:61], vcc
	s_xor_b64 vcc, exec, s[60:61]
	s_cbranch_execz .LBB169_821
; %bb.818:                              ;   in Loop: Header=BB169_17 Depth=1
	v_cmp_eq_u16_sdwa s[58:59], v8, v32 src0_sel:BYTE_0 src1_sel:DWORD
	s_mov_b64 s[56:57], s[52:53]
                                        ; implicit-def: $vgpr52
	s_and_saveexec_b64 s[54:55], s[58:59]
	s_cbranch_execz .LBB169_820
; %bb.819:                              ;   in Loop: Header=BB169_17 Depth=1
	flat_load_ushort v0, v[0:1]
	s_or_b64 s[56:57], s[52:53], exec
	s_waitcnt vmcnt(0) lgkmcnt(0)
	v_lshlrev_b32_e32 v52, 16, v0
.LBB169_820:                            ;   in Loop: Header=BB169_17 Depth=1
	s_or_b64 exec, exec, s[54:55]
	s_andn2_b64 s[60:61], s[52:53], exec
	s_and_b64 s[56:57], s[56:57], exec
	s_mov_b64 s[54:55], 0
	s_mov_b64 s[58:59], -1
	s_or_b64 s[56:57], s[60:61], s[56:57]
                                        ; implicit-def: $vgpr0_vgpr1
.LBB169_821:                            ;   in Loop: Header=BB169_17 Depth=1
	s_andn2_saveexec_b64 s[60:61], vcc
	s_cbranch_execz .LBB169_825
; %bb.822:                              ;   in Loop: Header=BB169_17 Depth=1
	v_cmp_eq_u16_sdwa s[64:65], v8, v33 src0_sel:BYTE_0 src1_sel:DWORD
	s_mov_b64 vcc, s[56:57]
                                        ; implicit-def: $vgpr52
	s_and_saveexec_b64 s[62:63], s[64:65]
	s_cbranch_execz .LBB169_824
; %bb.823:                              ;   in Loop: Header=BB169_17 Depth=1
	flat_load_ubyte v0, v[0:1]
	s_waitcnt vmcnt(0) lgkmcnt(0)
	v_cmp_ne_u16_e32 vcc, 0, v0
	v_cndmask_b32_e64 v52, 0, 1.0, vcc
	s_or_b64 vcc, s[56:57], exec
.LBB169_824:                            ;   in Loop: Header=BB169_17 Depth=1
	s_or_b64 exec, exec, s[62:63]
	s_andn2_b64 s[56:57], s[56:57], exec
	s_and_b64 vcc, vcc, exec
	s_or_b64 s[58:59], s[58:59], exec
	s_andn2_b64 s[54:55], s[54:55], exec
	s_or_b64 s[56:57], s[56:57], vcc
.LBB169_825:                            ;   in Loop: Header=BB169_17 Depth=1
	s_or_b64 exec, exec, s[60:61]
	s_and_b64 vcc, s[54:55], exec
	s_andn2_b64 s[52:53], s[52:53], exec
	s_and_b64 s[54:55], s[56:57], exec
	s_and_b64 s[58:59], s[58:59], exec
	s_or_b64 s[52:53], s[52:53], s[54:55]
.LBB169_826:                            ;   in Loop: Header=BB169_17 Depth=1
	s_or_b64 exec, exec, s[50:51]
	s_andn2_b64 s[46:47], s[46:47], exec
	s_and_b64 vcc, vcc, exec
	s_andn2_b64 s[48:49], s[48:49], exec
	s_and_b64 s[50:51], s[58:59], exec
	s_or_b64 s[46:47], s[46:47], vcc
	s_andn2_b64 vcc, s[44:45], exec
	s_and_b64 s[44:45], s[52:53], exec
	s_or_b64 s[48:49], s[48:49], s[50:51]
	s_or_b64 s[44:45], vcc, s[44:45]
.LBB169_827:                            ;   in Loop: Header=BB169_17 Depth=1
	s_or_b64 exec, exec, s[42:43]
	s_and_b64 s[42:43], s[48:49], exec
	s_and_b64 vcc, s[46:47], exec
	s_and_b64 s[44:45], s[44:45], exec
                                        ; implicit-def: $vgpr0_vgpr1
	s_andn2_saveexec_b64 s[40:41], s[40:41]
	s_cbranch_execz .LBB169_756
.LBB169_828:                            ;   in Loop: Header=BB169_17 Depth=1
	v_cmp_gt_i16_sdwa s[46:47], v8, v34 src0_sel:BYTE_0 src1_sel:DWORD
                                        ; implicit-def: $vgpr52
	s_and_saveexec_b64 s[48:49], s[46:47]
	s_xor_b64 s[46:47], exec, s[48:49]
	s_cbranch_execz .LBB169_850
; %bb.829:                              ;   in Loop: Header=BB169_17 Depth=1
	v_cmp_gt_i16_sdwa s[48:49], v8, v35 src0_sel:BYTE_0 src1_sel:DWORD
                                        ; implicit-def: $vgpr52
	s_and_saveexec_b64 s[50:51], s[48:49]
	s_xor_b64 s[48:49], exec, s[50:51]
	s_cbranch_execz .LBB169_839
; %bb.830:                              ;   in Loop: Header=BB169_17 Depth=1
	;; [unrolled: 6-line block ×4, first 2 shown]
	flat_load_dwordx2 v[0:1], v[0:1]
	s_waitcnt vmcnt(0) lgkmcnt(0)
	v_cvt_f32_f64_e32 v52, v[0:1]
                                        ; implicit-def: $vgpr0_vgpr1
.LBB169_833:                            ;   in Loop: Header=BB169_17 Depth=1
	s_andn2_saveexec_b64 s[52:53], s[52:53]
	s_cbranch_execz .LBB169_835
; %bb.834:                              ;   in Loop: Header=BB169_17 Depth=1
	flat_load_dword v52, v[0:1]
.LBB169_835:                            ;   in Loop: Header=BB169_17 Depth=1
	s_or_b64 exec, exec, s[52:53]
                                        ; implicit-def: $vgpr0_vgpr1
.LBB169_836:                            ;   in Loop: Header=BB169_17 Depth=1
	s_andn2_saveexec_b64 s[50:51], s[50:51]
	s_cbranch_execz .LBB169_838
; %bb.837:                              ;   in Loop: Header=BB169_17 Depth=1
	flat_load_dword v0, v[0:1]
	s_waitcnt vmcnt(0) lgkmcnt(0)
	v_cvt_f32_f16_e32 v52, v0
.LBB169_838:                            ;   in Loop: Header=BB169_17 Depth=1
	s_or_b64 exec, exec, s[50:51]
                                        ; implicit-def: $vgpr0_vgpr1
.LBB169_839:                            ;   in Loop: Header=BB169_17 Depth=1
	s_andn2_saveexec_b64 s[48:49], s[48:49]
	s_cbranch_execz .LBB169_849
; %bb.840:                              ;   in Loop: Header=BB169_17 Depth=1
	v_cmp_gt_i16_sdwa s[50:51], v8, v38 src0_sel:BYTE_0 src1_sel:DWORD
                                        ; implicit-def: $vgpr52
	s_and_saveexec_b64 s[52:53], s[50:51]
	s_xor_b64 s[50:51], exec, s[52:53]
	s_cbranch_execz .LBB169_846
; %bb.841:                              ;   in Loop: Header=BB169_17 Depth=1
	v_cmp_gt_i16_sdwa s[52:53], v8, v39 src0_sel:BYTE_0 src1_sel:DWORD
                                        ; implicit-def: $vgpr52
	s_and_saveexec_b64 s[54:55], s[52:53]
	s_xor_b64 s[52:53], exec, s[54:55]
	s_cbranch_execz .LBB169_843
; %bb.842:                              ;   in Loop: Header=BB169_17 Depth=1
	flat_load_dwordx2 v[0:1], v[0:1]
	s_waitcnt vmcnt(0) lgkmcnt(0)
	v_cvt_f32_f64_e32 v52, v[0:1]
                                        ; implicit-def: $vgpr0_vgpr1
.LBB169_843:                            ;   in Loop: Header=BB169_17 Depth=1
	s_andn2_saveexec_b64 s[52:53], s[52:53]
	s_cbranch_execz .LBB169_845
; %bb.844:                              ;   in Loop: Header=BB169_17 Depth=1
	s_waitcnt vmcnt(0) lgkmcnt(0)
	flat_load_dword v52, v[0:1]
.LBB169_845:                            ;   in Loop: Header=BB169_17 Depth=1
	s_or_b64 exec, exec, s[52:53]
                                        ; implicit-def: $vgpr0_vgpr1
.LBB169_846:                            ;   in Loop: Header=BB169_17 Depth=1
	s_andn2_saveexec_b64 s[50:51], s[50:51]
	s_cbranch_execz .LBB169_848
; %bb.847:                              ;   in Loop: Header=BB169_17 Depth=1
	flat_load_ushort v0, v[0:1]
	s_waitcnt vmcnt(0) lgkmcnt(0)
	v_cvt_f32_f16_e32 v52, v0
.LBB169_848:                            ;   in Loop: Header=BB169_17 Depth=1
	s_or_b64 exec, exec, s[50:51]
.LBB169_849:                            ;   in Loop: Header=BB169_17 Depth=1
	s_or_b64 exec, exec, s[48:49]
                                        ; implicit-def: $vgpr0_vgpr1
.LBB169_850:                            ;   in Loop: Header=BB169_17 Depth=1
	s_andn2_saveexec_b64 s[46:47], s[46:47]
	s_cbranch_execz .LBB169_868
; %bb.851:                              ;   in Loop: Header=BB169_17 Depth=1
	v_cmp_gt_i16_sdwa s[48:49], v8, v48 src0_sel:BYTE_0 src1_sel:DWORD
                                        ; implicit-def: $vgpr52
	s_and_saveexec_b64 s[50:51], s[48:49]
	s_xor_b64 s[48:49], exec, s[50:51]
	s_cbranch_execz .LBB169_861
; %bb.852:                              ;   in Loop: Header=BB169_17 Depth=1
	v_cmp_gt_i16_sdwa s[50:51], v8, v49 src0_sel:BYTE_0 src1_sel:DWORD
                                        ; implicit-def: $vgpr52
	s_and_saveexec_b64 s[52:53], s[50:51]
	s_xor_b64 s[50:51], exec, s[52:53]
	;; [unrolled: 6-line block ×3, first 2 shown]
	s_cbranch_execz .LBB169_855
; %bb.854:                              ;   in Loop: Header=BB169_17 Depth=1
	flat_load_dwordx2 v[0:1], v[0:1]
	s_waitcnt vmcnt(0) lgkmcnt(0)
	v_xor_b32_e32 v54, v0, v1
	v_ffbh_i32_e32 v52, v1
	v_ashrrev_i32_e32 v54, 31, v54
	v_add_u32_e32 v52, -1, v52
	v_add_u32_e32 v54, 32, v54
	v_min_u32_e32 v52, v52, v54
	v_lshlrev_b64 v[0:1], v52, v[0:1]
	v_min_u32_e32 v0, 1, v0
	v_or_b32_e32 v0, v1, v0
	v_cvt_f32_i32_e32 v0, v0
	v_sub_u32_e32 v1, 32, v52
	v_ldexp_f32 v52, v0, v1
                                        ; implicit-def: $vgpr0_vgpr1
.LBB169_855:                            ;   in Loop: Header=BB169_17 Depth=1
	s_andn2_saveexec_b64 s[52:53], s[52:53]
	s_cbranch_execz .LBB169_857
; %bb.856:                              ;   in Loop: Header=BB169_17 Depth=1
	flat_load_dword v0, v[0:1]
	s_waitcnt vmcnt(0) lgkmcnt(0)
	v_cvt_f32_i32_e32 v52, v0
.LBB169_857:                            ;   in Loop: Header=BB169_17 Depth=1
	s_or_b64 exec, exec, s[52:53]
                                        ; implicit-def: $vgpr0_vgpr1
.LBB169_858:                            ;   in Loop: Header=BB169_17 Depth=1
	s_andn2_saveexec_b64 s[50:51], s[50:51]
	s_cbranch_execz .LBB169_860
; %bb.859:                              ;   in Loop: Header=BB169_17 Depth=1
	flat_load_sshort v0, v[0:1]
	s_waitcnt vmcnt(0) lgkmcnt(0)
	v_cvt_f32_i32_e32 v52, v0
.LBB169_860:                            ;   in Loop: Header=BB169_17 Depth=1
	s_or_b64 exec, exec, s[50:51]
                                        ; implicit-def: $vgpr0_vgpr1
.LBB169_861:                            ;   in Loop: Header=BB169_17 Depth=1
	s_andn2_saveexec_b64 s[48:49], s[48:49]
	s_cbranch_execz .LBB169_867
; %bb.862:                              ;   in Loop: Header=BB169_17 Depth=1
	v_cmp_gt_i16_sdwa s[50:51], v8, v6 src0_sel:BYTE_0 src1_sel:DWORD
                                        ; implicit-def: $vgpr52
	s_and_saveexec_b64 s[52:53], s[50:51]
	s_xor_b64 s[50:51], exec, s[52:53]
	s_cbranch_execz .LBB169_864
; %bb.863:                              ;   in Loop: Header=BB169_17 Depth=1
	flat_load_sbyte v0, v[0:1]
	s_waitcnt vmcnt(0) lgkmcnt(0)
	v_cvt_f32_i32_e32 v52, v0
                                        ; implicit-def: $vgpr0_vgpr1
.LBB169_864:                            ;   in Loop: Header=BB169_17 Depth=1
	s_andn2_saveexec_b64 s[50:51], s[50:51]
	s_cbranch_execz .LBB169_866
; %bb.865:                              ;   in Loop: Header=BB169_17 Depth=1
	flat_load_ubyte v0, v[0:1]
	s_waitcnt vmcnt(0) lgkmcnt(0)
	v_cvt_f32_ubyte0_e32 v52, v0
.LBB169_866:                            ;   in Loop: Header=BB169_17 Depth=1
	s_or_b64 exec, exec, s[50:51]
.LBB169_867:                            ;   in Loop: Header=BB169_17 Depth=1
	s_or_b64 exec, exec, s[48:49]
.LBB169_868:                            ;   in Loop: Header=BB169_17 Depth=1
	s_or_b64 exec, exec, s[46:47]
	s_andn2_b64 s[42:43], s[42:43], exec
	s_andn2_b64 vcc, vcc, exec
	s_or_b64 s[44:45], s[44:45], exec
	s_or_b64 exec, exec, s[40:41]
	s_mov_b64 s[40:41], 0
	s_and_saveexec_b64 s[46:47], s[44:45]
	s_cbranch_execnz .LBB169_757
	s_branch .LBB169_758
.LBB169_869:                            ;   in Loop: Header=BB169_17 Depth=1
	v_cmp_gt_i16_sdwa vcc, v7, v13 src0_sel:BYTE_0 src1_sel:DWORD
	s_mov_b64 s[46:47], 0
                                        ; implicit-def: $sgpr48_sgpr49
                                        ; implicit-def: $sgpr38_sgpr39
                                        ; implicit-def: $vgpr54
	s_and_saveexec_b64 s[36:37], vcc
	s_xor_b64 s[36:37], exec, s[36:37]
	s_cbranch_execz .LBB169_901
; %bb.870:                              ;   in Loop: Header=BB169_17 Depth=1
	v_cmp_gt_i16_sdwa vcc, v7, v14 src0_sel:BYTE_0 src1_sel:DWORD
                                        ; implicit-def: $sgpr48_sgpr49
                                        ; implicit-def: $sgpr50_sgpr51
                                        ; implicit-def: $vgpr54
	s_and_saveexec_b64 s[38:39], vcc
	s_xor_b64 s[38:39], exec, s[38:39]
	s_cbranch_execz .LBB169_886
; %bb.871:                              ;   in Loop: Header=BB169_17 Depth=1
	v_cmp_gt_i16_sdwa s[46:47], v7, v15 src0_sel:BYTE_0 src1_sel:DWORD
	s_mov_b64 s[52:53], 0
                                        ; implicit-def: $vcc
                                        ; implicit-def: $sgpr48_sgpr49
                                        ; implicit-def: $vgpr54
	s_and_saveexec_b64 s[50:51], s[46:47]
	s_xor_b64 s[46:47], exec, s[50:51]
	s_cbranch_execz .LBB169_881
; %bb.872:                              ;   in Loop: Header=BB169_17 Depth=1
	v_cmp_gt_i16_sdwa vcc, v7, v16 src0_sel:BYTE_0 src1_sel:DWORD
	s_mov_b64 s[50:51], 0
                                        ; implicit-def: $sgpr48_sgpr49
                                        ; implicit-def: $sgpr52_sgpr53
                                        ; implicit-def: $vgpr54
	s_and_saveexec_b64 s[54:55], vcc
	s_xor_b64 vcc, exec, s[54:55]
	s_cbranch_execz .LBB169_876
; %bb.873:                              ;   in Loop: Header=BB169_17 Depth=1
	v_cmp_eq_u16_sdwa s[54:55], v7, v17 src0_sel:BYTE_0 src1_sel:DWORD
	s_mov_b64 s[48:49], 0
                                        ; implicit-def: $vgpr54
	s_and_saveexec_b64 s[52:53], s[54:55]
	s_cbranch_execz .LBB169_875
; %bb.874:                              ;   in Loop: Header=BB169_17 Depth=1
	flat_load_dword v0, v[0:1]
	s_mov_b64 s[50:51], exec
	s_waitcnt vmcnt(0) lgkmcnt(0)
	v_lshlrev_b32_e32 v54, 16, v0
.LBB169_875:                            ;   in Loop: Header=BB169_17 Depth=1
	s_or_b64 exec, exec, s[52:53]
	s_mov_b64 s[52:53], -1
	s_and_b64 s[50:51], s[50:51], exec
                                        ; implicit-def: $vgpr0_vgpr1
.LBB169_876:                            ;   in Loop: Header=BB169_17 Depth=1
	s_andn2_saveexec_b64 s[54:55], vcc
	s_cbranch_execz .LBB169_880
; %bb.877:                              ;   in Loop: Header=BB169_17 Depth=1
	v_cmp_eq_u16_sdwa s[58:59], v7, v18 src0_sel:BYTE_0 src1_sel:DWORD
	s_mov_b64 vcc, s[50:51]
                                        ; implicit-def: $vgpr54
	s_and_saveexec_b64 s[56:57], s[58:59]
	s_cbranch_execz .LBB169_879
; %bb.878:                              ;   in Loop: Header=BB169_17 Depth=1
	flat_load_ubyte v0, v[0:1]
	s_movk_i32 vcc_lo, 0xff
	s_waitcnt vmcnt(0) lgkmcnt(0)
	v_lshlrev_b32_e32 v1, 23, v0
	v_cmp_ne_u32_e32 vcc, vcc_lo, v0
	v_cndmask_b32_e32 v1, v19, v1, vcc
	v_cmp_ne_u32_e32 vcc, 0, v0
	v_cndmask_b32_e32 v54, v20, v1, vcc
	s_or_b64 vcc, s[50:51], exec
.LBB169_879:                            ;   in Loop: Header=BB169_17 Depth=1
	s_or_b64 exec, exec, s[56:57]
	s_andn2_b64 s[50:51], s[50:51], exec
	s_and_b64 vcc, vcc, exec
	s_andn2_b64 s[48:49], s[48:49], exec
	s_or_b64 s[52:53], s[52:53], exec
	s_or_b64 s[50:51], s[50:51], vcc
.LBB169_880:                            ;   in Loop: Header=BB169_17 Depth=1
	s_or_b64 exec, exec, s[54:55]
	s_and_b64 s[48:49], s[48:49], exec
	s_and_b64 vcc, s[52:53], exec
	s_and_b64 s[52:53], s[50:51], exec
                                        ; implicit-def: $vgpr0_vgpr1
.LBB169_881:                            ;   in Loop: Header=BB169_17 Depth=1
	s_andn2_saveexec_b64 s[46:47], s[46:47]
	s_cbranch_execz .LBB169_885
; %bb.882:                              ;   in Loop: Header=BB169_17 Depth=1
	v_cmp_eq_u16_sdwa s[56:57], v7, v21 src0_sel:BYTE_0 src1_sel:DWORD
	s_mov_b64 s[54:55], s[52:53]
                                        ; implicit-def: $vgpr54
	s_and_saveexec_b64 s[50:51], s[56:57]
	s_cbranch_execz .LBB169_884
; %bb.883:                              ;   in Loop: Header=BB169_17 Depth=1
	flat_load_dwordx2 v[0:1], v[0:1]
	s_or_b64 s[54:55], s[52:53], exec
	s_waitcnt vmcnt(0) lgkmcnt(0)
	v_ffbh_u32_e32 v53, v1
	v_min_u32_e32 v53, 32, v53
	v_lshlrev_b64 v[0:1], v53, v[0:1]
	v_min_u32_e32 v0, 1, v0
	v_or_b32_e32 v0, v1, v0
	v_cvt_f32_u32_e32 v0, v0
	v_sub_u32_e32 v1, 32, v53
	v_ldexp_f32 v54, v0, v1
.LBB169_884:                            ;   in Loop: Header=BB169_17 Depth=1
	s_or_b64 exec, exec, s[50:51]
	s_andn2_b64 s[50:51], s[52:53], exec
	s_and_b64 s[52:53], s[54:55], exec
	s_andn2_b64 s[48:49], s[48:49], exec
	s_or_b64 vcc, vcc, exec
	s_or_b64 s[52:53], s[50:51], s[52:53]
.LBB169_885:                            ;   in Loop: Header=BB169_17 Depth=1
	s_or_b64 exec, exec, s[46:47]
	s_and_b64 s[50:51], s[48:49], exec
	s_and_b64 s[48:49], vcc, exec
	s_and_b64 s[46:47], s[52:53], exec
                                        ; implicit-def: $vgpr0_vgpr1
.LBB169_886:                            ;   in Loop: Header=BB169_17 Depth=1
	s_andn2_saveexec_b64 s[38:39], s[38:39]
	s_cbranch_execz .LBB169_900
; %bb.887:                              ;   in Loop: Header=BB169_17 Depth=1
	v_cmp_gt_i16_sdwa vcc, v7, v22 src0_sel:BYTE_0 src1_sel:DWORD
                                        ; implicit-def: $vgpr54
	s_and_saveexec_b64 s[52:53], vcc
	s_xor_b64 vcc, exec, s[52:53]
	s_cbranch_execz .LBB169_893
; %bb.888:                              ;   in Loop: Header=BB169_17 Depth=1
	v_cmp_gt_i16_sdwa s[52:53], v7, v23 src0_sel:BYTE_0 src1_sel:DWORD
                                        ; implicit-def: $vgpr54
	s_and_saveexec_b64 s[54:55], s[52:53]
	s_xor_b64 s[52:53], exec, s[54:55]
	s_cbranch_execz .LBB169_890
; %bb.889:                              ;   in Loop: Header=BB169_17 Depth=1
	flat_load_dword v0, v[0:1]
	s_waitcnt vmcnt(0) lgkmcnt(0)
	v_cvt_f32_u32_e32 v54, v0
                                        ; implicit-def: $vgpr0_vgpr1
.LBB169_890:                            ;   in Loop: Header=BB169_17 Depth=1
	s_andn2_saveexec_b64 s[52:53], s[52:53]
	s_cbranch_execz .LBB169_892
; %bb.891:                              ;   in Loop: Header=BB169_17 Depth=1
	flat_load_ushort v0, v[0:1]
	s_waitcnt vmcnt(0) lgkmcnt(0)
	v_cvt_f32_u32_e32 v54, v0
.LBB169_892:                            ;   in Loop: Header=BB169_17 Depth=1
	s_or_b64 exec, exec, s[52:53]
                                        ; implicit-def: $vgpr0_vgpr1
.LBB169_893:                            ;   in Loop: Header=BB169_17 Depth=1
	s_andn2_saveexec_b64 s[52:53], vcc
	s_cbranch_execz .LBB169_899
; %bb.894:                              ;   in Loop: Header=BB169_17 Depth=1
	flat_load_ubyte v0, v[0:1]
	s_movk_i32 vcc_lo, 0x7f
	s_mov_b64 s[54:55], 0
                                        ; implicit-def: $sgpr60
	s_waitcnt vmcnt(0) lgkmcnt(0)
	v_cmp_lt_i16_e32 vcc, vcc_lo, v0
	s_and_saveexec_b64 s[56:57], vcc
	s_xor_b64 s[56:57], exec, s[56:57]
	s_cbranch_execnz .LBB169_1669
; %bb.895:                              ;   in Loop: Header=BB169_17 Depth=1
	s_or_saveexec_b64 s[56:57], s[56:57]
	v_mov_b32_e32 v54, s60
	s_xor_b64 exec, exec, s[56:57]
	s_cbranch_execnz .LBB169_1672
.LBB169_896:                            ;   in Loop: Header=BB169_17 Depth=1
	s_or_b64 exec, exec, s[56:57]
	s_and_saveexec_b64 s[56:57], s[54:55]
	s_cbranch_execz .LBB169_898
.LBB169_897:                            ;   in Loop: Header=BB169_17 Depth=1
	v_lshlrev_b32_e32 v1, 24, v0
	v_and_b32_e32 v0, 0xffff, v0
	v_and_b32_e32 v53, 7, v0
	v_ffbh_u32_e32 v55, v53
	v_min_u32_e32 v55, 32, v55
	v_subrev_u32_e32 v64, 28, v55
	v_bfe_u32 v54, v0, 3, 4
	v_lshlrev_b32_e32 v0, v64, v0
	v_sub_u32_e32 v55, 29, v55
	v_and_b32_e32 v0, 7, v0
	v_cmp_eq_u32_e32 vcc, 0, v54
	v_cndmask_b32_e32 v54, v54, v55, vcc
	v_cndmask_b32_e32 v0, v53, v0, vcc
	v_lshlrev_b32_e32 v0, 20, v0
	v_and_b32_e32 v1, 0x80000000, v1
	v_lshl_add_u32 v53, v54, 23, v24
	v_or3_b32 v54, v1, v53, v0
.LBB169_898:                            ;   in Loop: Header=BB169_17 Depth=1
	s_or_b64 exec, exec, s[56:57]
.LBB169_899:                            ;   in Loop: Header=BB169_17 Depth=1
	s_or_b64 exec, exec, s[52:53]
	s_andn2_b64 s[50:51], s[50:51], exec
	s_andn2_b64 s[48:49], s[48:49], exec
	s_or_b64 s[46:47], s[46:47], exec
.LBB169_900:                            ;   in Loop: Header=BB169_17 Depth=1
	s_or_b64 exec, exec, s[38:39]
	s_and_b64 s[38:39], s[50:51], exec
	s_and_b64 s[48:49], s[48:49], exec
	;; [unrolled: 1-line block ×3, first 2 shown]
                                        ; implicit-def: $vgpr0_vgpr1
.LBB169_901:                            ;   in Loop: Header=BB169_17 Depth=1
	s_andn2_saveexec_b64 s[36:37], s[36:37]
	s_cbranch_execz .LBB169_927
; %bb.902:                              ;   in Loop: Header=BB169_17 Depth=1
	v_cmp_gt_i16_sdwa vcc, v7, v25 src0_sel:BYTE_0 src1_sel:DWORD
	s_mov_b64 s[52:53], s[46:47]
                                        ; implicit-def: $vgpr54
	s_and_saveexec_b64 s[50:51], vcc
	s_xor_b64 s[50:51], exec, s[50:51]
	s_cbranch_execz .LBB169_916
; %bb.903:                              ;   in Loop: Header=BB169_17 Depth=1
	v_cmp_gt_i16_sdwa vcc, v7, v26 src0_sel:BYTE_0 src1_sel:DWORD
                                        ; implicit-def: $vgpr54
	s_and_saveexec_b64 s[52:53], vcc
	s_xor_b64 s[52:53], exec, s[52:53]
	s_cbranch_execz .LBB169_913
; %bb.904:                              ;   in Loop: Header=BB169_17 Depth=1
	v_cmp_gt_i16_sdwa vcc, v7, v27 src0_sel:BYTE_0 src1_sel:DWORD
                                        ; implicit-def: $vgpr54
	s_and_saveexec_b64 s[54:55], vcc
	s_xor_b64 s[54:55], exec, s[54:55]
	s_cbranch_execz .LBB169_910
; %bb.905:                              ;   in Loop: Header=BB169_17 Depth=1
	flat_load_ubyte v0, v[0:1]
	s_movk_i32 vcc_lo, 0x7f
	s_mov_b64 s[56:57], 0
                                        ; implicit-def: $sgpr62
	s_waitcnt vmcnt(0) lgkmcnt(0)
	v_cmp_lt_i16_e32 vcc, vcc_lo, v0
	s_and_saveexec_b64 s[58:59], vcc
	s_xor_b64 s[58:59], exec, s[58:59]
	s_cbranch_execnz .LBB169_1888
; %bb.906:                              ;   in Loop: Header=BB169_17 Depth=1
	s_or_saveexec_b64 s[58:59], s[58:59]
	v_mov_b32_e32 v54, s62
	s_xor_b64 exec, exec, s[58:59]
	s_cbranch_execnz .LBB169_1891
.LBB169_907:                            ;   in Loop: Header=BB169_17 Depth=1
	s_or_b64 exec, exec, s[58:59]
	s_and_saveexec_b64 s[58:59], s[56:57]
	s_cbranch_execz .LBB169_909
.LBB169_908:                            ;   in Loop: Header=BB169_17 Depth=1
	v_lshlrev_b32_e32 v1, 24, v0
	v_and_b32_e32 v0, 0xffff, v0
	v_and_b32_e32 v53, 3, v0
	v_ffbh_u32_e32 v55, v53
	v_min_u32_e32 v55, 32, v55
	v_subrev_u32_e32 v64, 29, v55
	v_bfe_u32 v54, v0, 2, 5
	v_lshlrev_b32_e32 v0, v64, v0
	v_sub_u32_e32 v55, 30, v55
	v_and_b32_e32 v0, 3, v0
	v_cmp_eq_u32_e32 vcc, 0, v54
	v_cndmask_b32_e32 v54, v54, v55, vcc
	v_cndmask_b32_e32 v0, v53, v0, vcc
	v_lshlrev_b32_e32 v0, 21, v0
	v_and_b32_e32 v1, 0x80000000, v1
	v_lshl_add_u32 v53, v54, 23, v28
	v_or3_b32 v54, v1, v53, v0
.LBB169_909:                            ;   in Loop: Header=BB169_17 Depth=1
	s_or_b64 exec, exec, s[58:59]
                                        ; implicit-def: $vgpr0_vgpr1
.LBB169_910:                            ;   in Loop: Header=BB169_17 Depth=1
	s_andn2_saveexec_b64 s[54:55], s[54:55]
	s_cbranch_execz .LBB169_912
; %bb.911:                              ;   in Loop: Header=BB169_17 Depth=1
	flat_load_ubyte v0, v[0:1]
	s_mov_b32 vcc_lo, 0x7f800000
	s_waitcnt vmcnt(0) lgkmcnt(0)
	v_lshlrev_b32_e32 v0, 24, v0
	v_and_b32_e32 v1, 0x7f000000, v0
	v_ffbh_u32_e32 v53, v1
	v_min_u32_e32 v53, 32, v53
	v_sub_u32_e64 v53, v53, 4 clamp
	v_lshlrev_b32_e32 v55, v53, v1
	v_lshlrev_b32_e32 v53, 23, v53
	v_lshrrev_b32_e32 v55, 4, v55
	v_add_u32_e32 v54, 0x1000000, v1
	v_sub_u32_e32 v53, v55, v53
	v_ashrrev_i32_e32 v54, 8, v54
	v_add_u32_e32 v53, 0x3c000000, v53
	v_and_or_b32 v53, v54, vcc_lo, v53
	v_cmp_ne_u32_e32 vcc, 0, v1
	v_cndmask_b32_e32 v1, 0, v53, vcc
	s_brev_b32 vcc_lo, 1
	v_and_or_b32 v54, v0, vcc_lo, v1
.LBB169_912:                            ;   in Loop: Header=BB169_17 Depth=1
	s_or_b64 exec, exec, s[54:55]
                                        ; implicit-def: $vgpr0_vgpr1
.LBB169_913:                            ;   in Loop: Header=BB169_17 Depth=1
	s_andn2_saveexec_b64 s[52:53], s[52:53]
	s_cbranch_execz .LBB169_915
; %bb.914:                              ;   in Loop: Header=BB169_17 Depth=1
	flat_load_ubyte v0, v[0:1]
	s_movk_i32 vcc_lo, 0x7f00
	s_waitcnt vmcnt(0) lgkmcnt(0)
	v_lshlrev_b16_e32 v1, 8, v0
	v_lshlrev_b32_e32 v0, 25, v0
	v_lshrrev_b32_e32 v53, 4, v0
	v_and_or_b32 v54, v1, vcc_lo, 0.5
	v_or_b32_e32 v53, 0x70000000, v53
	s_brev_b32 vcc_lo, 16
	v_add_f32_e32 v54, -0.5, v54
	v_mul_f32_e32 v53, 0x7800000, v53
	v_cmp_gt_u32_e32 vcc, vcc_lo, v0
	v_cndmask_b32_e32 v0, v53, v54, vcc
	v_bfe_i32 v1, v1, 0, 16
	s_brev_b32 vcc_lo, 1
	v_and_or_b32 v54, v1, vcc_lo, v0
.LBB169_915:                            ;   in Loop: Header=BB169_17 Depth=1
	s_or_b64 exec, exec, s[52:53]
	s_or_b64 s[52:53], s[46:47], exec
                                        ; implicit-def: $vgpr0_vgpr1
.LBB169_916:                            ;   in Loop: Header=BB169_17 Depth=1
	s_or_saveexec_b64 s[50:51], s[50:51]
                                        ; implicit-def: $vcc
                                        ; implicit-def: $sgpr58_sgpr59
	s_xor_b64 exec, exec, s[50:51]
	s_cbranch_execz .LBB169_926
; %bb.917:                              ;   in Loop: Header=BB169_17 Depth=1
	v_cmp_gt_i16_sdwa vcc, v7, v29 src0_sel:BYTE_0 src1_sel:DWORD
	s_mov_b64 s[56:57], s[52:53]
                                        ; implicit-def: $sgpr58_sgpr59
                                        ; implicit-def: $sgpr54_sgpr55
                                        ; implicit-def: $vgpr54
	s_and_saveexec_b64 s[60:61], vcc
	s_xor_b64 vcc, exec, s[60:61]
	s_cbranch_execz .LBB169_921
; %bb.918:                              ;   in Loop: Header=BB169_17 Depth=1
	v_cmp_eq_u16_sdwa s[58:59], v7, v32 src0_sel:BYTE_0 src1_sel:DWORD
	s_mov_b64 s[56:57], s[52:53]
                                        ; implicit-def: $vgpr54
	s_and_saveexec_b64 s[54:55], s[58:59]
	s_cbranch_execz .LBB169_920
; %bb.919:                              ;   in Loop: Header=BB169_17 Depth=1
	flat_load_ushort v0, v[0:1]
	s_or_b64 s[56:57], s[52:53], exec
	s_waitcnt vmcnt(0) lgkmcnt(0)
	v_lshlrev_b32_e32 v54, 16, v0
.LBB169_920:                            ;   in Loop: Header=BB169_17 Depth=1
	s_or_b64 exec, exec, s[54:55]
	s_andn2_b64 s[60:61], s[52:53], exec
	s_and_b64 s[56:57], s[56:57], exec
	s_mov_b64 s[54:55], -1
	s_mov_b64 s[58:59], 0
	s_or_b64 s[56:57], s[60:61], s[56:57]
                                        ; implicit-def: $vgpr0_vgpr1
.LBB169_921:                            ;   in Loop: Header=BB169_17 Depth=1
	s_andn2_saveexec_b64 s[60:61], vcc
	s_cbranch_execz .LBB169_925
; %bb.922:                              ;   in Loop: Header=BB169_17 Depth=1
	v_cmp_eq_u16_sdwa s[64:65], v7, v33 src0_sel:BYTE_0 src1_sel:DWORD
	s_mov_b64 vcc, s[56:57]
                                        ; implicit-def: $vgpr54
	s_and_saveexec_b64 s[62:63], s[64:65]
	s_cbranch_execz .LBB169_924
; %bb.923:                              ;   in Loop: Header=BB169_17 Depth=1
	flat_load_ubyte v0, v[0:1]
	s_waitcnt vmcnt(0) lgkmcnt(0)
	v_cmp_ne_u16_e32 vcc, 0, v0
	v_cndmask_b32_e64 v54, 0, 1.0, vcc
	s_or_b64 vcc, s[56:57], exec
.LBB169_924:                            ;   in Loop: Header=BB169_17 Depth=1
	s_or_b64 exec, exec, s[62:63]
	s_andn2_b64 s[56:57], s[56:57], exec
	s_and_b64 vcc, vcc, exec
	s_andn2_b64 s[58:59], s[58:59], exec
	s_or_b64 s[54:55], s[54:55], exec
	s_or_b64 s[56:57], s[56:57], vcc
.LBB169_925:                            ;   in Loop: Header=BB169_17 Depth=1
	s_or_b64 exec, exec, s[60:61]
	s_and_b64 vcc, s[54:55], exec
	s_andn2_b64 s[52:53], s[52:53], exec
	s_and_b64 s[54:55], s[56:57], exec
	s_and_b64 s[58:59], s[58:59], exec
	s_or_b64 s[52:53], s[52:53], s[54:55]
.LBB169_926:                            ;   in Loop: Header=BB169_17 Depth=1
	s_or_b64 exec, exec, s[50:51]
	s_andn2_b64 s[48:49], s[48:49], exec
	s_and_b64 vcc, vcc, exec
	s_andn2_b64 s[38:39], s[38:39], exec
	s_and_b64 s[50:51], s[58:59], exec
	s_or_b64 s[48:49], s[48:49], vcc
	s_andn2_b64 vcc, s[46:47], exec
	s_and_b64 s[46:47], s[52:53], exec
	s_or_b64 s[38:39], s[38:39], s[50:51]
	s_or_b64 s[46:47], vcc, s[46:47]
.LBB169_927:                            ;   in Loop: Header=BB169_17 Depth=1
	s_or_b64 exec, exec, s[36:37]
	s_and_b64 s[38:39], s[38:39], exec
	s_and_b64 s[36:37], s[48:49], exec
	s_and_b64 vcc, s[46:47], exec
                                        ; implicit-def: $vgpr0_vgpr1
	s_andn2_saveexec_b64 s[44:45], s[44:45]
	s_cbranch_execz .LBB169_764
.LBB169_928:                            ;   in Loop: Header=BB169_17 Depth=1
	v_cmp_gt_i16_sdwa s[46:47], v7, v34 src0_sel:BYTE_0 src1_sel:DWORD
                                        ; implicit-def: $vgpr54
	s_and_saveexec_b64 s[48:49], s[46:47]
	s_xor_b64 s[46:47], exec, s[48:49]
	s_cbranch_execz .LBB169_950
; %bb.929:                              ;   in Loop: Header=BB169_17 Depth=1
	v_cmp_gt_i16_sdwa s[48:49], v7, v35 src0_sel:BYTE_0 src1_sel:DWORD
                                        ; implicit-def: $vgpr54
	s_and_saveexec_b64 s[50:51], s[48:49]
	s_xor_b64 s[48:49], exec, s[50:51]
	s_cbranch_execz .LBB169_939
; %bb.930:                              ;   in Loop: Header=BB169_17 Depth=1
	;; [unrolled: 6-line block ×4, first 2 shown]
	flat_load_dwordx2 v[0:1], v[0:1]
	s_waitcnt vmcnt(0) lgkmcnt(0)
	v_cvt_f32_f64_e32 v54, v[0:1]
                                        ; implicit-def: $vgpr0_vgpr1
.LBB169_933:                            ;   in Loop: Header=BB169_17 Depth=1
	s_andn2_saveexec_b64 s[52:53], s[52:53]
	s_cbranch_execz .LBB169_935
; %bb.934:                              ;   in Loop: Header=BB169_17 Depth=1
	flat_load_dword v54, v[0:1]
.LBB169_935:                            ;   in Loop: Header=BB169_17 Depth=1
	s_or_b64 exec, exec, s[52:53]
                                        ; implicit-def: $vgpr0_vgpr1
.LBB169_936:                            ;   in Loop: Header=BB169_17 Depth=1
	s_andn2_saveexec_b64 s[50:51], s[50:51]
	s_cbranch_execz .LBB169_938
; %bb.937:                              ;   in Loop: Header=BB169_17 Depth=1
	flat_load_dword v0, v[0:1]
	s_waitcnt vmcnt(0) lgkmcnt(0)
	v_cvt_f32_f16_e32 v54, v0
.LBB169_938:                            ;   in Loop: Header=BB169_17 Depth=1
	s_or_b64 exec, exec, s[50:51]
                                        ; implicit-def: $vgpr0_vgpr1
.LBB169_939:                            ;   in Loop: Header=BB169_17 Depth=1
	s_andn2_saveexec_b64 s[48:49], s[48:49]
	s_cbranch_execz .LBB169_949
; %bb.940:                              ;   in Loop: Header=BB169_17 Depth=1
	v_cmp_gt_i16_sdwa s[50:51], v7, v38 src0_sel:BYTE_0 src1_sel:DWORD
                                        ; implicit-def: $vgpr54
	s_and_saveexec_b64 s[52:53], s[50:51]
	s_xor_b64 s[50:51], exec, s[52:53]
	s_cbranch_execz .LBB169_946
; %bb.941:                              ;   in Loop: Header=BB169_17 Depth=1
	v_cmp_gt_i16_sdwa s[52:53], v7, v39 src0_sel:BYTE_0 src1_sel:DWORD
                                        ; implicit-def: $vgpr54
	s_and_saveexec_b64 s[54:55], s[52:53]
	s_xor_b64 s[52:53], exec, s[54:55]
	s_cbranch_execz .LBB169_943
; %bb.942:                              ;   in Loop: Header=BB169_17 Depth=1
	flat_load_dwordx2 v[0:1], v[0:1]
	s_waitcnt vmcnt(0) lgkmcnt(0)
	v_cvt_f32_f64_e32 v54, v[0:1]
                                        ; implicit-def: $vgpr0_vgpr1
.LBB169_943:                            ;   in Loop: Header=BB169_17 Depth=1
	s_andn2_saveexec_b64 s[52:53], s[52:53]
	s_cbranch_execz .LBB169_945
; %bb.944:                              ;   in Loop: Header=BB169_17 Depth=1
	s_waitcnt vmcnt(0) lgkmcnt(0)
	flat_load_dword v54, v[0:1]
.LBB169_945:                            ;   in Loop: Header=BB169_17 Depth=1
	s_or_b64 exec, exec, s[52:53]
                                        ; implicit-def: $vgpr0_vgpr1
.LBB169_946:                            ;   in Loop: Header=BB169_17 Depth=1
	s_andn2_saveexec_b64 s[50:51], s[50:51]
	s_cbranch_execz .LBB169_948
; %bb.947:                              ;   in Loop: Header=BB169_17 Depth=1
	flat_load_ushort v0, v[0:1]
	s_waitcnt vmcnt(0) lgkmcnt(0)
	v_cvt_f32_f16_e32 v54, v0
.LBB169_948:                            ;   in Loop: Header=BB169_17 Depth=1
	s_or_b64 exec, exec, s[50:51]
.LBB169_949:                            ;   in Loop: Header=BB169_17 Depth=1
	s_or_b64 exec, exec, s[48:49]
                                        ; implicit-def: $vgpr0_vgpr1
.LBB169_950:                            ;   in Loop: Header=BB169_17 Depth=1
	s_andn2_saveexec_b64 s[46:47], s[46:47]
	s_cbranch_execz .LBB169_968
; %bb.951:                              ;   in Loop: Header=BB169_17 Depth=1
	v_cmp_gt_i16_sdwa s[48:49], v7, v48 src0_sel:BYTE_0 src1_sel:DWORD
                                        ; implicit-def: $vgpr54
	s_and_saveexec_b64 s[50:51], s[48:49]
	s_xor_b64 s[48:49], exec, s[50:51]
	s_cbranch_execz .LBB169_961
; %bb.952:                              ;   in Loop: Header=BB169_17 Depth=1
	v_cmp_gt_i16_sdwa s[50:51], v7, v49 src0_sel:BYTE_0 src1_sel:DWORD
                                        ; implicit-def: $vgpr54
	s_and_saveexec_b64 s[52:53], s[50:51]
	s_xor_b64 s[50:51], exec, s[52:53]
	s_cbranch_execz .LBB169_958
; %bb.953:                              ;   in Loop: Header=BB169_17 Depth=1
	v_cmp_gt_i16_sdwa s[52:53], v7, v50 src0_sel:BYTE_0 src1_sel:DWORD
                                        ; implicit-def: $vgpr54
	s_and_saveexec_b64 s[54:55], s[52:53]
	s_xor_b64 s[52:53], exec, s[54:55]
	s_cbranch_execz .LBB169_955
; %bb.954:                              ;   in Loop: Header=BB169_17 Depth=1
	flat_load_dwordx2 v[0:1], v[0:1]
	s_waitcnt vmcnt(0) lgkmcnt(0)
	v_xor_b32_e32 v54, v0, v1
	v_ffbh_i32_e32 v53, v1
	v_ashrrev_i32_e32 v54, 31, v54
	v_add_u32_e32 v53, -1, v53
	v_add_u32_e32 v54, 32, v54
	v_min_u32_e32 v53, v53, v54
	v_lshlrev_b64 v[0:1], v53, v[0:1]
	v_min_u32_e32 v0, 1, v0
	v_or_b32_e32 v0, v1, v0
	v_cvt_f32_i32_e32 v0, v0
	v_sub_u32_e32 v1, 32, v53
	v_ldexp_f32 v54, v0, v1
                                        ; implicit-def: $vgpr0_vgpr1
.LBB169_955:                            ;   in Loop: Header=BB169_17 Depth=1
	s_andn2_saveexec_b64 s[52:53], s[52:53]
	s_cbranch_execz .LBB169_957
; %bb.956:                              ;   in Loop: Header=BB169_17 Depth=1
	flat_load_dword v0, v[0:1]
	s_waitcnt vmcnt(0) lgkmcnt(0)
	v_cvt_f32_i32_e32 v54, v0
.LBB169_957:                            ;   in Loop: Header=BB169_17 Depth=1
	s_or_b64 exec, exec, s[52:53]
                                        ; implicit-def: $vgpr0_vgpr1
.LBB169_958:                            ;   in Loop: Header=BB169_17 Depth=1
	s_andn2_saveexec_b64 s[50:51], s[50:51]
	s_cbranch_execz .LBB169_960
; %bb.959:                              ;   in Loop: Header=BB169_17 Depth=1
	flat_load_sshort v0, v[0:1]
	s_waitcnt vmcnt(0) lgkmcnt(0)
	v_cvt_f32_i32_e32 v54, v0
.LBB169_960:                            ;   in Loop: Header=BB169_17 Depth=1
	s_or_b64 exec, exec, s[50:51]
                                        ; implicit-def: $vgpr0_vgpr1
.LBB169_961:                            ;   in Loop: Header=BB169_17 Depth=1
	s_andn2_saveexec_b64 s[48:49], s[48:49]
	s_cbranch_execz .LBB169_967
; %bb.962:                              ;   in Loop: Header=BB169_17 Depth=1
	v_cmp_gt_i16_sdwa s[50:51], v7, v6 src0_sel:BYTE_0 src1_sel:DWORD
                                        ; implicit-def: $vgpr54
	s_and_saveexec_b64 s[52:53], s[50:51]
	s_xor_b64 s[50:51], exec, s[52:53]
	s_cbranch_execz .LBB169_964
; %bb.963:                              ;   in Loop: Header=BB169_17 Depth=1
	flat_load_sbyte v0, v[0:1]
	s_waitcnt vmcnt(0) lgkmcnt(0)
	v_cvt_f32_i32_e32 v54, v0
                                        ; implicit-def: $vgpr0_vgpr1
.LBB169_964:                            ;   in Loop: Header=BB169_17 Depth=1
	s_andn2_saveexec_b64 s[50:51], s[50:51]
	s_cbranch_execz .LBB169_966
; %bb.965:                              ;   in Loop: Header=BB169_17 Depth=1
	flat_load_ubyte v0, v[0:1]
	s_waitcnt vmcnt(0) lgkmcnt(0)
	v_cvt_f32_ubyte0_e32 v54, v0
.LBB169_966:                            ;   in Loop: Header=BB169_17 Depth=1
	s_or_b64 exec, exec, s[50:51]
.LBB169_967:                            ;   in Loop: Header=BB169_17 Depth=1
	s_or_b64 exec, exec, s[48:49]
.LBB169_968:                            ;   in Loop: Header=BB169_17 Depth=1
	s_or_b64 exec, exec, s[46:47]
	s_andn2_b64 s[38:39], s[38:39], exec
	s_andn2_b64 s[36:37], s[36:37], exec
	s_or_b64 vcc, vcc, exec
	s_or_b64 exec, exec, s[44:45]
	s_mov_b64 s[46:47], 0
	s_and_saveexec_b64 s[44:45], vcc
	s_cbranch_execz .LBB169_974
.LBB169_969:                            ;   in Loop: Header=BB169_17 Depth=1
	v_mul_lo_u32 v0, v52, v10
	v_readlane_b32 s46, v78, 0
	v_add_co_u32_e32 v0, vcc, v4, v0
	v_add_u32_e32 v53, s46, v11
	v_addc_co_u32_e32 v1, vcc, 0, v5, vcc
	v_cmp_gt_i16_sdwa s[46:47], v8, v12 src0_sel:BYTE_0 src1_sel:DWORD
	s_mov_b64 s[50:51], 0
	s_waitcnt vmcnt(0) lgkmcnt(0)
	buffer_store_dword v54, v53, s[0:3], 0 offen offset:36
                                        ; implicit-def: $vcc
                                        ; implicit-def: $sgpr48_sgpr49
                                        ; implicit-def: $vgpr52
	s_and_saveexec_b64 s[52:53], s[46:47]
	s_xor_b64 s[46:47], exec, s[52:53]
	s_cbranch_execnz .LBB169_992
; %bb.970:                              ;   in Loop: Header=BB169_17 Depth=1
	s_andn2_saveexec_b64 s[46:47], s[46:47]
	s_cbranch_execnz .LBB169_1051
.LBB169_971:                            ;   in Loop: Header=BB169_17 Depth=1
	s_or_b64 exec, exec, s[46:47]
	s_mov_b64 s[46:47], 0
	s_and_saveexec_b64 s[52:53], s[50:51]
	s_cbranch_execz .LBB169_973
.LBB169_972:                            ;   in Loop: Header=BB169_17 Depth=1
	s_mov_b64 s[46:47], exec
	v_add_u32_e32 v51, 0x200, v51
	s_andn2_b64 s[48:49], s[48:49], exec
	s_andn2_b64 vcc, vcc, exec
	s_waitcnt vmcnt(0) lgkmcnt(0)
	buffer_store_dword v52, v53, s[0:3], 0 offen offset:32
.LBB169_973:                            ;   in Loop: Header=BB169_17 Depth=1
	s_or_b64 exec, exec, s[52:53]
	s_andn2_b64 s[38:39], s[38:39], exec
	s_and_b64 s[48:49], s[48:49], exec
	s_andn2_b64 s[36:37], s[36:37], exec
	s_and_b64 vcc, vcc, exec
	s_or_b64 s[38:39], s[38:39], s[48:49]
	s_or_b64 s[36:37], s[36:37], vcc
	s_and_b64 s[46:47], s[46:47], exec
.LBB169_974:                            ;   in Loop: Header=BB169_17 Depth=1
	s_or_b64 exec, exec, s[44:45]
	s_and_b64 s[38:39], s[38:39], exec
	s_and_b64 s[36:37], s[36:37], exec
	s_orn2_b64 s[44:45], s[46:47], exec
.LBB169_975:                            ;   in Loop: Header=BB169_17 Depth=1
	s_or_b64 exec, exec, s[40:41]
	s_and_saveexec_b64 s[40:41], s[44:45]
	s_cbranch_execz .LBB169_12
; %bb.976:                              ;   in Loop: Header=BB169_17 Depth=1
	v_cmp_lt_i32_e32 vcc, v51, v72
	s_mov_b64 s[48:49], -1
	s_mov_b64 s[50:51], -1
                                        ; implicit-def: $sgpr42_sgpr43
                                        ; implicit-def: $sgpr44_sgpr45
	s_and_saveexec_b64 s[46:47], vcc
	s_cbranch_execz .LBB169_1198
; %bb.977:                              ;   in Loop: Header=BB169_17 Depth=1
	v_readlane_b32 vcc_lo, v78, 1
	s_waitcnt vmcnt(0) lgkmcnt(0)
	v_add_u32_e32 v52, vcc_lo, v51
	v_mul_lo_u32 v0, v52, v9
	v_add_co_u32_e32 v0, vcc, v2, v0
	v_addc_co_u32_e32 v1, vcc, 0, v3, vcc
	v_cmp_gt_i16_sdwa s[50:51], v7, v12 src0_sel:BYTE_0 src1_sel:DWORD
	s_mov_b64 vcc, 0
                                        ; implicit-def: $sgpr42_sgpr43
                                        ; implicit-def: $sgpr44_sgpr45
                                        ; implicit-def: $vgpr54
	s_and_saveexec_b64 s[52:53], s[50:51]
	s_xor_b64 s[50:51], exec, s[52:53]
	s_cbranch_execnz .LBB169_1092
; %bb.978:                              ;   in Loop: Header=BB169_17 Depth=1
	s_andn2_saveexec_b64 s[50:51], s[50:51]
	s_cbranch_execnz .LBB169_1151
.LBB169_979:                            ;   in Loop: Header=BB169_17 Depth=1
	s_or_b64 exec, exec, s[50:51]
	s_mov_b64 s[52:53], 0
	s_and_saveexec_b64 s[50:51], vcc
	s_cbranch_execnz .LBB169_1192
	s_branch .LBB169_1197
.LBB169_980:                            ;   in Loop: Header=BB169_17 Depth=1
	s_movk_i32 vcc_lo, 0x80
	v_cmp_eq_u16_e32 vcc, vcc_lo, v0
	s_mov_b64 s[36:37], -1
                                        ; implicit-def: $sgpr42
	s_and_saveexec_b64 s[40:41], vcc
; %bb.981:                              ;   in Loop: Header=BB169_17 Depth=1
	s_mov_b32 s42, 0x7f800001
	s_xor_b64 s[36:37], exec, -1
; %bb.982:                              ;   in Loop: Header=BB169_17 Depth=1
	s_or_b64 exec, exec, s[40:41]
	s_and_b64 s[36:37], s[36:37], exec
	s_or_saveexec_b64 s[38:39], s[38:39]
	v_mov_b32_e32 v54, s42
	s_xor_b64 exec, exec, s[38:39]
	s_cbranch_execz .LBB169_59
.LBB169_983:                            ;   in Loop: Header=BB169_17 Depth=1
	v_cmp_ne_u16_e32 vcc, 0, v0
	s_andn2_b64 s[36:37], s[36:37], exec
	s_and_b64 vcc, vcc, exec
	v_mov_b32_e32 v54, 0
	s_or_b64 s[36:37], s[36:37], vcc
	s_or_b64 exec, exec, s[38:39]
	s_and_saveexec_b64 s[38:39], s[36:37]
	s_cbranch_execnz .LBB169_60
	s_branch .LBB169_61
.LBB169_984:                            ;   in Loop: Header=BB169_17 Depth=1
	s_movk_i32 vcc_lo, 0x80
	v_cmp_eq_u16_e32 vcc, vcc_lo, v0
	s_mov_b64 s[40:41], -1
                                        ; implicit-def: $sgpr46
	s_and_saveexec_b64 s[44:45], vcc
; %bb.985:                              ;   in Loop: Header=BB169_17 Depth=1
	s_mov_b32 s46, 0x7f800001
	s_xor_b64 s[40:41], exec, -1
; %bb.986:                              ;   in Loop: Header=BB169_17 Depth=1
	s_or_b64 exec, exec, s[44:45]
	s_and_b64 s[40:41], s[40:41], exec
	s_or_saveexec_b64 s[42:43], s[42:43]
	v_mov_b32_e32 v52, s46
	s_xor_b64 exec, exec, s[42:43]
	s_cbranch_execz .LBB169_159
.LBB169_987:                            ;   in Loop: Header=BB169_17 Depth=1
	v_cmp_ne_u16_e32 vcc, 0, v0
	s_andn2_b64 s[40:41], s[40:41], exec
	s_and_b64 vcc, vcc, exec
	v_mov_b32_e32 v52, 0
	s_or_b64 s[40:41], s[40:41], vcc
	s_or_b64 exec, exec, s[42:43]
	s_and_saveexec_b64 s[42:43], s[40:41]
	s_cbranch_execnz .LBB169_160
	s_branch .LBB169_161
.LBB169_988:                            ;   in Loop: Header=BB169_17 Depth=1
	s_movk_i32 vcc_lo, 0x80
	v_cmp_eq_u16_e32 vcc, vcc_lo, v0
	s_mov_b64 s[36:37], -1
                                        ; implicit-def: $sgpr42
	s_and_saveexec_b64 s[40:41], vcc
; %bb.989:                              ;   in Loop: Header=BB169_17 Depth=1
	s_mov_b32 s42, 0x7f800001
	s_xor_b64 s[36:37], exec, -1
; %bb.990:                              ;   in Loop: Header=BB169_17 Depth=1
	s_or_b64 exec, exec, s[40:41]
	s_and_b64 s[36:37], s[36:37], exec
	s_or_saveexec_b64 s[38:39], s[38:39]
	v_mov_b32_e32 v54, s42
	s_xor_b64 exec, exec, s[38:39]
	s_cbranch_execz .LBB169_259
.LBB169_991:                            ;   in Loop: Header=BB169_17 Depth=1
	v_cmp_ne_u16_e32 vcc, 0, v0
	s_andn2_b64 s[36:37], s[36:37], exec
	s_and_b64 vcc, vcc, exec
	v_mov_b32_e32 v54, 0
	s_or_b64 s[36:37], s[36:37], vcc
	s_or_b64 exec, exec, s[38:39]
	s_and_saveexec_b64 s[38:39], s[36:37]
	s_cbranch_execnz .LBB169_260
	s_branch .LBB169_261
.LBB169_992:                            ;   in Loop: Header=BB169_17 Depth=1
	v_cmp_gt_i16_sdwa vcc, v8, v13 src0_sel:BYTE_0 src1_sel:DWORD
                                        ; implicit-def: $sgpr52_sgpr53
                                        ; implicit-def: $sgpr54_sgpr55
                                        ; implicit-def: $vgpr52
	s_and_saveexec_b64 s[48:49], vcc
	s_xor_b64 s[48:49], exec, s[48:49]
	s_cbranch_execz .LBB169_1024
; %bb.993:                              ;   in Loop: Header=BB169_17 Depth=1
	v_cmp_gt_i16_sdwa vcc, v8, v14 src0_sel:BYTE_0 src1_sel:DWORD
                                        ; implicit-def: $sgpr52_sgpr53
                                        ; implicit-def: $sgpr56_sgpr57
                                        ; implicit-def: $vgpr52
	s_and_saveexec_b64 s[54:55], vcc
	s_xor_b64 s[54:55], exec, s[54:55]
	s_cbranch_execz .LBB169_1009
; %bb.994:                              ;   in Loop: Header=BB169_17 Depth=1
	v_cmp_gt_i16_sdwa s[50:51], v8, v15 src0_sel:BYTE_0 src1_sel:DWORD
	s_mov_b64 s[58:59], 0
                                        ; implicit-def: $vcc
                                        ; implicit-def: $sgpr56_sgpr57
                                        ; implicit-def: $vgpr52
	s_and_saveexec_b64 s[52:53], s[50:51]
	s_xor_b64 s[50:51], exec, s[52:53]
	s_cbranch_execz .LBB169_1004
; %bb.995:                              ;   in Loop: Header=BB169_17 Depth=1
	v_cmp_gt_i16_sdwa vcc, v8, v16 src0_sel:BYTE_0 src1_sel:DWORD
                                        ; implicit-def: $sgpr56_sgpr57
                                        ; implicit-def: $sgpr52_sgpr53
                                        ; implicit-def: $vgpr52
	s_and_saveexec_b64 s[60:61], vcc
	s_xor_b64 vcc, exec, s[60:61]
	s_cbranch_execz .LBB169_999
; %bb.996:                              ;   in Loop: Header=BB169_17 Depth=1
	v_cmp_eq_u16_sdwa s[60:61], v8, v17 src0_sel:BYTE_0 src1_sel:DWORD
	s_mov_b64 s[52:53], 0
                                        ; implicit-def: $vgpr52
	s_and_saveexec_b64 s[56:57], s[60:61]
	s_cbranch_execz .LBB169_998
; %bb.997:                              ;   in Loop: Header=BB169_17 Depth=1
	flat_load_dword v0, v[0:1]
	s_mov_b64 s[58:59], exec
	s_waitcnt vmcnt(0) lgkmcnt(0)
	v_lshlrev_b32_e32 v52, 16, v0
.LBB169_998:                            ;   in Loop: Header=BB169_17 Depth=1
	s_or_b64 exec, exec, s[56:57]
	s_mov_b64 s[56:57], -1
	s_and_b64 s[58:59], s[58:59], exec
                                        ; implicit-def: $vgpr0_vgpr1
.LBB169_999:                            ;   in Loop: Header=BB169_17 Depth=1
	s_andn2_saveexec_b64 s[60:61], vcc
	s_cbranch_execz .LBB169_1003
; %bb.1000:                             ;   in Loop: Header=BB169_17 Depth=1
	v_cmp_eq_u16_sdwa s[64:65], v8, v18 src0_sel:BYTE_0 src1_sel:DWORD
	s_mov_b64 vcc, s[58:59]
                                        ; implicit-def: $vgpr52
	s_and_saveexec_b64 s[62:63], s[64:65]
	s_cbranch_execz .LBB169_1002
; %bb.1001:                             ;   in Loop: Header=BB169_17 Depth=1
	flat_load_ubyte v0, v[0:1]
	s_movk_i32 vcc_lo, 0xff
	s_waitcnt vmcnt(0) lgkmcnt(0)
	v_lshlrev_b32_e32 v1, 23, v0
	v_cmp_ne_u32_e32 vcc, vcc_lo, v0
	v_cndmask_b32_e32 v1, v19, v1, vcc
	v_cmp_ne_u32_e32 vcc, 0, v0
	v_cndmask_b32_e32 v52, v20, v1, vcc
	s_or_b64 vcc, s[58:59], exec
.LBB169_1002:                           ;   in Loop: Header=BB169_17 Depth=1
	s_or_b64 exec, exec, s[62:63]
	s_andn2_b64 s[58:59], s[58:59], exec
	s_and_b64 vcc, vcc, exec
	s_or_b64 s[56:57], s[56:57], exec
	s_andn2_b64 s[52:53], s[52:53], exec
	s_or_b64 s[58:59], s[58:59], vcc
.LBB169_1003:                           ;   in Loop: Header=BB169_17 Depth=1
	s_or_b64 exec, exec, s[60:61]
	s_and_b64 s[56:57], s[56:57], exec
	s_and_b64 vcc, s[52:53], exec
	s_and_b64 s[58:59], s[58:59], exec
                                        ; implicit-def: $vgpr0_vgpr1
.LBB169_1004:                           ;   in Loop: Header=BB169_17 Depth=1
	s_andn2_saveexec_b64 s[50:51], s[50:51]
	s_cbranch_execz .LBB169_1008
; %bb.1005:                             ;   in Loop: Header=BB169_17 Depth=1
	v_cmp_eq_u16_sdwa s[62:63], v8, v21 src0_sel:BYTE_0 src1_sel:DWORD
	s_mov_b64 s[60:61], s[58:59]
                                        ; implicit-def: $vgpr52
	s_and_saveexec_b64 s[52:53], s[62:63]
	s_cbranch_execz .LBB169_1007
; %bb.1006:                             ;   in Loop: Header=BB169_17 Depth=1
	flat_load_dwordx2 v[0:1], v[0:1]
	s_or_b64 s[60:61], s[58:59], exec
	s_waitcnt vmcnt(0) lgkmcnt(0)
	v_ffbh_u32_e32 v52, v1
	v_min_u32_e32 v52, 32, v52
	v_lshlrev_b64 v[0:1], v52, v[0:1]
	v_min_u32_e32 v0, 1, v0
	v_or_b32_e32 v0, v1, v0
	v_cvt_f32_u32_e32 v0, v0
	v_sub_u32_e32 v1, 32, v52
	v_ldexp_f32 v52, v0, v1
.LBB169_1007:                           ;   in Loop: Header=BB169_17 Depth=1
	s_or_b64 exec, exec, s[52:53]
	s_andn2_b64 s[52:53], s[58:59], exec
	s_and_b64 s[58:59], s[60:61], exec
	s_or_b64 s[56:57], s[56:57], exec
	s_andn2_b64 vcc, vcc, exec
	s_or_b64 s[58:59], s[52:53], s[58:59]
.LBB169_1008:                           ;   in Loop: Header=BB169_17 Depth=1
	s_or_b64 exec, exec, s[50:51]
	s_and_b64 s[56:57], s[56:57], exec
	s_and_b64 s[52:53], vcc, exec
	s_and_b64 s[50:51], s[58:59], exec
                                        ; implicit-def: $vgpr0_vgpr1
.LBB169_1009:                           ;   in Loop: Header=BB169_17 Depth=1
	s_andn2_saveexec_b64 s[54:55], s[54:55]
	s_cbranch_execz .LBB169_1023
; %bb.1010:                             ;   in Loop: Header=BB169_17 Depth=1
	v_cmp_gt_i16_sdwa vcc, v8, v22 src0_sel:BYTE_0 src1_sel:DWORD
                                        ; implicit-def: $vgpr52
	s_and_saveexec_b64 s[58:59], vcc
	s_xor_b64 vcc, exec, s[58:59]
	s_cbranch_execz .LBB169_1016
; %bb.1011:                             ;   in Loop: Header=BB169_17 Depth=1
	v_cmp_gt_i16_sdwa s[58:59], v8, v23 src0_sel:BYTE_0 src1_sel:DWORD
                                        ; implicit-def: $vgpr52
	s_and_saveexec_b64 s[60:61], s[58:59]
	s_xor_b64 s[58:59], exec, s[60:61]
	s_cbranch_execz .LBB169_1013
; %bb.1012:                             ;   in Loop: Header=BB169_17 Depth=1
	flat_load_dword v0, v[0:1]
	s_waitcnt vmcnt(0) lgkmcnt(0)
	v_cvt_f32_u32_e32 v52, v0
                                        ; implicit-def: $vgpr0_vgpr1
.LBB169_1013:                           ;   in Loop: Header=BB169_17 Depth=1
	s_andn2_saveexec_b64 s[58:59], s[58:59]
	s_cbranch_execz .LBB169_1015
; %bb.1014:                             ;   in Loop: Header=BB169_17 Depth=1
	flat_load_ushort v0, v[0:1]
	s_waitcnt vmcnt(0) lgkmcnt(0)
	v_cvt_f32_u32_e32 v52, v0
.LBB169_1015:                           ;   in Loop: Header=BB169_17 Depth=1
	s_or_b64 exec, exec, s[58:59]
                                        ; implicit-def: $vgpr0_vgpr1
.LBB169_1016:                           ;   in Loop: Header=BB169_17 Depth=1
	s_andn2_saveexec_b64 s[58:59], vcc
	s_cbranch_execz .LBB169_1022
; %bb.1017:                             ;   in Loop: Header=BB169_17 Depth=1
	flat_load_ubyte v0, v[0:1]
	s_movk_i32 vcc_lo, 0x7f
	s_mov_b64 s[60:61], 0
                                        ; implicit-def: $sgpr66
	s_waitcnt vmcnt(0) lgkmcnt(0)
	v_cmp_lt_i16_e32 vcc, vcc_lo, v0
	s_and_saveexec_b64 s[62:63], vcc
	s_xor_b64 s[62:63], exec, s[62:63]
	s_cbranch_execnz .LBB169_1892
; %bb.1018:                             ;   in Loop: Header=BB169_17 Depth=1
	s_or_saveexec_b64 s[62:63], s[62:63]
	v_mov_b32_e32 v52, s66
	s_xor_b64 exec, exec, s[62:63]
	s_cbranch_execnz .LBB169_1895
.LBB169_1019:                           ;   in Loop: Header=BB169_17 Depth=1
	s_or_b64 exec, exec, s[62:63]
	s_and_saveexec_b64 s[62:63], s[60:61]
	s_cbranch_execz .LBB169_1021
.LBB169_1020:                           ;   in Loop: Header=BB169_17 Depth=1
	v_lshlrev_b32_e32 v1, 24, v0
	v_and_b32_e32 v0, 0xffff, v0
	v_and_b32_e32 v52, 7, v0
	v_ffbh_u32_e32 v55, v52
	v_min_u32_e32 v55, 32, v55
	v_subrev_u32_e32 v64, 28, v55
	v_bfe_u32 v54, v0, 3, 4
	v_lshlrev_b32_e32 v0, v64, v0
	v_sub_u32_e32 v55, 29, v55
	v_and_b32_e32 v0, 7, v0
	v_cmp_eq_u32_e32 vcc, 0, v54
	v_cndmask_b32_e32 v54, v54, v55, vcc
	v_cndmask_b32_e32 v0, v52, v0, vcc
	v_lshlrev_b32_e32 v0, 20, v0
	v_and_b32_e32 v1, 0x80000000, v1
	v_lshl_add_u32 v52, v54, 23, v24
	v_or3_b32 v52, v1, v52, v0
.LBB169_1021:                           ;   in Loop: Header=BB169_17 Depth=1
	s_or_b64 exec, exec, s[62:63]
.LBB169_1022:                           ;   in Loop: Header=BB169_17 Depth=1
	s_or_b64 exec, exec, s[58:59]
	s_andn2_b64 s[56:57], s[56:57], exec
	s_andn2_b64 s[52:53], s[52:53], exec
	s_or_b64 s[50:51], s[50:51], exec
.LBB169_1023:                           ;   in Loop: Header=BB169_17 Depth=1
	s_or_b64 exec, exec, s[54:55]
	s_and_b64 s[54:55], s[56:57], exec
	s_and_b64 s[52:53], s[52:53], exec
	;; [unrolled: 1-line block ×3, first 2 shown]
                                        ; implicit-def: $vgpr0_vgpr1
.LBB169_1024:                           ;   in Loop: Header=BB169_17 Depth=1
	s_andn2_saveexec_b64 s[48:49], s[48:49]
	s_cbranch_execz .LBB169_1050
; %bb.1025:                             ;   in Loop: Header=BB169_17 Depth=1
	v_cmp_gt_i16_sdwa vcc, v8, v25 src0_sel:BYTE_0 src1_sel:DWORD
	s_mov_b64 s[58:59], s[50:51]
                                        ; implicit-def: $vgpr52
	s_and_saveexec_b64 s[56:57], vcc
	s_xor_b64 s[56:57], exec, s[56:57]
	s_cbranch_execz .LBB169_1039
; %bb.1026:                             ;   in Loop: Header=BB169_17 Depth=1
	v_cmp_gt_i16_sdwa vcc, v8, v26 src0_sel:BYTE_0 src1_sel:DWORD
                                        ; implicit-def: $vgpr52
	s_and_saveexec_b64 s[58:59], vcc
	s_xor_b64 s[58:59], exec, s[58:59]
	s_cbranch_execz .LBB169_1036
; %bb.1027:                             ;   in Loop: Header=BB169_17 Depth=1
	v_cmp_gt_i16_sdwa vcc, v8, v27 src0_sel:BYTE_0 src1_sel:DWORD
                                        ; implicit-def: $vgpr52
	s_and_saveexec_b64 s[60:61], vcc
	s_xor_b64 s[60:61], exec, s[60:61]
	s_cbranch_execz .LBB169_1033
; %bb.1028:                             ;   in Loop: Header=BB169_17 Depth=1
	flat_load_ubyte v0, v[0:1]
	s_movk_i32 vcc_lo, 0x7f
	s_mov_b64 s[62:63], 0
                                        ; implicit-def: $sgpr68
	s_waitcnt vmcnt(0) lgkmcnt(0)
	v_cmp_lt_i16_e32 vcc, vcc_lo, v0
	s_and_saveexec_b64 s[64:65], vcc
	s_xor_b64 s[64:65], exec, s[64:65]
	s_cbranch_execnz .LBB169_2111
; %bb.1029:                             ;   in Loop: Header=BB169_17 Depth=1
	s_or_saveexec_b64 s[64:65], s[64:65]
	v_mov_b32_e32 v52, s68
	s_xor_b64 exec, exec, s[64:65]
	s_cbranch_execnz .LBB169_2114
.LBB169_1030:                           ;   in Loop: Header=BB169_17 Depth=1
	s_or_b64 exec, exec, s[64:65]
	s_and_saveexec_b64 s[64:65], s[62:63]
	s_cbranch_execz .LBB169_1032
.LBB169_1031:                           ;   in Loop: Header=BB169_17 Depth=1
	v_lshlrev_b32_e32 v1, 24, v0
	v_and_b32_e32 v0, 0xffff, v0
	v_and_b32_e32 v52, 3, v0
	v_ffbh_u32_e32 v55, v52
	v_min_u32_e32 v55, 32, v55
	v_subrev_u32_e32 v64, 29, v55
	v_bfe_u32 v54, v0, 2, 5
	v_lshlrev_b32_e32 v0, v64, v0
	v_sub_u32_e32 v55, 30, v55
	v_and_b32_e32 v0, 3, v0
	v_cmp_eq_u32_e32 vcc, 0, v54
	v_cndmask_b32_e32 v54, v54, v55, vcc
	v_cndmask_b32_e32 v0, v52, v0, vcc
	v_lshlrev_b32_e32 v0, 21, v0
	v_and_b32_e32 v1, 0x80000000, v1
	v_lshl_add_u32 v52, v54, 23, v28
	v_or3_b32 v52, v1, v52, v0
.LBB169_1032:                           ;   in Loop: Header=BB169_17 Depth=1
	s_or_b64 exec, exec, s[64:65]
                                        ; implicit-def: $vgpr0_vgpr1
.LBB169_1033:                           ;   in Loop: Header=BB169_17 Depth=1
	s_andn2_saveexec_b64 s[60:61], s[60:61]
	s_cbranch_execz .LBB169_1035
; %bb.1034:                             ;   in Loop: Header=BB169_17 Depth=1
	flat_load_ubyte v0, v[0:1]
	s_mov_b32 vcc_lo, 0x7f800000
	s_waitcnt vmcnt(0) lgkmcnt(0)
	v_lshlrev_b32_e32 v0, 24, v0
	v_and_b32_e32 v1, 0x7f000000, v0
	v_ffbh_u32_e32 v52, v1
	v_min_u32_e32 v52, 32, v52
	v_sub_u32_e64 v52, v52, 4 clamp
	v_lshlrev_b32_e32 v55, v52, v1
	v_lshlrev_b32_e32 v52, 23, v52
	v_lshrrev_b32_e32 v55, 4, v55
	v_add_u32_e32 v54, 0x1000000, v1
	v_sub_u32_e32 v52, v55, v52
	v_ashrrev_i32_e32 v54, 8, v54
	v_add_u32_e32 v52, 0x3c000000, v52
	v_and_or_b32 v52, v54, vcc_lo, v52
	v_cmp_ne_u32_e32 vcc, 0, v1
	v_cndmask_b32_e32 v1, 0, v52, vcc
	s_brev_b32 vcc_lo, 1
	v_and_or_b32 v52, v0, vcc_lo, v1
.LBB169_1035:                           ;   in Loop: Header=BB169_17 Depth=1
	s_or_b64 exec, exec, s[60:61]
                                        ; implicit-def: $vgpr0_vgpr1
.LBB169_1036:                           ;   in Loop: Header=BB169_17 Depth=1
	s_andn2_saveexec_b64 s[58:59], s[58:59]
	s_cbranch_execz .LBB169_1038
; %bb.1037:                             ;   in Loop: Header=BB169_17 Depth=1
	flat_load_ubyte v0, v[0:1]
	s_movk_i32 vcc_lo, 0x7f00
	s_waitcnt vmcnt(0) lgkmcnt(0)
	v_lshlrev_b16_e32 v1, 8, v0
	v_lshlrev_b32_e32 v0, 25, v0
	v_lshrrev_b32_e32 v52, 4, v0
	v_and_or_b32 v54, v1, vcc_lo, 0.5
	v_or_b32_e32 v52, 0x70000000, v52
	s_brev_b32 vcc_lo, 16
	v_add_f32_e32 v54, -0.5, v54
	v_mul_f32_e32 v52, 0x7800000, v52
	v_cmp_gt_u32_e32 vcc, vcc_lo, v0
	v_cndmask_b32_e32 v0, v52, v54, vcc
	v_bfe_i32 v1, v1, 0, 16
	s_brev_b32 vcc_lo, 1
	v_and_or_b32 v52, v1, vcc_lo, v0
.LBB169_1038:                           ;   in Loop: Header=BB169_17 Depth=1
	s_or_b64 exec, exec, s[58:59]
	s_or_b64 s[58:59], s[50:51], exec
                                        ; implicit-def: $vgpr0_vgpr1
.LBB169_1039:                           ;   in Loop: Header=BB169_17 Depth=1
	s_or_saveexec_b64 s[56:57], s[56:57]
                                        ; implicit-def: $vcc
                                        ; implicit-def: $sgpr64_sgpr65
	s_xor_b64 exec, exec, s[56:57]
	s_cbranch_execz .LBB169_1049
; %bb.1040:                             ;   in Loop: Header=BB169_17 Depth=1
	v_cmp_gt_i16_sdwa vcc, v8, v29 src0_sel:BYTE_0 src1_sel:DWORD
	s_mov_b64 s[62:63], s[58:59]
                                        ; implicit-def: $sgpr64_sgpr65
                                        ; implicit-def: $sgpr60_sgpr61
                                        ; implicit-def: $vgpr52
	s_and_saveexec_b64 s[66:67], vcc
	s_xor_b64 vcc, exec, s[66:67]
	s_cbranch_execz .LBB169_1044
; %bb.1041:                             ;   in Loop: Header=BB169_17 Depth=1
	v_cmp_eq_u16_sdwa s[64:65], v8, v32 src0_sel:BYTE_0 src1_sel:DWORD
	s_mov_b64 s[62:63], s[58:59]
                                        ; implicit-def: $vgpr52
	s_and_saveexec_b64 s[60:61], s[64:65]
	s_cbranch_execz .LBB169_1043
; %bb.1042:                             ;   in Loop: Header=BB169_17 Depth=1
	flat_load_ushort v0, v[0:1]
	s_or_b64 s[62:63], s[58:59], exec
	s_waitcnt vmcnt(0) lgkmcnt(0)
	v_lshlrev_b32_e32 v52, 16, v0
.LBB169_1043:                           ;   in Loop: Header=BB169_17 Depth=1
	s_or_b64 exec, exec, s[60:61]
	s_andn2_b64 s[66:67], s[58:59], exec
	s_and_b64 s[62:63], s[62:63], exec
	s_mov_b64 s[60:61], 0
	s_mov_b64 s[64:65], -1
	s_or_b64 s[62:63], s[66:67], s[62:63]
                                        ; implicit-def: $vgpr0_vgpr1
.LBB169_1044:                           ;   in Loop: Header=BB169_17 Depth=1
	s_andn2_saveexec_b64 s[66:67], vcc
	s_cbranch_execz .LBB169_1048
; %bb.1045:                             ;   in Loop: Header=BB169_17 Depth=1
	v_cmp_eq_u16_sdwa s[70:71], v8, v33 src0_sel:BYTE_0 src1_sel:DWORD
	s_mov_b64 vcc, s[62:63]
                                        ; implicit-def: $vgpr52
	s_and_saveexec_b64 s[68:69], s[70:71]
	s_cbranch_execz .LBB169_1047
; %bb.1046:                             ;   in Loop: Header=BB169_17 Depth=1
	flat_load_ubyte v0, v[0:1]
	s_waitcnt vmcnt(0) lgkmcnt(0)
	v_cmp_ne_u16_e32 vcc, 0, v0
	v_cndmask_b32_e64 v52, 0, 1.0, vcc
	s_or_b64 vcc, s[62:63], exec
.LBB169_1047:                           ;   in Loop: Header=BB169_17 Depth=1
	s_or_b64 exec, exec, s[68:69]
	s_andn2_b64 s[62:63], s[62:63], exec
	s_and_b64 vcc, vcc, exec
	s_or_b64 s[64:65], s[64:65], exec
	s_andn2_b64 s[60:61], s[60:61], exec
	s_or_b64 s[62:63], s[62:63], vcc
.LBB169_1048:                           ;   in Loop: Header=BB169_17 Depth=1
	s_or_b64 exec, exec, s[66:67]
	s_and_b64 vcc, s[60:61], exec
	s_andn2_b64 s[58:59], s[58:59], exec
	s_and_b64 s[60:61], s[62:63], exec
	s_and_b64 s[64:65], s[64:65], exec
	s_or_b64 s[58:59], s[58:59], s[60:61]
.LBB169_1049:                           ;   in Loop: Header=BB169_17 Depth=1
	s_or_b64 exec, exec, s[56:57]
	s_andn2_b64 s[52:53], s[52:53], exec
	s_and_b64 vcc, vcc, exec
	s_andn2_b64 s[54:55], s[54:55], exec
	s_and_b64 s[56:57], s[64:65], exec
	s_or_b64 s[52:53], s[52:53], vcc
	s_andn2_b64 vcc, s[50:51], exec
	s_and_b64 s[50:51], s[58:59], exec
	s_or_b64 s[54:55], s[54:55], s[56:57]
	s_or_b64 s[50:51], vcc, s[50:51]
.LBB169_1050:                           ;   in Loop: Header=BB169_17 Depth=1
	s_or_b64 exec, exec, s[48:49]
	s_and_b64 s[48:49], s[54:55], exec
	s_and_b64 vcc, s[52:53], exec
	s_and_b64 s[50:51], s[50:51], exec
                                        ; implicit-def: $vgpr0_vgpr1
	s_andn2_saveexec_b64 s[46:47], s[46:47]
	s_cbranch_execz .LBB169_971
.LBB169_1051:                           ;   in Loop: Header=BB169_17 Depth=1
	v_cmp_gt_i16_sdwa s[52:53], v8, v34 src0_sel:BYTE_0 src1_sel:DWORD
                                        ; implicit-def: $vgpr52
	s_and_saveexec_b64 s[54:55], s[52:53]
	s_xor_b64 s[52:53], exec, s[54:55]
	s_cbranch_execz .LBB169_1073
; %bb.1052:                             ;   in Loop: Header=BB169_17 Depth=1
	v_cmp_gt_i16_sdwa s[54:55], v8, v35 src0_sel:BYTE_0 src1_sel:DWORD
                                        ; implicit-def: $vgpr52
	s_and_saveexec_b64 s[56:57], s[54:55]
	s_xor_b64 s[54:55], exec, s[56:57]
	s_cbranch_execz .LBB169_1062
; %bb.1053:                             ;   in Loop: Header=BB169_17 Depth=1
	;; [unrolled: 6-line block ×4, first 2 shown]
	flat_load_dwordx2 v[0:1], v[0:1]
	s_waitcnt vmcnt(0) lgkmcnt(0)
	v_cvt_f32_f64_e32 v52, v[0:1]
                                        ; implicit-def: $vgpr0_vgpr1
.LBB169_1056:                           ;   in Loop: Header=BB169_17 Depth=1
	s_andn2_saveexec_b64 s[58:59], s[58:59]
	s_cbranch_execz .LBB169_1058
; %bb.1057:                             ;   in Loop: Header=BB169_17 Depth=1
	flat_load_dword v52, v[0:1]
.LBB169_1058:                           ;   in Loop: Header=BB169_17 Depth=1
	s_or_b64 exec, exec, s[58:59]
                                        ; implicit-def: $vgpr0_vgpr1
.LBB169_1059:                           ;   in Loop: Header=BB169_17 Depth=1
	s_andn2_saveexec_b64 s[56:57], s[56:57]
	s_cbranch_execz .LBB169_1061
; %bb.1060:                             ;   in Loop: Header=BB169_17 Depth=1
	flat_load_dword v0, v[0:1]
	s_waitcnt vmcnt(0) lgkmcnt(0)
	v_cvt_f32_f16_e32 v52, v0
.LBB169_1061:                           ;   in Loop: Header=BB169_17 Depth=1
	s_or_b64 exec, exec, s[56:57]
                                        ; implicit-def: $vgpr0_vgpr1
.LBB169_1062:                           ;   in Loop: Header=BB169_17 Depth=1
	s_andn2_saveexec_b64 s[54:55], s[54:55]
	s_cbranch_execz .LBB169_1072
; %bb.1063:                             ;   in Loop: Header=BB169_17 Depth=1
	v_cmp_gt_i16_sdwa s[56:57], v8, v38 src0_sel:BYTE_0 src1_sel:DWORD
                                        ; implicit-def: $vgpr52
	s_and_saveexec_b64 s[58:59], s[56:57]
	s_xor_b64 s[56:57], exec, s[58:59]
	s_cbranch_execz .LBB169_1069
; %bb.1064:                             ;   in Loop: Header=BB169_17 Depth=1
	v_cmp_gt_i16_sdwa s[58:59], v8, v39 src0_sel:BYTE_0 src1_sel:DWORD
                                        ; implicit-def: $vgpr52
	s_and_saveexec_b64 s[60:61], s[58:59]
	s_xor_b64 s[58:59], exec, s[60:61]
	s_cbranch_execz .LBB169_1066
; %bb.1065:                             ;   in Loop: Header=BB169_17 Depth=1
	flat_load_dwordx2 v[0:1], v[0:1]
	s_waitcnt vmcnt(0) lgkmcnt(0)
	v_cvt_f32_f64_e32 v52, v[0:1]
                                        ; implicit-def: $vgpr0_vgpr1
.LBB169_1066:                           ;   in Loop: Header=BB169_17 Depth=1
	s_andn2_saveexec_b64 s[58:59], s[58:59]
	s_cbranch_execz .LBB169_1068
; %bb.1067:                             ;   in Loop: Header=BB169_17 Depth=1
	s_waitcnt vmcnt(0) lgkmcnt(0)
	flat_load_dword v52, v[0:1]
.LBB169_1068:                           ;   in Loop: Header=BB169_17 Depth=1
	s_or_b64 exec, exec, s[58:59]
                                        ; implicit-def: $vgpr0_vgpr1
.LBB169_1069:                           ;   in Loop: Header=BB169_17 Depth=1
	s_andn2_saveexec_b64 s[56:57], s[56:57]
	s_cbranch_execz .LBB169_1071
; %bb.1070:                             ;   in Loop: Header=BB169_17 Depth=1
	flat_load_ushort v0, v[0:1]
	s_waitcnt vmcnt(0) lgkmcnt(0)
	v_cvt_f32_f16_e32 v52, v0
.LBB169_1071:                           ;   in Loop: Header=BB169_17 Depth=1
	s_or_b64 exec, exec, s[56:57]
.LBB169_1072:                           ;   in Loop: Header=BB169_17 Depth=1
	s_or_b64 exec, exec, s[54:55]
                                        ; implicit-def: $vgpr0_vgpr1
.LBB169_1073:                           ;   in Loop: Header=BB169_17 Depth=1
	s_andn2_saveexec_b64 s[52:53], s[52:53]
	s_cbranch_execz .LBB169_1091
; %bb.1074:                             ;   in Loop: Header=BB169_17 Depth=1
	v_cmp_gt_i16_sdwa s[54:55], v8, v48 src0_sel:BYTE_0 src1_sel:DWORD
                                        ; implicit-def: $vgpr52
	s_and_saveexec_b64 s[56:57], s[54:55]
	s_xor_b64 s[54:55], exec, s[56:57]
	s_cbranch_execz .LBB169_1084
; %bb.1075:                             ;   in Loop: Header=BB169_17 Depth=1
	v_cmp_gt_i16_sdwa s[56:57], v8, v49 src0_sel:BYTE_0 src1_sel:DWORD
                                        ; implicit-def: $vgpr52
	s_and_saveexec_b64 s[58:59], s[56:57]
	s_xor_b64 s[56:57], exec, s[58:59]
	s_cbranch_execz .LBB169_1081
; %bb.1076:                             ;   in Loop: Header=BB169_17 Depth=1
	v_cmp_gt_i16_sdwa s[58:59], v8, v50 src0_sel:BYTE_0 src1_sel:DWORD
                                        ; implicit-def: $vgpr52
	s_and_saveexec_b64 s[60:61], s[58:59]
	s_xor_b64 s[58:59], exec, s[60:61]
	s_cbranch_execz .LBB169_1078
; %bb.1077:                             ;   in Loop: Header=BB169_17 Depth=1
	flat_load_dwordx2 v[0:1], v[0:1]
	s_waitcnt vmcnt(0) lgkmcnt(0)
	v_xor_b32_e32 v54, v0, v1
	v_ffbh_i32_e32 v52, v1
	v_ashrrev_i32_e32 v54, 31, v54
	v_add_u32_e32 v52, -1, v52
	v_add_u32_e32 v54, 32, v54
	v_min_u32_e32 v52, v52, v54
	v_lshlrev_b64 v[0:1], v52, v[0:1]
	v_min_u32_e32 v0, 1, v0
	v_or_b32_e32 v0, v1, v0
	v_cvt_f32_i32_e32 v0, v0
	v_sub_u32_e32 v1, 32, v52
	v_ldexp_f32 v52, v0, v1
                                        ; implicit-def: $vgpr0_vgpr1
.LBB169_1078:                           ;   in Loop: Header=BB169_17 Depth=1
	s_andn2_saveexec_b64 s[58:59], s[58:59]
	s_cbranch_execz .LBB169_1080
; %bb.1079:                             ;   in Loop: Header=BB169_17 Depth=1
	flat_load_dword v0, v[0:1]
	s_waitcnt vmcnt(0) lgkmcnt(0)
	v_cvt_f32_i32_e32 v52, v0
.LBB169_1080:                           ;   in Loop: Header=BB169_17 Depth=1
	s_or_b64 exec, exec, s[58:59]
                                        ; implicit-def: $vgpr0_vgpr1
.LBB169_1081:                           ;   in Loop: Header=BB169_17 Depth=1
	s_andn2_saveexec_b64 s[56:57], s[56:57]
	s_cbranch_execz .LBB169_1083
; %bb.1082:                             ;   in Loop: Header=BB169_17 Depth=1
	flat_load_sshort v0, v[0:1]
	s_waitcnt vmcnt(0) lgkmcnt(0)
	v_cvt_f32_i32_e32 v52, v0
.LBB169_1083:                           ;   in Loop: Header=BB169_17 Depth=1
	s_or_b64 exec, exec, s[56:57]
                                        ; implicit-def: $vgpr0_vgpr1
.LBB169_1084:                           ;   in Loop: Header=BB169_17 Depth=1
	s_andn2_saveexec_b64 s[54:55], s[54:55]
	s_cbranch_execz .LBB169_1090
; %bb.1085:                             ;   in Loop: Header=BB169_17 Depth=1
	v_cmp_gt_i16_sdwa s[56:57], v8, v6 src0_sel:BYTE_0 src1_sel:DWORD
                                        ; implicit-def: $vgpr52
	s_and_saveexec_b64 s[58:59], s[56:57]
	s_xor_b64 s[56:57], exec, s[58:59]
	s_cbranch_execz .LBB169_1087
; %bb.1086:                             ;   in Loop: Header=BB169_17 Depth=1
	flat_load_sbyte v0, v[0:1]
	s_waitcnt vmcnt(0) lgkmcnt(0)
	v_cvt_f32_i32_e32 v52, v0
                                        ; implicit-def: $vgpr0_vgpr1
.LBB169_1087:                           ;   in Loop: Header=BB169_17 Depth=1
	s_andn2_saveexec_b64 s[56:57], s[56:57]
	s_cbranch_execz .LBB169_1089
; %bb.1088:                             ;   in Loop: Header=BB169_17 Depth=1
	flat_load_ubyte v0, v[0:1]
	s_waitcnt vmcnt(0) lgkmcnt(0)
	v_cvt_f32_ubyte0_e32 v52, v0
.LBB169_1089:                           ;   in Loop: Header=BB169_17 Depth=1
	s_or_b64 exec, exec, s[56:57]
.LBB169_1090:                           ;   in Loop: Header=BB169_17 Depth=1
	s_or_b64 exec, exec, s[54:55]
.LBB169_1091:                           ;   in Loop: Header=BB169_17 Depth=1
	s_or_b64 exec, exec, s[52:53]
	s_andn2_b64 s[48:49], s[48:49], exec
	s_andn2_b64 vcc, vcc, exec
	s_or_b64 s[50:51], s[50:51], exec
	s_or_b64 exec, exec, s[46:47]
	s_mov_b64 s[46:47], 0
	s_and_saveexec_b64 s[52:53], s[50:51]
	s_cbranch_execnz .LBB169_972
	s_branch .LBB169_973
.LBB169_1092:                           ;   in Loop: Header=BB169_17 Depth=1
	v_cmp_gt_i16_sdwa vcc, v7, v13 src0_sel:BYTE_0 src1_sel:DWORD
	s_mov_b64 s[52:53], 0
                                        ; implicit-def: $sgpr54_sgpr55
                                        ; implicit-def: $sgpr44_sgpr45
                                        ; implicit-def: $vgpr54
	s_and_saveexec_b64 s[42:43], vcc
	s_xor_b64 s[42:43], exec, s[42:43]
	s_cbranch_execz .LBB169_1124
; %bb.1093:                             ;   in Loop: Header=BB169_17 Depth=1
	v_cmp_gt_i16_sdwa vcc, v7, v14 src0_sel:BYTE_0 src1_sel:DWORD
                                        ; implicit-def: $sgpr54_sgpr55
                                        ; implicit-def: $sgpr56_sgpr57
                                        ; implicit-def: $vgpr54
	s_and_saveexec_b64 s[44:45], vcc
	s_xor_b64 s[44:45], exec, s[44:45]
	s_cbranch_execz .LBB169_1109
; %bb.1094:                             ;   in Loop: Header=BB169_17 Depth=1
	v_cmp_gt_i16_sdwa s[52:53], v7, v15 src0_sel:BYTE_0 src1_sel:DWORD
	s_mov_b64 s[58:59], 0
                                        ; implicit-def: $vcc
                                        ; implicit-def: $sgpr54_sgpr55
                                        ; implicit-def: $vgpr54
	s_and_saveexec_b64 s[56:57], s[52:53]
	s_xor_b64 s[52:53], exec, s[56:57]
	s_cbranch_execz .LBB169_1104
; %bb.1095:                             ;   in Loop: Header=BB169_17 Depth=1
	v_cmp_gt_i16_sdwa vcc, v7, v16 src0_sel:BYTE_0 src1_sel:DWORD
	s_mov_b64 s[56:57], 0
                                        ; implicit-def: $sgpr54_sgpr55
                                        ; implicit-def: $sgpr58_sgpr59
                                        ; implicit-def: $vgpr54
	s_and_saveexec_b64 s[60:61], vcc
	s_xor_b64 vcc, exec, s[60:61]
	s_cbranch_execz .LBB169_1099
; %bb.1096:                             ;   in Loop: Header=BB169_17 Depth=1
	v_cmp_eq_u16_sdwa s[60:61], v7, v17 src0_sel:BYTE_0 src1_sel:DWORD
	s_mov_b64 s[54:55], 0
                                        ; implicit-def: $vgpr54
	s_and_saveexec_b64 s[58:59], s[60:61]
	s_cbranch_execz .LBB169_1098
; %bb.1097:                             ;   in Loop: Header=BB169_17 Depth=1
	flat_load_dword v0, v[0:1]
	s_mov_b64 s[56:57], exec
	s_waitcnt vmcnt(0) lgkmcnt(0)
	v_lshlrev_b32_e32 v54, 16, v0
.LBB169_1098:                           ;   in Loop: Header=BB169_17 Depth=1
	s_or_b64 exec, exec, s[58:59]
	s_mov_b64 s[58:59], -1
	s_and_b64 s[56:57], s[56:57], exec
                                        ; implicit-def: $vgpr0_vgpr1
.LBB169_1099:                           ;   in Loop: Header=BB169_17 Depth=1
	s_andn2_saveexec_b64 s[60:61], vcc
	s_cbranch_execz .LBB169_1103
; %bb.1100:                             ;   in Loop: Header=BB169_17 Depth=1
	v_cmp_eq_u16_sdwa s[64:65], v7, v18 src0_sel:BYTE_0 src1_sel:DWORD
	s_mov_b64 vcc, s[56:57]
                                        ; implicit-def: $vgpr54
	s_and_saveexec_b64 s[62:63], s[64:65]
	s_cbranch_execz .LBB169_1102
; %bb.1101:                             ;   in Loop: Header=BB169_17 Depth=1
	flat_load_ubyte v0, v[0:1]
	s_movk_i32 vcc_lo, 0xff
	s_waitcnt vmcnt(0) lgkmcnt(0)
	v_lshlrev_b32_e32 v1, 23, v0
	v_cmp_ne_u32_e32 vcc, vcc_lo, v0
	v_cndmask_b32_e32 v1, v19, v1, vcc
	v_cmp_ne_u32_e32 vcc, 0, v0
	v_cndmask_b32_e32 v54, v20, v1, vcc
	s_or_b64 vcc, s[56:57], exec
.LBB169_1102:                           ;   in Loop: Header=BB169_17 Depth=1
	s_or_b64 exec, exec, s[62:63]
	s_andn2_b64 s[56:57], s[56:57], exec
	s_and_b64 vcc, vcc, exec
	s_andn2_b64 s[54:55], s[54:55], exec
	s_or_b64 s[58:59], s[58:59], exec
	s_or_b64 s[56:57], s[56:57], vcc
.LBB169_1103:                           ;   in Loop: Header=BB169_17 Depth=1
	s_or_b64 exec, exec, s[60:61]
	s_and_b64 s[54:55], s[54:55], exec
	s_and_b64 vcc, s[58:59], exec
	s_and_b64 s[58:59], s[56:57], exec
                                        ; implicit-def: $vgpr0_vgpr1
.LBB169_1104:                           ;   in Loop: Header=BB169_17 Depth=1
	s_andn2_saveexec_b64 s[52:53], s[52:53]
	s_cbranch_execz .LBB169_1108
; %bb.1105:                             ;   in Loop: Header=BB169_17 Depth=1
	v_cmp_eq_u16_sdwa s[62:63], v7, v21 src0_sel:BYTE_0 src1_sel:DWORD
	s_mov_b64 s[60:61], s[58:59]
                                        ; implicit-def: $vgpr54
	s_and_saveexec_b64 s[56:57], s[62:63]
	s_cbranch_execz .LBB169_1107
; %bb.1106:                             ;   in Loop: Header=BB169_17 Depth=1
	flat_load_dwordx2 v[0:1], v[0:1]
	s_or_b64 s[60:61], s[58:59], exec
	s_waitcnt vmcnt(0) lgkmcnt(0)
	v_ffbh_u32_e32 v53, v1
	v_min_u32_e32 v53, 32, v53
	v_lshlrev_b64 v[0:1], v53, v[0:1]
	v_min_u32_e32 v0, 1, v0
	v_or_b32_e32 v0, v1, v0
	v_cvt_f32_u32_e32 v0, v0
	v_sub_u32_e32 v1, 32, v53
	v_ldexp_f32 v54, v0, v1
.LBB169_1107:                           ;   in Loop: Header=BB169_17 Depth=1
	s_or_b64 exec, exec, s[56:57]
	s_andn2_b64 s[56:57], s[58:59], exec
	s_and_b64 s[58:59], s[60:61], exec
	s_andn2_b64 s[54:55], s[54:55], exec
	s_or_b64 vcc, vcc, exec
	s_or_b64 s[58:59], s[56:57], s[58:59]
.LBB169_1108:                           ;   in Loop: Header=BB169_17 Depth=1
	s_or_b64 exec, exec, s[52:53]
	s_and_b64 s[56:57], s[54:55], exec
	s_and_b64 s[54:55], vcc, exec
	s_and_b64 s[52:53], s[58:59], exec
                                        ; implicit-def: $vgpr0_vgpr1
.LBB169_1109:                           ;   in Loop: Header=BB169_17 Depth=1
	s_andn2_saveexec_b64 s[44:45], s[44:45]
	s_cbranch_execz .LBB169_1123
; %bb.1110:                             ;   in Loop: Header=BB169_17 Depth=1
	v_cmp_gt_i16_sdwa vcc, v7, v22 src0_sel:BYTE_0 src1_sel:DWORD
                                        ; implicit-def: $vgpr54
	s_and_saveexec_b64 s[58:59], vcc
	s_xor_b64 vcc, exec, s[58:59]
	s_cbranch_execz .LBB169_1116
; %bb.1111:                             ;   in Loop: Header=BB169_17 Depth=1
	v_cmp_gt_i16_sdwa s[58:59], v7, v23 src0_sel:BYTE_0 src1_sel:DWORD
                                        ; implicit-def: $vgpr54
	s_and_saveexec_b64 s[60:61], s[58:59]
	s_xor_b64 s[58:59], exec, s[60:61]
	s_cbranch_execz .LBB169_1113
; %bb.1112:                             ;   in Loop: Header=BB169_17 Depth=1
	flat_load_dword v0, v[0:1]
	s_waitcnt vmcnt(0) lgkmcnt(0)
	v_cvt_f32_u32_e32 v54, v0
                                        ; implicit-def: $vgpr0_vgpr1
.LBB169_1113:                           ;   in Loop: Header=BB169_17 Depth=1
	s_andn2_saveexec_b64 s[58:59], s[58:59]
	s_cbranch_execz .LBB169_1115
; %bb.1114:                             ;   in Loop: Header=BB169_17 Depth=1
	flat_load_ushort v0, v[0:1]
	s_waitcnt vmcnt(0) lgkmcnt(0)
	v_cvt_f32_u32_e32 v54, v0
.LBB169_1115:                           ;   in Loop: Header=BB169_17 Depth=1
	s_or_b64 exec, exec, s[58:59]
                                        ; implicit-def: $vgpr0_vgpr1
.LBB169_1116:                           ;   in Loop: Header=BB169_17 Depth=1
	s_andn2_saveexec_b64 s[58:59], vcc
	s_cbranch_execz .LBB169_1122
; %bb.1117:                             ;   in Loop: Header=BB169_17 Depth=1
	flat_load_ubyte v0, v[0:1]
	s_movk_i32 vcc_lo, 0x7f
	s_mov_b64 s[60:61], 0
                                        ; implicit-def: $sgpr66
	s_waitcnt vmcnt(0) lgkmcnt(0)
	v_cmp_lt_i16_e32 vcc, vcc_lo, v0
	s_and_saveexec_b64 s[62:63], vcc
	s_xor_b64 s[62:63], exec, s[62:63]
	s_cbranch_execnz .LBB169_1896
; %bb.1118:                             ;   in Loop: Header=BB169_17 Depth=1
	s_or_saveexec_b64 s[62:63], s[62:63]
	v_mov_b32_e32 v54, s66
	s_xor_b64 exec, exec, s[62:63]
	s_cbranch_execnz .LBB169_1899
.LBB169_1119:                           ;   in Loop: Header=BB169_17 Depth=1
	s_or_b64 exec, exec, s[62:63]
	s_and_saveexec_b64 s[62:63], s[60:61]
	s_cbranch_execz .LBB169_1121
.LBB169_1120:                           ;   in Loop: Header=BB169_17 Depth=1
	v_lshlrev_b32_e32 v1, 24, v0
	v_and_b32_e32 v0, 0xffff, v0
	v_and_b32_e32 v53, 7, v0
	v_ffbh_u32_e32 v55, v53
	v_min_u32_e32 v55, 32, v55
	v_subrev_u32_e32 v64, 28, v55
	v_bfe_u32 v54, v0, 3, 4
	v_lshlrev_b32_e32 v0, v64, v0
	v_sub_u32_e32 v55, 29, v55
	v_and_b32_e32 v0, 7, v0
	v_cmp_eq_u32_e32 vcc, 0, v54
	v_cndmask_b32_e32 v54, v54, v55, vcc
	v_cndmask_b32_e32 v0, v53, v0, vcc
	v_lshlrev_b32_e32 v0, 20, v0
	v_and_b32_e32 v1, 0x80000000, v1
	v_lshl_add_u32 v53, v54, 23, v24
	v_or3_b32 v54, v1, v53, v0
.LBB169_1121:                           ;   in Loop: Header=BB169_17 Depth=1
	s_or_b64 exec, exec, s[62:63]
.LBB169_1122:                           ;   in Loop: Header=BB169_17 Depth=1
	s_or_b64 exec, exec, s[58:59]
	s_andn2_b64 s[56:57], s[56:57], exec
	s_andn2_b64 s[54:55], s[54:55], exec
	s_or_b64 s[52:53], s[52:53], exec
.LBB169_1123:                           ;   in Loop: Header=BB169_17 Depth=1
	s_or_b64 exec, exec, s[44:45]
	s_and_b64 s[44:45], s[56:57], exec
	s_and_b64 s[54:55], s[54:55], exec
	;; [unrolled: 1-line block ×3, first 2 shown]
                                        ; implicit-def: $vgpr0_vgpr1
.LBB169_1124:                           ;   in Loop: Header=BB169_17 Depth=1
	s_andn2_saveexec_b64 s[42:43], s[42:43]
	s_cbranch_execz .LBB169_1150
; %bb.1125:                             ;   in Loop: Header=BB169_17 Depth=1
	v_cmp_gt_i16_sdwa vcc, v7, v25 src0_sel:BYTE_0 src1_sel:DWORD
	s_mov_b64 s[58:59], s[52:53]
                                        ; implicit-def: $vgpr54
	s_and_saveexec_b64 s[56:57], vcc
	s_xor_b64 s[56:57], exec, s[56:57]
	s_cbranch_execz .LBB169_1139
; %bb.1126:                             ;   in Loop: Header=BB169_17 Depth=1
	v_cmp_gt_i16_sdwa vcc, v7, v26 src0_sel:BYTE_0 src1_sel:DWORD
                                        ; implicit-def: $vgpr54
	s_and_saveexec_b64 s[58:59], vcc
	s_xor_b64 s[58:59], exec, s[58:59]
	s_cbranch_execz .LBB169_1136
; %bb.1127:                             ;   in Loop: Header=BB169_17 Depth=1
	v_cmp_gt_i16_sdwa vcc, v7, v27 src0_sel:BYTE_0 src1_sel:DWORD
                                        ; implicit-def: $vgpr54
	s_and_saveexec_b64 s[60:61], vcc
	s_xor_b64 s[60:61], exec, s[60:61]
	s_cbranch_execz .LBB169_1133
; %bb.1128:                             ;   in Loop: Header=BB169_17 Depth=1
	flat_load_ubyte v0, v[0:1]
	s_movk_i32 vcc_lo, 0x7f
	s_mov_b64 s[62:63], 0
                                        ; implicit-def: $sgpr68
	s_waitcnt vmcnt(0) lgkmcnt(0)
	v_cmp_lt_i16_e32 vcc, vcc_lo, v0
	s_and_saveexec_b64 s[64:65], vcc
	s_xor_b64 s[64:65], exec, s[64:65]
	s_cbranch_execnz .LBB169_2115
; %bb.1129:                             ;   in Loop: Header=BB169_17 Depth=1
	s_or_saveexec_b64 s[64:65], s[64:65]
	v_mov_b32_e32 v54, s68
	s_xor_b64 exec, exec, s[64:65]
	s_cbranch_execnz .LBB169_2118
.LBB169_1130:                           ;   in Loop: Header=BB169_17 Depth=1
	s_or_b64 exec, exec, s[64:65]
	s_and_saveexec_b64 s[64:65], s[62:63]
	s_cbranch_execz .LBB169_1132
.LBB169_1131:                           ;   in Loop: Header=BB169_17 Depth=1
	v_lshlrev_b32_e32 v1, 24, v0
	v_and_b32_e32 v0, 0xffff, v0
	v_and_b32_e32 v53, 3, v0
	v_ffbh_u32_e32 v55, v53
	v_min_u32_e32 v55, 32, v55
	v_subrev_u32_e32 v64, 29, v55
	v_bfe_u32 v54, v0, 2, 5
	v_lshlrev_b32_e32 v0, v64, v0
	v_sub_u32_e32 v55, 30, v55
	v_and_b32_e32 v0, 3, v0
	v_cmp_eq_u32_e32 vcc, 0, v54
	v_cndmask_b32_e32 v54, v54, v55, vcc
	v_cndmask_b32_e32 v0, v53, v0, vcc
	v_lshlrev_b32_e32 v0, 21, v0
	v_and_b32_e32 v1, 0x80000000, v1
	v_lshl_add_u32 v53, v54, 23, v28
	v_or3_b32 v54, v1, v53, v0
.LBB169_1132:                           ;   in Loop: Header=BB169_17 Depth=1
	s_or_b64 exec, exec, s[64:65]
                                        ; implicit-def: $vgpr0_vgpr1
.LBB169_1133:                           ;   in Loop: Header=BB169_17 Depth=1
	s_andn2_saveexec_b64 s[60:61], s[60:61]
	s_cbranch_execz .LBB169_1135
; %bb.1134:                             ;   in Loop: Header=BB169_17 Depth=1
	flat_load_ubyte v0, v[0:1]
	s_mov_b32 vcc_lo, 0x7f800000
	s_waitcnt vmcnt(0) lgkmcnt(0)
	v_lshlrev_b32_e32 v0, 24, v0
	v_and_b32_e32 v1, 0x7f000000, v0
	v_ffbh_u32_e32 v53, v1
	v_min_u32_e32 v53, 32, v53
	v_sub_u32_e64 v53, v53, 4 clamp
	v_lshlrev_b32_e32 v55, v53, v1
	v_lshlrev_b32_e32 v53, 23, v53
	v_lshrrev_b32_e32 v55, 4, v55
	v_add_u32_e32 v54, 0x1000000, v1
	v_sub_u32_e32 v53, v55, v53
	v_ashrrev_i32_e32 v54, 8, v54
	v_add_u32_e32 v53, 0x3c000000, v53
	v_and_or_b32 v53, v54, vcc_lo, v53
	v_cmp_ne_u32_e32 vcc, 0, v1
	v_cndmask_b32_e32 v1, 0, v53, vcc
	s_brev_b32 vcc_lo, 1
	v_and_or_b32 v54, v0, vcc_lo, v1
.LBB169_1135:                           ;   in Loop: Header=BB169_17 Depth=1
	s_or_b64 exec, exec, s[60:61]
                                        ; implicit-def: $vgpr0_vgpr1
.LBB169_1136:                           ;   in Loop: Header=BB169_17 Depth=1
	s_andn2_saveexec_b64 s[58:59], s[58:59]
	s_cbranch_execz .LBB169_1138
; %bb.1137:                             ;   in Loop: Header=BB169_17 Depth=1
	flat_load_ubyte v0, v[0:1]
	s_movk_i32 vcc_lo, 0x7f00
	s_waitcnt vmcnt(0) lgkmcnt(0)
	v_lshlrev_b16_e32 v1, 8, v0
	v_lshlrev_b32_e32 v0, 25, v0
	v_lshrrev_b32_e32 v53, 4, v0
	v_and_or_b32 v54, v1, vcc_lo, 0.5
	v_or_b32_e32 v53, 0x70000000, v53
	s_brev_b32 vcc_lo, 16
	v_add_f32_e32 v54, -0.5, v54
	v_mul_f32_e32 v53, 0x7800000, v53
	v_cmp_gt_u32_e32 vcc, vcc_lo, v0
	v_cndmask_b32_e32 v0, v53, v54, vcc
	v_bfe_i32 v1, v1, 0, 16
	s_brev_b32 vcc_lo, 1
	v_and_or_b32 v54, v1, vcc_lo, v0
.LBB169_1138:                           ;   in Loop: Header=BB169_17 Depth=1
	s_or_b64 exec, exec, s[58:59]
	s_or_b64 s[58:59], s[52:53], exec
                                        ; implicit-def: $vgpr0_vgpr1
.LBB169_1139:                           ;   in Loop: Header=BB169_17 Depth=1
	s_or_saveexec_b64 s[56:57], s[56:57]
                                        ; implicit-def: $vcc
                                        ; implicit-def: $sgpr64_sgpr65
	s_xor_b64 exec, exec, s[56:57]
	s_cbranch_execz .LBB169_1149
; %bb.1140:                             ;   in Loop: Header=BB169_17 Depth=1
	v_cmp_gt_i16_sdwa vcc, v7, v29 src0_sel:BYTE_0 src1_sel:DWORD
	s_mov_b64 s[62:63], s[58:59]
                                        ; implicit-def: $sgpr64_sgpr65
                                        ; implicit-def: $sgpr60_sgpr61
                                        ; implicit-def: $vgpr54
	s_and_saveexec_b64 s[66:67], vcc
	s_xor_b64 vcc, exec, s[66:67]
	s_cbranch_execz .LBB169_1144
; %bb.1141:                             ;   in Loop: Header=BB169_17 Depth=1
	v_cmp_eq_u16_sdwa s[64:65], v7, v32 src0_sel:BYTE_0 src1_sel:DWORD
	s_mov_b64 s[62:63], s[58:59]
                                        ; implicit-def: $vgpr54
	s_and_saveexec_b64 s[60:61], s[64:65]
	s_cbranch_execz .LBB169_1143
; %bb.1142:                             ;   in Loop: Header=BB169_17 Depth=1
	flat_load_ushort v0, v[0:1]
	s_or_b64 s[62:63], s[58:59], exec
	s_waitcnt vmcnt(0) lgkmcnt(0)
	v_lshlrev_b32_e32 v54, 16, v0
.LBB169_1143:                           ;   in Loop: Header=BB169_17 Depth=1
	s_or_b64 exec, exec, s[60:61]
	s_andn2_b64 s[66:67], s[58:59], exec
	s_and_b64 s[62:63], s[62:63], exec
	s_mov_b64 s[60:61], -1
	s_mov_b64 s[64:65], 0
	s_or_b64 s[62:63], s[66:67], s[62:63]
                                        ; implicit-def: $vgpr0_vgpr1
.LBB169_1144:                           ;   in Loop: Header=BB169_17 Depth=1
	s_andn2_saveexec_b64 s[66:67], vcc
	s_cbranch_execz .LBB169_1148
; %bb.1145:                             ;   in Loop: Header=BB169_17 Depth=1
	v_cmp_eq_u16_sdwa s[70:71], v7, v33 src0_sel:BYTE_0 src1_sel:DWORD
	s_mov_b64 vcc, s[62:63]
                                        ; implicit-def: $vgpr54
	s_and_saveexec_b64 s[68:69], s[70:71]
	s_cbranch_execz .LBB169_1147
; %bb.1146:                             ;   in Loop: Header=BB169_17 Depth=1
	flat_load_ubyte v0, v[0:1]
	s_waitcnt vmcnt(0) lgkmcnt(0)
	v_cmp_ne_u16_e32 vcc, 0, v0
	v_cndmask_b32_e64 v54, 0, 1.0, vcc
	s_or_b64 vcc, s[62:63], exec
.LBB169_1147:                           ;   in Loop: Header=BB169_17 Depth=1
	s_or_b64 exec, exec, s[68:69]
	s_andn2_b64 s[62:63], s[62:63], exec
	s_and_b64 vcc, vcc, exec
	s_andn2_b64 s[64:65], s[64:65], exec
	s_or_b64 s[60:61], s[60:61], exec
	s_or_b64 s[62:63], s[62:63], vcc
.LBB169_1148:                           ;   in Loop: Header=BB169_17 Depth=1
	s_or_b64 exec, exec, s[66:67]
	s_and_b64 vcc, s[60:61], exec
	s_andn2_b64 s[58:59], s[58:59], exec
	s_and_b64 s[60:61], s[62:63], exec
	s_and_b64 s[64:65], s[64:65], exec
	s_or_b64 s[58:59], s[58:59], s[60:61]
.LBB169_1149:                           ;   in Loop: Header=BB169_17 Depth=1
	s_or_b64 exec, exec, s[56:57]
	s_andn2_b64 s[54:55], s[54:55], exec
	s_and_b64 vcc, vcc, exec
	s_andn2_b64 s[44:45], s[44:45], exec
	s_and_b64 s[56:57], s[64:65], exec
	s_or_b64 s[54:55], s[54:55], vcc
	s_andn2_b64 vcc, s[52:53], exec
	s_and_b64 s[52:53], s[58:59], exec
	s_or_b64 s[44:45], s[44:45], s[56:57]
	s_or_b64 s[52:53], vcc, s[52:53]
.LBB169_1150:                           ;   in Loop: Header=BB169_17 Depth=1
	s_or_b64 exec, exec, s[42:43]
	s_and_b64 s[44:45], s[44:45], exec
	s_and_b64 s[42:43], s[54:55], exec
	s_and_b64 vcc, s[52:53], exec
                                        ; implicit-def: $vgpr0_vgpr1
	s_andn2_saveexec_b64 s[50:51], s[50:51]
	s_cbranch_execz .LBB169_979
.LBB169_1151:                           ;   in Loop: Header=BB169_17 Depth=1
	v_cmp_gt_i16_sdwa s[52:53], v7, v34 src0_sel:BYTE_0 src1_sel:DWORD
                                        ; implicit-def: $vgpr54
	s_and_saveexec_b64 s[54:55], s[52:53]
	s_xor_b64 s[52:53], exec, s[54:55]
	s_cbranch_execz .LBB169_1173
; %bb.1152:                             ;   in Loop: Header=BB169_17 Depth=1
	v_cmp_gt_i16_sdwa s[54:55], v7, v35 src0_sel:BYTE_0 src1_sel:DWORD
                                        ; implicit-def: $vgpr54
	s_and_saveexec_b64 s[56:57], s[54:55]
	s_xor_b64 s[54:55], exec, s[56:57]
	s_cbranch_execz .LBB169_1162
; %bb.1153:                             ;   in Loop: Header=BB169_17 Depth=1
	;; [unrolled: 6-line block ×4, first 2 shown]
	flat_load_dwordx2 v[0:1], v[0:1]
	s_waitcnt vmcnt(0) lgkmcnt(0)
	v_cvt_f32_f64_e32 v54, v[0:1]
                                        ; implicit-def: $vgpr0_vgpr1
.LBB169_1156:                           ;   in Loop: Header=BB169_17 Depth=1
	s_andn2_saveexec_b64 s[58:59], s[58:59]
	s_cbranch_execz .LBB169_1158
; %bb.1157:                             ;   in Loop: Header=BB169_17 Depth=1
	flat_load_dword v54, v[0:1]
.LBB169_1158:                           ;   in Loop: Header=BB169_17 Depth=1
	s_or_b64 exec, exec, s[58:59]
                                        ; implicit-def: $vgpr0_vgpr1
.LBB169_1159:                           ;   in Loop: Header=BB169_17 Depth=1
	s_andn2_saveexec_b64 s[56:57], s[56:57]
	s_cbranch_execz .LBB169_1161
; %bb.1160:                             ;   in Loop: Header=BB169_17 Depth=1
	flat_load_dword v0, v[0:1]
	s_waitcnt vmcnt(0) lgkmcnt(0)
	v_cvt_f32_f16_e32 v54, v0
.LBB169_1161:                           ;   in Loop: Header=BB169_17 Depth=1
	s_or_b64 exec, exec, s[56:57]
                                        ; implicit-def: $vgpr0_vgpr1
.LBB169_1162:                           ;   in Loop: Header=BB169_17 Depth=1
	s_andn2_saveexec_b64 s[54:55], s[54:55]
	s_cbranch_execz .LBB169_1172
; %bb.1163:                             ;   in Loop: Header=BB169_17 Depth=1
	v_cmp_gt_i16_sdwa s[56:57], v7, v38 src0_sel:BYTE_0 src1_sel:DWORD
                                        ; implicit-def: $vgpr54
	s_and_saveexec_b64 s[58:59], s[56:57]
	s_xor_b64 s[56:57], exec, s[58:59]
	s_cbranch_execz .LBB169_1169
; %bb.1164:                             ;   in Loop: Header=BB169_17 Depth=1
	v_cmp_gt_i16_sdwa s[58:59], v7, v39 src0_sel:BYTE_0 src1_sel:DWORD
                                        ; implicit-def: $vgpr54
	s_and_saveexec_b64 s[60:61], s[58:59]
	s_xor_b64 s[58:59], exec, s[60:61]
	s_cbranch_execz .LBB169_1166
; %bb.1165:                             ;   in Loop: Header=BB169_17 Depth=1
	flat_load_dwordx2 v[0:1], v[0:1]
	s_waitcnt vmcnt(0) lgkmcnt(0)
	v_cvt_f32_f64_e32 v54, v[0:1]
                                        ; implicit-def: $vgpr0_vgpr1
.LBB169_1166:                           ;   in Loop: Header=BB169_17 Depth=1
	s_andn2_saveexec_b64 s[58:59], s[58:59]
	s_cbranch_execz .LBB169_1168
; %bb.1167:                             ;   in Loop: Header=BB169_17 Depth=1
	s_waitcnt vmcnt(0) lgkmcnt(0)
	flat_load_dword v54, v[0:1]
.LBB169_1168:                           ;   in Loop: Header=BB169_17 Depth=1
	s_or_b64 exec, exec, s[58:59]
                                        ; implicit-def: $vgpr0_vgpr1
.LBB169_1169:                           ;   in Loop: Header=BB169_17 Depth=1
	s_andn2_saveexec_b64 s[56:57], s[56:57]
	s_cbranch_execz .LBB169_1171
; %bb.1170:                             ;   in Loop: Header=BB169_17 Depth=1
	flat_load_ushort v0, v[0:1]
	s_waitcnt vmcnt(0) lgkmcnt(0)
	v_cvt_f32_f16_e32 v54, v0
.LBB169_1171:                           ;   in Loop: Header=BB169_17 Depth=1
	s_or_b64 exec, exec, s[56:57]
.LBB169_1172:                           ;   in Loop: Header=BB169_17 Depth=1
	s_or_b64 exec, exec, s[54:55]
                                        ; implicit-def: $vgpr0_vgpr1
.LBB169_1173:                           ;   in Loop: Header=BB169_17 Depth=1
	s_andn2_saveexec_b64 s[52:53], s[52:53]
	s_cbranch_execz .LBB169_1191
; %bb.1174:                             ;   in Loop: Header=BB169_17 Depth=1
	v_cmp_gt_i16_sdwa s[54:55], v7, v48 src0_sel:BYTE_0 src1_sel:DWORD
                                        ; implicit-def: $vgpr54
	s_and_saveexec_b64 s[56:57], s[54:55]
	s_xor_b64 s[54:55], exec, s[56:57]
	s_cbranch_execz .LBB169_1184
; %bb.1175:                             ;   in Loop: Header=BB169_17 Depth=1
	v_cmp_gt_i16_sdwa s[56:57], v7, v49 src0_sel:BYTE_0 src1_sel:DWORD
                                        ; implicit-def: $vgpr54
	s_and_saveexec_b64 s[58:59], s[56:57]
	s_xor_b64 s[56:57], exec, s[58:59]
	;; [unrolled: 6-line block ×3, first 2 shown]
	s_cbranch_execz .LBB169_1178
; %bb.1177:                             ;   in Loop: Header=BB169_17 Depth=1
	flat_load_dwordx2 v[0:1], v[0:1]
	s_waitcnt vmcnt(0) lgkmcnt(0)
	v_xor_b32_e32 v54, v0, v1
	v_ffbh_i32_e32 v53, v1
	v_ashrrev_i32_e32 v54, 31, v54
	v_add_u32_e32 v53, -1, v53
	v_add_u32_e32 v54, 32, v54
	v_min_u32_e32 v53, v53, v54
	v_lshlrev_b64 v[0:1], v53, v[0:1]
	v_min_u32_e32 v0, 1, v0
	v_or_b32_e32 v0, v1, v0
	v_cvt_f32_i32_e32 v0, v0
	v_sub_u32_e32 v1, 32, v53
	v_ldexp_f32 v54, v0, v1
                                        ; implicit-def: $vgpr0_vgpr1
.LBB169_1178:                           ;   in Loop: Header=BB169_17 Depth=1
	s_andn2_saveexec_b64 s[58:59], s[58:59]
	s_cbranch_execz .LBB169_1180
; %bb.1179:                             ;   in Loop: Header=BB169_17 Depth=1
	flat_load_dword v0, v[0:1]
	s_waitcnt vmcnt(0) lgkmcnt(0)
	v_cvt_f32_i32_e32 v54, v0
.LBB169_1180:                           ;   in Loop: Header=BB169_17 Depth=1
	s_or_b64 exec, exec, s[58:59]
                                        ; implicit-def: $vgpr0_vgpr1
.LBB169_1181:                           ;   in Loop: Header=BB169_17 Depth=1
	s_andn2_saveexec_b64 s[56:57], s[56:57]
	s_cbranch_execz .LBB169_1183
; %bb.1182:                             ;   in Loop: Header=BB169_17 Depth=1
	flat_load_sshort v0, v[0:1]
	s_waitcnt vmcnt(0) lgkmcnt(0)
	v_cvt_f32_i32_e32 v54, v0
.LBB169_1183:                           ;   in Loop: Header=BB169_17 Depth=1
	s_or_b64 exec, exec, s[56:57]
                                        ; implicit-def: $vgpr0_vgpr1
.LBB169_1184:                           ;   in Loop: Header=BB169_17 Depth=1
	s_andn2_saveexec_b64 s[54:55], s[54:55]
	s_cbranch_execz .LBB169_1190
; %bb.1185:                             ;   in Loop: Header=BB169_17 Depth=1
	v_cmp_gt_i16_sdwa s[56:57], v7, v6 src0_sel:BYTE_0 src1_sel:DWORD
                                        ; implicit-def: $vgpr54
	s_and_saveexec_b64 s[58:59], s[56:57]
	s_xor_b64 s[56:57], exec, s[58:59]
	s_cbranch_execz .LBB169_1187
; %bb.1186:                             ;   in Loop: Header=BB169_17 Depth=1
	flat_load_sbyte v0, v[0:1]
	s_waitcnt vmcnt(0) lgkmcnt(0)
	v_cvt_f32_i32_e32 v54, v0
                                        ; implicit-def: $vgpr0_vgpr1
.LBB169_1187:                           ;   in Loop: Header=BB169_17 Depth=1
	s_andn2_saveexec_b64 s[56:57], s[56:57]
	s_cbranch_execz .LBB169_1189
; %bb.1188:                             ;   in Loop: Header=BB169_17 Depth=1
	flat_load_ubyte v0, v[0:1]
	s_waitcnt vmcnt(0) lgkmcnt(0)
	v_cvt_f32_ubyte0_e32 v54, v0
.LBB169_1189:                           ;   in Loop: Header=BB169_17 Depth=1
	s_or_b64 exec, exec, s[56:57]
.LBB169_1190:                           ;   in Loop: Header=BB169_17 Depth=1
	s_or_b64 exec, exec, s[54:55]
.LBB169_1191:                           ;   in Loop: Header=BB169_17 Depth=1
	s_or_b64 exec, exec, s[52:53]
	s_andn2_b64 s[44:45], s[44:45], exec
	s_andn2_b64 s[42:43], s[42:43], exec
	s_or_b64 vcc, vcc, exec
	s_or_b64 exec, exec, s[50:51]
	s_mov_b64 s[52:53], 0
	s_and_saveexec_b64 s[50:51], vcc
	s_cbranch_execz .LBB169_1197
.LBB169_1192:                           ;   in Loop: Header=BB169_17 Depth=1
	v_mul_lo_u32 v0, v52, v10
	v_readlane_b32 s52, v78, 0
	v_add_co_u32_e32 v0, vcc, v4, v0
	v_add_u32_e32 v53, s52, v11
	v_addc_co_u32_e32 v1, vcc, 0, v5, vcc
	v_cmp_gt_i16_sdwa s[52:53], v8, v12 src0_sel:BYTE_0 src1_sel:DWORD
	s_mov_b64 s[56:57], 0
	s_waitcnt vmcnt(0) lgkmcnt(0)
	buffer_store_dword v54, v53, s[0:3], 0 offen offset:44
                                        ; implicit-def: $vcc
                                        ; implicit-def: $sgpr54_sgpr55
                                        ; implicit-def: $vgpr52
	s_and_saveexec_b64 s[58:59], s[52:53]
	s_xor_b64 s[52:53], exec, s[58:59]
	s_cbranch_execnz .LBB169_1219
; %bb.1193:                             ;   in Loop: Header=BB169_17 Depth=1
	s_andn2_saveexec_b64 s[52:53], s[52:53]
	s_cbranch_execnz .LBB169_1278
.LBB169_1194:                           ;   in Loop: Header=BB169_17 Depth=1
	s_or_b64 exec, exec, s[52:53]
	s_mov_b64 s[52:53], 0
	s_and_saveexec_b64 s[58:59], s[56:57]
	s_cbranch_execz .LBB169_1196
.LBB169_1195:                           ;   in Loop: Header=BB169_17 Depth=1
	s_mov_b64 s[52:53], exec
	v_add_u32_e32 v51, 0x200, v51
	s_andn2_b64 s[54:55], s[54:55], exec
	s_andn2_b64 vcc, vcc, exec
	s_waitcnt vmcnt(0) lgkmcnt(0)
	buffer_store_dword v52, v53, s[0:3], 0 offen offset:40
.LBB169_1196:                           ;   in Loop: Header=BB169_17 Depth=1
	s_or_b64 exec, exec, s[58:59]
	s_andn2_b64 s[44:45], s[44:45], exec
	s_and_b64 s[54:55], s[54:55], exec
	s_andn2_b64 s[42:43], s[42:43], exec
	s_and_b64 vcc, vcc, exec
	s_or_b64 s[44:45], s[44:45], s[54:55]
	s_or_b64 s[42:43], s[42:43], vcc
	s_and_b64 s[52:53], s[52:53], exec
.LBB169_1197:                           ;   in Loop: Header=BB169_17 Depth=1
	s_or_b64 exec, exec, s[50:51]
	s_and_b64 s[44:45], s[44:45], exec
	s_and_b64 s[42:43], s[42:43], exec
	s_orn2_b64 s[50:51], s[52:53], exec
.LBB169_1198:                           ;   in Loop: Header=BB169_17 Depth=1
	s_or_b64 exec, exec, s[46:47]
	s_and_saveexec_b64 s[46:47], s[50:51]
	s_cbranch_execz .LBB169_11
; %bb.1199:                             ;   in Loop: Header=BB169_17 Depth=1
	v_cmp_lt_i32_e32 vcc, v51, v72
	s_mov_b64 s[54:55], -1
	s_mov_b64 s[56:57], -1
                                        ; implicit-def: $sgpr48_sgpr49
                                        ; implicit-def: $sgpr50_sgpr51
	s_and_saveexec_b64 s[52:53], vcc
	s_cbranch_execz .LBB169_1425
; %bb.1200:                             ;   in Loop: Header=BB169_17 Depth=1
	v_readlane_b32 vcc_lo, v78, 1
	s_waitcnt vmcnt(0) lgkmcnt(0)
	v_add_u32_e32 v52, vcc_lo, v51
	v_mul_lo_u32 v0, v52, v9
	v_add_co_u32_e32 v0, vcc, v2, v0
	v_addc_co_u32_e32 v1, vcc, 0, v3, vcc
	v_cmp_gt_i16_sdwa s[56:57], v7, v12 src0_sel:BYTE_0 src1_sel:DWORD
	s_mov_b64 vcc, 0
                                        ; implicit-def: $sgpr48_sgpr49
                                        ; implicit-def: $sgpr50_sgpr51
                                        ; implicit-def: $vgpr54
	s_and_saveexec_b64 s[58:59], s[56:57]
	s_xor_b64 s[56:57], exec, s[58:59]
	s_cbranch_execnz .LBB169_1319
; %bb.1201:                             ;   in Loop: Header=BB169_17 Depth=1
	s_andn2_saveexec_b64 s[56:57], s[56:57]
	s_cbranch_execnz .LBB169_1378
.LBB169_1202:                           ;   in Loop: Header=BB169_17 Depth=1
	s_or_b64 exec, exec, s[56:57]
	s_mov_b64 s[58:59], 0
	s_and_saveexec_b64 s[56:57], vcc
	s_cbranch_execnz .LBB169_1419
	s_branch .LBB169_1424
.LBB169_1203:                           ;   in Loop: Header=BB169_17 Depth=1
	s_movk_i32 vcc_lo, 0x80
	v_cmp_eq_u16_e32 vcc, vcc_lo, v0
	s_mov_b64 s[42:43], -1
                                        ; implicit-def: $sgpr48
	s_and_saveexec_b64 s[46:47], vcc
; %bb.1204:                             ;   in Loop: Header=BB169_17 Depth=1
	s_mov_b32 s48, 0x7f800001
	s_xor_b64 s[42:43], exec, -1
; %bb.1205:                             ;   in Loop: Header=BB169_17 Depth=1
	s_or_b64 exec, exec, s[46:47]
	s_and_b64 s[42:43], s[42:43], exec
	s_or_saveexec_b64 s[44:45], s[44:45]
	v_mov_b32_e32 v52, s48
	s_xor_b64 exec, exec, s[44:45]
	s_cbranch_execz .LBB169_170
.LBB169_1206:                           ;   in Loop: Header=BB169_17 Depth=1
	v_cmp_ne_u16_e32 vcc, 0, v0
	s_andn2_b64 s[42:43], s[42:43], exec
	s_and_b64 vcc, vcc, exec
	v_mov_b32_e32 v52, 0
	s_or_b64 s[42:43], s[42:43], vcc
	s_or_b64 exec, exec, s[44:45]
	s_and_saveexec_b64 s[44:45], s[42:43]
	s_cbranch_execnz .LBB169_171
	s_branch .LBB169_172
.LBB169_1207:                           ;   in Loop: Header=BB169_17 Depth=1
	s_movk_i32 vcc_lo, 0x80
	v_cmp_eq_u16_e32 vcc, vcc_lo, v0
	s_mov_b64 s[38:39], -1
                                        ; implicit-def: $sgpr44
	s_and_saveexec_b64 s[42:43], vcc
; %bb.1208:                             ;   in Loop: Header=BB169_17 Depth=1
	s_mov_b32 s44, 0x7f800001
	s_xor_b64 s[38:39], exec, -1
; %bb.1209:                             ;   in Loop: Header=BB169_17 Depth=1
	s_or_b64 exec, exec, s[42:43]
	s_and_b64 s[38:39], s[38:39], exec
	s_or_saveexec_b64 s[40:41], s[40:41]
	v_mov_b32_e32 v54, s44
	s_xor_b64 exec, exec, s[40:41]
	s_cbranch_execz .LBB169_270
.LBB169_1210:                           ;   in Loop: Header=BB169_17 Depth=1
	v_cmp_ne_u16_e32 vcc, 0, v0
	s_andn2_b64 s[38:39], s[38:39], exec
	s_and_b64 vcc, vcc, exec
	v_mov_b32_e32 v54, 0
	s_or_b64 s[38:39], s[38:39], vcc
	s_or_b64 exec, exec, s[40:41]
	s_and_saveexec_b64 s[40:41], s[38:39]
	s_cbranch_execnz .LBB169_271
	s_branch .LBB169_272
.LBB169_1211:                           ;   in Loop: Header=BB169_17 Depth=1
	s_movk_i32 vcc_lo, 0x80
	v_cmp_eq_u16_e32 vcc, vcc_lo, v0
	s_mov_b64 s[42:43], -1
                                        ; implicit-def: $sgpr48
	s_and_saveexec_b64 s[46:47], vcc
; %bb.1212:                             ;   in Loop: Header=BB169_17 Depth=1
	s_mov_b32 s48, 0x7f800001
	s_xor_b64 s[42:43], exec, -1
; %bb.1213:                             ;   in Loop: Header=BB169_17 Depth=1
	s_or_b64 exec, exec, s[46:47]
	s_and_b64 s[42:43], s[42:43], exec
	s_or_saveexec_b64 s[44:45], s[44:45]
	v_mov_b32_e32 v52, s48
	s_xor_b64 exec, exec, s[44:45]
	s_cbranch_execz .LBB169_370
.LBB169_1214:                           ;   in Loop: Header=BB169_17 Depth=1
	v_cmp_ne_u16_e32 vcc, 0, v0
	s_andn2_b64 s[42:43], s[42:43], exec
	s_and_b64 vcc, vcc, exec
	v_mov_b32_e32 v52, 0
	s_or_b64 s[42:43], s[42:43], vcc
	s_or_b64 exec, exec, s[44:45]
	s_and_saveexec_b64 s[44:45], s[42:43]
	s_cbranch_execnz .LBB169_371
	s_branch .LBB169_372
.LBB169_1215:                           ;   in Loop: Header=BB169_17 Depth=1
	s_movk_i32 vcc_lo, 0x80
	v_cmp_eq_u16_e32 vcc, vcc_lo, v0
	s_mov_b64 s[42:43], -1
                                        ; implicit-def: $sgpr48
	s_and_saveexec_b64 s[46:47], vcc
; %bb.1216:                             ;   in Loop: Header=BB169_17 Depth=1
	s_mov_b32 s48, 0x7f800001
	s_xor_b64 s[42:43], exec, -1
; %bb.1217:                             ;   in Loop: Header=BB169_17 Depth=1
	s_or_b64 exec, exec, s[46:47]
	s_and_b64 s[42:43], s[42:43], exec
	s_or_saveexec_b64 s[44:45], s[44:45]
	v_mov_b32_e32 v54, s48
	s_xor_b64 exec, exec, s[44:45]
	s_cbranch_execz .LBB169_470
.LBB169_1218:                           ;   in Loop: Header=BB169_17 Depth=1
	v_cmp_ne_u16_e32 vcc, 0, v0
	s_andn2_b64 s[42:43], s[42:43], exec
	s_and_b64 vcc, vcc, exec
	v_mov_b32_e32 v54, 0
	s_or_b64 s[42:43], s[42:43], vcc
	s_or_b64 exec, exec, s[44:45]
	s_and_saveexec_b64 s[44:45], s[42:43]
	s_cbranch_execnz .LBB169_471
	s_branch .LBB169_472
.LBB169_1219:                           ;   in Loop: Header=BB169_17 Depth=1
	v_cmp_gt_i16_sdwa vcc, v8, v13 src0_sel:BYTE_0 src1_sel:DWORD
                                        ; implicit-def: $sgpr58_sgpr59
                                        ; implicit-def: $sgpr60_sgpr61
                                        ; implicit-def: $vgpr52
	s_and_saveexec_b64 s[54:55], vcc
	s_xor_b64 s[54:55], exec, s[54:55]
	s_cbranch_execz .LBB169_1251
; %bb.1220:                             ;   in Loop: Header=BB169_17 Depth=1
	v_cmp_gt_i16_sdwa vcc, v8, v14 src0_sel:BYTE_0 src1_sel:DWORD
                                        ; implicit-def: $sgpr58_sgpr59
                                        ; implicit-def: $sgpr62_sgpr63
                                        ; implicit-def: $vgpr52
	s_and_saveexec_b64 s[60:61], vcc
	s_xor_b64 s[60:61], exec, s[60:61]
	s_cbranch_execz .LBB169_1236
; %bb.1221:                             ;   in Loop: Header=BB169_17 Depth=1
	v_cmp_gt_i16_sdwa s[56:57], v8, v15 src0_sel:BYTE_0 src1_sel:DWORD
	s_mov_b64 s[64:65], 0
                                        ; implicit-def: $vcc
                                        ; implicit-def: $sgpr62_sgpr63
                                        ; implicit-def: $vgpr52
	s_and_saveexec_b64 s[58:59], s[56:57]
	s_xor_b64 s[56:57], exec, s[58:59]
	s_cbranch_execz .LBB169_1231
; %bb.1222:                             ;   in Loop: Header=BB169_17 Depth=1
	v_cmp_gt_i16_sdwa vcc, v8, v16 src0_sel:BYTE_0 src1_sel:DWORD
                                        ; implicit-def: $sgpr62_sgpr63
                                        ; implicit-def: $sgpr58_sgpr59
                                        ; implicit-def: $vgpr52
	s_and_saveexec_b64 s[66:67], vcc
	s_xor_b64 vcc, exec, s[66:67]
	s_cbranch_execz .LBB169_1226
; %bb.1223:                             ;   in Loop: Header=BB169_17 Depth=1
	v_cmp_eq_u16_sdwa s[66:67], v8, v17 src0_sel:BYTE_0 src1_sel:DWORD
	s_mov_b64 s[58:59], 0
                                        ; implicit-def: $vgpr52
	s_and_saveexec_b64 s[62:63], s[66:67]
	s_cbranch_execz .LBB169_1225
; %bb.1224:                             ;   in Loop: Header=BB169_17 Depth=1
	flat_load_dword v0, v[0:1]
	s_mov_b64 s[64:65], exec
	s_waitcnt vmcnt(0) lgkmcnt(0)
	v_lshlrev_b32_e32 v52, 16, v0
.LBB169_1225:                           ;   in Loop: Header=BB169_17 Depth=1
	s_or_b64 exec, exec, s[62:63]
	s_mov_b64 s[62:63], -1
	s_and_b64 s[64:65], s[64:65], exec
                                        ; implicit-def: $vgpr0_vgpr1
.LBB169_1226:                           ;   in Loop: Header=BB169_17 Depth=1
	s_andn2_saveexec_b64 s[66:67], vcc
	s_cbranch_execz .LBB169_1230
; %bb.1227:                             ;   in Loop: Header=BB169_17 Depth=1
	v_cmp_eq_u16_sdwa s[70:71], v8, v18 src0_sel:BYTE_0 src1_sel:DWORD
	s_mov_b64 vcc, s[64:65]
                                        ; implicit-def: $vgpr52
	s_and_saveexec_b64 s[68:69], s[70:71]
	s_cbranch_execz .LBB169_1229
; %bb.1228:                             ;   in Loop: Header=BB169_17 Depth=1
	flat_load_ubyte v0, v[0:1]
	s_movk_i32 vcc_lo, 0xff
	s_waitcnt vmcnt(0) lgkmcnt(0)
	v_lshlrev_b32_e32 v1, 23, v0
	v_cmp_ne_u32_e32 vcc, vcc_lo, v0
	v_cndmask_b32_e32 v1, v19, v1, vcc
	v_cmp_ne_u32_e32 vcc, 0, v0
	v_cndmask_b32_e32 v52, v20, v1, vcc
	s_or_b64 vcc, s[64:65], exec
.LBB169_1229:                           ;   in Loop: Header=BB169_17 Depth=1
	s_or_b64 exec, exec, s[68:69]
	s_andn2_b64 s[64:65], s[64:65], exec
	s_and_b64 vcc, vcc, exec
	s_or_b64 s[62:63], s[62:63], exec
	s_andn2_b64 s[58:59], s[58:59], exec
	s_or_b64 s[64:65], s[64:65], vcc
.LBB169_1230:                           ;   in Loop: Header=BB169_17 Depth=1
	s_or_b64 exec, exec, s[66:67]
	s_and_b64 s[62:63], s[62:63], exec
	s_and_b64 vcc, s[58:59], exec
	s_and_b64 s[64:65], s[64:65], exec
                                        ; implicit-def: $vgpr0_vgpr1
.LBB169_1231:                           ;   in Loop: Header=BB169_17 Depth=1
	s_andn2_saveexec_b64 s[56:57], s[56:57]
	s_cbranch_execz .LBB169_1235
; %bb.1232:                             ;   in Loop: Header=BB169_17 Depth=1
	v_cmp_eq_u16_sdwa s[68:69], v8, v21 src0_sel:BYTE_0 src1_sel:DWORD
	s_mov_b64 s[66:67], s[64:65]
                                        ; implicit-def: $vgpr52
	s_and_saveexec_b64 s[58:59], s[68:69]
	s_cbranch_execz .LBB169_1234
; %bb.1233:                             ;   in Loop: Header=BB169_17 Depth=1
	flat_load_dwordx2 v[0:1], v[0:1]
	s_or_b64 s[66:67], s[64:65], exec
	s_waitcnt vmcnt(0) lgkmcnt(0)
	v_ffbh_u32_e32 v52, v1
	v_min_u32_e32 v52, 32, v52
	v_lshlrev_b64 v[0:1], v52, v[0:1]
	v_min_u32_e32 v0, 1, v0
	v_or_b32_e32 v0, v1, v0
	v_cvt_f32_u32_e32 v0, v0
	v_sub_u32_e32 v1, 32, v52
	v_ldexp_f32 v52, v0, v1
.LBB169_1234:                           ;   in Loop: Header=BB169_17 Depth=1
	s_or_b64 exec, exec, s[58:59]
	s_andn2_b64 s[58:59], s[64:65], exec
	s_and_b64 s[64:65], s[66:67], exec
	s_or_b64 s[62:63], s[62:63], exec
	s_andn2_b64 vcc, vcc, exec
	s_or_b64 s[64:65], s[58:59], s[64:65]
.LBB169_1235:                           ;   in Loop: Header=BB169_17 Depth=1
	s_or_b64 exec, exec, s[56:57]
	s_and_b64 s[62:63], s[62:63], exec
	s_and_b64 s[58:59], vcc, exec
	s_and_b64 s[56:57], s[64:65], exec
                                        ; implicit-def: $vgpr0_vgpr1
.LBB169_1236:                           ;   in Loop: Header=BB169_17 Depth=1
	s_andn2_saveexec_b64 s[60:61], s[60:61]
	s_cbranch_execz .LBB169_1250
; %bb.1237:                             ;   in Loop: Header=BB169_17 Depth=1
	v_cmp_gt_i16_sdwa vcc, v8, v22 src0_sel:BYTE_0 src1_sel:DWORD
                                        ; implicit-def: $vgpr52
	s_and_saveexec_b64 s[64:65], vcc
	s_xor_b64 vcc, exec, s[64:65]
	s_cbranch_execz .LBB169_1243
; %bb.1238:                             ;   in Loop: Header=BB169_17 Depth=1
	v_cmp_gt_i16_sdwa s[64:65], v8, v23 src0_sel:BYTE_0 src1_sel:DWORD
                                        ; implicit-def: $vgpr52
	s_and_saveexec_b64 s[66:67], s[64:65]
	s_xor_b64 s[64:65], exec, s[66:67]
	s_cbranch_execz .LBB169_1240
; %bb.1239:                             ;   in Loop: Header=BB169_17 Depth=1
	flat_load_dword v0, v[0:1]
	s_waitcnt vmcnt(0) lgkmcnt(0)
	v_cvt_f32_u32_e32 v52, v0
                                        ; implicit-def: $vgpr0_vgpr1
.LBB169_1240:                           ;   in Loop: Header=BB169_17 Depth=1
	s_andn2_saveexec_b64 s[64:65], s[64:65]
	s_cbranch_execz .LBB169_1242
; %bb.1241:                             ;   in Loop: Header=BB169_17 Depth=1
	flat_load_ushort v0, v[0:1]
	s_waitcnt vmcnt(0) lgkmcnt(0)
	v_cvt_f32_u32_e32 v52, v0
.LBB169_1242:                           ;   in Loop: Header=BB169_17 Depth=1
	s_or_b64 exec, exec, s[64:65]
                                        ; implicit-def: $vgpr0_vgpr1
.LBB169_1243:                           ;   in Loop: Header=BB169_17 Depth=1
	s_andn2_saveexec_b64 s[64:65], vcc
	s_cbranch_execz .LBB169_1249
; %bb.1244:                             ;   in Loop: Header=BB169_17 Depth=1
	flat_load_ubyte v0, v[0:1]
	s_movk_i32 vcc_lo, 0x7f
	s_mov_b64 s[66:67], 0
                                        ; implicit-def: $sgpr72
	s_waitcnt vmcnt(0) lgkmcnt(0)
	v_cmp_lt_i16_e32 vcc, vcc_lo, v0
	s_and_saveexec_b64 s[68:69], vcc
	s_xor_b64 s[68:69], exec, s[68:69]
	s_cbranch_execnz .LBB169_2119
; %bb.1245:                             ;   in Loop: Header=BB169_17 Depth=1
	s_or_saveexec_b64 s[68:69], s[68:69]
	v_mov_b32_e32 v52, s72
	s_xor_b64 exec, exec, s[68:69]
	s_cbranch_execnz .LBB169_2122
.LBB169_1246:                           ;   in Loop: Header=BB169_17 Depth=1
	s_or_b64 exec, exec, s[68:69]
	s_and_saveexec_b64 s[68:69], s[66:67]
	s_cbranch_execz .LBB169_1248
.LBB169_1247:                           ;   in Loop: Header=BB169_17 Depth=1
	v_lshlrev_b32_e32 v1, 24, v0
	v_and_b32_e32 v0, 0xffff, v0
	v_and_b32_e32 v52, 7, v0
	v_ffbh_u32_e32 v55, v52
	v_min_u32_e32 v55, 32, v55
	v_subrev_u32_e32 v64, 28, v55
	v_bfe_u32 v54, v0, 3, 4
	v_lshlrev_b32_e32 v0, v64, v0
	v_sub_u32_e32 v55, 29, v55
	v_and_b32_e32 v0, 7, v0
	v_cmp_eq_u32_e32 vcc, 0, v54
	v_cndmask_b32_e32 v54, v54, v55, vcc
	v_cndmask_b32_e32 v0, v52, v0, vcc
	v_lshlrev_b32_e32 v0, 20, v0
	v_and_b32_e32 v1, 0x80000000, v1
	v_lshl_add_u32 v52, v54, 23, v24
	v_or3_b32 v52, v1, v52, v0
.LBB169_1248:                           ;   in Loop: Header=BB169_17 Depth=1
	s_or_b64 exec, exec, s[68:69]
.LBB169_1249:                           ;   in Loop: Header=BB169_17 Depth=1
	s_or_b64 exec, exec, s[64:65]
	s_andn2_b64 s[62:63], s[62:63], exec
	s_andn2_b64 s[58:59], s[58:59], exec
	s_or_b64 s[56:57], s[56:57], exec
.LBB169_1250:                           ;   in Loop: Header=BB169_17 Depth=1
	s_or_b64 exec, exec, s[60:61]
	s_and_b64 s[60:61], s[62:63], exec
	s_and_b64 s[58:59], s[58:59], exec
	;; [unrolled: 1-line block ×3, first 2 shown]
                                        ; implicit-def: $vgpr0_vgpr1
.LBB169_1251:                           ;   in Loop: Header=BB169_17 Depth=1
	s_andn2_saveexec_b64 s[54:55], s[54:55]
	s_cbranch_execz .LBB169_1277
; %bb.1252:                             ;   in Loop: Header=BB169_17 Depth=1
	v_cmp_gt_i16_sdwa vcc, v8, v25 src0_sel:BYTE_0 src1_sel:DWORD
	s_mov_b64 s[64:65], s[56:57]
                                        ; implicit-def: $vgpr52
	s_and_saveexec_b64 s[62:63], vcc
	s_xor_b64 s[62:63], exec, s[62:63]
	s_cbranch_execz .LBB169_1266
; %bb.1253:                             ;   in Loop: Header=BB169_17 Depth=1
	v_cmp_gt_i16_sdwa vcc, v8, v26 src0_sel:BYTE_0 src1_sel:DWORD
                                        ; implicit-def: $vgpr52
	s_and_saveexec_b64 s[64:65], vcc
	s_xor_b64 s[64:65], exec, s[64:65]
	s_cbranch_execz .LBB169_1263
; %bb.1254:                             ;   in Loop: Header=BB169_17 Depth=1
	v_cmp_gt_i16_sdwa vcc, v8, v27 src0_sel:BYTE_0 src1_sel:DWORD
                                        ; implicit-def: $vgpr52
	s_and_saveexec_b64 s[66:67], vcc
	s_xor_b64 s[66:67], exec, s[66:67]
	s_cbranch_execz .LBB169_1260
; %bb.1255:                             ;   in Loop: Header=BB169_17 Depth=1
	flat_load_ubyte v0, v[0:1]
	s_movk_i32 vcc_lo, 0x7f
	s_mov_b64 s[68:69], 0
                                        ; implicit-def: $sgpr74
	s_waitcnt vmcnt(0) lgkmcnt(0)
	v_cmp_lt_i16_e32 vcc, vcc_lo, v0
	s_and_saveexec_b64 s[70:71], vcc
	s_xor_b64 s[70:71], exec, s[70:71]
	s_cbranch_execnz .LBB169_2338
; %bb.1256:                             ;   in Loop: Header=BB169_17 Depth=1
	s_or_saveexec_b64 s[70:71], s[70:71]
	v_mov_b32_e32 v52, s74
	s_xor_b64 exec, exec, s[70:71]
	s_cbranch_execnz .LBB169_2341
.LBB169_1257:                           ;   in Loop: Header=BB169_17 Depth=1
	s_or_b64 exec, exec, s[70:71]
	s_and_saveexec_b64 s[70:71], s[68:69]
	s_cbranch_execz .LBB169_1259
.LBB169_1258:                           ;   in Loop: Header=BB169_17 Depth=1
	v_lshlrev_b32_e32 v1, 24, v0
	v_and_b32_e32 v0, 0xffff, v0
	v_and_b32_e32 v52, 3, v0
	v_ffbh_u32_e32 v55, v52
	v_min_u32_e32 v55, 32, v55
	v_subrev_u32_e32 v64, 29, v55
	v_bfe_u32 v54, v0, 2, 5
	v_lshlrev_b32_e32 v0, v64, v0
	v_sub_u32_e32 v55, 30, v55
	v_and_b32_e32 v0, 3, v0
	v_cmp_eq_u32_e32 vcc, 0, v54
	v_cndmask_b32_e32 v54, v54, v55, vcc
	v_cndmask_b32_e32 v0, v52, v0, vcc
	v_lshlrev_b32_e32 v0, 21, v0
	v_and_b32_e32 v1, 0x80000000, v1
	v_lshl_add_u32 v52, v54, 23, v28
	v_or3_b32 v52, v1, v52, v0
.LBB169_1259:                           ;   in Loop: Header=BB169_17 Depth=1
	s_or_b64 exec, exec, s[70:71]
                                        ; implicit-def: $vgpr0_vgpr1
.LBB169_1260:                           ;   in Loop: Header=BB169_17 Depth=1
	s_andn2_saveexec_b64 s[66:67], s[66:67]
	s_cbranch_execz .LBB169_1262
; %bb.1261:                             ;   in Loop: Header=BB169_17 Depth=1
	flat_load_ubyte v0, v[0:1]
	s_mov_b32 vcc_lo, 0x7f800000
	s_waitcnt vmcnt(0) lgkmcnt(0)
	v_lshlrev_b32_e32 v0, 24, v0
	v_and_b32_e32 v1, 0x7f000000, v0
	v_ffbh_u32_e32 v52, v1
	v_min_u32_e32 v52, 32, v52
	v_sub_u32_e64 v52, v52, 4 clamp
	v_lshlrev_b32_e32 v55, v52, v1
	v_lshlrev_b32_e32 v52, 23, v52
	v_lshrrev_b32_e32 v55, 4, v55
	v_add_u32_e32 v54, 0x1000000, v1
	v_sub_u32_e32 v52, v55, v52
	v_ashrrev_i32_e32 v54, 8, v54
	v_add_u32_e32 v52, 0x3c000000, v52
	v_and_or_b32 v52, v54, vcc_lo, v52
	v_cmp_ne_u32_e32 vcc, 0, v1
	v_cndmask_b32_e32 v1, 0, v52, vcc
	s_brev_b32 vcc_lo, 1
	v_and_or_b32 v52, v0, vcc_lo, v1
.LBB169_1262:                           ;   in Loop: Header=BB169_17 Depth=1
	s_or_b64 exec, exec, s[66:67]
                                        ; implicit-def: $vgpr0_vgpr1
.LBB169_1263:                           ;   in Loop: Header=BB169_17 Depth=1
	s_andn2_saveexec_b64 s[64:65], s[64:65]
	s_cbranch_execz .LBB169_1265
; %bb.1264:                             ;   in Loop: Header=BB169_17 Depth=1
	flat_load_ubyte v0, v[0:1]
	s_movk_i32 vcc_lo, 0x7f00
	s_waitcnt vmcnt(0) lgkmcnt(0)
	v_lshlrev_b16_e32 v1, 8, v0
	v_lshlrev_b32_e32 v0, 25, v0
	v_lshrrev_b32_e32 v52, 4, v0
	v_and_or_b32 v54, v1, vcc_lo, 0.5
	v_or_b32_e32 v52, 0x70000000, v52
	s_brev_b32 vcc_lo, 16
	v_add_f32_e32 v54, -0.5, v54
	v_mul_f32_e32 v52, 0x7800000, v52
	v_cmp_gt_u32_e32 vcc, vcc_lo, v0
	v_cndmask_b32_e32 v0, v52, v54, vcc
	v_bfe_i32 v1, v1, 0, 16
	s_brev_b32 vcc_lo, 1
	v_and_or_b32 v52, v1, vcc_lo, v0
.LBB169_1265:                           ;   in Loop: Header=BB169_17 Depth=1
	s_or_b64 exec, exec, s[64:65]
	s_or_b64 s[64:65], s[56:57], exec
                                        ; implicit-def: $vgpr0_vgpr1
.LBB169_1266:                           ;   in Loop: Header=BB169_17 Depth=1
	s_or_saveexec_b64 s[62:63], s[62:63]
                                        ; implicit-def: $vcc
                                        ; implicit-def: $sgpr70_sgpr71
	s_xor_b64 exec, exec, s[62:63]
	s_cbranch_execz .LBB169_1276
; %bb.1267:                             ;   in Loop: Header=BB169_17 Depth=1
	v_cmp_gt_i16_sdwa vcc, v8, v29 src0_sel:BYTE_0 src1_sel:DWORD
	s_mov_b64 s[68:69], s[64:65]
                                        ; implicit-def: $sgpr70_sgpr71
                                        ; implicit-def: $sgpr66_sgpr67
                                        ; implicit-def: $vgpr52
	s_and_saveexec_b64 s[72:73], vcc
	s_xor_b64 vcc, exec, s[72:73]
	s_cbranch_execz .LBB169_1271
; %bb.1268:                             ;   in Loop: Header=BB169_17 Depth=1
	v_cmp_eq_u16_sdwa s[70:71], v8, v32 src0_sel:BYTE_0 src1_sel:DWORD
	s_mov_b64 s[68:69], s[64:65]
                                        ; implicit-def: $vgpr52
	s_and_saveexec_b64 s[66:67], s[70:71]
	s_cbranch_execz .LBB169_1270
; %bb.1269:                             ;   in Loop: Header=BB169_17 Depth=1
	flat_load_ushort v0, v[0:1]
	s_or_b64 s[68:69], s[64:65], exec
	s_waitcnt vmcnt(0) lgkmcnt(0)
	v_lshlrev_b32_e32 v52, 16, v0
.LBB169_1270:                           ;   in Loop: Header=BB169_17 Depth=1
	s_or_b64 exec, exec, s[66:67]
	s_andn2_b64 s[72:73], s[64:65], exec
	s_and_b64 s[68:69], s[68:69], exec
	s_mov_b64 s[66:67], 0
	s_mov_b64 s[70:71], -1
	s_or_b64 s[68:69], s[72:73], s[68:69]
                                        ; implicit-def: $vgpr0_vgpr1
.LBB169_1271:                           ;   in Loop: Header=BB169_17 Depth=1
	s_andn2_saveexec_b64 s[72:73], vcc
	s_cbranch_execz .LBB169_1275
; %bb.1272:                             ;   in Loop: Header=BB169_17 Depth=1
	v_cmp_eq_u16_sdwa s[76:77], v8, v33 src0_sel:BYTE_0 src1_sel:DWORD
	s_mov_b64 vcc, s[68:69]
                                        ; implicit-def: $vgpr52
	s_and_saveexec_b64 s[74:75], s[76:77]
	s_cbranch_execz .LBB169_1274
; %bb.1273:                             ;   in Loop: Header=BB169_17 Depth=1
	flat_load_ubyte v0, v[0:1]
	s_waitcnt vmcnt(0) lgkmcnt(0)
	v_cmp_ne_u16_e32 vcc, 0, v0
	v_cndmask_b32_e64 v52, 0, 1.0, vcc
	s_or_b64 vcc, s[68:69], exec
.LBB169_1274:                           ;   in Loop: Header=BB169_17 Depth=1
	s_or_b64 exec, exec, s[74:75]
	s_andn2_b64 s[68:69], s[68:69], exec
	s_and_b64 vcc, vcc, exec
	s_or_b64 s[70:71], s[70:71], exec
	s_andn2_b64 s[66:67], s[66:67], exec
	s_or_b64 s[68:69], s[68:69], vcc
.LBB169_1275:                           ;   in Loop: Header=BB169_17 Depth=1
	s_or_b64 exec, exec, s[72:73]
	s_and_b64 vcc, s[66:67], exec
	s_andn2_b64 s[64:65], s[64:65], exec
	s_and_b64 s[66:67], s[68:69], exec
	s_and_b64 s[70:71], s[70:71], exec
	s_or_b64 s[64:65], s[64:65], s[66:67]
.LBB169_1276:                           ;   in Loop: Header=BB169_17 Depth=1
	s_or_b64 exec, exec, s[62:63]
	s_andn2_b64 s[58:59], s[58:59], exec
	s_and_b64 vcc, vcc, exec
	s_andn2_b64 s[60:61], s[60:61], exec
	s_and_b64 s[62:63], s[70:71], exec
	s_or_b64 s[58:59], s[58:59], vcc
	s_andn2_b64 vcc, s[56:57], exec
	s_and_b64 s[56:57], s[64:65], exec
	s_or_b64 s[60:61], s[60:61], s[62:63]
	s_or_b64 s[56:57], vcc, s[56:57]
.LBB169_1277:                           ;   in Loop: Header=BB169_17 Depth=1
	s_or_b64 exec, exec, s[54:55]
	s_and_b64 s[54:55], s[60:61], exec
	s_and_b64 vcc, s[58:59], exec
	s_and_b64 s[56:57], s[56:57], exec
                                        ; implicit-def: $vgpr0_vgpr1
	s_andn2_saveexec_b64 s[52:53], s[52:53]
	s_cbranch_execz .LBB169_1194
.LBB169_1278:                           ;   in Loop: Header=BB169_17 Depth=1
	v_cmp_gt_i16_sdwa s[58:59], v8, v34 src0_sel:BYTE_0 src1_sel:DWORD
                                        ; implicit-def: $vgpr52
	s_and_saveexec_b64 s[60:61], s[58:59]
	s_xor_b64 s[58:59], exec, s[60:61]
	s_cbranch_execz .LBB169_1300
; %bb.1279:                             ;   in Loop: Header=BB169_17 Depth=1
	v_cmp_gt_i16_sdwa s[60:61], v8, v35 src0_sel:BYTE_0 src1_sel:DWORD
                                        ; implicit-def: $vgpr52
	s_and_saveexec_b64 s[62:63], s[60:61]
	s_xor_b64 s[60:61], exec, s[62:63]
	s_cbranch_execz .LBB169_1289
; %bb.1280:                             ;   in Loop: Header=BB169_17 Depth=1
	;; [unrolled: 6-line block ×4, first 2 shown]
	flat_load_dwordx2 v[0:1], v[0:1]
	s_waitcnt vmcnt(0) lgkmcnt(0)
	v_cvt_f32_f64_e32 v52, v[0:1]
                                        ; implicit-def: $vgpr0_vgpr1
.LBB169_1283:                           ;   in Loop: Header=BB169_17 Depth=1
	s_andn2_saveexec_b64 s[64:65], s[64:65]
	s_cbranch_execz .LBB169_1285
; %bb.1284:                             ;   in Loop: Header=BB169_17 Depth=1
	flat_load_dword v52, v[0:1]
.LBB169_1285:                           ;   in Loop: Header=BB169_17 Depth=1
	s_or_b64 exec, exec, s[64:65]
                                        ; implicit-def: $vgpr0_vgpr1
.LBB169_1286:                           ;   in Loop: Header=BB169_17 Depth=1
	s_andn2_saveexec_b64 s[62:63], s[62:63]
	s_cbranch_execz .LBB169_1288
; %bb.1287:                             ;   in Loop: Header=BB169_17 Depth=1
	flat_load_dword v0, v[0:1]
	s_waitcnt vmcnt(0) lgkmcnt(0)
	v_cvt_f32_f16_e32 v52, v0
.LBB169_1288:                           ;   in Loop: Header=BB169_17 Depth=1
	s_or_b64 exec, exec, s[62:63]
                                        ; implicit-def: $vgpr0_vgpr1
.LBB169_1289:                           ;   in Loop: Header=BB169_17 Depth=1
	s_andn2_saveexec_b64 s[60:61], s[60:61]
	s_cbranch_execz .LBB169_1299
; %bb.1290:                             ;   in Loop: Header=BB169_17 Depth=1
	v_cmp_gt_i16_sdwa s[62:63], v8, v38 src0_sel:BYTE_0 src1_sel:DWORD
                                        ; implicit-def: $vgpr52
	s_and_saveexec_b64 s[64:65], s[62:63]
	s_xor_b64 s[62:63], exec, s[64:65]
	s_cbranch_execz .LBB169_1296
; %bb.1291:                             ;   in Loop: Header=BB169_17 Depth=1
	v_cmp_gt_i16_sdwa s[64:65], v8, v39 src0_sel:BYTE_0 src1_sel:DWORD
                                        ; implicit-def: $vgpr52
	s_and_saveexec_b64 s[66:67], s[64:65]
	s_xor_b64 s[64:65], exec, s[66:67]
	s_cbranch_execz .LBB169_1293
; %bb.1292:                             ;   in Loop: Header=BB169_17 Depth=1
	flat_load_dwordx2 v[0:1], v[0:1]
	s_waitcnt vmcnt(0) lgkmcnt(0)
	v_cvt_f32_f64_e32 v52, v[0:1]
                                        ; implicit-def: $vgpr0_vgpr1
.LBB169_1293:                           ;   in Loop: Header=BB169_17 Depth=1
	s_andn2_saveexec_b64 s[64:65], s[64:65]
	s_cbranch_execz .LBB169_1295
; %bb.1294:                             ;   in Loop: Header=BB169_17 Depth=1
	s_waitcnt vmcnt(0) lgkmcnt(0)
	flat_load_dword v52, v[0:1]
.LBB169_1295:                           ;   in Loop: Header=BB169_17 Depth=1
	s_or_b64 exec, exec, s[64:65]
                                        ; implicit-def: $vgpr0_vgpr1
.LBB169_1296:                           ;   in Loop: Header=BB169_17 Depth=1
	s_andn2_saveexec_b64 s[62:63], s[62:63]
	s_cbranch_execz .LBB169_1298
; %bb.1297:                             ;   in Loop: Header=BB169_17 Depth=1
	flat_load_ushort v0, v[0:1]
	s_waitcnt vmcnt(0) lgkmcnt(0)
	v_cvt_f32_f16_e32 v52, v0
.LBB169_1298:                           ;   in Loop: Header=BB169_17 Depth=1
	s_or_b64 exec, exec, s[62:63]
.LBB169_1299:                           ;   in Loop: Header=BB169_17 Depth=1
	s_or_b64 exec, exec, s[60:61]
                                        ; implicit-def: $vgpr0_vgpr1
.LBB169_1300:                           ;   in Loop: Header=BB169_17 Depth=1
	s_andn2_saveexec_b64 s[58:59], s[58:59]
	s_cbranch_execz .LBB169_1318
; %bb.1301:                             ;   in Loop: Header=BB169_17 Depth=1
	v_cmp_gt_i16_sdwa s[60:61], v8, v48 src0_sel:BYTE_0 src1_sel:DWORD
                                        ; implicit-def: $vgpr52
	s_and_saveexec_b64 s[62:63], s[60:61]
	s_xor_b64 s[60:61], exec, s[62:63]
	s_cbranch_execz .LBB169_1311
; %bb.1302:                             ;   in Loop: Header=BB169_17 Depth=1
	v_cmp_gt_i16_sdwa s[62:63], v8, v49 src0_sel:BYTE_0 src1_sel:DWORD
                                        ; implicit-def: $vgpr52
	s_and_saveexec_b64 s[64:65], s[62:63]
	s_xor_b64 s[62:63], exec, s[64:65]
	s_cbranch_execz .LBB169_1308
; %bb.1303:                             ;   in Loop: Header=BB169_17 Depth=1
	v_cmp_gt_i16_sdwa s[64:65], v8, v50 src0_sel:BYTE_0 src1_sel:DWORD
                                        ; implicit-def: $vgpr52
	s_and_saveexec_b64 s[66:67], s[64:65]
	s_xor_b64 s[64:65], exec, s[66:67]
	s_cbranch_execz .LBB169_1305
; %bb.1304:                             ;   in Loop: Header=BB169_17 Depth=1
	flat_load_dwordx2 v[0:1], v[0:1]
	s_waitcnt vmcnt(0) lgkmcnt(0)
	v_xor_b32_e32 v54, v0, v1
	v_ffbh_i32_e32 v52, v1
	v_ashrrev_i32_e32 v54, 31, v54
	v_add_u32_e32 v52, -1, v52
	v_add_u32_e32 v54, 32, v54
	v_min_u32_e32 v52, v52, v54
	v_lshlrev_b64 v[0:1], v52, v[0:1]
	v_min_u32_e32 v0, 1, v0
	v_or_b32_e32 v0, v1, v0
	v_cvt_f32_i32_e32 v0, v0
	v_sub_u32_e32 v1, 32, v52
	v_ldexp_f32 v52, v0, v1
                                        ; implicit-def: $vgpr0_vgpr1
.LBB169_1305:                           ;   in Loop: Header=BB169_17 Depth=1
	s_andn2_saveexec_b64 s[64:65], s[64:65]
	s_cbranch_execz .LBB169_1307
; %bb.1306:                             ;   in Loop: Header=BB169_17 Depth=1
	flat_load_dword v0, v[0:1]
	s_waitcnt vmcnt(0) lgkmcnt(0)
	v_cvt_f32_i32_e32 v52, v0
.LBB169_1307:                           ;   in Loop: Header=BB169_17 Depth=1
	s_or_b64 exec, exec, s[64:65]
                                        ; implicit-def: $vgpr0_vgpr1
.LBB169_1308:                           ;   in Loop: Header=BB169_17 Depth=1
	s_andn2_saveexec_b64 s[62:63], s[62:63]
	s_cbranch_execz .LBB169_1310
; %bb.1309:                             ;   in Loop: Header=BB169_17 Depth=1
	flat_load_sshort v0, v[0:1]
	s_waitcnt vmcnt(0) lgkmcnt(0)
	v_cvt_f32_i32_e32 v52, v0
.LBB169_1310:                           ;   in Loop: Header=BB169_17 Depth=1
	s_or_b64 exec, exec, s[62:63]
                                        ; implicit-def: $vgpr0_vgpr1
.LBB169_1311:                           ;   in Loop: Header=BB169_17 Depth=1
	s_andn2_saveexec_b64 s[60:61], s[60:61]
	s_cbranch_execz .LBB169_1317
; %bb.1312:                             ;   in Loop: Header=BB169_17 Depth=1
	v_cmp_gt_i16_sdwa s[62:63], v8, v6 src0_sel:BYTE_0 src1_sel:DWORD
                                        ; implicit-def: $vgpr52
	s_and_saveexec_b64 s[64:65], s[62:63]
	s_xor_b64 s[62:63], exec, s[64:65]
	s_cbranch_execz .LBB169_1314
; %bb.1313:                             ;   in Loop: Header=BB169_17 Depth=1
	flat_load_sbyte v0, v[0:1]
	s_waitcnt vmcnt(0) lgkmcnt(0)
	v_cvt_f32_i32_e32 v52, v0
                                        ; implicit-def: $vgpr0_vgpr1
.LBB169_1314:                           ;   in Loop: Header=BB169_17 Depth=1
	s_andn2_saveexec_b64 s[62:63], s[62:63]
	s_cbranch_execz .LBB169_1316
; %bb.1315:                             ;   in Loop: Header=BB169_17 Depth=1
	flat_load_ubyte v0, v[0:1]
	s_waitcnt vmcnt(0) lgkmcnt(0)
	v_cvt_f32_ubyte0_e32 v52, v0
.LBB169_1316:                           ;   in Loop: Header=BB169_17 Depth=1
	s_or_b64 exec, exec, s[62:63]
.LBB169_1317:                           ;   in Loop: Header=BB169_17 Depth=1
	s_or_b64 exec, exec, s[60:61]
.LBB169_1318:                           ;   in Loop: Header=BB169_17 Depth=1
	s_or_b64 exec, exec, s[58:59]
	s_andn2_b64 s[54:55], s[54:55], exec
	s_andn2_b64 vcc, vcc, exec
	s_or_b64 s[56:57], s[56:57], exec
	s_or_b64 exec, exec, s[52:53]
	s_mov_b64 s[52:53], 0
	s_and_saveexec_b64 s[58:59], s[56:57]
	s_cbranch_execnz .LBB169_1195
	s_branch .LBB169_1196
.LBB169_1319:                           ;   in Loop: Header=BB169_17 Depth=1
	v_cmp_gt_i16_sdwa vcc, v7, v13 src0_sel:BYTE_0 src1_sel:DWORD
	s_mov_b64 s[58:59], 0
                                        ; implicit-def: $sgpr60_sgpr61
                                        ; implicit-def: $sgpr50_sgpr51
                                        ; implicit-def: $vgpr54
	s_and_saveexec_b64 s[48:49], vcc
	s_xor_b64 s[48:49], exec, s[48:49]
	s_cbranch_execz .LBB169_1351
; %bb.1320:                             ;   in Loop: Header=BB169_17 Depth=1
	v_cmp_gt_i16_sdwa vcc, v7, v14 src0_sel:BYTE_0 src1_sel:DWORD
                                        ; implicit-def: $sgpr60_sgpr61
                                        ; implicit-def: $sgpr62_sgpr63
                                        ; implicit-def: $vgpr54
	s_and_saveexec_b64 s[50:51], vcc
	s_xor_b64 s[50:51], exec, s[50:51]
	s_cbranch_execz .LBB169_1336
; %bb.1321:                             ;   in Loop: Header=BB169_17 Depth=1
	v_cmp_gt_i16_sdwa s[58:59], v7, v15 src0_sel:BYTE_0 src1_sel:DWORD
	s_mov_b64 s[64:65], 0
                                        ; implicit-def: $vcc
                                        ; implicit-def: $sgpr60_sgpr61
                                        ; implicit-def: $vgpr54
	s_and_saveexec_b64 s[62:63], s[58:59]
	s_xor_b64 s[58:59], exec, s[62:63]
	s_cbranch_execz .LBB169_1331
; %bb.1322:                             ;   in Loop: Header=BB169_17 Depth=1
	v_cmp_gt_i16_sdwa vcc, v7, v16 src0_sel:BYTE_0 src1_sel:DWORD
	s_mov_b64 s[62:63], 0
                                        ; implicit-def: $sgpr60_sgpr61
                                        ; implicit-def: $sgpr64_sgpr65
                                        ; implicit-def: $vgpr54
	s_and_saveexec_b64 s[66:67], vcc
	s_xor_b64 vcc, exec, s[66:67]
	s_cbranch_execz .LBB169_1326
; %bb.1323:                             ;   in Loop: Header=BB169_17 Depth=1
	v_cmp_eq_u16_sdwa s[66:67], v7, v17 src0_sel:BYTE_0 src1_sel:DWORD
	s_mov_b64 s[60:61], 0
                                        ; implicit-def: $vgpr54
	s_and_saveexec_b64 s[64:65], s[66:67]
	s_cbranch_execz .LBB169_1325
; %bb.1324:                             ;   in Loop: Header=BB169_17 Depth=1
	flat_load_dword v0, v[0:1]
	s_mov_b64 s[62:63], exec
	s_waitcnt vmcnt(0) lgkmcnt(0)
	v_lshlrev_b32_e32 v54, 16, v0
.LBB169_1325:                           ;   in Loop: Header=BB169_17 Depth=1
	s_or_b64 exec, exec, s[64:65]
	s_mov_b64 s[64:65], -1
	s_and_b64 s[62:63], s[62:63], exec
                                        ; implicit-def: $vgpr0_vgpr1
.LBB169_1326:                           ;   in Loop: Header=BB169_17 Depth=1
	s_andn2_saveexec_b64 s[66:67], vcc
	s_cbranch_execz .LBB169_1330
; %bb.1327:                             ;   in Loop: Header=BB169_17 Depth=1
	v_cmp_eq_u16_sdwa s[70:71], v7, v18 src0_sel:BYTE_0 src1_sel:DWORD
	s_mov_b64 vcc, s[62:63]
                                        ; implicit-def: $vgpr54
	s_and_saveexec_b64 s[68:69], s[70:71]
	s_cbranch_execz .LBB169_1329
; %bb.1328:                             ;   in Loop: Header=BB169_17 Depth=1
	flat_load_ubyte v0, v[0:1]
	s_movk_i32 vcc_lo, 0xff
	s_waitcnt vmcnt(0) lgkmcnt(0)
	v_lshlrev_b32_e32 v1, 23, v0
	v_cmp_ne_u32_e32 vcc, vcc_lo, v0
	v_cndmask_b32_e32 v1, v19, v1, vcc
	v_cmp_ne_u32_e32 vcc, 0, v0
	v_cndmask_b32_e32 v54, v20, v1, vcc
	s_or_b64 vcc, s[62:63], exec
.LBB169_1329:                           ;   in Loop: Header=BB169_17 Depth=1
	s_or_b64 exec, exec, s[68:69]
	s_andn2_b64 s[62:63], s[62:63], exec
	s_and_b64 vcc, vcc, exec
	s_andn2_b64 s[60:61], s[60:61], exec
	s_or_b64 s[64:65], s[64:65], exec
	s_or_b64 s[62:63], s[62:63], vcc
.LBB169_1330:                           ;   in Loop: Header=BB169_17 Depth=1
	s_or_b64 exec, exec, s[66:67]
	s_and_b64 s[60:61], s[60:61], exec
	s_and_b64 vcc, s[64:65], exec
	s_and_b64 s[64:65], s[62:63], exec
                                        ; implicit-def: $vgpr0_vgpr1
.LBB169_1331:                           ;   in Loop: Header=BB169_17 Depth=1
	s_andn2_saveexec_b64 s[58:59], s[58:59]
	s_cbranch_execz .LBB169_1335
; %bb.1332:                             ;   in Loop: Header=BB169_17 Depth=1
	v_cmp_eq_u16_sdwa s[68:69], v7, v21 src0_sel:BYTE_0 src1_sel:DWORD
	s_mov_b64 s[66:67], s[64:65]
                                        ; implicit-def: $vgpr54
	s_and_saveexec_b64 s[62:63], s[68:69]
	s_cbranch_execz .LBB169_1334
; %bb.1333:                             ;   in Loop: Header=BB169_17 Depth=1
	flat_load_dwordx2 v[0:1], v[0:1]
	s_or_b64 s[66:67], s[64:65], exec
	s_waitcnt vmcnt(0) lgkmcnt(0)
	v_ffbh_u32_e32 v53, v1
	v_min_u32_e32 v53, 32, v53
	v_lshlrev_b64 v[0:1], v53, v[0:1]
	v_min_u32_e32 v0, 1, v0
	v_or_b32_e32 v0, v1, v0
	v_cvt_f32_u32_e32 v0, v0
	v_sub_u32_e32 v1, 32, v53
	v_ldexp_f32 v54, v0, v1
.LBB169_1334:                           ;   in Loop: Header=BB169_17 Depth=1
	s_or_b64 exec, exec, s[62:63]
	s_andn2_b64 s[62:63], s[64:65], exec
	s_and_b64 s[64:65], s[66:67], exec
	s_andn2_b64 s[60:61], s[60:61], exec
	s_or_b64 vcc, vcc, exec
	s_or_b64 s[64:65], s[62:63], s[64:65]
.LBB169_1335:                           ;   in Loop: Header=BB169_17 Depth=1
	s_or_b64 exec, exec, s[58:59]
	s_and_b64 s[62:63], s[60:61], exec
	s_and_b64 s[60:61], vcc, exec
	s_and_b64 s[58:59], s[64:65], exec
                                        ; implicit-def: $vgpr0_vgpr1
.LBB169_1336:                           ;   in Loop: Header=BB169_17 Depth=1
	s_andn2_saveexec_b64 s[50:51], s[50:51]
	s_cbranch_execz .LBB169_1350
; %bb.1337:                             ;   in Loop: Header=BB169_17 Depth=1
	v_cmp_gt_i16_sdwa vcc, v7, v22 src0_sel:BYTE_0 src1_sel:DWORD
                                        ; implicit-def: $vgpr54
	s_and_saveexec_b64 s[64:65], vcc
	s_xor_b64 vcc, exec, s[64:65]
	s_cbranch_execz .LBB169_1343
; %bb.1338:                             ;   in Loop: Header=BB169_17 Depth=1
	v_cmp_gt_i16_sdwa s[64:65], v7, v23 src0_sel:BYTE_0 src1_sel:DWORD
                                        ; implicit-def: $vgpr54
	s_and_saveexec_b64 s[66:67], s[64:65]
	s_xor_b64 s[64:65], exec, s[66:67]
	s_cbranch_execz .LBB169_1340
; %bb.1339:                             ;   in Loop: Header=BB169_17 Depth=1
	flat_load_dword v0, v[0:1]
	s_waitcnt vmcnt(0) lgkmcnt(0)
	v_cvt_f32_u32_e32 v54, v0
                                        ; implicit-def: $vgpr0_vgpr1
.LBB169_1340:                           ;   in Loop: Header=BB169_17 Depth=1
	s_andn2_saveexec_b64 s[64:65], s[64:65]
	s_cbranch_execz .LBB169_1342
; %bb.1341:                             ;   in Loop: Header=BB169_17 Depth=1
	flat_load_ushort v0, v[0:1]
	s_waitcnt vmcnt(0) lgkmcnt(0)
	v_cvt_f32_u32_e32 v54, v0
.LBB169_1342:                           ;   in Loop: Header=BB169_17 Depth=1
	s_or_b64 exec, exec, s[64:65]
                                        ; implicit-def: $vgpr0_vgpr1
.LBB169_1343:                           ;   in Loop: Header=BB169_17 Depth=1
	s_andn2_saveexec_b64 s[64:65], vcc
	s_cbranch_execz .LBB169_1349
; %bb.1344:                             ;   in Loop: Header=BB169_17 Depth=1
	flat_load_ubyte v0, v[0:1]
	s_movk_i32 vcc_lo, 0x7f
	s_mov_b64 s[66:67], 0
                                        ; implicit-def: $sgpr72
	s_waitcnt vmcnt(0) lgkmcnt(0)
	v_cmp_lt_i16_e32 vcc, vcc_lo, v0
	s_and_saveexec_b64 s[68:69], vcc
	s_xor_b64 s[68:69], exec, s[68:69]
	s_cbranch_execnz .LBB169_2123
; %bb.1345:                             ;   in Loop: Header=BB169_17 Depth=1
	s_or_saveexec_b64 s[68:69], s[68:69]
	v_mov_b32_e32 v54, s72
	s_xor_b64 exec, exec, s[68:69]
	s_cbranch_execnz .LBB169_2126
.LBB169_1346:                           ;   in Loop: Header=BB169_17 Depth=1
	s_or_b64 exec, exec, s[68:69]
	s_and_saveexec_b64 s[68:69], s[66:67]
	s_cbranch_execz .LBB169_1348
.LBB169_1347:                           ;   in Loop: Header=BB169_17 Depth=1
	v_lshlrev_b32_e32 v1, 24, v0
	v_and_b32_e32 v0, 0xffff, v0
	v_and_b32_e32 v53, 7, v0
	v_ffbh_u32_e32 v55, v53
	v_min_u32_e32 v55, 32, v55
	v_subrev_u32_e32 v64, 28, v55
	v_bfe_u32 v54, v0, 3, 4
	v_lshlrev_b32_e32 v0, v64, v0
	v_sub_u32_e32 v55, 29, v55
	v_and_b32_e32 v0, 7, v0
	v_cmp_eq_u32_e32 vcc, 0, v54
	v_cndmask_b32_e32 v54, v54, v55, vcc
	v_cndmask_b32_e32 v0, v53, v0, vcc
	v_lshlrev_b32_e32 v0, 20, v0
	v_and_b32_e32 v1, 0x80000000, v1
	v_lshl_add_u32 v53, v54, 23, v24
	v_or3_b32 v54, v1, v53, v0
.LBB169_1348:                           ;   in Loop: Header=BB169_17 Depth=1
	s_or_b64 exec, exec, s[68:69]
.LBB169_1349:                           ;   in Loop: Header=BB169_17 Depth=1
	s_or_b64 exec, exec, s[64:65]
	s_andn2_b64 s[62:63], s[62:63], exec
	s_andn2_b64 s[60:61], s[60:61], exec
	s_or_b64 s[58:59], s[58:59], exec
.LBB169_1350:                           ;   in Loop: Header=BB169_17 Depth=1
	s_or_b64 exec, exec, s[50:51]
	s_and_b64 s[50:51], s[62:63], exec
	s_and_b64 s[60:61], s[60:61], exec
	;; [unrolled: 1-line block ×3, first 2 shown]
                                        ; implicit-def: $vgpr0_vgpr1
.LBB169_1351:                           ;   in Loop: Header=BB169_17 Depth=1
	s_andn2_saveexec_b64 s[48:49], s[48:49]
	s_cbranch_execz .LBB169_1377
; %bb.1352:                             ;   in Loop: Header=BB169_17 Depth=1
	v_cmp_gt_i16_sdwa vcc, v7, v25 src0_sel:BYTE_0 src1_sel:DWORD
	s_mov_b64 s[64:65], s[58:59]
                                        ; implicit-def: $vgpr54
	s_and_saveexec_b64 s[62:63], vcc
	s_xor_b64 s[62:63], exec, s[62:63]
	s_cbranch_execz .LBB169_1366
; %bb.1353:                             ;   in Loop: Header=BB169_17 Depth=1
	v_cmp_gt_i16_sdwa vcc, v7, v26 src0_sel:BYTE_0 src1_sel:DWORD
                                        ; implicit-def: $vgpr54
	s_and_saveexec_b64 s[64:65], vcc
	s_xor_b64 s[64:65], exec, s[64:65]
	s_cbranch_execz .LBB169_1363
; %bb.1354:                             ;   in Loop: Header=BB169_17 Depth=1
	v_cmp_gt_i16_sdwa vcc, v7, v27 src0_sel:BYTE_0 src1_sel:DWORD
                                        ; implicit-def: $vgpr54
	s_and_saveexec_b64 s[66:67], vcc
	s_xor_b64 s[66:67], exec, s[66:67]
	s_cbranch_execz .LBB169_1360
; %bb.1355:                             ;   in Loop: Header=BB169_17 Depth=1
	flat_load_ubyte v0, v[0:1]
	s_movk_i32 vcc_lo, 0x7f
	s_mov_b64 s[68:69], 0
                                        ; implicit-def: $sgpr74
	s_waitcnt vmcnt(0) lgkmcnt(0)
	v_cmp_lt_i16_e32 vcc, vcc_lo, v0
	s_and_saveexec_b64 s[70:71], vcc
	s_xor_b64 s[70:71], exec, s[70:71]
	s_cbranch_execnz .LBB169_2342
; %bb.1356:                             ;   in Loop: Header=BB169_17 Depth=1
	s_or_saveexec_b64 s[70:71], s[70:71]
	v_mov_b32_e32 v54, s74
	s_xor_b64 exec, exec, s[70:71]
	s_cbranch_execnz .LBB169_2345
.LBB169_1357:                           ;   in Loop: Header=BB169_17 Depth=1
	s_or_b64 exec, exec, s[70:71]
	s_and_saveexec_b64 s[70:71], s[68:69]
	s_cbranch_execz .LBB169_1359
.LBB169_1358:                           ;   in Loop: Header=BB169_17 Depth=1
	v_lshlrev_b32_e32 v1, 24, v0
	v_and_b32_e32 v0, 0xffff, v0
	v_and_b32_e32 v53, 3, v0
	v_ffbh_u32_e32 v55, v53
	v_min_u32_e32 v55, 32, v55
	v_subrev_u32_e32 v64, 29, v55
	v_bfe_u32 v54, v0, 2, 5
	v_lshlrev_b32_e32 v0, v64, v0
	v_sub_u32_e32 v55, 30, v55
	v_and_b32_e32 v0, 3, v0
	v_cmp_eq_u32_e32 vcc, 0, v54
	v_cndmask_b32_e32 v54, v54, v55, vcc
	v_cndmask_b32_e32 v0, v53, v0, vcc
	v_lshlrev_b32_e32 v0, 21, v0
	v_and_b32_e32 v1, 0x80000000, v1
	v_lshl_add_u32 v53, v54, 23, v28
	v_or3_b32 v54, v1, v53, v0
.LBB169_1359:                           ;   in Loop: Header=BB169_17 Depth=1
	s_or_b64 exec, exec, s[70:71]
                                        ; implicit-def: $vgpr0_vgpr1
.LBB169_1360:                           ;   in Loop: Header=BB169_17 Depth=1
	s_andn2_saveexec_b64 s[66:67], s[66:67]
	s_cbranch_execz .LBB169_1362
; %bb.1361:                             ;   in Loop: Header=BB169_17 Depth=1
	flat_load_ubyte v0, v[0:1]
	s_mov_b32 vcc_lo, 0x7f800000
	s_waitcnt vmcnt(0) lgkmcnt(0)
	v_lshlrev_b32_e32 v0, 24, v0
	v_and_b32_e32 v1, 0x7f000000, v0
	v_ffbh_u32_e32 v53, v1
	v_min_u32_e32 v53, 32, v53
	v_sub_u32_e64 v53, v53, 4 clamp
	v_lshlrev_b32_e32 v55, v53, v1
	v_lshlrev_b32_e32 v53, 23, v53
	v_lshrrev_b32_e32 v55, 4, v55
	v_add_u32_e32 v54, 0x1000000, v1
	v_sub_u32_e32 v53, v55, v53
	v_ashrrev_i32_e32 v54, 8, v54
	v_add_u32_e32 v53, 0x3c000000, v53
	v_and_or_b32 v53, v54, vcc_lo, v53
	v_cmp_ne_u32_e32 vcc, 0, v1
	v_cndmask_b32_e32 v1, 0, v53, vcc
	s_brev_b32 vcc_lo, 1
	v_and_or_b32 v54, v0, vcc_lo, v1
.LBB169_1362:                           ;   in Loop: Header=BB169_17 Depth=1
	s_or_b64 exec, exec, s[66:67]
                                        ; implicit-def: $vgpr0_vgpr1
.LBB169_1363:                           ;   in Loop: Header=BB169_17 Depth=1
	s_andn2_saveexec_b64 s[64:65], s[64:65]
	s_cbranch_execz .LBB169_1365
; %bb.1364:                             ;   in Loop: Header=BB169_17 Depth=1
	flat_load_ubyte v0, v[0:1]
	s_movk_i32 vcc_lo, 0x7f00
	s_waitcnt vmcnt(0) lgkmcnt(0)
	v_lshlrev_b16_e32 v1, 8, v0
	v_lshlrev_b32_e32 v0, 25, v0
	v_lshrrev_b32_e32 v53, 4, v0
	v_and_or_b32 v54, v1, vcc_lo, 0.5
	v_or_b32_e32 v53, 0x70000000, v53
	s_brev_b32 vcc_lo, 16
	v_add_f32_e32 v54, -0.5, v54
	v_mul_f32_e32 v53, 0x7800000, v53
	v_cmp_gt_u32_e32 vcc, vcc_lo, v0
	v_cndmask_b32_e32 v0, v53, v54, vcc
	v_bfe_i32 v1, v1, 0, 16
	s_brev_b32 vcc_lo, 1
	v_and_or_b32 v54, v1, vcc_lo, v0
.LBB169_1365:                           ;   in Loop: Header=BB169_17 Depth=1
	s_or_b64 exec, exec, s[64:65]
	s_or_b64 s[64:65], s[58:59], exec
                                        ; implicit-def: $vgpr0_vgpr1
.LBB169_1366:                           ;   in Loop: Header=BB169_17 Depth=1
	s_or_saveexec_b64 s[62:63], s[62:63]
                                        ; implicit-def: $vcc
                                        ; implicit-def: $sgpr70_sgpr71
	s_xor_b64 exec, exec, s[62:63]
	s_cbranch_execz .LBB169_1376
; %bb.1367:                             ;   in Loop: Header=BB169_17 Depth=1
	v_cmp_gt_i16_sdwa vcc, v7, v29 src0_sel:BYTE_0 src1_sel:DWORD
	s_mov_b64 s[68:69], s[64:65]
                                        ; implicit-def: $sgpr70_sgpr71
                                        ; implicit-def: $sgpr66_sgpr67
                                        ; implicit-def: $vgpr54
	s_and_saveexec_b64 s[72:73], vcc
	s_xor_b64 vcc, exec, s[72:73]
	s_cbranch_execz .LBB169_1371
; %bb.1368:                             ;   in Loop: Header=BB169_17 Depth=1
	v_cmp_eq_u16_sdwa s[70:71], v7, v32 src0_sel:BYTE_0 src1_sel:DWORD
	s_mov_b64 s[68:69], s[64:65]
                                        ; implicit-def: $vgpr54
	s_and_saveexec_b64 s[66:67], s[70:71]
	s_cbranch_execz .LBB169_1370
; %bb.1369:                             ;   in Loop: Header=BB169_17 Depth=1
	flat_load_ushort v0, v[0:1]
	s_or_b64 s[68:69], s[64:65], exec
	s_waitcnt vmcnt(0) lgkmcnt(0)
	v_lshlrev_b32_e32 v54, 16, v0
.LBB169_1370:                           ;   in Loop: Header=BB169_17 Depth=1
	s_or_b64 exec, exec, s[66:67]
	s_andn2_b64 s[72:73], s[64:65], exec
	s_and_b64 s[68:69], s[68:69], exec
	s_mov_b64 s[66:67], -1
	s_mov_b64 s[70:71], 0
	s_or_b64 s[68:69], s[72:73], s[68:69]
                                        ; implicit-def: $vgpr0_vgpr1
.LBB169_1371:                           ;   in Loop: Header=BB169_17 Depth=1
	s_andn2_saveexec_b64 s[72:73], vcc
	s_cbranch_execz .LBB169_1375
; %bb.1372:                             ;   in Loop: Header=BB169_17 Depth=1
	v_cmp_eq_u16_sdwa s[76:77], v7, v33 src0_sel:BYTE_0 src1_sel:DWORD
	s_mov_b64 vcc, s[68:69]
                                        ; implicit-def: $vgpr54
	s_and_saveexec_b64 s[74:75], s[76:77]
	s_cbranch_execz .LBB169_1374
; %bb.1373:                             ;   in Loop: Header=BB169_17 Depth=1
	flat_load_ubyte v0, v[0:1]
	s_waitcnt vmcnt(0) lgkmcnt(0)
	v_cmp_ne_u16_e32 vcc, 0, v0
	v_cndmask_b32_e64 v54, 0, 1.0, vcc
	s_or_b64 vcc, s[68:69], exec
.LBB169_1374:                           ;   in Loop: Header=BB169_17 Depth=1
	s_or_b64 exec, exec, s[74:75]
	s_andn2_b64 s[68:69], s[68:69], exec
	s_and_b64 vcc, vcc, exec
	s_andn2_b64 s[70:71], s[70:71], exec
	s_or_b64 s[66:67], s[66:67], exec
	s_or_b64 s[68:69], s[68:69], vcc
.LBB169_1375:                           ;   in Loop: Header=BB169_17 Depth=1
	s_or_b64 exec, exec, s[72:73]
	s_and_b64 vcc, s[66:67], exec
	s_andn2_b64 s[64:65], s[64:65], exec
	s_and_b64 s[66:67], s[68:69], exec
	s_and_b64 s[70:71], s[70:71], exec
	s_or_b64 s[64:65], s[64:65], s[66:67]
.LBB169_1376:                           ;   in Loop: Header=BB169_17 Depth=1
	s_or_b64 exec, exec, s[62:63]
	s_andn2_b64 s[60:61], s[60:61], exec
	s_and_b64 vcc, vcc, exec
	s_andn2_b64 s[50:51], s[50:51], exec
	s_and_b64 s[62:63], s[70:71], exec
	s_or_b64 s[60:61], s[60:61], vcc
	s_andn2_b64 vcc, s[58:59], exec
	s_and_b64 s[58:59], s[64:65], exec
	s_or_b64 s[50:51], s[50:51], s[62:63]
	s_or_b64 s[58:59], vcc, s[58:59]
.LBB169_1377:                           ;   in Loop: Header=BB169_17 Depth=1
	s_or_b64 exec, exec, s[48:49]
	s_and_b64 s[50:51], s[50:51], exec
	s_and_b64 s[48:49], s[60:61], exec
	s_and_b64 vcc, s[58:59], exec
                                        ; implicit-def: $vgpr0_vgpr1
	s_andn2_saveexec_b64 s[56:57], s[56:57]
	s_cbranch_execz .LBB169_1202
.LBB169_1378:                           ;   in Loop: Header=BB169_17 Depth=1
	v_cmp_gt_i16_sdwa s[58:59], v7, v34 src0_sel:BYTE_0 src1_sel:DWORD
                                        ; implicit-def: $vgpr54
	s_and_saveexec_b64 s[60:61], s[58:59]
	s_xor_b64 s[58:59], exec, s[60:61]
	s_cbranch_execz .LBB169_1400
; %bb.1379:                             ;   in Loop: Header=BB169_17 Depth=1
	v_cmp_gt_i16_sdwa s[60:61], v7, v35 src0_sel:BYTE_0 src1_sel:DWORD
                                        ; implicit-def: $vgpr54
	s_and_saveexec_b64 s[62:63], s[60:61]
	s_xor_b64 s[60:61], exec, s[62:63]
	s_cbranch_execz .LBB169_1389
; %bb.1380:                             ;   in Loop: Header=BB169_17 Depth=1
	;; [unrolled: 6-line block ×4, first 2 shown]
	flat_load_dwordx2 v[0:1], v[0:1]
	s_waitcnt vmcnt(0) lgkmcnt(0)
	v_cvt_f32_f64_e32 v54, v[0:1]
                                        ; implicit-def: $vgpr0_vgpr1
.LBB169_1383:                           ;   in Loop: Header=BB169_17 Depth=1
	s_andn2_saveexec_b64 s[64:65], s[64:65]
	s_cbranch_execz .LBB169_1385
; %bb.1384:                             ;   in Loop: Header=BB169_17 Depth=1
	flat_load_dword v54, v[0:1]
.LBB169_1385:                           ;   in Loop: Header=BB169_17 Depth=1
	s_or_b64 exec, exec, s[64:65]
                                        ; implicit-def: $vgpr0_vgpr1
.LBB169_1386:                           ;   in Loop: Header=BB169_17 Depth=1
	s_andn2_saveexec_b64 s[62:63], s[62:63]
	s_cbranch_execz .LBB169_1388
; %bb.1387:                             ;   in Loop: Header=BB169_17 Depth=1
	flat_load_dword v0, v[0:1]
	s_waitcnt vmcnt(0) lgkmcnt(0)
	v_cvt_f32_f16_e32 v54, v0
.LBB169_1388:                           ;   in Loop: Header=BB169_17 Depth=1
	s_or_b64 exec, exec, s[62:63]
                                        ; implicit-def: $vgpr0_vgpr1
.LBB169_1389:                           ;   in Loop: Header=BB169_17 Depth=1
	s_andn2_saveexec_b64 s[60:61], s[60:61]
	s_cbranch_execz .LBB169_1399
; %bb.1390:                             ;   in Loop: Header=BB169_17 Depth=1
	v_cmp_gt_i16_sdwa s[62:63], v7, v38 src0_sel:BYTE_0 src1_sel:DWORD
                                        ; implicit-def: $vgpr54
	s_and_saveexec_b64 s[64:65], s[62:63]
	s_xor_b64 s[62:63], exec, s[64:65]
	s_cbranch_execz .LBB169_1396
; %bb.1391:                             ;   in Loop: Header=BB169_17 Depth=1
	v_cmp_gt_i16_sdwa s[64:65], v7, v39 src0_sel:BYTE_0 src1_sel:DWORD
                                        ; implicit-def: $vgpr54
	s_and_saveexec_b64 s[66:67], s[64:65]
	s_xor_b64 s[64:65], exec, s[66:67]
	s_cbranch_execz .LBB169_1393
; %bb.1392:                             ;   in Loop: Header=BB169_17 Depth=1
	flat_load_dwordx2 v[0:1], v[0:1]
	s_waitcnt vmcnt(0) lgkmcnt(0)
	v_cvt_f32_f64_e32 v54, v[0:1]
                                        ; implicit-def: $vgpr0_vgpr1
.LBB169_1393:                           ;   in Loop: Header=BB169_17 Depth=1
	s_andn2_saveexec_b64 s[64:65], s[64:65]
	s_cbranch_execz .LBB169_1395
; %bb.1394:                             ;   in Loop: Header=BB169_17 Depth=1
	s_waitcnt vmcnt(0) lgkmcnt(0)
	flat_load_dword v54, v[0:1]
.LBB169_1395:                           ;   in Loop: Header=BB169_17 Depth=1
	s_or_b64 exec, exec, s[64:65]
                                        ; implicit-def: $vgpr0_vgpr1
.LBB169_1396:                           ;   in Loop: Header=BB169_17 Depth=1
	s_andn2_saveexec_b64 s[62:63], s[62:63]
	s_cbranch_execz .LBB169_1398
; %bb.1397:                             ;   in Loop: Header=BB169_17 Depth=1
	flat_load_ushort v0, v[0:1]
	s_waitcnt vmcnt(0) lgkmcnt(0)
	v_cvt_f32_f16_e32 v54, v0
.LBB169_1398:                           ;   in Loop: Header=BB169_17 Depth=1
	s_or_b64 exec, exec, s[62:63]
.LBB169_1399:                           ;   in Loop: Header=BB169_17 Depth=1
	s_or_b64 exec, exec, s[60:61]
                                        ; implicit-def: $vgpr0_vgpr1
.LBB169_1400:                           ;   in Loop: Header=BB169_17 Depth=1
	s_andn2_saveexec_b64 s[58:59], s[58:59]
	s_cbranch_execz .LBB169_1418
; %bb.1401:                             ;   in Loop: Header=BB169_17 Depth=1
	v_cmp_gt_i16_sdwa s[60:61], v7, v48 src0_sel:BYTE_0 src1_sel:DWORD
                                        ; implicit-def: $vgpr54
	s_and_saveexec_b64 s[62:63], s[60:61]
	s_xor_b64 s[60:61], exec, s[62:63]
	s_cbranch_execz .LBB169_1411
; %bb.1402:                             ;   in Loop: Header=BB169_17 Depth=1
	v_cmp_gt_i16_sdwa s[62:63], v7, v49 src0_sel:BYTE_0 src1_sel:DWORD
                                        ; implicit-def: $vgpr54
	s_and_saveexec_b64 s[64:65], s[62:63]
	s_xor_b64 s[62:63], exec, s[64:65]
	;; [unrolled: 6-line block ×3, first 2 shown]
	s_cbranch_execz .LBB169_1405
; %bb.1404:                             ;   in Loop: Header=BB169_17 Depth=1
	flat_load_dwordx2 v[0:1], v[0:1]
	s_waitcnt vmcnt(0) lgkmcnt(0)
	v_xor_b32_e32 v54, v0, v1
	v_ffbh_i32_e32 v53, v1
	v_ashrrev_i32_e32 v54, 31, v54
	v_add_u32_e32 v53, -1, v53
	v_add_u32_e32 v54, 32, v54
	v_min_u32_e32 v53, v53, v54
	v_lshlrev_b64 v[0:1], v53, v[0:1]
	v_min_u32_e32 v0, 1, v0
	v_or_b32_e32 v0, v1, v0
	v_cvt_f32_i32_e32 v0, v0
	v_sub_u32_e32 v1, 32, v53
	v_ldexp_f32 v54, v0, v1
                                        ; implicit-def: $vgpr0_vgpr1
.LBB169_1405:                           ;   in Loop: Header=BB169_17 Depth=1
	s_andn2_saveexec_b64 s[64:65], s[64:65]
	s_cbranch_execz .LBB169_1407
; %bb.1406:                             ;   in Loop: Header=BB169_17 Depth=1
	flat_load_dword v0, v[0:1]
	s_waitcnt vmcnt(0) lgkmcnt(0)
	v_cvt_f32_i32_e32 v54, v0
.LBB169_1407:                           ;   in Loop: Header=BB169_17 Depth=1
	s_or_b64 exec, exec, s[64:65]
                                        ; implicit-def: $vgpr0_vgpr1
.LBB169_1408:                           ;   in Loop: Header=BB169_17 Depth=1
	s_andn2_saveexec_b64 s[62:63], s[62:63]
	s_cbranch_execz .LBB169_1410
; %bb.1409:                             ;   in Loop: Header=BB169_17 Depth=1
	flat_load_sshort v0, v[0:1]
	s_waitcnt vmcnt(0) lgkmcnt(0)
	v_cvt_f32_i32_e32 v54, v0
.LBB169_1410:                           ;   in Loop: Header=BB169_17 Depth=1
	s_or_b64 exec, exec, s[62:63]
                                        ; implicit-def: $vgpr0_vgpr1
.LBB169_1411:                           ;   in Loop: Header=BB169_17 Depth=1
	s_andn2_saveexec_b64 s[60:61], s[60:61]
	s_cbranch_execz .LBB169_1417
; %bb.1412:                             ;   in Loop: Header=BB169_17 Depth=1
	v_cmp_gt_i16_sdwa s[62:63], v7, v6 src0_sel:BYTE_0 src1_sel:DWORD
                                        ; implicit-def: $vgpr54
	s_and_saveexec_b64 s[64:65], s[62:63]
	s_xor_b64 s[62:63], exec, s[64:65]
	s_cbranch_execz .LBB169_1414
; %bb.1413:                             ;   in Loop: Header=BB169_17 Depth=1
	flat_load_sbyte v0, v[0:1]
	s_waitcnt vmcnt(0) lgkmcnt(0)
	v_cvt_f32_i32_e32 v54, v0
                                        ; implicit-def: $vgpr0_vgpr1
.LBB169_1414:                           ;   in Loop: Header=BB169_17 Depth=1
	s_andn2_saveexec_b64 s[62:63], s[62:63]
	s_cbranch_execz .LBB169_1416
; %bb.1415:                             ;   in Loop: Header=BB169_17 Depth=1
	flat_load_ubyte v0, v[0:1]
	s_waitcnt vmcnt(0) lgkmcnt(0)
	v_cvt_f32_ubyte0_e32 v54, v0
.LBB169_1416:                           ;   in Loop: Header=BB169_17 Depth=1
	s_or_b64 exec, exec, s[62:63]
.LBB169_1417:                           ;   in Loop: Header=BB169_17 Depth=1
	s_or_b64 exec, exec, s[60:61]
.LBB169_1418:                           ;   in Loop: Header=BB169_17 Depth=1
	s_or_b64 exec, exec, s[58:59]
	s_andn2_b64 s[50:51], s[50:51], exec
	s_andn2_b64 s[48:49], s[48:49], exec
	s_or_b64 vcc, vcc, exec
	s_or_b64 exec, exec, s[56:57]
	s_mov_b64 s[58:59], 0
	s_and_saveexec_b64 s[56:57], vcc
	s_cbranch_execz .LBB169_1424
.LBB169_1419:                           ;   in Loop: Header=BB169_17 Depth=1
	v_mul_lo_u32 v0, v52, v10
	v_readlane_b32 s58, v78, 0
	v_add_co_u32_e32 v0, vcc, v4, v0
	v_add_u32_e32 v53, s58, v11
	v_addc_co_u32_e32 v1, vcc, 0, v5, vcc
	v_cmp_gt_i16_sdwa s[58:59], v8, v12 src0_sel:BYTE_0 src1_sel:DWORD
	s_mov_b64 s[62:63], 0
	s_waitcnt vmcnt(0) lgkmcnt(0)
	buffer_store_dword v54, v53, s[0:3], 0 offen offset:52
                                        ; implicit-def: $vcc
                                        ; implicit-def: $sgpr60_sgpr61
                                        ; implicit-def: $vgpr52
	s_and_saveexec_b64 s[64:65], s[58:59]
	s_xor_b64 s[58:59], exec, s[64:65]
	s_cbranch_execnz .LBB169_1446
; %bb.1420:                             ;   in Loop: Header=BB169_17 Depth=1
	s_andn2_saveexec_b64 s[58:59], s[58:59]
	s_cbranch_execnz .LBB169_1505
.LBB169_1421:                           ;   in Loop: Header=BB169_17 Depth=1
	s_or_b64 exec, exec, s[58:59]
	s_mov_b64 s[58:59], 0
	s_and_saveexec_b64 s[64:65], s[62:63]
	s_cbranch_execz .LBB169_1423
.LBB169_1422:                           ;   in Loop: Header=BB169_17 Depth=1
	s_mov_b64 s[58:59], exec
	v_add_u32_e32 v51, 0x200, v51
	s_andn2_b64 s[60:61], s[60:61], exec
	s_andn2_b64 vcc, vcc, exec
	s_waitcnt vmcnt(0) lgkmcnt(0)
	buffer_store_dword v52, v53, s[0:3], 0 offen offset:48
.LBB169_1423:                           ;   in Loop: Header=BB169_17 Depth=1
	s_or_b64 exec, exec, s[64:65]
	s_andn2_b64 s[50:51], s[50:51], exec
	s_and_b64 s[60:61], s[60:61], exec
	s_andn2_b64 s[48:49], s[48:49], exec
	s_and_b64 vcc, vcc, exec
	s_or_b64 s[50:51], s[50:51], s[60:61]
	s_or_b64 s[48:49], s[48:49], vcc
	s_and_b64 s[58:59], s[58:59], exec
.LBB169_1424:                           ;   in Loop: Header=BB169_17 Depth=1
	s_or_b64 exec, exec, s[56:57]
	s_and_b64 s[50:51], s[50:51], exec
	s_and_b64 s[48:49], s[48:49], exec
	s_orn2_b64 s[56:57], s[58:59], exec
.LBB169_1425:                           ;   in Loop: Header=BB169_17 Depth=1
	s_or_b64 exec, exec, s[52:53]
	s_and_saveexec_b64 s[52:53], s[56:57]
	s_cbranch_execz .LBB169_10
; %bb.1426:                             ;   in Loop: Header=BB169_17 Depth=1
	v_cmp_lt_i32_e32 vcc, v51, v72
	s_mov_b64 s[60:61], -1
	s_mov_b64 s[62:63], -1
                                        ; implicit-def: $sgpr54_sgpr55
                                        ; implicit-def: $sgpr56_sgpr57
	s_and_saveexec_b64 s[58:59], vcc
	s_cbranch_execz .LBB169_1652
; %bb.1427:                             ;   in Loop: Header=BB169_17 Depth=1
	v_readlane_b32 vcc_lo, v78, 1
	s_waitcnt vmcnt(0) lgkmcnt(0)
	v_add_u32_e32 v52, vcc_lo, v51
	v_mul_lo_u32 v0, v52, v9
	v_add_co_u32_e32 v0, vcc, v2, v0
	v_addc_co_u32_e32 v1, vcc, 0, v3, vcc
	v_cmp_gt_i16_sdwa s[62:63], v7, v12 src0_sel:BYTE_0 src1_sel:DWORD
	s_mov_b64 vcc, 0
                                        ; implicit-def: $sgpr54_sgpr55
                                        ; implicit-def: $sgpr56_sgpr57
                                        ; implicit-def: $vgpr54
	s_and_saveexec_b64 s[64:65], s[62:63]
	s_xor_b64 s[62:63], exec, s[64:65]
	s_cbranch_execnz .LBB169_1546
; %bb.1428:                             ;   in Loop: Header=BB169_17 Depth=1
	s_andn2_saveexec_b64 s[62:63], s[62:63]
	s_cbranch_execnz .LBB169_1605
.LBB169_1429:                           ;   in Loop: Header=BB169_17 Depth=1
	s_or_b64 exec, exec, s[62:63]
	s_mov_b64 s[64:65], 0
	s_and_saveexec_b64 s[62:63], vcc
	s_cbranch_execnz .LBB169_1646
	s_branch .LBB169_1651
.LBB169_1430:                           ;   in Loop: Header=BB169_17 Depth=1
	s_movk_i32 vcc_lo, 0x80
	v_cmp_eq_u16_e32 vcc, vcc_lo, v0
	s_mov_b64 s[44:45], -1
                                        ; implicit-def: $sgpr50
	s_and_saveexec_b64 s[48:49], vcc
; %bb.1431:                             ;   in Loop: Header=BB169_17 Depth=1
	s_mov_b32 s50, 0x7f800001
	s_xor_b64 s[44:45], exec, -1
; %bb.1432:                             ;   in Loop: Header=BB169_17 Depth=1
	s_or_b64 exec, exec, s[48:49]
	s_and_b64 s[44:45], s[44:45], exec
	s_or_saveexec_b64 s[46:47], s[46:47]
	v_mov_b32_e32 v52, s50
	s_xor_b64 exec, exec, s[46:47]
	s_cbranch_execz .LBB169_381
.LBB169_1433:                           ;   in Loop: Header=BB169_17 Depth=1
	v_cmp_ne_u16_e32 vcc, 0, v0
	s_andn2_b64 s[44:45], s[44:45], exec
	s_and_b64 vcc, vcc, exec
	v_mov_b32_e32 v52, 0
	s_or_b64 s[44:45], s[44:45], vcc
	s_or_b64 exec, exec, s[46:47]
	s_and_saveexec_b64 s[46:47], s[44:45]
	s_cbranch_execnz .LBB169_382
	s_branch .LBB169_383
.LBB169_1434:                           ;   in Loop: Header=BB169_17 Depth=1
	s_movk_i32 vcc_lo, 0x80
	v_cmp_eq_u16_e32 vcc, vcc_lo, v0
	s_mov_b64 s[44:45], -1
                                        ; implicit-def: $sgpr50
	s_and_saveexec_b64 s[48:49], vcc
; %bb.1435:                             ;   in Loop: Header=BB169_17 Depth=1
	s_mov_b32 s50, 0x7f800001
	s_xor_b64 s[44:45], exec, -1
; %bb.1436:                             ;   in Loop: Header=BB169_17 Depth=1
	s_or_b64 exec, exec, s[48:49]
	s_and_b64 s[44:45], s[44:45], exec
	s_or_saveexec_b64 s[46:47], s[46:47]
	v_mov_b32_e32 v54, s50
	s_xor_b64 exec, exec, s[46:47]
	s_cbranch_execz .LBB169_481
.LBB169_1437:                           ;   in Loop: Header=BB169_17 Depth=1
	v_cmp_ne_u16_e32 vcc, 0, v0
	s_andn2_b64 s[44:45], s[44:45], exec
	s_and_b64 vcc, vcc, exec
	v_mov_b32_e32 v54, 0
	s_or_b64 s[44:45], s[44:45], vcc
	s_or_b64 exec, exec, s[46:47]
	s_and_saveexec_b64 s[46:47], s[44:45]
	s_cbranch_execnz .LBB169_482
	s_branch .LBB169_483
.LBB169_1438:                           ;   in Loop: Header=BB169_17 Depth=1
	s_movk_i32 vcc_lo, 0x80
	v_cmp_eq_u16_e32 vcc, vcc_lo, v0
	s_mov_b64 s[48:49], -1
                                        ; implicit-def: $sgpr54
	s_and_saveexec_b64 s[52:53], vcc
; %bb.1439:                             ;   in Loop: Header=BB169_17 Depth=1
	s_mov_b32 s54, 0x7f800001
	s_xor_b64 s[48:49], exec, -1
; %bb.1440:                             ;   in Loop: Header=BB169_17 Depth=1
	s_or_b64 exec, exec, s[52:53]
	s_and_b64 s[48:49], s[48:49], exec
	s_or_saveexec_b64 s[50:51], s[50:51]
	v_mov_b32_e32 v52, s54
	s_xor_b64 exec, exec, s[50:51]
	s_cbranch_execz .LBB169_581
.LBB169_1441:                           ;   in Loop: Header=BB169_17 Depth=1
	v_cmp_ne_u16_e32 vcc, 0, v0
	s_andn2_b64 s[48:49], s[48:49], exec
	s_and_b64 vcc, vcc, exec
	v_mov_b32_e32 v52, 0
	s_or_b64 s[48:49], s[48:49], vcc
	s_or_b64 exec, exec, s[50:51]
	s_and_saveexec_b64 s[50:51], s[48:49]
	s_cbranch_execnz .LBB169_582
	s_branch .LBB169_583
.LBB169_1442:                           ;   in Loop: Header=BB169_17 Depth=1
	s_movk_i32 vcc_lo, 0x80
	v_cmp_eq_u16_e32 vcc, vcc_lo, v0
	s_mov_b64 s[48:49], -1
                                        ; implicit-def: $sgpr54
	s_and_saveexec_b64 s[52:53], vcc
; %bb.1443:                             ;   in Loop: Header=BB169_17 Depth=1
	s_mov_b32 s54, 0x7f800001
	s_xor_b64 s[48:49], exec, -1
; %bb.1444:                             ;   in Loop: Header=BB169_17 Depth=1
	s_or_b64 exec, exec, s[52:53]
	s_and_b64 s[48:49], s[48:49], exec
	s_or_saveexec_b64 s[50:51], s[50:51]
	v_mov_b32_e32 v54, s54
	s_xor_b64 exec, exec, s[50:51]
	s_cbranch_execz .LBB169_681
.LBB169_1445:                           ;   in Loop: Header=BB169_17 Depth=1
	v_cmp_ne_u16_e32 vcc, 0, v0
	s_andn2_b64 s[48:49], s[48:49], exec
	s_and_b64 vcc, vcc, exec
	v_mov_b32_e32 v54, 0
	s_or_b64 s[48:49], s[48:49], vcc
	s_or_b64 exec, exec, s[50:51]
	s_and_saveexec_b64 s[50:51], s[48:49]
	s_cbranch_execnz .LBB169_682
	s_branch .LBB169_683
.LBB169_1446:                           ;   in Loop: Header=BB169_17 Depth=1
	v_cmp_gt_i16_sdwa vcc, v8, v13 src0_sel:BYTE_0 src1_sel:DWORD
                                        ; implicit-def: $sgpr64_sgpr65
                                        ; implicit-def: $sgpr66_sgpr67
                                        ; implicit-def: $vgpr52
	s_and_saveexec_b64 s[60:61], vcc
	s_xor_b64 s[60:61], exec, s[60:61]
	s_cbranch_execz .LBB169_1478
; %bb.1447:                             ;   in Loop: Header=BB169_17 Depth=1
	v_cmp_gt_i16_sdwa vcc, v8, v14 src0_sel:BYTE_0 src1_sel:DWORD
                                        ; implicit-def: $sgpr64_sgpr65
                                        ; implicit-def: $sgpr68_sgpr69
                                        ; implicit-def: $vgpr52
	s_and_saveexec_b64 s[66:67], vcc
	s_xor_b64 s[66:67], exec, s[66:67]
	s_cbranch_execz .LBB169_1463
; %bb.1448:                             ;   in Loop: Header=BB169_17 Depth=1
	v_cmp_gt_i16_sdwa s[62:63], v8, v15 src0_sel:BYTE_0 src1_sel:DWORD
	s_mov_b64 s[70:71], 0
                                        ; implicit-def: $vcc
                                        ; implicit-def: $sgpr68_sgpr69
                                        ; implicit-def: $vgpr52
	s_and_saveexec_b64 s[64:65], s[62:63]
	s_xor_b64 s[62:63], exec, s[64:65]
	s_cbranch_execz .LBB169_1458
; %bb.1449:                             ;   in Loop: Header=BB169_17 Depth=1
	v_cmp_gt_i16_sdwa vcc, v8, v16 src0_sel:BYTE_0 src1_sel:DWORD
                                        ; implicit-def: $sgpr68_sgpr69
                                        ; implicit-def: $sgpr64_sgpr65
                                        ; implicit-def: $vgpr52
	s_and_saveexec_b64 s[72:73], vcc
	s_xor_b64 vcc, exec, s[72:73]
	s_cbranch_execz .LBB169_1453
; %bb.1450:                             ;   in Loop: Header=BB169_17 Depth=1
	v_cmp_eq_u16_sdwa s[72:73], v8, v17 src0_sel:BYTE_0 src1_sel:DWORD
	s_mov_b64 s[64:65], 0
                                        ; implicit-def: $vgpr52
	s_and_saveexec_b64 s[68:69], s[72:73]
	s_cbranch_execz .LBB169_1452
; %bb.1451:                             ;   in Loop: Header=BB169_17 Depth=1
	flat_load_dword v0, v[0:1]
	s_mov_b64 s[70:71], exec
	s_waitcnt vmcnt(0) lgkmcnt(0)
	v_lshlrev_b32_e32 v52, 16, v0
.LBB169_1452:                           ;   in Loop: Header=BB169_17 Depth=1
	s_or_b64 exec, exec, s[68:69]
	s_mov_b64 s[68:69], -1
	s_and_b64 s[70:71], s[70:71], exec
                                        ; implicit-def: $vgpr0_vgpr1
.LBB169_1453:                           ;   in Loop: Header=BB169_17 Depth=1
	s_andn2_saveexec_b64 s[72:73], vcc
	s_cbranch_execz .LBB169_1457
; %bb.1454:                             ;   in Loop: Header=BB169_17 Depth=1
	v_cmp_eq_u16_sdwa s[76:77], v8, v18 src0_sel:BYTE_0 src1_sel:DWORD
	s_mov_b64 vcc, s[70:71]
                                        ; implicit-def: $vgpr52
	s_and_saveexec_b64 s[74:75], s[76:77]
	s_cbranch_execz .LBB169_1456
; %bb.1455:                             ;   in Loop: Header=BB169_17 Depth=1
	flat_load_ubyte v0, v[0:1]
	s_movk_i32 vcc_lo, 0xff
	s_waitcnt vmcnt(0) lgkmcnt(0)
	v_lshlrev_b32_e32 v1, 23, v0
	v_cmp_ne_u32_e32 vcc, vcc_lo, v0
	v_cndmask_b32_e32 v1, v19, v1, vcc
	v_cmp_ne_u32_e32 vcc, 0, v0
	v_cndmask_b32_e32 v52, v20, v1, vcc
	s_or_b64 vcc, s[70:71], exec
.LBB169_1456:                           ;   in Loop: Header=BB169_17 Depth=1
	s_or_b64 exec, exec, s[74:75]
	s_andn2_b64 s[70:71], s[70:71], exec
	s_and_b64 vcc, vcc, exec
	s_or_b64 s[68:69], s[68:69], exec
	s_andn2_b64 s[64:65], s[64:65], exec
	s_or_b64 s[70:71], s[70:71], vcc
.LBB169_1457:                           ;   in Loop: Header=BB169_17 Depth=1
	s_or_b64 exec, exec, s[72:73]
	s_and_b64 s[68:69], s[68:69], exec
	s_and_b64 vcc, s[64:65], exec
	s_and_b64 s[70:71], s[70:71], exec
                                        ; implicit-def: $vgpr0_vgpr1
.LBB169_1458:                           ;   in Loop: Header=BB169_17 Depth=1
	s_andn2_saveexec_b64 s[62:63], s[62:63]
	s_cbranch_execz .LBB169_1462
; %bb.1459:                             ;   in Loop: Header=BB169_17 Depth=1
	v_cmp_eq_u16_sdwa s[74:75], v8, v21 src0_sel:BYTE_0 src1_sel:DWORD
	s_mov_b64 s[72:73], s[70:71]
                                        ; implicit-def: $vgpr52
	s_and_saveexec_b64 s[64:65], s[74:75]
	s_cbranch_execz .LBB169_1461
; %bb.1460:                             ;   in Loop: Header=BB169_17 Depth=1
	flat_load_dwordx2 v[0:1], v[0:1]
	s_or_b64 s[72:73], s[70:71], exec
	s_waitcnt vmcnt(0) lgkmcnt(0)
	v_ffbh_u32_e32 v52, v1
	v_min_u32_e32 v52, 32, v52
	v_lshlrev_b64 v[0:1], v52, v[0:1]
	v_min_u32_e32 v0, 1, v0
	v_or_b32_e32 v0, v1, v0
	v_cvt_f32_u32_e32 v0, v0
	v_sub_u32_e32 v1, 32, v52
	v_ldexp_f32 v52, v0, v1
.LBB169_1461:                           ;   in Loop: Header=BB169_17 Depth=1
	s_or_b64 exec, exec, s[64:65]
	s_andn2_b64 s[64:65], s[70:71], exec
	s_and_b64 s[70:71], s[72:73], exec
	s_or_b64 s[68:69], s[68:69], exec
	s_andn2_b64 vcc, vcc, exec
	s_or_b64 s[70:71], s[64:65], s[70:71]
.LBB169_1462:                           ;   in Loop: Header=BB169_17 Depth=1
	s_or_b64 exec, exec, s[62:63]
	s_and_b64 s[68:69], s[68:69], exec
	s_and_b64 s[64:65], vcc, exec
	s_and_b64 s[62:63], s[70:71], exec
                                        ; implicit-def: $vgpr0_vgpr1
.LBB169_1463:                           ;   in Loop: Header=BB169_17 Depth=1
	s_andn2_saveexec_b64 s[66:67], s[66:67]
	s_cbranch_execz .LBB169_1477
; %bb.1464:                             ;   in Loop: Header=BB169_17 Depth=1
	v_cmp_gt_i16_sdwa vcc, v8, v22 src0_sel:BYTE_0 src1_sel:DWORD
                                        ; implicit-def: $vgpr52
	s_and_saveexec_b64 s[70:71], vcc
	s_xor_b64 vcc, exec, s[70:71]
	s_cbranch_execz .LBB169_1470
; %bb.1465:                             ;   in Loop: Header=BB169_17 Depth=1
	v_cmp_gt_i16_sdwa s[70:71], v8, v23 src0_sel:BYTE_0 src1_sel:DWORD
                                        ; implicit-def: $vgpr52
	s_and_saveexec_b64 s[72:73], s[70:71]
	s_xor_b64 s[70:71], exec, s[72:73]
	s_cbranch_execz .LBB169_1467
; %bb.1466:                             ;   in Loop: Header=BB169_17 Depth=1
	flat_load_dword v0, v[0:1]
	s_waitcnt vmcnt(0) lgkmcnt(0)
	v_cvt_f32_u32_e32 v52, v0
                                        ; implicit-def: $vgpr0_vgpr1
.LBB169_1467:                           ;   in Loop: Header=BB169_17 Depth=1
	s_andn2_saveexec_b64 s[70:71], s[70:71]
	s_cbranch_execz .LBB169_1469
; %bb.1468:                             ;   in Loop: Header=BB169_17 Depth=1
	flat_load_ushort v0, v[0:1]
	s_waitcnt vmcnt(0) lgkmcnt(0)
	v_cvt_f32_u32_e32 v52, v0
.LBB169_1469:                           ;   in Loop: Header=BB169_17 Depth=1
	s_or_b64 exec, exec, s[70:71]
                                        ; implicit-def: $vgpr0_vgpr1
.LBB169_1470:                           ;   in Loop: Header=BB169_17 Depth=1
	s_andn2_saveexec_b64 s[70:71], vcc
	s_cbranch_execz .LBB169_1476
; %bb.1471:                             ;   in Loop: Header=BB169_17 Depth=1
	flat_load_ubyte v0, v[0:1]
	s_movk_i32 vcc_lo, 0x7f
	s_mov_b64 s[72:73], 0
                                        ; implicit-def: $sgpr78
	s_waitcnt vmcnt(0) lgkmcnt(0)
	v_cmp_lt_i16_e32 vcc, vcc_lo, v0
	s_and_saveexec_b64 s[74:75], vcc
	s_xor_b64 s[74:75], exec, s[74:75]
	s_cbranch_execnz .LBB169_2346
; %bb.1472:                             ;   in Loop: Header=BB169_17 Depth=1
	s_or_saveexec_b64 s[74:75], s[74:75]
	v_mov_b32_e32 v52, s78
	s_xor_b64 exec, exec, s[74:75]
	s_cbranch_execnz .LBB169_2349
.LBB169_1473:                           ;   in Loop: Header=BB169_17 Depth=1
	s_or_b64 exec, exec, s[74:75]
	s_and_saveexec_b64 s[74:75], s[72:73]
	s_cbranch_execz .LBB169_1475
.LBB169_1474:                           ;   in Loop: Header=BB169_17 Depth=1
	v_lshlrev_b32_e32 v1, 24, v0
	v_and_b32_e32 v0, 0xffff, v0
	v_and_b32_e32 v52, 7, v0
	v_ffbh_u32_e32 v55, v52
	v_min_u32_e32 v55, 32, v55
	v_subrev_u32_e32 v64, 28, v55
	v_bfe_u32 v54, v0, 3, 4
	v_lshlrev_b32_e32 v0, v64, v0
	v_sub_u32_e32 v55, 29, v55
	v_and_b32_e32 v0, 7, v0
	v_cmp_eq_u32_e32 vcc, 0, v54
	v_cndmask_b32_e32 v54, v54, v55, vcc
	v_cndmask_b32_e32 v0, v52, v0, vcc
	v_lshlrev_b32_e32 v0, 20, v0
	v_and_b32_e32 v1, 0x80000000, v1
	v_lshl_add_u32 v52, v54, 23, v24
	v_or3_b32 v52, v1, v52, v0
.LBB169_1475:                           ;   in Loop: Header=BB169_17 Depth=1
	s_or_b64 exec, exec, s[74:75]
.LBB169_1476:                           ;   in Loop: Header=BB169_17 Depth=1
	s_or_b64 exec, exec, s[70:71]
	s_andn2_b64 s[68:69], s[68:69], exec
	s_andn2_b64 s[64:65], s[64:65], exec
	s_or_b64 s[62:63], s[62:63], exec
.LBB169_1477:                           ;   in Loop: Header=BB169_17 Depth=1
	s_or_b64 exec, exec, s[66:67]
	s_and_b64 s[66:67], s[68:69], exec
	s_and_b64 s[64:65], s[64:65], exec
	;; [unrolled: 1-line block ×3, first 2 shown]
                                        ; implicit-def: $vgpr0_vgpr1
.LBB169_1478:                           ;   in Loop: Header=BB169_17 Depth=1
	s_andn2_saveexec_b64 s[60:61], s[60:61]
	s_cbranch_execz .LBB169_1504
; %bb.1479:                             ;   in Loop: Header=BB169_17 Depth=1
	v_cmp_gt_i16_sdwa vcc, v8, v25 src0_sel:BYTE_0 src1_sel:DWORD
	s_mov_b64 s[70:71], s[62:63]
                                        ; implicit-def: $vgpr52
	s_and_saveexec_b64 s[68:69], vcc
	s_xor_b64 s[68:69], exec, s[68:69]
	s_cbranch_execz .LBB169_1493
; %bb.1480:                             ;   in Loop: Header=BB169_17 Depth=1
	v_cmp_gt_i16_sdwa vcc, v8, v26 src0_sel:BYTE_0 src1_sel:DWORD
                                        ; implicit-def: $vgpr52
	s_and_saveexec_b64 s[70:71], vcc
	s_xor_b64 s[70:71], exec, s[70:71]
	s_cbranch_execz .LBB169_1490
; %bb.1481:                             ;   in Loop: Header=BB169_17 Depth=1
	v_cmp_gt_i16_sdwa vcc, v8, v27 src0_sel:BYTE_0 src1_sel:DWORD
                                        ; implicit-def: $vgpr52
	s_and_saveexec_b64 s[72:73], vcc
	s_xor_b64 s[72:73], exec, s[72:73]
	s_cbranch_execz .LBB169_1487
; %bb.1482:                             ;   in Loop: Header=BB169_17 Depth=1
	flat_load_ubyte v0, v[0:1]
	s_movk_i32 vcc_lo, 0x7f
	s_mov_b64 s[74:75], 0
                                        ; implicit-def: $sgpr80
	s_waitcnt vmcnt(0) lgkmcnt(0)
	v_cmp_lt_i16_e32 vcc, vcc_lo, v0
	s_and_saveexec_b64 s[76:77], vcc
	s_xor_b64 s[76:77], exec, s[76:77]
	s_cbranch_execnz .LBB169_2565
; %bb.1483:                             ;   in Loop: Header=BB169_17 Depth=1
	s_or_saveexec_b64 s[76:77], s[76:77]
	v_mov_b32_e32 v52, s80
	s_xor_b64 exec, exec, s[76:77]
	s_cbranch_execnz .LBB169_2568
.LBB169_1484:                           ;   in Loop: Header=BB169_17 Depth=1
	s_or_b64 exec, exec, s[76:77]
	s_and_saveexec_b64 s[76:77], s[74:75]
	s_cbranch_execz .LBB169_1486
.LBB169_1485:                           ;   in Loop: Header=BB169_17 Depth=1
	v_lshlrev_b32_e32 v1, 24, v0
	v_and_b32_e32 v0, 0xffff, v0
	v_and_b32_e32 v52, 3, v0
	v_ffbh_u32_e32 v55, v52
	v_min_u32_e32 v55, 32, v55
	v_subrev_u32_e32 v64, 29, v55
	v_bfe_u32 v54, v0, 2, 5
	v_lshlrev_b32_e32 v0, v64, v0
	v_sub_u32_e32 v55, 30, v55
	v_and_b32_e32 v0, 3, v0
	v_cmp_eq_u32_e32 vcc, 0, v54
	v_cndmask_b32_e32 v54, v54, v55, vcc
	v_cndmask_b32_e32 v0, v52, v0, vcc
	v_lshlrev_b32_e32 v0, 21, v0
	v_and_b32_e32 v1, 0x80000000, v1
	v_lshl_add_u32 v52, v54, 23, v28
	v_or3_b32 v52, v1, v52, v0
.LBB169_1486:                           ;   in Loop: Header=BB169_17 Depth=1
	s_or_b64 exec, exec, s[76:77]
                                        ; implicit-def: $vgpr0_vgpr1
.LBB169_1487:                           ;   in Loop: Header=BB169_17 Depth=1
	s_andn2_saveexec_b64 s[72:73], s[72:73]
	s_cbranch_execz .LBB169_1489
; %bb.1488:                             ;   in Loop: Header=BB169_17 Depth=1
	flat_load_ubyte v0, v[0:1]
	s_mov_b32 vcc_lo, 0x7f800000
	s_waitcnt vmcnt(0) lgkmcnt(0)
	v_lshlrev_b32_e32 v0, 24, v0
	v_and_b32_e32 v1, 0x7f000000, v0
	v_ffbh_u32_e32 v52, v1
	v_min_u32_e32 v52, 32, v52
	v_sub_u32_e64 v52, v52, 4 clamp
	v_lshlrev_b32_e32 v55, v52, v1
	v_lshlrev_b32_e32 v52, 23, v52
	v_lshrrev_b32_e32 v55, 4, v55
	v_add_u32_e32 v54, 0x1000000, v1
	v_sub_u32_e32 v52, v55, v52
	v_ashrrev_i32_e32 v54, 8, v54
	v_add_u32_e32 v52, 0x3c000000, v52
	v_and_or_b32 v52, v54, vcc_lo, v52
	v_cmp_ne_u32_e32 vcc, 0, v1
	v_cndmask_b32_e32 v1, 0, v52, vcc
	s_brev_b32 vcc_lo, 1
	v_and_or_b32 v52, v0, vcc_lo, v1
.LBB169_1489:                           ;   in Loop: Header=BB169_17 Depth=1
	s_or_b64 exec, exec, s[72:73]
                                        ; implicit-def: $vgpr0_vgpr1
.LBB169_1490:                           ;   in Loop: Header=BB169_17 Depth=1
	s_andn2_saveexec_b64 s[70:71], s[70:71]
	s_cbranch_execz .LBB169_1492
; %bb.1491:                             ;   in Loop: Header=BB169_17 Depth=1
	flat_load_ubyte v0, v[0:1]
	s_movk_i32 vcc_lo, 0x7f00
	s_waitcnt vmcnt(0) lgkmcnt(0)
	v_lshlrev_b16_e32 v1, 8, v0
	v_lshlrev_b32_e32 v0, 25, v0
	v_lshrrev_b32_e32 v52, 4, v0
	v_and_or_b32 v54, v1, vcc_lo, 0.5
	v_or_b32_e32 v52, 0x70000000, v52
	s_brev_b32 vcc_lo, 16
	v_add_f32_e32 v54, -0.5, v54
	v_mul_f32_e32 v52, 0x7800000, v52
	v_cmp_gt_u32_e32 vcc, vcc_lo, v0
	v_cndmask_b32_e32 v0, v52, v54, vcc
	v_bfe_i32 v1, v1, 0, 16
	s_brev_b32 vcc_lo, 1
	v_and_or_b32 v52, v1, vcc_lo, v0
.LBB169_1492:                           ;   in Loop: Header=BB169_17 Depth=1
	s_or_b64 exec, exec, s[70:71]
	s_or_b64 s[70:71], s[62:63], exec
                                        ; implicit-def: $vgpr0_vgpr1
.LBB169_1493:                           ;   in Loop: Header=BB169_17 Depth=1
	s_or_saveexec_b64 s[68:69], s[68:69]
                                        ; implicit-def: $vcc
                                        ; implicit-def: $sgpr76_sgpr77
	s_xor_b64 exec, exec, s[68:69]
	s_cbranch_execz .LBB169_1503
; %bb.1494:                             ;   in Loop: Header=BB169_17 Depth=1
	v_cmp_gt_i16_sdwa vcc, v8, v29 src0_sel:BYTE_0 src1_sel:DWORD
	s_mov_b64 s[74:75], s[70:71]
                                        ; implicit-def: $sgpr76_sgpr77
                                        ; implicit-def: $sgpr72_sgpr73
                                        ; implicit-def: $vgpr52
	s_and_saveexec_b64 s[78:79], vcc
	s_xor_b64 vcc, exec, s[78:79]
	s_cbranch_execz .LBB169_1498
; %bb.1495:                             ;   in Loop: Header=BB169_17 Depth=1
	v_cmp_eq_u16_sdwa s[76:77], v8, v32 src0_sel:BYTE_0 src1_sel:DWORD
	s_mov_b64 s[74:75], s[70:71]
                                        ; implicit-def: $vgpr52
	s_and_saveexec_b64 s[72:73], s[76:77]
	s_cbranch_execz .LBB169_1497
; %bb.1496:                             ;   in Loop: Header=BB169_17 Depth=1
	flat_load_ushort v0, v[0:1]
	s_or_b64 s[74:75], s[70:71], exec
	s_waitcnt vmcnt(0) lgkmcnt(0)
	v_lshlrev_b32_e32 v52, 16, v0
.LBB169_1497:                           ;   in Loop: Header=BB169_17 Depth=1
	s_or_b64 exec, exec, s[72:73]
	s_andn2_b64 s[78:79], s[70:71], exec
	s_and_b64 s[74:75], s[74:75], exec
	s_mov_b64 s[72:73], 0
	s_mov_b64 s[76:77], -1
	s_or_b64 s[74:75], s[78:79], s[74:75]
                                        ; implicit-def: $vgpr0_vgpr1
.LBB169_1498:                           ;   in Loop: Header=BB169_17 Depth=1
	s_andn2_saveexec_b64 s[78:79], vcc
	s_cbranch_execz .LBB169_1502
; %bb.1499:                             ;   in Loop: Header=BB169_17 Depth=1
	v_cmp_eq_u16_sdwa s[82:83], v8, v33 src0_sel:BYTE_0 src1_sel:DWORD
	s_mov_b64 vcc, s[74:75]
                                        ; implicit-def: $vgpr52
	s_and_saveexec_b64 s[80:81], s[82:83]
	s_cbranch_execz .LBB169_1501
; %bb.1500:                             ;   in Loop: Header=BB169_17 Depth=1
	flat_load_ubyte v0, v[0:1]
	s_waitcnt vmcnt(0) lgkmcnt(0)
	v_cmp_ne_u16_e32 vcc, 0, v0
	v_cndmask_b32_e64 v52, 0, 1.0, vcc
	s_or_b64 vcc, s[74:75], exec
.LBB169_1501:                           ;   in Loop: Header=BB169_17 Depth=1
	s_or_b64 exec, exec, s[80:81]
	s_andn2_b64 s[74:75], s[74:75], exec
	s_and_b64 vcc, vcc, exec
	s_or_b64 s[76:77], s[76:77], exec
	s_andn2_b64 s[72:73], s[72:73], exec
	s_or_b64 s[74:75], s[74:75], vcc
.LBB169_1502:                           ;   in Loop: Header=BB169_17 Depth=1
	s_or_b64 exec, exec, s[78:79]
	s_and_b64 vcc, s[72:73], exec
	s_andn2_b64 s[70:71], s[70:71], exec
	s_and_b64 s[72:73], s[74:75], exec
	s_and_b64 s[76:77], s[76:77], exec
	s_or_b64 s[70:71], s[70:71], s[72:73]
.LBB169_1503:                           ;   in Loop: Header=BB169_17 Depth=1
	s_or_b64 exec, exec, s[68:69]
	s_andn2_b64 s[64:65], s[64:65], exec
	s_and_b64 vcc, vcc, exec
	s_andn2_b64 s[66:67], s[66:67], exec
	s_and_b64 s[68:69], s[76:77], exec
	s_or_b64 s[64:65], s[64:65], vcc
	s_andn2_b64 vcc, s[62:63], exec
	s_and_b64 s[62:63], s[70:71], exec
	s_or_b64 s[66:67], s[66:67], s[68:69]
	s_or_b64 s[62:63], vcc, s[62:63]
.LBB169_1504:                           ;   in Loop: Header=BB169_17 Depth=1
	s_or_b64 exec, exec, s[60:61]
	s_and_b64 s[60:61], s[66:67], exec
	s_and_b64 vcc, s[64:65], exec
	s_and_b64 s[62:63], s[62:63], exec
                                        ; implicit-def: $vgpr0_vgpr1
	s_andn2_saveexec_b64 s[58:59], s[58:59]
	s_cbranch_execz .LBB169_1421
.LBB169_1505:                           ;   in Loop: Header=BB169_17 Depth=1
	v_cmp_gt_i16_sdwa s[64:65], v8, v34 src0_sel:BYTE_0 src1_sel:DWORD
                                        ; implicit-def: $vgpr52
	s_and_saveexec_b64 s[66:67], s[64:65]
	s_xor_b64 s[64:65], exec, s[66:67]
	s_cbranch_execz .LBB169_1527
; %bb.1506:                             ;   in Loop: Header=BB169_17 Depth=1
	v_cmp_gt_i16_sdwa s[66:67], v8, v35 src0_sel:BYTE_0 src1_sel:DWORD
                                        ; implicit-def: $vgpr52
	s_and_saveexec_b64 s[68:69], s[66:67]
	s_xor_b64 s[66:67], exec, s[68:69]
	s_cbranch_execz .LBB169_1516
; %bb.1507:                             ;   in Loop: Header=BB169_17 Depth=1
	;; [unrolled: 6-line block ×4, first 2 shown]
	flat_load_dwordx2 v[0:1], v[0:1]
	s_waitcnt vmcnt(0) lgkmcnt(0)
	v_cvt_f32_f64_e32 v52, v[0:1]
                                        ; implicit-def: $vgpr0_vgpr1
.LBB169_1510:                           ;   in Loop: Header=BB169_17 Depth=1
	s_andn2_saveexec_b64 s[70:71], s[70:71]
	s_cbranch_execz .LBB169_1512
; %bb.1511:                             ;   in Loop: Header=BB169_17 Depth=1
	flat_load_dword v52, v[0:1]
.LBB169_1512:                           ;   in Loop: Header=BB169_17 Depth=1
	s_or_b64 exec, exec, s[70:71]
                                        ; implicit-def: $vgpr0_vgpr1
.LBB169_1513:                           ;   in Loop: Header=BB169_17 Depth=1
	s_andn2_saveexec_b64 s[68:69], s[68:69]
	s_cbranch_execz .LBB169_1515
; %bb.1514:                             ;   in Loop: Header=BB169_17 Depth=1
	flat_load_dword v0, v[0:1]
	s_waitcnt vmcnt(0) lgkmcnt(0)
	v_cvt_f32_f16_e32 v52, v0
.LBB169_1515:                           ;   in Loop: Header=BB169_17 Depth=1
	s_or_b64 exec, exec, s[68:69]
                                        ; implicit-def: $vgpr0_vgpr1
.LBB169_1516:                           ;   in Loop: Header=BB169_17 Depth=1
	s_andn2_saveexec_b64 s[66:67], s[66:67]
	s_cbranch_execz .LBB169_1526
; %bb.1517:                             ;   in Loop: Header=BB169_17 Depth=1
	v_cmp_gt_i16_sdwa s[68:69], v8, v38 src0_sel:BYTE_0 src1_sel:DWORD
                                        ; implicit-def: $vgpr52
	s_and_saveexec_b64 s[70:71], s[68:69]
	s_xor_b64 s[68:69], exec, s[70:71]
	s_cbranch_execz .LBB169_1523
; %bb.1518:                             ;   in Loop: Header=BB169_17 Depth=1
	v_cmp_gt_i16_sdwa s[70:71], v8, v39 src0_sel:BYTE_0 src1_sel:DWORD
                                        ; implicit-def: $vgpr52
	s_and_saveexec_b64 s[72:73], s[70:71]
	s_xor_b64 s[70:71], exec, s[72:73]
	s_cbranch_execz .LBB169_1520
; %bb.1519:                             ;   in Loop: Header=BB169_17 Depth=1
	flat_load_dwordx2 v[0:1], v[0:1]
	s_waitcnt vmcnt(0) lgkmcnt(0)
	v_cvt_f32_f64_e32 v52, v[0:1]
                                        ; implicit-def: $vgpr0_vgpr1
.LBB169_1520:                           ;   in Loop: Header=BB169_17 Depth=1
	s_andn2_saveexec_b64 s[70:71], s[70:71]
	s_cbranch_execz .LBB169_1522
; %bb.1521:                             ;   in Loop: Header=BB169_17 Depth=1
	s_waitcnt vmcnt(0) lgkmcnt(0)
	flat_load_dword v52, v[0:1]
.LBB169_1522:                           ;   in Loop: Header=BB169_17 Depth=1
	s_or_b64 exec, exec, s[70:71]
                                        ; implicit-def: $vgpr0_vgpr1
.LBB169_1523:                           ;   in Loop: Header=BB169_17 Depth=1
	s_andn2_saveexec_b64 s[68:69], s[68:69]
	s_cbranch_execz .LBB169_1525
; %bb.1524:                             ;   in Loop: Header=BB169_17 Depth=1
	flat_load_ushort v0, v[0:1]
	s_waitcnt vmcnt(0) lgkmcnt(0)
	v_cvt_f32_f16_e32 v52, v0
.LBB169_1525:                           ;   in Loop: Header=BB169_17 Depth=1
	s_or_b64 exec, exec, s[68:69]
.LBB169_1526:                           ;   in Loop: Header=BB169_17 Depth=1
	s_or_b64 exec, exec, s[66:67]
                                        ; implicit-def: $vgpr0_vgpr1
.LBB169_1527:                           ;   in Loop: Header=BB169_17 Depth=1
	s_andn2_saveexec_b64 s[64:65], s[64:65]
	s_cbranch_execz .LBB169_1545
; %bb.1528:                             ;   in Loop: Header=BB169_17 Depth=1
	v_cmp_gt_i16_sdwa s[66:67], v8, v48 src0_sel:BYTE_0 src1_sel:DWORD
                                        ; implicit-def: $vgpr52
	s_and_saveexec_b64 s[68:69], s[66:67]
	s_xor_b64 s[66:67], exec, s[68:69]
	s_cbranch_execz .LBB169_1538
; %bb.1529:                             ;   in Loop: Header=BB169_17 Depth=1
	v_cmp_gt_i16_sdwa s[68:69], v8, v49 src0_sel:BYTE_0 src1_sel:DWORD
                                        ; implicit-def: $vgpr52
	s_and_saveexec_b64 s[70:71], s[68:69]
	s_xor_b64 s[68:69], exec, s[70:71]
	s_cbranch_execz .LBB169_1535
; %bb.1530:                             ;   in Loop: Header=BB169_17 Depth=1
	v_cmp_gt_i16_sdwa s[70:71], v8, v50 src0_sel:BYTE_0 src1_sel:DWORD
                                        ; implicit-def: $vgpr52
	s_and_saveexec_b64 s[72:73], s[70:71]
	s_xor_b64 s[70:71], exec, s[72:73]
	s_cbranch_execz .LBB169_1532
; %bb.1531:                             ;   in Loop: Header=BB169_17 Depth=1
	flat_load_dwordx2 v[0:1], v[0:1]
	s_waitcnt vmcnt(0) lgkmcnt(0)
	v_xor_b32_e32 v54, v0, v1
	v_ffbh_i32_e32 v52, v1
	v_ashrrev_i32_e32 v54, 31, v54
	v_add_u32_e32 v52, -1, v52
	v_add_u32_e32 v54, 32, v54
	v_min_u32_e32 v52, v52, v54
	v_lshlrev_b64 v[0:1], v52, v[0:1]
	v_min_u32_e32 v0, 1, v0
	v_or_b32_e32 v0, v1, v0
	v_cvt_f32_i32_e32 v0, v0
	v_sub_u32_e32 v1, 32, v52
	v_ldexp_f32 v52, v0, v1
                                        ; implicit-def: $vgpr0_vgpr1
.LBB169_1532:                           ;   in Loop: Header=BB169_17 Depth=1
	s_andn2_saveexec_b64 s[70:71], s[70:71]
	s_cbranch_execz .LBB169_1534
; %bb.1533:                             ;   in Loop: Header=BB169_17 Depth=1
	flat_load_dword v0, v[0:1]
	s_waitcnt vmcnt(0) lgkmcnt(0)
	v_cvt_f32_i32_e32 v52, v0
.LBB169_1534:                           ;   in Loop: Header=BB169_17 Depth=1
	s_or_b64 exec, exec, s[70:71]
                                        ; implicit-def: $vgpr0_vgpr1
.LBB169_1535:                           ;   in Loop: Header=BB169_17 Depth=1
	s_andn2_saveexec_b64 s[68:69], s[68:69]
	s_cbranch_execz .LBB169_1537
; %bb.1536:                             ;   in Loop: Header=BB169_17 Depth=1
	flat_load_sshort v0, v[0:1]
	s_waitcnt vmcnt(0) lgkmcnt(0)
	v_cvt_f32_i32_e32 v52, v0
.LBB169_1537:                           ;   in Loop: Header=BB169_17 Depth=1
	s_or_b64 exec, exec, s[68:69]
                                        ; implicit-def: $vgpr0_vgpr1
.LBB169_1538:                           ;   in Loop: Header=BB169_17 Depth=1
	s_andn2_saveexec_b64 s[66:67], s[66:67]
	s_cbranch_execz .LBB169_1544
; %bb.1539:                             ;   in Loop: Header=BB169_17 Depth=1
	v_cmp_gt_i16_sdwa s[68:69], v8, v6 src0_sel:BYTE_0 src1_sel:DWORD
                                        ; implicit-def: $vgpr52
	s_and_saveexec_b64 s[70:71], s[68:69]
	s_xor_b64 s[68:69], exec, s[70:71]
	s_cbranch_execz .LBB169_1541
; %bb.1540:                             ;   in Loop: Header=BB169_17 Depth=1
	flat_load_sbyte v0, v[0:1]
	s_waitcnt vmcnt(0) lgkmcnt(0)
	v_cvt_f32_i32_e32 v52, v0
                                        ; implicit-def: $vgpr0_vgpr1
.LBB169_1541:                           ;   in Loop: Header=BB169_17 Depth=1
	s_andn2_saveexec_b64 s[68:69], s[68:69]
	s_cbranch_execz .LBB169_1543
; %bb.1542:                             ;   in Loop: Header=BB169_17 Depth=1
	flat_load_ubyte v0, v[0:1]
	s_waitcnt vmcnt(0) lgkmcnt(0)
	v_cvt_f32_ubyte0_e32 v52, v0
.LBB169_1543:                           ;   in Loop: Header=BB169_17 Depth=1
	s_or_b64 exec, exec, s[68:69]
.LBB169_1544:                           ;   in Loop: Header=BB169_17 Depth=1
	s_or_b64 exec, exec, s[66:67]
.LBB169_1545:                           ;   in Loop: Header=BB169_17 Depth=1
	s_or_b64 exec, exec, s[64:65]
	s_andn2_b64 s[60:61], s[60:61], exec
	s_andn2_b64 vcc, vcc, exec
	s_or_b64 s[62:63], s[62:63], exec
	s_or_b64 exec, exec, s[58:59]
	s_mov_b64 s[58:59], 0
	s_and_saveexec_b64 s[64:65], s[62:63]
	s_cbranch_execnz .LBB169_1422
	s_branch .LBB169_1423
.LBB169_1546:                           ;   in Loop: Header=BB169_17 Depth=1
	v_cmp_gt_i16_sdwa vcc, v7, v13 src0_sel:BYTE_0 src1_sel:DWORD
	s_mov_b64 s[64:65], 0
                                        ; implicit-def: $sgpr66_sgpr67
                                        ; implicit-def: $sgpr56_sgpr57
                                        ; implicit-def: $vgpr54
	s_and_saveexec_b64 s[54:55], vcc
	s_xor_b64 s[54:55], exec, s[54:55]
	s_cbranch_execz .LBB169_1578
; %bb.1547:                             ;   in Loop: Header=BB169_17 Depth=1
	v_cmp_gt_i16_sdwa vcc, v7, v14 src0_sel:BYTE_0 src1_sel:DWORD
                                        ; implicit-def: $sgpr66_sgpr67
                                        ; implicit-def: $sgpr68_sgpr69
                                        ; implicit-def: $vgpr54
	s_and_saveexec_b64 s[56:57], vcc
	s_xor_b64 s[56:57], exec, s[56:57]
	s_cbranch_execz .LBB169_1563
; %bb.1548:                             ;   in Loop: Header=BB169_17 Depth=1
	v_cmp_gt_i16_sdwa s[64:65], v7, v15 src0_sel:BYTE_0 src1_sel:DWORD
	s_mov_b64 s[70:71], 0
                                        ; implicit-def: $vcc
                                        ; implicit-def: $sgpr66_sgpr67
                                        ; implicit-def: $vgpr54
	s_and_saveexec_b64 s[68:69], s[64:65]
	s_xor_b64 s[64:65], exec, s[68:69]
	s_cbranch_execz .LBB169_1558
; %bb.1549:                             ;   in Loop: Header=BB169_17 Depth=1
	v_cmp_gt_i16_sdwa vcc, v7, v16 src0_sel:BYTE_0 src1_sel:DWORD
	s_mov_b64 s[68:69], 0
                                        ; implicit-def: $sgpr66_sgpr67
                                        ; implicit-def: $sgpr70_sgpr71
                                        ; implicit-def: $vgpr54
	s_and_saveexec_b64 s[72:73], vcc
	s_xor_b64 vcc, exec, s[72:73]
	s_cbranch_execz .LBB169_1553
; %bb.1550:                             ;   in Loop: Header=BB169_17 Depth=1
	v_cmp_eq_u16_sdwa s[72:73], v7, v17 src0_sel:BYTE_0 src1_sel:DWORD
	s_mov_b64 s[66:67], 0
                                        ; implicit-def: $vgpr54
	s_and_saveexec_b64 s[70:71], s[72:73]
	s_cbranch_execz .LBB169_1552
; %bb.1551:                             ;   in Loop: Header=BB169_17 Depth=1
	flat_load_dword v0, v[0:1]
	s_mov_b64 s[68:69], exec
	s_waitcnt vmcnt(0) lgkmcnt(0)
	v_lshlrev_b32_e32 v54, 16, v0
.LBB169_1552:                           ;   in Loop: Header=BB169_17 Depth=1
	s_or_b64 exec, exec, s[70:71]
	s_mov_b64 s[70:71], -1
	s_and_b64 s[68:69], s[68:69], exec
                                        ; implicit-def: $vgpr0_vgpr1
.LBB169_1553:                           ;   in Loop: Header=BB169_17 Depth=1
	s_andn2_saveexec_b64 s[72:73], vcc
	s_cbranch_execz .LBB169_1557
; %bb.1554:                             ;   in Loop: Header=BB169_17 Depth=1
	v_cmp_eq_u16_sdwa s[76:77], v7, v18 src0_sel:BYTE_0 src1_sel:DWORD
	s_mov_b64 vcc, s[68:69]
                                        ; implicit-def: $vgpr54
	s_and_saveexec_b64 s[74:75], s[76:77]
	s_cbranch_execz .LBB169_1556
; %bb.1555:                             ;   in Loop: Header=BB169_17 Depth=1
	flat_load_ubyte v0, v[0:1]
	s_movk_i32 vcc_lo, 0xff
	s_waitcnt vmcnt(0) lgkmcnt(0)
	v_lshlrev_b32_e32 v1, 23, v0
	v_cmp_ne_u32_e32 vcc, vcc_lo, v0
	v_cndmask_b32_e32 v1, v19, v1, vcc
	v_cmp_ne_u32_e32 vcc, 0, v0
	v_cndmask_b32_e32 v54, v20, v1, vcc
	s_or_b64 vcc, s[68:69], exec
.LBB169_1556:                           ;   in Loop: Header=BB169_17 Depth=1
	s_or_b64 exec, exec, s[74:75]
	s_andn2_b64 s[68:69], s[68:69], exec
	s_and_b64 vcc, vcc, exec
	s_andn2_b64 s[66:67], s[66:67], exec
	s_or_b64 s[70:71], s[70:71], exec
	s_or_b64 s[68:69], s[68:69], vcc
.LBB169_1557:                           ;   in Loop: Header=BB169_17 Depth=1
	s_or_b64 exec, exec, s[72:73]
	s_and_b64 s[66:67], s[66:67], exec
	s_and_b64 vcc, s[70:71], exec
	s_and_b64 s[70:71], s[68:69], exec
                                        ; implicit-def: $vgpr0_vgpr1
.LBB169_1558:                           ;   in Loop: Header=BB169_17 Depth=1
	s_andn2_saveexec_b64 s[64:65], s[64:65]
	s_cbranch_execz .LBB169_1562
; %bb.1559:                             ;   in Loop: Header=BB169_17 Depth=1
	v_cmp_eq_u16_sdwa s[74:75], v7, v21 src0_sel:BYTE_0 src1_sel:DWORD
	s_mov_b64 s[72:73], s[70:71]
                                        ; implicit-def: $vgpr54
	s_and_saveexec_b64 s[68:69], s[74:75]
	s_cbranch_execz .LBB169_1561
; %bb.1560:                             ;   in Loop: Header=BB169_17 Depth=1
	flat_load_dwordx2 v[0:1], v[0:1]
	s_or_b64 s[72:73], s[70:71], exec
	s_waitcnt vmcnt(0) lgkmcnt(0)
	v_ffbh_u32_e32 v53, v1
	v_min_u32_e32 v53, 32, v53
	v_lshlrev_b64 v[0:1], v53, v[0:1]
	v_min_u32_e32 v0, 1, v0
	v_or_b32_e32 v0, v1, v0
	v_cvt_f32_u32_e32 v0, v0
	v_sub_u32_e32 v1, 32, v53
	v_ldexp_f32 v54, v0, v1
.LBB169_1561:                           ;   in Loop: Header=BB169_17 Depth=1
	s_or_b64 exec, exec, s[68:69]
	s_andn2_b64 s[68:69], s[70:71], exec
	s_and_b64 s[70:71], s[72:73], exec
	s_andn2_b64 s[66:67], s[66:67], exec
	s_or_b64 vcc, vcc, exec
	s_or_b64 s[70:71], s[68:69], s[70:71]
.LBB169_1562:                           ;   in Loop: Header=BB169_17 Depth=1
	s_or_b64 exec, exec, s[64:65]
	s_and_b64 s[68:69], s[66:67], exec
	s_and_b64 s[66:67], vcc, exec
	s_and_b64 s[64:65], s[70:71], exec
                                        ; implicit-def: $vgpr0_vgpr1
.LBB169_1563:                           ;   in Loop: Header=BB169_17 Depth=1
	s_andn2_saveexec_b64 s[56:57], s[56:57]
	s_cbranch_execz .LBB169_1577
; %bb.1564:                             ;   in Loop: Header=BB169_17 Depth=1
	v_cmp_gt_i16_sdwa vcc, v7, v22 src0_sel:BYTE_0 src1_sel:DWORD
                                        ; implicit-def: $vgpr54
	s_and_saveexec_b64 s[70:71], vcc
	s_xor_b64 vcc, exec, s[70:71]
	s_cbranch_execz .LBB169_1570
; %bb.1565:                             ;   in Loop: Header=BB169_17 Depth=1
	v_cmp_gt_i16_sdwa s[70:71], v7, v23 src0_sel:BYTE_0 src1_sel:DWORD
                                        ; implicit-def: $vgpr54
	s_and_saveexec_b64 s[72:73], s[70:71]
	s_xor_b64 s[70:71], exec, s[72:73]
	s_cbranch_execz .LBB169_1567
; %bb.1566:                             ;   in Loop: Header=BB169_17 Depth=1
	flat_load_dword v0, v[0:1]
	s_waitcnt vmcnt(0) lgkmcnt(0)
	v_cvt_f32_u32_e32 v54, v0
                                        ; implicit-def: $vgpr0_vgpr1
.LBB169_1567:                           ;   in Loop: Header=BB169_17 Depth=1
	s_andn2_saveexec_b64 s[70:71], s[70:71]
	s_cbranch_execz .LBB169_1569
; %bb.1568:                             ;   in Loop: Header=BB169_17 Depth=1
	flat_load_ushort v0, v[0:1]
	s_waitcnt vmcnt(0) lgkmcnt(0)
	v_cvt_f32_u32_e32 v54, v0
.LBB169_1569:                           ;   in Loop: Header=BB169_17 Depth=1
	s_or_b64 exec, exec, s[70:71]
                                        ; implicit-def: $vgpr0_vgpr1
.LBB169_1570:                           ;   in Loop: Header=BB169_17 Depth=1
	s_andn2_saveexec_b64 s[70:71], vcc
	s_cbranch_execz .LBB169_1576
; %bb.1571:                             ;   in Loop: Header=BB169_17 Depth=1
	flat_load_ubyte v0, v[0:1]
	s_movk_i32 vcc_lo, 0x7f
	s_mov_b64 s[72:73], 0
                                        ; implicit-def: $sgpr78
	s_waitcnt vmcnt(0) lgkmcnt(0)
	v_cmp_lt_i16_e32 vcc, vcc_lo, v0
	s_and_saveexec_b64 s[74:75], vcc
	s_xor_b64 s[74:75], exec, s[74:75]
	s_cbranch_execnz .LBB169_2350
; %bb.1572:                             ;   in Loop: Header=BB169_17 Depth=1
	s_or_saveexec_b64 s[74:75], s[74:75]
	v_mov_b32_e32 v54, s78
	s_xor_b64 exec, exec, s[74:75]
	s_cbranch_execnz .LBB169_2353
.LBB169_1573:                           ;   in Loop: Header=BB169_17 Depth=1
	s_or_b64 exec, exec, s[74:75]
	s_and_saveexec_b64 s[74:75], s[72:73]
	s_cbranch_execz .LBB169_1575
.LBB169_1574:                           ;   in Loop: Header=BB169_17 Depth=1
	v_lshlrev_b32_e32 v1, 24, v0
	v_and_b32_e32 v0, 0xffff, v0
	v_and_b32_e32 v53, 7, v0
	v_ffbh_u32_e32 v55, v53
	v_min_u32_e32 v55, 32, v55
	v_subrev_u32_e32 v64, 28, v55
	v_bfe_u32 v54, v0, 3, 4
	v_lshlrev_b32_e32 v0, v64, v0
	v_sub_u32_e32 v55, 29, v55
	v_and_b32_e32 v0, 7, v0
	v_cmp_eq_u32_e32 vcc, 0, v54
	v_cndmask_b32_e32 v54, v54, v55, vcc
	v_cndmask_b32_e32 v0, v53, v0, vcc
	v_lshlrev_b32_e32 v0, 20, v0
	v_and_b32_e32 v1, 0x80000000, v1
	v_lshl_add_u32 v53, v54, 23, v24
	v_or3_b32 v54, v1, v53, v0
.LBB169_1575:                           ;   in Loop: Header=BB169_17 Depth=1
	s_or_b64 exec, exec, s[74:75]
.LBB169_1576:                           ;   in Loop: Header=BB169_17 Depth=1
	s_or_b64 exec, exec, s[70:71]
	s_andn2_b64 s[68:69], s[68:69], exec
	s_andn2_b64 s[66:67], s[66:67], exec
	s_or_b64 s[64:65], s[64:65], exec
.LBB169_1577:                           ;   in Loop: Header=BB169_17 Depth=1
	s_or_b64 exec, exec, s[56:57]
	s_and_b64 s[56:57], s[68:69], exec
	s_and_b64 s[66:67], s[66:67], exec
	;; [unrolled: 1-line block ×3, first 2 shown]
                                        ; implicit-def: $vgpr0_vgpr1
.LBB169_1578:                           ;   in Loop: Header=BB169_17 Depth=1
	s_andn2_saveexec_b64 s[54:55], s[54:55]
	s_cbranch_execz .LBB169_1604
; %bb.1579:                             ;   in Loop: Header=BB169_17 Depth=1
	v_cmp_gt_i16_sdwa vcc, v7, v25 src0_sel:BYTE_0 src1_sel:DWORD
	s_mov_b64 s[70:71], s[64:65]
                                        ; implicit-def: $vgpr54
	s_and_saveexec_b64 s[68:69], vcc
	s_xor_b64 s[68:69], exec, s[68:69]
	s_cbranch_execz .LBB169_1593
; %bb.1580:                             ;   in Loop: Header=BB169_17 Depth=1
	v_cmp_gt_i16_sdwa vcc, v7, v26 src0_sel:BYTE_0 src1_sel:DWORD
                                        ; implicit-def: $vgpr54
	s_and_saveexec_b64 s[70:71], vcc
	s_xor_b64 s[70:71], exec, s[70:71]
	s_cbranch_execz .LBB169_1590
; %bb.1581:                             ;   in Loop: Header=BB169_17 Depth=1
	v_cmp_gt_i16_sdwa vcc, v7, v27 src0_sel:BYTE_0 src1_sel:DWORD
                                        ; implicit-def: $vgpr54
	s_and_saveexec_b64 s[72:73], vcc
	s_xor_b64 s[72:73], exec, s[72:73]
	s_cbranch_execz .LBB169_1587
; %bb.1582:                             ;   in Loop: Header=BB169_17 Depth=1
	flat_load_ubyte v0, v[0:1]
	s_movk_i32 vcc_lo, 0x7f
	s_mov_b64 s[74:75], 0
                                        ; implicit-def: $sgpr80
	s_waitcnt vmcnt(0) lgkmcnt(0)
	v_cmp_lt_i16_e32 vcc, vcc_lo, v0
	s_and_saveexec_b64 s[76:77], vcc
	s_xor_b64 s[76:77], exec, s[76:77]
	s_cbranch_execnz .LBB169_2569
; %bb.1583:                             ;   in Loop: Header=BB169_17 Depth=1
	s_or_saveexec_b64 s[76:77], s[76:77]
	v_mov_b32_e32 v54, s80
	s_xor_b64 exec, exec, s[76:77]
	s_cbranch_execnz .LBB169_2572
.LBB169_1584:                           ;   in Loop: Header=BB169_17 Depth=1
	s_or_b64 exec, exec, s[76:77]
	s_and_saveexec_b64 s[76:77], s[74:75]
	s_cbranch_execz .LBB169_1586
.LBB169_1585:                           ;   in Loop: Header=BB169_17 Depth=1
	v_lshlrev_b32_e32 v1, 24, v0
	v_and_b32_e32 v0, 0xffff, v0
	v_and_b32_e32 v53, 3, v0
	v_ffbh_u32_e32 v55, v53
	v_min_u32_e32 v55, 32, v55
	v_subrev_u32_e32 v64, 29, v55
	v_bfe_u32 v54, v0, 2, 5
	v_lshlrev_b32_e32 v0, v64, v0
	v_sub_u32_e32 v55, 30, v55
	v_and_b32_e32 v0, 3, v0
	v_cmp_eq_u32_e32 vcc, 0, v54
	v_cndmask_b32_e32 v54, v54, v55, vcc
	v_cndmask_b32_e32 v0, v53, v0, vcc
	v_lshlrev_b32_e32 v0, 21, v0
	v_and_b32_e32 v1, 0x80000000, v1
	v_lshl_add_u32 v53, v54, 23, v28
	v_or3_b32 v54, v1, v53, v0
.LBB169_1586:                           ;   in Loop: Header=BB169_17 Depth=1
	s_or_b64 exec, exec, s[76:77]
                                        ; implicit-def: $vgpr0_vgpr1
.LBB169_1587:                           ;   in Loop: Header=BB169_17 Depth=1
	s_andn2_saveexec_b64 s[72:73], s[72:73]
	s_cbranch_execz .LBB169_1589
; %bb.1588:                             ;   in Loop: Header=BB169_17 Depth=1
	flat_load_ubyte v0, v[0:1]
	s_mov_b32 vcc_lo, 0x7f800000
	s_waitcnt vmcnt(0) lgkmcnt(0)
	v_lshlrev_b32_e32 v0, 24, v0
	v_and_b32_e32 v1, 0x7f000000, v0
	v_ffbh_u32_e32 v53, v1
	v_min_u32_e32 v53, 32, v53
	v_sub_u32_e64 v53, v53, 4 clamp
	v_lshlrev_b32_e32 v55, v53, v1
	v_lshlrev_b32_e32 v53, 23, v53
	v_lshrrev_b32_e32 v55, 4, v55
	v_add_u32_e32 v54, 0x1000000, v1
	v_sub_u32_e32 v53, v55, v53
	v_ashrrev_i32_e32 v54, 8, v54
	v_add_u32_e32 v53, 0x3c000000, v53
	v_and_or_b32 v53, v54, vcc_lo, v53
	v_cmp_ne_u32_e32 vcc, 0, v1
	v_cndmask_b32_e32 v1, 0, v53, vcc
	s_brev_b32 vcc_lo, 1
	v_and_or_b32 v54, v0, vcc_lo, v1
.LBB169_1589:                           ;   in Loop: Header=BB169_17 Depth=1
	s_or_b64 exec, exec, s[72:73]
                                        ; implicit-def: $vgpr0_vgpr1
.LBB169_1590:                           ;   in Loop: Header=BB169_17 Depth=1
	s_andn2_saveexec_b64 s[70:71], s[70:71]
	s_cbranch_execz .LBB169_1592
; %bb.1591:                             ;   in Loop: Header=BB169_17 Depth=1
	flat_load_ubyte v0, v[0:1]
	s_movk_i32 vcc_lo, 0x7f00
	s_waitcnt vmcnt(0) lgkmcnt(0)
	v_lshlrev_b16_e32 v1, 8, v0
	v_lshlrev_b32_e32 v0, 25, v0
	v_lshrrev_b32_e32 v53, 4, v0
	v_and_or_b32 v54, v1, vcc_lo, 0.5
	v_or_b32_e32 v53, 0x70000000, v53
	s_brev_b32 vcc_lo, 16
	v_add_f32_e32 v54, -0.5, v54
	v_mul_f32_e32 v53, 0x7800000, v53
	v_cmp_gt_u32_e32 vcc, vcc_lo, v0
	v_cndmask_b32_e32 v0, v53, v54, vcc
	v_bfe_i32 v1, v1, 0, 16
	s_brev_b32 vcc_lo, 1
	v_and_or_b32 v54, v1, vcc_lo, v0
.LBB169_1592:                           ;   in Loop: Header=BB169_17 Depth=1
	s_or_b64 exec, exec, s[70:71]
	s_or_b64 s[70:71], s[64:65], exec
                                        ; implicit-def: $vgpr0_vgpr1
.LBB169_1593:                           ;   in Loop: Header=BB169_17 Depth=1
	s_or_saveexec_b64 s[68:69], s[68:69]
                                        ; implicit-def: $vcc
                                        ; implicit-def: $sgpr76_sgpr77
	s_xor_b64 exec, exec, s[68:69]
	s_cbranch_execz .LBB169_1603
; %bb.1594:                             ;   in Loop: Header=BB169_17 Depth=1
	v_cmp_gt_i16_sdwa vcc, v7, v29 src0_sel:BYTE_0 src1_sel:DWORD
	s_mov_b64 s[74:75], s[70:71]
                                        ; implicit-def: $sgpr76_sgpr77
                                        ; implicit-def: $sgpr72_sgpr73
                                        ; implicit-def: $vgpr54
	s_and_saveexec_b64 s[78:79], vcc
	s_xor_b64 vcc, exec, s[78:79]
	s_cbranch_execz .LBB169_1598
; %bb.1595:                             ;   in Loop: Header=BB169_17 Depth=1
	v_cmp_eq_u16_sdwa s[76:77], v7, v32 src0_sel:BYTE_0 src1_sel:DWORD
	s_mov_b64 s[74:75], s[70:71]
                                        ; implicit-def: $vgpr54
	s_and_saveexec_b64 s[72:73], s[76:77]
	s_cbranch_execz .LBB169_1597
; %bb.1596:                             ;   in Loop: Header=BB169_17 Depth=1
	flat_load_ushort v0, v[0:1]
	s_or_b64 s[74:75], s[70:71], exec
	s_waitcnt vmcnt(0) lgkmcnt(0)
	v_lshlrev_b32_e32 v54, 16, v0
.LBB169_1597:                           ;   in Loop: Header=BB169_17 Depth=1
	s_or_b64 exec, exec, s[72:73]
	s_andn2_b64 s[78:79], s[70:71], exec
	s_and_b64 s[74:75], s[74:75], exec
	s_mov_b64 s[72:73], -1
	s_mov_b64 s[76:77], 0
	s_or_b64 s[74:75], s[78:79], s[74:75]
                                        ; implicit-def: $vgpr0_vgpr1
.LBB169_1598:                           ;   in Loop: Header=BB169_17 Depth=1
	s_andn2_saveexec_b64 s[78:79], vcc
	s_cbranch_execz .LBB169_1602
; %bb.1599:                             ;   in Loop: Header=BB169_17 Depth=1
	v_cmp_eq_u16_sdwa s[82:83], v7, v33 src0_sel:BYTE_0 src1_sel:DWORD
	s_mov_b64 vcc, s[74:75]
                                        ; implicit-def: $vgpr54
	s_and_saveexec_b64 s[80:81], s[82:83]
	s_cbranch_execz .LBB169_1601
; %bb.1600:                             ;   in Loop: Header=BB169_17 Depth=1
	flat_load_ubyte v0, v[0:1]
	s_waitcnt vmcnt(0) lgkmcnt(0)
	v_cmp_ne_u16_e32 vcc, 0, v0
	v_cndmask_b32_e64 v54, 0, 1.0, vcc
	s_or_b64 vcc, s[74:75], exec
.LBB169_1601:                           ;   in Loop: Header=BB169_17 Depth=1
	s_or_b64 exec, exec, s[80:81]
	s_andn2_b64 s[74:75], s[74:75], exec
	s_and_b64 vcc, vcc, exec
	s_andn2_b64 s[76:77], s[76:77], exec
	s_or_b64 s[72:73], s[72:73], exec
	s_or_b64 s[74:75], s[74:75], vcc
.LBB169_1602:                           ;   in Loop: Header=BB169_17 Depth=1
	s_or_b64 exec, exec, s[78:79]
	s_and_b64 vcc, s[72:73], exec
	s_andn2_b64 s[70:71], s[70:71], exec
	s_and_b64 s[72:73], s[74:75], exec
	s_and_b64 s[76:77], s[76:77], exec
	s_or_b64 s[70:71], s[70:71], s[72:73]
.LBB169_1603:                           ;   in Loop: Header=BB169_17 Depth=1
	s_or_b64 exec, exec, s[68:69]
	s_andn2_b64 s[66:67], s[66:67], exec
	s_and_b64 vcc, vcc, exec
	s_andn2_b64 s[56:57], s[56:57], exec
	s_and_b64 s[68:69], s[76:77], exec
	s_or_b64 s[66:67], s[66:67], vcc
	s_andn2_b64 vcc, s[64:65], exec
	s_and_b64 s[64:65], s[70:71], exec
	s_or_b64 s[56:57], s[56:57], s[68:69]
	s_or_b64 s[64:65], vcc, s[64:65]
.LBB169_1604:                           ;   in Loop: Header=BB169_17 Depth=1
	s_or_b64 exec, exec, s[54:55]
	s_and_b64 s[56:57], s[56:57], exec
	s_and_b64 s[54:55], s[66:67], exec
	s_and_b64 vcc, s[64:65], exec
                                        ; implicit-def: $vgpr0_vgpr1
	s_andn2_saveexec_b64 s[62:63], s[62:63]
	s_cbranch_execz .LBB169_1429
.LBB169_1605:                           ;   in Loop: Header=BB169_17 Depth=1
	v_cmp_gt_i16_sdwa s[64:65], v7, v34 src0_sel:BYTE_0 src1_sel:DWORD
                                        ; implicit-def: $vgpr54
	s_and_saveexec_b64 s[66:67], s[64:65]
	s_xor_b64 s[64:65], exec, s[66:67]
	s_cbranch_execz .LBB169_1627
; %bb.1606:                             ;   in Loop: Header=BB169_17 Depth=1
	v_cmp_gt_i16_sdwa s[66:67], v7, v35 src0_sel:BYTE_0 src1_sel:DWORD
                                        ; implicit-def: $vgpr54
	s_and_saveexec_b64 s[68:69], s[66:67]
	s_xor_b64 s[66:67], exec, s[68:69]
	s_cbranch_execz .LBB169_1616
; %bb.1607:                             ;   in Loop: Header=BB169_17 Depth=1
	;; [unrolled: 6-line block ×4, first 2 shown]
	flat_load_dwordx2 v[0:1], v[0:1]
	s_waitcnt vmcnt(0) lgkmcnt(0)
	v_cvt_f32_f64_e32 v54, v[0:1]
                                        ; implicit-def: $vgpr0_vgpr1
.LBB169_1610:                           ;   in Loop: Header=BB169_17 Depth=1
	s_andn2_saveexec_b64 s[70:71], s[70:71]
	s_cbranch_execz .LBB169_1612
; %bb.1611:                             ;   in Loop: Header=BB169_17 Depth=1
	flat_load_dword v54, v[0:1]
.LBB169_1612:                           ;   in Loop: Header=BB169_17 Depth=1
	s_or_b64 exec, exec, s[70:71]
                                        ; implicit-def: $vgpr0_vgpr1
.LBB169_1613:                           ;   in Loop: Header=BB169_17 Depth=1
	s_andn2_saveexec_b64 s[68:69], s[68:69]
	s_cbranch_execz .LBB169_1615
; %bb.1614:                             ;   in Loop: Header=BB169_17 Depth=1
	flat_load_dword v0, v[0:1]
	s_waitcnt vmcnt(0) lgkmcnt(0)
	v_cvt_f32_f16_e32 v54, v0
.LBB169_1615:                           ;   in Loop: Header=BB169_17 Depth=1
	s_or_b64 exec, exec, s[68:69]
                                        ; implicit-def: $vgpr0_vgpr1
.LBB169_1616:                           ;   in Loop: Header=BB169_17 Depth=1
	s_andn2_saveexec_b64 s[66:67], s[66:67]
	s_cbranch_execz .LBB169_1626
; %bb.1617:                             ;   in Loop: Header=BB169_17 Depth=1
	v_cmp_gt_i16_sdwa s[68:69], v7, v38 src0_sel:BYTE_0 src1_sel:DWORD
                                        ; implicit-def: $vgpr54
	s_and_saveexec_b64 s[70:71], s[68:69]
	s_xor_b64 s[68:69], exec, s[70:71]
	s_cbranch_execz .LBB169_1623
; %bb.1618:                             ;   in Loop: Header=BB169_17 Depth=1
	v_cmp_gt_i16_sdwa s[70:71], v7, v39 src0_sel:BYTE_0 src1_sel:DWORD
                                        ; implicit-def: $vgpr54
	s_and_saveexec_b64 s[72:73], s[70:71]
	s_xor_b64 s[70:71], exec, s[72:73]
	s_cbranch_execz .LBB169_1620
; %bb.1619:                             ;   in Loop: Header=BB169_17 Depth=1
	flat_load_dwordx2 v[0:1], v[0:1]
	s_waitcnt vmcnt(0) lgkmcnt(0)
	v_cvt_f32_f64_e32 v54, v[0:1]
                                        ; implicit-def: $vgpr0_vgpr1
.LBB169_1620:                           ;   in Loop: Header=BB169_17 Depth=1
	s_andn2_saveexec_b64 s[70:71], s[70:71]
	s_cbranch_execz .LBB169_1622
; %bb.1621:                             ;   in Loop: Header=BB169_17 Depth=1
	s_waitcnt vmcnt(0) lgkmcnt(0)
	flat_load_dword v54, v[0:1]
.LBB169_1622:                           ;   in Loop: Header=BB169_17 Depth=1
	s_or_b64 exec, exec, s[70:71]
                                        ; implicit-def: $vgpr0_vgpr1
.LBB169_1623:                           ;   in Loop: Header=BB169_17 Depth=1
	s_andn2_saveexec_b64 s[68:69], s[68:69]
	s_cbranch_execz .LBB169_1625
; %bb.1624:                             ;   in Loop: Header=BB169_17 Depth=1
	flat_load_ushort v0, v[0:1]
	s_waitcnt vmcnt(0) lgkmcnt(0)
	v_cvt_f32_f16_e32 v54, v0
.LBB169_1625:                           ;   in Loop: Header=BB169_17 Depth=1
	s_or_b64 exec, exec, s[68:69]
.LBB169_1626:                           ;   in Loop: Header=BB169_17 Depth=1
	s_or_b64 exec, exec, s[66:67]
                                        ; implicit-def: $vgpr0_vgpr1
.LBB169_1627:                           ;   in Loop: Header=BB169_17 Depth=1
	s_andn2_saveexec_b64 s[64:65], s[64:65]
	s_cbranch_execz .LBB169_1645
; %bb.1628:                             ;   in Loop: Header=BB169_17 Depth=1
	v_cmp_gt_i16_sdwa s[66:67], v7, v48 src0_sel:BYTE_0 src1_sel:DWORD
                                        ; implicit-def: $vgpr54
	s_and_saveexec_b64 s[68:69], s[66:67]
	s_xor_b64 s[66:67], exec, s[68:69]
	s_cbranch_execz .LBB169_1638
; %bb.1629:                             ;   in Loop: Header=BB169_17 Depth=1
	v_cmp_gt_i16_sdwa s[68:69], v7, v49 src0_sel:BYTE_0 src1_sel:DWORD
                                        ; implicit-def: $vgpr54
	s_and_saveexec_b64 s[70:71], s[68:69]
	s_xor_b64 s[68:69], exec, s[70:71]
	;; [unrolled: 6-line block ×3, first 2 shown]
	s_cbranch_execz .LBB169_1632
; %bb.1631:                             ;   in Loop: Header=BB169_17 Depth=1
	flat_load_dwordx2 v[0:1], v[0:1]
	s_waitcnt vmcnt(0) lgkmcnt(0)
	v_xor_b32_e32 v54, v0, v1
	v_ffbh_i32_e32 v53, v1
	v_ashrrev_i32_e32 v54, 31, v54
	v_add_u32_e32 v53, -1, v53
	v_add_u32_e32 v54, 32, v54
	v_min_u32_e32 v53, v53, v54
	v_lshlrev_b64 v[0:1], v53, v[0:1]
	v_min_u32_e32 v0, 1, v0
	v_or_b32_e32 v0, v1, v0
	v_cvt_f32_i32_e32 v0, v0
	v_sub_u32_e32 v1, 32, v53
	v_ldexp_f32 v54, v0, v1
                                        ; implicit-def: $vgpr0_vgpr1
.LBB169_1632:                           ;   in Loop: Header=BB169_17 Depth=1
	s_andn2_saveexec_b64 s[70:71], s[70:71]
	s_cbranch_execz .LBB169_1634
; %bb.1633:                             ;   in Loop: Header=BB169_17 Depth=1
	flat_load_dword v0, v[0:1]
	s_waitcnt vmcnt(0) lgkmcnt(0)
	v_cvt_f32_i32_e32 v54, v0
.LBB169_1634:                           ;   in Loop: Header=BB169_17 Depth=1
	s_or_b64 exec, exec, s[70:71]
                                        ; implicit-def: $vgpr0_vgpr1
.LBB169_1635:                           ;   in Loop: Header=BB169_17 Depth=1
	s_andn2_saveexec_b64 s[68:69], s[68:69]
	s_cbranch_execz .LBB169_1637
; %bb.1636:                             ;   in Loop: Header=BB169_17 Depth=1
	flat_load_sshort v0, v[0:1]
	s_waitcnt vmcnt(0) lgkmcnt(0)
	v_cvt_f32_i32_e32 v54, v0
.LBB169_1637:                           ;   in Loop: Header=BB169_17 Depth=1
	s_or_b64 exec, exec, s[68:69]
                                        ; implicit-def: $vgpr0_vgpr1
.LBB169_1638:                           ;   in Loop: Header=BB169_17 Depth=1
	s_andn2_saveexec_b64 s[66:67], s[66:67]
	s_cbranch_execz .LBB169_1644
; %bb.1639:                             ;   in Loop: Header=BB169_17 Depth=1
	v_cmp_gt_i16_sdwa s[68:69], v7, v6 src0_sel:BYTE_0 src1_sel:DWORD
                                        ; implicit-def: $vgpr54
	s_and_saveexec_b64 s[70:71], s[68:69]
	s_xor_b64 s[68:69], exec, s[70:71]
	s_cbranch_execz .LBB169_1641
; %bb.1640:                             ;   in Loop: Header=BB169_17 Depth=1
	flat_load_sbyte v0, v[0:1]
	s_waitcnt vmcnt(0) lgkmcnt(0)
	v_cvt_f32_i32_e32 v54, v0
                                        ; implicit-def: $vgpr0_vgpr1
.LBB169_1641:                           ;   in Loop: Header=BB169_17 Depth=1
	s_andn2_saveexec_b64 s[68:69], s[68:69]
	s_cbranch_execz .LBB169_1643
; %bb.1642:                             ;   in Loop: Header=BB169_17 Depth=1
	flat_load_ubyte v0, v[0:1]
	s_waitcnt vmcnt(0) lgkmcnt(0)
	v_cvt_f32_ubyte0_e32 v54, v0
.LBB169_1643:                           ;   in Loop: Header=BB169_17 Depth=1
	s_or_b64 exec, exec, s[68:69]
.LBB169_1644:                           ;   in Loop: Header=BB169_17 Depth=1
	s_or_b64 exec, exec, s[66:67]
.LBB169_1645:                           ;   in Loop: Header=BB169_17 Depth=1
	s_or_b64 exec, exec, s[64:65]
	s_andn2_b64 s[56:57], s[56:57], exec
	s_andn2_b64 s[54:55], s[54:55], exec
	s_or_b64 vcc, vcc, exec
	s_or_b64 exec, exec, s[62:63]
	s_mov_b64 s[64:65], 0
	s_and_saveexec_b64 s[62:63], vcc
	s_cbranch_execz .LBB169_1651
.LBB169_1646:                           ;   in Loop: Header=BB169_17 Depth=1
	v_mul_lo_u32 v0, v52, v10
	v_readlane_b32 s64, v78, 0
	v_add_co_u32_e32 v0, vcc, v4, v0
	v_add_u32_e32 v53, s64, v11
	v_addc_co_u32_e32 v1, vcc, 0, v5, vcc
	v_cmp_gt_i16_sdwa s[64:65], v8, v12 src0_sel:BYTE_0 src1_sel:DWORD
	s_mov_b64 s[68:69], 0
	s_waitcnt vmcnt(0) lgkmcnt(0)
	buffer_store_dword v54, v53, s[0:3], 0 offen offset:60
                                        ; implicit-def: $vcc
                                        ; implicit-def: $sgpr66_sgpr67
                                        ; implicit-def: $vgpr52
	s_and_saveexec_b64 s[70:71], s[64:65]
	s_xor_b64 s[64:65], exec, s[70:71]
	s_cbranch_execnz .LBB169_1673
; %bb.1647:                             ;   in Loop: Header=BB169_17 Depth=1
	s_andn2_saveexec_b64 s[64:65], s[64:65]
	s_cbranch_execnz .LBB169_1732
.LBB169_1648:                           ;   in Loop: Header=BB169_17 Depth=1
	s_or_b64 exec, exec, s[64:65]
	s_mov_b64 s[64:65], 0
	s_and_saveexec_b64 s[70:71], s[68:69]
	s_cbranch_execz .LBB169_1650
.LBB169_1649:                           ;   in Loop: Header=BB169_17 Depth=1
	s_mov_b64 s[64:65], exec
	v_add_u32_e32 v51, 0x200, v51
	s_andn2_b64 s[66:67], s[66:67], exec
	s_andn2_b64 vcc, vcc, exec
	s_waitcnt vmcnt(0) lgkmcnt(0)
	buffer_store_dword v52, v53, s[0:3], 0 offen offset:56
.LBB169_1650:                           ;   in Loop: Header=BB169_17 Depth=1
	s_or_b64 exec, exec, s[70:71]
	s_andn2_b64 s[56:57], s[56:57], exec
	s_and_b64 s[66:67], s[66:67], exec
	s_andn2_b64 s[54:55], s[54:55], exec
	s_and_b64 vcc, vcc, exec
	s_or_b64 s[56:57], s[56:57], s[66:67]
	s_or_b64 s[54:55], s[54:55], vcc
	s_and_b64 s[64:65], s[64:65], exec
.LBB169_1651:                           ;   in Loop: Header=BB169_17 Depth=1
	s_or_b64 exec, exec, s[62:63]
	s_and_b64 s[56:57], s[56:57], exec
	s_and_b64 s[54:55], s[54:55], exec
	s_orn2_b64 s[62:63], s[64:65], exec
.LBB169_1652:                           ;   in Loop: Header=BB169_17 Depth=1
	s_or_b64 exec, exec, s[58:59]
	s_and_saveexec_b64 s[58:59], s[62:63]
	s_cbranch_execz .LBB169_9
; %bb.1653:                             ;   in Loop: Header=BB169_17 Depth=1
	v_cmp_lt_i32_e32 vcc, v51, v72
	s_mov_b64 s[66:67], -1
	s_mov_b64 s[68:69], -1
                                        ; implicit-def: $sgpr60_sgpr61
                                        ; implicit-def: $sgpr62_sgpr63
                                        ; kill: killed $sgpr62_sgpr63
	s_and_saveexec_b64 s[64:65], vcc
	s_cbranch_execz .LBB169_1879
; %bb.1654:                             ;   in Loop: Header=BB169_17 Depth=1
	v_readlane_b32 vcc_lo, v78, 1
	s_waitcnt vmcnt(0) lgkmcnt(0)
	v_add_u32_e32 v52, vcc_lo, v51
	v_mul_lo_u32 v0, v52, v9
	v_add_co_u32_e32 v0, vcc, v2, v0
	v_addc_co_u32_e32 v1, vcc, 0, v3, vcc
	v_cmp_gt_i16_sdwa s[68:69], v7, v12 src0_sel:BYTE_0 src1_sel:DWORD
	s_mov_b64 vcc, 0
                                        ; implicit-def: $sgpr60_sgpr61
                                        ; implicit-def: $sgpr62_sgpr63
                                        ; implicit-def: $vgpr54
	s_and_saveexec_b64 s[70:71], s[68:69]
	s_xor_b64 s[68:69], exec, s[70:71]
	s_cbranch_execnz .LBB169_1773
; %bb.1655:                             ;   in Loop: Header=BB169_17 Depth=1
	s_andn2_saveexec_b64 s[68:69], s[68:69]
	s_cbranch_execnz .LBB169_1832
.LBB169_1656:                           ;   in Loop: Header=BB169_17 Depth=1
	s_or_b64 exec, exec, s[68:69]
	s_mov_b64 s[70:71], 0
	s_and_saveexec_b64 s[68:69], vcc
	s_cbranch_execnz .LBB169_1873
	s_branch .LBB169_1878
.LBB169_1657:                           ;   in Loop: Header=BB169_17 Depth=1
	s_movk_i32 vcc_lo, 0x80
	v_cmp_eq_u16_e32 vcc, vcc_lo, v0
	s_mov_b64 s[50:51], -1
                                        ; implicit-def: $sgpr56
	s_and_saveexec_b64 s[54:55], vcc
; %bb.1658:                             ;   in Loop: Header=BB169_17 Depth=1
	s_mov_b32 s56, 0x7f800001
	s_xor_b64 s[50:51], exec, -1
; %bb.1659:                             ;   in Loop: Header=BB169_17 Depth=1
	s_or_b64 exec, exec, s[54:55]
	s_and_b64 s[50:51], s[50:51], exec
	s_or_saveexec_b64 s[52:53], s[52:53]
	v_mov_b32_e32 v52, s56
	s_xor_b64 exec, exec, s[52:53]
	s_cbranch_execz .LBB169_592
.LBB169_1660:                           ;   in Loop: Header=BB169_17 Depth=1
	v_cmp_ne_u16_e32 vcc, 0, v0
	s_andn2_b64 s[50:51], s[50:51], exec
	s_and_b64 vcc, vcc, exec
	v_mov_b32_e32 v52, 0
	s_or_b64 s[50:51], s[50:51], vcc
	s_or_b64 exec, exec, s[52:53]
	s_and_saveexec_b64 s[52:53], s[50:51]
	s_cbranch_execnz .LBB169_593
	s_branch .LBB169_594
.LBB169_1661:                           ;   in Loop: Header=BB169_17 Depth=1
	s_movk_i32 vcc_lo, 0x80
	v_cmp_eq_u16_e32 vcc, vcc_lo, v0
	s_mov_b64 s[50:51], -1
                                        ; implicit-def: $sgpr56
	s_and_saveexec_b64 s[54:55], vcc
; %bb.1662:                             ;   in Loop: Header=BB169_17 Depth=1
	s_mov_b32 s56, 0x7f800001
	s_xor_b64 s[50:51], exec, -1
; %bb.1663:                             ;   in Loop: Header=BB169_17 Depth=1
	s_or_b64 exec, exec, s[54:55]
	s_and_b64 s[50:51], s[50:51], exec
	s_or_saveexec_b64 s[52:53], s[52:53]
	v_mov_b32_e32 v54, s56
	s_xor_b64 exec, exec, s[52:53]
	s_cbranch_execz .LBB169_692
.LBB169_1664:                           ;   in Loop: Header=BB169_17 Depth=1
	v_cmp_ne_u16_e32 vcc, 0, v0
	s_andn2_b64 s[50:51], s[50:51], exec
	s_and_b64 vcc, vcc, exec
	v_mov_b32_e32 v54, 0
	s_or_b64 s[50:51], s[50:51], vcc
	s_or_b64 exec, exec, s[52:53]
	s_and_saveexec_b64 s[52:53], s[50:51]
	s_cbranch_execnz .LBB169_693
	s_branch .LBB169_694
.LBB169_1665:                           ;   in Loop: Header=BB169_17 Depth=1
	s_movk_i32 vcc_lo, 0x80
	v_cmp_eq_u16_e32 vcc, vcc_lo, v0
	s_mov_b64 s[54:55], -1
                                        ; implicit-def: $sgpr60
	s_and_saveexec_b64 s[58:59], vcc
; %bb.1666:                             ;   in Loop: Header=BB169_17 Depth=1
	s_mov_b32 s60, 0x7f800001
	s_xor_b64 s[54:55], exec, -1
; %bb.1667:                             ;   in Loop: Header=BB169_17 Depth=1
	s_or_b64 exec, exec, s[58:59]
	s_and_b64 s[54:55], s[54:55], exec
	s_or_saveexec_b64 s[56:57], s[56:57]
	v_mov_b32_e32 v52, s60
	s_xor_b64 exec, exec, s[56:57]
	s_cbranch_execz .LBB169_796
.LBB169_1668:                           ;   in Loop: Header=BB169_17 Depth=1
	v_cmp_ne_u16_e32 vcc, 0, v0
	s_andn2_b64 s[54:55], s[54:55], exec
	s_and_b64 vcc, vcc, exec
	v_mov_b32_e32 v52, 0
	s_or_b64 s[54:55], s[54:55], vcc
	s_or_b64 exec, exec, s[56:57]
	s_and_saveexec_b64 s[56:57], s[54:55]
	s_cbranch_execnz .LBB169_797
	s_branch .LBB169_798
.LBB169_1669:                           ;   in Loop: Header=BB169_17 Depth=1
	s_movk_i32 vcc_lo, 0x80
	v_cmp_eq_u16_e32 vcc, vcc_lo, v0
	s_mov_b64 s[54:55], -1
                                        ; implicit-def: $sgpr60
	s_and_saveexec_b64 s[58:59], vcc
; %bb.1670:                             ;   in Loop: Header=BB169_17 Depth=1
	s_mov_b32 s60, 0x7f800001
	s_xor_b64 s[54:55], exec, -1
; %bb.1671:                             ;   in Loop: Header=BB169_17 Depth=1
	s_or_b64 exec, exec, s[58:59]
	s_and_b64 s[54:55], s[54:55], exec
	s_or_saveexec_b64 s[56:57], s[56:57]
	v_mov_b32_e32 v54, s60
	s_xor_b64 exec, exec, s[56:57]
	s_cbranch_execz .LBB169_896
.LBB169_1672:                           ;   in Loop: Header=BB169_17 Depth=1
	v_cmp_ne_u16_e32 vcc, 0, v0
	s_andn2_b64 s[54:55], s[54:55], exec
	s_and_b64 vcc, vcc, exec
	v_mov_b32_e32 v54, 0
	s_or_b64 s[54:55], s[54:55], vcc
	s_or_b64 exec, exec, s[56:57]
	s_and_saveexec_b64 s[56:57], s[54:55]
	s_cbranch_execnz .LBB169_897
	s_branch .LBB169_898
.LBB169_1673:                           ;   in Loop: Header=BB169_17 Depth=1
	v_cmp_gt_i16_sdwa vcc, v8, v13 src0_sel:BYTE_0 src1_sel:DWORD
                                        ; implicit-def: $sgpr70_sgpr71
                                        ; implicit-def: $sgpr72_sgpr73
                                        ; implicit-def: $vgpr52
	s_and_saveexec_b64 s[66:67], vcc
	s_xor_b64 s[66:67], exec, s[66:67]
	s_cbranch_execz .LBB169_1705
; %bb.1674:                             ;   in Loop: Header=BB169_17 Depth=1
	v_cmp_gt_i16_sdwa vcc, v8, v14 src0_sel:BYTE_0 src1_sel:DWORD
                                        ; implicit-def: $sgpr70_sgpr71
                                        ; implicit-def: $sgpr74_sgpr75
                                        ; implicit-def: $vgpr52
	s_and_saveexec_b64 s[72:73], vcc
	s_xor_b64 s[72:73], exec, s[72:73]
	s_cbranch_execz .LBB169_1690
; %bb.1675:                             ;   in Loop: Header=BB169_17 Depth=1
	v_cmp_gt_i16_sdwa s[68:69], v8, v15 src0_sel:BYTE_0 src1_sel:DWORD
	s_mov_b64 s[76:77], 0
                                        ; implicit-def: $vcc
                                        ; implicit-def: $sgpr74_sgpr75
                                        ; implicit-def: $vgpr52
	s_and_saveexec_b64 s[70:71], s[68:69]
	s_xor_b64 s[68:69], exec, s[70:71]
	s_cbranch_execz .LBB169_1685
; %bb.1676:                             ;   in Loop: Header=BB169_17 Depth=1
	v_cmp_gt_i16_sdwa vcc, v8, v16 src0_sel:BYTE_0 src1_sel:DWORD
                                        ; implicit-def: $sgpr74_sgpr75
                                        ; implicit-def: $sgpr70_sgpr71
                                        ; implicit-def: $vgpr52
	s_and_saveexec_b64 s[78:79], vcc
	s_xor_b64 vcc, exec, s[78:79]
	s_cbranch_execz .LBB169_1680
; %bb.1677:                             ;   in Loop: Header=BB169_17 Depth=1
	v_cmp_eq_u16_sdwa s[78:79], v8, v17 src0_sel:BYTE_0 src1_sel:DWORD
	s_mov_b64 s[70:71], 0
                                        ; implicit-def: $vgpr52
	s_and_saveexec_b64 s[74:75], s[78:79]
	s_cbranch_execz .LBB169_1679
; %bb.1678:                             ;   in Loop: Header=BB169_17 Depth=1
	flat_load_dword v0, v[0:1]
	s_mov_b64 s[76:77], exec
	s_waitcnt vmcnt(0) lgkmcnt(0)
	v_lshlrev_b32_e32 v52, 16, v0
.LBB169_1679:                           ;   in Loop: Header=BB169_17 Depth=1
	s_or_b64 exec, exec, s[74:75]
	s_mov_b64 s[74:75], -1
	s_and_b64 s[76:77], s[76:77], exec
                                        ; implicit-def: $vgpr0_vgpr1
.LBB169_1680:                           ;   in Loop: Header=BB169_17 Depth=1
	s_andn2_saveexec_b64 s[78:79], vcc
	s_cbranch_execz .LBB169_1684
; %bb.1681:                             ;   in Loop: Header=BB169_17 Depth=1
	v_cmp_eq_u16_sdwa s[82:83], v8, v18 src0_sel:BYTE_0 src1_sel:DWORD
	s_mov_b64 vcc, s[76:77]
                                        ; implicit-def: $vgpr52
	s_and_saveexec_b64 s[80:81], s[82:83]
	s_cbranch_execz .LBB169_1683
; %bb.1682:                             ;   in Loop: Header=BB169_17 Depth=1
	flat_load_ubyte v0, v[0:1]
	s_movk_i32 vcc_lo, 0xff
	s_waitcnt vmcnt(0) lgkmcnt(0)
	v_lshlrev_b32_e32 v1, 23, v0
	v_cmp_ne_u32_e32 vcc, vcc_lo, v0
	v_cndmask_b32_e32 v1, v19, v1, vcc
	v_cmp_ne_u32_e32 vcc, 0, v0
	v_cndmask_b32_e32 v52, v20, v1, vcc
	s_or_b64 vcc, s[76:77], exec
.LBB169_1683:                           ;   in Loop: Header=BB169_17 Depth=1
	s_or_b64 exec, exec, s[80:81]
	s_andn2_b64 s[76:77], s[76:77], exec
	s_and_b64 vcc, vcc, exec
	s_or_b64 s[74:75], s[74:75], exec
	s_andn2_b64 s[70:71], s[70:71], exec
	s_or_b64 s[76:77], s[76:77], vcc
.LBB169_1684:                           ;   in Loop: Header=BB169_17 Depth=1
	s_or_b64 exec, exec, s[78:79]
	s_and_b64 s[74:75], s[74:75], exec
	s_and_b64 vcc, s[70:71], exec
	s_and_b64 s[76:77], s[76:77], exec
                                        ; implicit-def: $vgpr0_vgpr1
.LBB169_1685:                           ;   in Loop: Header=BB169_17 Depth=1
	s_andn2_saveexec_b64 s[68:69], s[68:69]
	s_cbranch_execz .LBB169_1689
; %bb.1686:                             ;   in Loop: Header=BB169_17 Depth=1
	v_cmp_eq_u16_sdwa s[80:81], v8, v21 src0_sel:BYTE_0 src1_sel:DWORD
	s_mov_b64 s[78:79], s[76:77]
                                        ; implicit-def: $vgpr52
	s_and_saveexec_b64 s[70:71], s[80:81]
	s_cbranch_execz .LBB169_1688
; %bb.1687:                             ;   in Loop: Header=BB169_17 Depth=1
	flat_load_dwordx2 v[0:1], v[0:1]
	s_or_b64 s[78:79], s[76:77], exec
	s_waitcnt vmcnt(0) lgkmcnt(0)
	v_ffbh_u32_e32 v52, v1
	v_min_u32_e32 v52, 32, v52
	v_lshlrev_b64 v[0:1], v52, v[0:1]
	v_min_u32_e32 v0, 1, v0
	v_or_b32_e32 v0, v1, v0
	v_cvt_f32_u32_e32 v0, v0
	v_sub_u32_e32 v1, 32, v52
	v_ldexp_f32 v52, v0, v1
.LBB169_1688:                           ;   in Loop: Header=BB169_17 Depth=1
	s_or_b64 exec, exec, s[70:71]
	s_andn2_b64 s[70:71], s[76:77], exec
	s_and_b64 s[76:77], s[78:79], exec
	s_or_b64 s[74:75], s[74:75], exec
	s_andn2_b64 vcc, vcc, exec
	s_or_b64 s[76:77], s[70:71], s[76:77]
.LBB169_1689:                           ;   in Loop: Header=BB169_17 Depth=1
	s_or_b64 exec, exec, s[68:69]
	s_and_b64 s[74:75], s[74:75], exec
	s_and_b64 s[70:71], vcc, exec
	s_and_b64 s[68:69], s[76:77], exec
                                        ; implicit-def: $vgpr0_vgpr1
.LBB169_1690:                           ;   in Loop: Header=BB169_17 Depth=1
	s_andn2_saveexec_b64 s[72:73], s[72:73]
	s_cbranch_execz .LBB169_1704
; %bb.1691:                             ;   in Loop: Header=BB169_17 Depth=1
	v_cmp_gt_i16_sdwa vcc, v8, v22 src0_sel:BYTE_0 src1_sel:DWORD
                                        ; implicit-def: $vgpr52
	s_and_saveexec_b64 s[76:77], vcc
	s_xor_b64 vcc, exec, s[76:77]
	s_cbranch_execz .LBB169_1697
; %bb.1692:                             ;   in Loop: Header=BB169_17 Depth=1
	v_cmp_gt_i16_sdwa s[76:77], v8, v23 src0_sel:BYTE_0 src1_sel:DWORD
                                        ; implicit-def: $vgpr52
	s_and_saveexec_b64 s[78:79], s[76:77]
	s_xor_b64 s[76:77], exec, s[78:79]
	s_cbranch_execz .LBB169_1694
; %bb.1693:                             ;   in Loop: Header=BB169_17 Depth=1
	flat_load_dword v0, v[0:1]
	s_waitcnt vmcnt(0) lgkmcnt(0)
	v_cvt_f32_u32_e32 v52, v0
                                        ; implicit-def: $vgpr0_vgpr1
.LBB169_1694:                           ;   in Loop: Header=BB169_17 Depth=1
	s_andn2_saveexec_b64 s[76:77], s[76:77]
	s_cbranch_execz .LBB169_1696
; %bb.1695:                             ;   in Loop: Header=BB169_17 Depth=1
	flat_load_ushort v0, v[0:1]
	s_waitcnt vmcnt(0) lgkmcnt(0)
	v_cvt_f32_u32_e32 v52, v0
.LBB169_1696:                           ;   in Loop: Header=BB169_17 Depth=1
	s_or_b64 exec, exec, s[76:77]
                                        ; implicit-def: $vgpr0_vgpr1
.LBB169_1697:                           ;   in Loop: Header=BB169_17 Depth=1
	s_andn2_saveexec_b64 s[76:77], vcc
	s_cbranch_execz .LBB169_1703
; %bb.1698:                             ;   in Loop: Header=BB169_17 Depth=1
	flat_load_ubyte v0, v[0:1]
	s_movk_i32 vcc_lo, 0x7f
	s_mov_b64 s[78:79], 0
                                        ; implicit-def: $sgpr84
	s_waitcnt vmcnt(0) lgkmcnt(0)
	v_cmp_lt_i16_e32 vcc, vcc_lo, v0
	s_and_saveexec_b64 s[80:81], vcc
	s_xor_b64 s[80:81], exec, s[80:81]
	s_cbranch_execnz .LBB169_2573
; %bb.1699:                             ;   in Loop: Header=BB169_17 Depth=1
	s_or_saveexec_b64 s[80:81], s[80:81]
	v_mov_b32_e32 v52, s84
	s_xor_b64 exec, exec, s[80:81]
	s_cbranch_execnz .LBB169_2576
.LBB169_1700:                           ;   in Loop: Header=BB169_17 Depth=1
	s_or_b64 exec, exec, s[80:81]
	s_and_saveexec_b64 s[80:81], s[78:79]
	s_cbranch_execz .LBB169_1702
.LBB169_1701:                           ;   in Loop: Header=BB169_17 Depth=1
	v_lshlrev_b32_e32 v1, 24, v0
	v_and_b32_e32 v0, 0xffff, v0
	v_and_b32_e32 v52, 7, v0
	v_ffbh_u32_e32 v55, v52
	v_min_u32_e32 v55, 32, v55
	v_subrev_u32_e32 v64, 28, v55
	v_bfe_u32 v54, v0, 3, 4
	v_lshlrev_b32_e32 v0, v64, v0
	v_sub_u32_e32 v55, 29, v55
	v_and_b32_e32 v0, 7, v0
	v_cmp_eq_u32_e32 vcc, 0, v54
	v_cndmask_b32_e32 v54, v54, v55, vcc
	v_cndmask_b32_e32 v0, v52, v0, vcc
	v_lshlrev_b32_e32 v0, 20, v0
	v_and_b32_e32 v1, 0x80000000, v1
	v_lshl_add_u32 v52, v54, 23, v24
	v_or3_b32 v52, v1, v52, v0
.LBB169_1702:                           ;   in Loop: Header=BB169_17 Depth=1
	s_or_b64 exec, exec, s[80:81]
.LBB169_1703:                           ;   in Loop: Header=BB169_17 Depth=1
	s_or_b64 exec, exec, s[76:77]
	s_andn2_b64 s[74:75], s[74:75], exec
	s_andn2_b64 s[70:71], s[70:71], exec
	s_or_b64 s[68:69], s[68:69], exec
.LBB169_1704:                           ;   in Loop: Header=BB169_17 Depth=1
	s_or_b64 exec, exec, s[72:73]
	s_and_b64 s[72:73], s[74:75], exec
	s_and_b64 s[70:71], s[70:71], exec
	;; [unrolled: 1-line block ×3, first 2 shown]
                                        ; implicit-def: $vgpr0_vgpr1
.LBB169_1705:                           ;   in Loop: Header=BB169_17 Depth=1
	s_andn2_saveexec_b64 s[66:67], s[66:67]
	s_cbranch_execz .LBB169_1731
; %bb.1706:                             ;   in Loop: Header=BB169_17 Depth=1
	v_cmp_gt_i16_sdwa vcc, v8, v25 src0_sel:BYTE_0 src1_sel:DWORD
	s_mov_b64 s[76:77], s[68:69]
                                        ; implicit-def: $vgpr52
	s_and_saveexec_b64 s[74:75], vcc
	s_xor_b64 s[74:75], exec, s[74:75]
	s_cbranch_execz .LBB169_1720
; %bb.1707:                             ;   in Loop: Header=BB169_17 Depth=1
	v_cmp_gt_i16_sdwa vcc, v8, v26 src0_sel:BYTE_0 src1_sel:DWORD
                                        ; implicit-def: $vgpr52
	s_and_saveexec_b64 s[76:77], vcc
	s_xor_b64 s[76:77], exec, s[76:77]
	s_cbranch_execz .LBB169_1717
; %bb.1708:                             ;   in Loop: Header=BB169_17 Depth=1
	v_cmp_gt_i16_sdwa vcc, v8, v27 src0_sel:BYTE_0 src1_sel:DWORD
                                        ; implicit-def: $vgpr52
	s_and_saveexec_b64 s[78:79], vcc
	s_xor_b64 s[78:79], exec, s[78:79]
	s_cbranch_execz .LBB169_1714
; %bb.1709:                             ;   in Loop: Header=BB169_17 Depth=1
	flat_load_ubyte v0, v[0:1]
	s_movk_i32 vcc_lo, 0x7f
	s_mov_b64 s[80:81], 0
                                        ; implicit-def: $sgpr86
	s_waitcnt vmcnt(0) lgkmcnt(0)
	v_cmp_lt_i16_e32 vcc, vcc_lo, v0
	s_and_saveexec_b64 s[82:83], vcc
	s_xor_b64 s[82:83], exec, s[82:83]
	s_cbranch_execnz .LBB169_2892
; %bb.1710:                             ;   in Loop: Header=BB169_17 Depth=1
	s_or_saveexec_b64 s[82:83], s[82:83]
	v_mov_b32_e32 v52, s86
	s_xor_b64 exec, exec, s[82:83]
	s_cbranch_execnz .LBB169_2895
.LBB169_1711:                           ;   in Loop: Header=BB169_17 Depth=1
	s_or_b64 exec, exec, s[82:83]
	s_and_saveexec_b64 s[82:83], s[80:81]
	s_cbranch_execz .LBB169_1713
.LBB169_1712:                           ;   in Loop: Header=BB169_17 Depth=1
	v_lshlrev_b32_e32 v1, 24, v0
	v_and_b32_e32 v0, 0xffff, v0
	v_and_b32_e32 v52, 3, v0
	v_ffbh_u32_e32 v55, v52
	v_min_u32_e32 v55, 32, v55
	v_subrev_u32_e32 v64, 29, v55
	v_bfe_u32 v54, v0, 2, 5
	v_lshlrev_b32_e32 v0, v64, v0
	v_sub_u32_e32 v55, 30, v55
	v_and_b32_e32 v0, 3, v0
	v_cmp_eq_u32_e32 vcc, 0, v54
	v_cndmask_b32_e32 v54, v54, v55, vcc
	v_cndmask_b32_e32 v0, v52, v0, vcc
	v_lshlrev_b32_e32 v0, 21, v0
	v_and_b32_e32 v1, 0x80000000, v1
	v_lshl_add_u32 v52, v54, 23, v28
	v_or3_b32 v52, v1, v52, v0
.LBB169_1713:                           ;   in Loop: Header=BB169_17 Depth=1
	s_or_b64 exec, exec, s[82:83]
                                        ; implicit-def: $vgpr0_vgpr1
.LBB169_1714:                           ;   in Loop: Header=BB169_17 Depth=1
	s_andn2_saveexec_b64 s[78:79], s[78:79]
	s_cbranch_execz .LBB169_1716
; %bb.1715:                             ;   in Loop: Header=BB169_17 Depth=1
	flat_load_ubyte v0, v[0:1]
	s_mov_b32 vcc_lo, 0x7f800000
	s_waitcnt vmcnt(0) lgkmcnt(0)
	v_lshlrev_b32_e32 v0, 24, v0
	v_and_b32_e32 v1, 0x7f000000, v0
	v_ffbh_u32_e32 v52, v1
	v_min_u32_e32 v52, 32, v52
	v_sub_u32_e64 v52, v52, 4 clamp
	v_lshlrev_b32_e32 v55, v52, v1
	v_lshlrev_b32_e32 v52, 23, v52
	v_lshrrev_b32_e32 v55, 4, v55
	v_add_u32_e32 v54, 0x1000000, v1
	v_sub_u32_e32 v52, v55, v52
	v_ashrrev_i32_e32 v54, 8, v54
	v_add_u32_e32 v52, 0x3c000000, v52
	v_and_or_b32 v52, v54, vcc_lo, v52
	v_cmp_ne_u32_e32 vcc, 0, v1
	v_cndmask_b32_e32 v1, 0, v52, vcc
	s_brev_b32 vcc_lo, 1
	v_and_or_b32 v52, v0, vcc_lo, v1
.LBB169_1716:                           ;   in Loop: Header=BB169_17 Depth=1
	s_or_b64 exec, exec, s[78:79]
                                        ; implicit-def: $vgpr0_vgpr1
.LBB169_1717:                           ;   in Loop: Header=BB169_17 Depth=1
	s_andn2_saveexec_b64 s[76:77], s[76:77]
	s_cbranch_execz .LBB169_1719
; %bb.1718:                             ;   in Loop: Header=BB169_17 Depth=1
	flat_load_ubyte v0, v[0:1]
	s_movk_i32 vcc_lo, 0x7f00
	s_waitcnt vmcnt(0) lgkmcnt(0)
	v_lshlrev_b16_e32 v1, 8, v0
	v_lshlrev_b32_e32 v0, 25, v0
	v_lshrrev_b32_e32 v52, 4, v0
	v_and_or_b32 v54, v1, vcc_lo, 0.5
	v_or_b32_e32 v52, 0x70000000, v52
	s_brev_b32 vcc_lo, 16
	v_add_f32_e32 v54, -0.5, v54
	v_mul_f32_e32 v52, 0x7800000, v52
	v_cmp_gt_u32_e32 vcc, vcc_lo, v0
	v_cndmask_b32_e32 v0, v52, v54, vcc
	v_bfe_i32 v1, v1, 0, 16
	s_brev_b32 vcc_lo, 1
	v_and_or_b32 v52, v1, vcc_lo, v0
.LBB169_1719:                           ;   in Loop: Header=BB169_17 Depth=1
	s_or_b64 exec, exec, s[76:77]
	s_or_b64 s[76:77], s[68:69], exec
                                        ; implicit-def: $vgpr0_vgpr1
.LBB169_1720:                           ;   in Loop: Header=BB169_17 Depth=1
	s_or_saveexec_b64 s[74:75], s[74:75]
                                        ; implicit-def: $vcc
                                        ; implicit-def: $sgpr82_sgpr83
	s_xor_b64 exec, exec, s[74:75]
	s_cbranch_execz .LBB169_1730
; %bb.1721:                             ;   in Loop: Header=BB169_17 Depth=1
	v_cmp_gt_i16_sdwa vcc, v8, v29 src0_sel:BYTE_0 src1_sel:DWORD
	s_mov_b64 s[80:81], s[76:77]
                                        ; implicit-def: $sgpr82_sgpr83
                                        ; implicit-def: $sgpr78_sgpr79
                                        ; implicit-def: $vgpr52
	s_and_saveexec_b64 s[84:85], vcc
	s_xor_b64 vcc, exec, s[84:85]
	s_cbranch_execz .LBB169_1725
; %bb.1722:                             ;   in Loop: Header=BB169_17 Depth=1
	v_cmp_eq_u16_sdwa s[82:83], v8, v32 src0_sel:BYTE_0 src1_sel:DWORD
	s_mov_b64 s[80:81], s[76:77]
                                        ; implicit-def: $vgpr52
	s_and_saveexec_b64 s[78:79], s[82:83]
	s_cbranch_execz .LBB169_1724
; %bb.1723:                             ;   in Loop: Header=BB169_17 Depth=1
	flat_load_ushort v0, v[0:1]
	s_or_b64 s[80:81], s[76:77], exec
	s_waitcnt vmcnt(0) lgkmcnt(0)
	v_lshlrev_b32_e32 v52, 16, v0
.LBB169_1724:                           ;   in Loop: Header=BB169_17 Depth=1
	s_or_b64 exec, exec, s[78:79]
	s_andn2_b64 s[84:85], s[76:77], exec
	s_and_b64 s[80:81], s[80:81], exec
	s_mov_b64 s[78:79], 0
	s_mov_b64 s[82:83], -1
	s_or_b64 s[80:81], s[84:85], s[80:81]
                                        ; implicit-def: $vgpr0_vgpr1
.LBB169_1725:                           ;   in Loop: Header=BB169_17 Depth=1
	s_andn2_saveexec_b64 s[84:85], vcc
	s_cbranch_execz .LBB169_1729
; %bb.1726:                             ;   in Loop: Header=BB169_17 Depth=1
	v_cmp_eq_u16_sdwa s[88:89], v8, v33 src0_sel:BYTE_0 src1_sel:DWORD
	s_mov_b64 vcc, s[80:81]
                                        ; implicit-def: $vgpr52
	s_and_saveexec_b64 s[86:87], s[88:89]
	s_cbranch_execz .LBB169_1728
; %bb.1727:                             ;   in Loop: Header=BB169_17 Depth=1
	flat_load_ubyte v0, v[0:1]
	s_waitcnt vmcnt(0) lgkmcnt(0)
	v_cmp_ne_u16_e32 vcc, 0, v0
	v_cndmask_b32_e64 v52, 0, 1.0, vcc
	s_or_b64 vcc, s[80:81], exec
.LBB169_1728:                           ;   in Loop: Header=BB169_17 Depth=1
	s_or_b64 exec, exec, s[86:87]
	s_andn2_b64 s[80:81], s[80:81], exec
	s_and_b64 vcc, vcc, exec
	s_or_b64 s[82:83], s[82:83], exec
	s_andn2_b64 s[78:79], s[78:79], exec
	s_or_b64 s[80:81], s[80:81], vcc
.LBB169_1729:                           ;   in Loop: Header=BB169_17 Depth=1
	s_or_b64 exec, exec, s[84:85]
	s_and_b64 vcc, s[78:79], exec
	s_andn2_b64 s[76:77], s[76:77], exec
	s_and_b64 s[78:79], s[80:81], exec
	s_and_b64 s[82:83], s[82:83], exec
	s_or_b64 s[76:77], s[76:77], s[78:79]
.LBB169_1730:                           ;   in Loop: Header=BB169_17 Depth=1
	s_or_b64 exec, exec, s[74:75]
	s_andn2_b64 s[70:71], s[70:71], exec
	s_and_b64 vcc, vcc, exec
	s_andn2_b64 s[72:73], s[72:73], exec
	s_and_b64 s[74:75], s[82:83], exec
	s_or_b64 s[70:71], s[70:71], vcc
	s_andn2_b64 vcc, s[68:69], exec
	s_and_b64 s[68:69], s[76:77], exec
	s_or_b64 s[72:73], s[72:73], s[74:75]
	s_or_b64 s[68:69], vcc, s[68:69]
.LBB169_1731:                           ;   in Loop: Header=BB169_17 Depth=1
	s_or_b64 exec, exec, s[66:67]
	s_and_b64 s[66:67], s[72:73], exec
	s_and_b64 vcc, s[70:71], exec
	s_and_b64 s[68:69], s[68:69], exec
                                        ; implicit-def: $vgpr0_vgpr1
	s_andn2_saveexec_b64 s[64:65], s[64:65]
	s_cbranch_execz .LBB169_1648
.LBB169_1732:                           ;   in Loop: Header=BB169_17 Depth=1
	v_cmp_gt_i16_sdwa s[70:71], v8, v34 src0_sel:BYTE_0 src1_sel:DWORD
                                        ; implicit-def: $vgpr52
	s_and_saveexec_b64 s[72:73], s[70:71]
	s_xor_b64 s[70:71], exec, s[72:73]
	s_cbranch_execz .LBB169_1754
; %bb.1733:                             ;   in Loop: Header=BB169_17 Depth=1
	v_cmp_gt_i16_sdwa s[72:73], v8, v35 src0_sel:BYTE_0 src1_sel:DWORD
                                        ; implicit-def: $vgpr52
	s_and_saveexec_b64 s[74:75], s[72:73]
	s_xor_b64 s[72:73], exec, s[74:75]
	s_cbranch_execz .LBB169_1743
; %bb.1734:                             ;   in Loop: Header=BB169_17 Depth=1
	;; [unrolled: 6-line block ×4, first 2 shown]
	flat_load_dwordx2 v[0:1], v[0:1]
	s_waitcnt vmcnt(0) lgkmcnt(0)
	v_cvt_f32_f64_e32 v52, v[0:1]
                                        ; implicit-def: $vgpr0_vgpr1
.LBB169_1737:                           ;   in Loop: Header=BB169_17 Depth=1
	s_andn2_saveexec_b64 s[76:77], s[76:77]
	s_cbranch_execz .LBB169_1739
; %bb.1738:                             ;   in Loop: Header=BB169_17 Depth=1
	flat_load_dword v52, v[0:1]
.LBB169_1739:                           ;   in Loop: Header=BB169_17 Depth=1
	s_or_b64 exec, exec, s[76:77]
                                        ; implicit-def: $vgpr0_vgpr1
.LBB169_1740:                           ;   in Loop: Header=BB169_17 Depth=1
	s_andn2_saveexec_b64 s[74:75], s[74:75]
	s_cbranch_execz .LBB169_1742
; %bb.1741:                             ;   in Loop: Header=BB169_17 Depth=1
	flat_load_dword v0, v[0:1]
	s_waitcnt vmcnt(0) lgkmcnt(0)
	v_cvt_f32_f16_e32 v52, v0
.LBB169_1742:                           ;   in Loop: Header=BB169_17 Depth=1
	s_or_b64 exec, exec, s[74:75]
                                        ; implicit-def: $vgpr0_vgpr1
.LBB169_1743:                           ;   in Loop: Header=BB169_17 Depth=1
	s_andn2_saveexec_b64 s[72:73], s[72:73]
	s_cbranch_execz .LBB169_1753
; %bb.1744:                             ;   in Loop: Header=BB169_17 Depth=1
	v_cmp_gt_i16_sdwa s[74:75], v8, v38 src0_sel:BYTE_0 src1_sel:DWORD
                                        ; implicit-def: $vgpr52
	s_and_saveexec_b64 s[76:77], s[74:75]
	s_xor_b64 s[74:75], exec, s[76:77]
	s_cbranch_execz .LBB169_1750
; %bb.1745:                             ;   in Loop: Header=BB169_17 Depth=1
	v_cmp_gt_i16_sdwa s[76:77], v8, v39 src0_sel:BYTE_0 src1_sel:DWORD
                                        ; implicit-def: $vgpr52
	s_and_saveexec_b64 s[78:79], s[76:77]
	s_xor_b64 s[76:77], exec, s[78:79]
	s_cbranch_execz .LBB169_1747
; %bb.1746:                             ;   in Loop: Header=BB169_17 Depth=1
	flat_load_dwordx2 v[0:1], v[0:1]
	s_waitcnt vmcnt(0) lgkmcnt(0)
	v_cvt_f32_f64_e32 v52, v[0:1]
                                        ; implicit-def: $vgpr0_vgpr1
.LBB169_1747:                           ;   in Loop: Header=BB169_17 Depth=1
	s_andn2_saveexec_b64 s[76:77], s[76:77]
	s_cbranch_execz .LBB169_1749
; %bb.1748:                             ;   in Loop: Header=BB169_17 Depth=1
	s_waitcnt vmcnt(0) lgkmcnt(0)
	flat_load_dword v52, v[0:1]
.LBB169_1749:                           ;   in Loop: Header=BB169_17 Depth=1
	s_or_b64 exec, exec, s[76:77]
                                        ; implicit-def: $vgpr0_vgpr1
.LBB169_1750:                           ;   in Loop: Header=BB169_17 Depth=1
	s_andn2_saveexec_b64 s[74:75], s[74:75]
	s_cbranch_execz .LBB169_1752
; %bb.1751:                             ;   in Loop: Header=BB169_17 Depth=1
	flat_load_ushort v0, v[0:1]
	s_waitcnt vmcnt(0) lgkmcnt(0)
	v_cvt_f32_f16_e32 v52, v0
.LBB169_1752:                           ;   in Loop: Header=BB169_17 Depth=1
	s_or_b64 exec, exec, s[74:75]
.LBB169_1753:                           ;   in Loop: Header=BB169_17 Depth=1
	s_or_b64 exec, exec, s[72:73]
                                        ; implicit-def: $vgpr0_vgpr1
.LBB169_1754:                           ;   in Loop: Header=BB169_17 Depth=1
	s_andn2_saveexec_b64 s[70:71], s[70:71]
	s_cbranch_execz .LBB169_1772
; %bb.1755:                             ;   in Loop: Header=BB169_17 Depth=1
	v_cmp_gt_i16_sdwa s[72:73], v8, v48 src0_sel:BYTE_0 src1_sel:DWORD
                                        ; implicit-def: $vgpr52
	s_and_saveexec_b64 s[74:75], s[72:73]
	s_xor_b64 s[72:73], exec, s[74:75]
	s_cbranch_execz .LBB169_1765
; %bb.1756:                             ;   in Loop: Header=BB169_17 Depth=1
	v_cmp_gt_i16_sdwa s[74:75], v8, v49 src0_sel:BYTE_0 src1_sel:DWORD
                                        ; implicit-def: $vgpr52
	s_and_saveexec_b64 s[76:77], s[74:75]
	s_xor_b64 s[74:75], exec, s[76:77]
	;; [unrolled: 6-line block ×3, first 2 shown]
	s_cbranch_execz .LBB169_1759
; %bb.1758:                             ;   in Loop: Header=BB169_17 Depth=1
	flat_load_dwordx2 v[0:1], v[0:1]
	s_waitcnt vmcnt(0) lgkmcnt(0)
	v_xor_b32_e32 v54, v0, v1
	v_ffbh_i32_e32 v52, v1
	v_ashrrev_i32_e32 v54, 31, v54
	v_add_u32_e32 v52, -1, v52
	v_add_u32_e32 v54, 32, v54
	v_min_u32_e32 v52, v52, v54
	v_lshlrev_b64 v[0:1], v52, v[0:1]
	v_min_u32_e32 v0, 1, v0
	v_or_b32_e32 v0, v1, v0
	v_cvt_f32_i32_e32 v0, v0
	v_sub_u32_e32 v1, 32, v52
	v_ldexp_f32 v52, v0, v1
                                        ; implicit-def: $vgpr0_vgpr1
.LBB169_1759:                           ;   in Loop: Header=BB169_17 Depth=1
	s_andn2_saveexec_b64 s[76:77], s[76:77]
	s_cbranch_execz .LBB169_1761
; %bb.1760:                             ;   in Loop: Header=BB169_17 Depth=1
	flat_load_dword v0, v[0:1]
	s_waitcnt vmcnt(0) lgkmcnt(0)
	v_cvt_f32_i32_e32 v52, v0
.LBB169_1761:                           ;   in Loop: Header=BB169_17 Depth=1
	s_or_b64 exec, exec, s[76:77]
                                        ; implicit-def: $vgpr0_vgpr1
.LBB169_1762:                           ;   in Loop: Header=BB169_17 Depth=1
	s_andn2_saveexec_b64 s[74:75], s[74:75]
	s_cbranch_execz .LBB169_1764
; %bb.1763:                             ;   in Loop: Header=BB169_17 Depth=1
	flat_load_sshort v0, v[0:1]
	s_waitcnt vmcnt(0) lgkmcnt(0)
	v_cvt_f32_i32_e32 v52, v0
.LBB169_1764:                           ;   in Loop: Header=BB169_17 Depth=1
	s_or_b64 exec, exec, s[74:75]
                                        ; implicit-def: $vgpr0_vgpr1
.LBB169_1765:                           ;   in Loop: Header=BB169_17 Depth=1
	s_andn2_saveexec_b64 s[72:73], s[72:73]
	s_cbranch_execz .LBB169_1771
; %bb.1766:                             ;   in Loop: Header=BB169_17 Depth=1
	v_cmp_gt_i16_sdwa s[74:75], v8, v6 src0_sel:BYTE_0 src1_sel:DWORD
                                        ; implicit-def: $vgpr52
	s_and_saveexec_b64 s[76:77], s[74:75]
	s_xor_b64 s[74:75], exec, s[76:77]
	s_cbranch_execz .LBB169_1768
; %bb.1767:                             ;   in Loop: Header=BB169_17 Depth=1
	flat_load_sbyte v0, v[0:1]
	s_waitcnt vmcnt(0) lgkmcnt(0)
	v_cvt_f32_i32_e32 v52, v0
                                        ; implicit-def: $vgpr0_vgpr1
.LBB169_1768:                           ;   in Loop: Header=BB169_17 Depth=1
	s_andn2_saveexec_b64 s[74:75], s[74:75]
	s_cbranch_execz .LBB169_1770
; %bb.1769:                             ;   in Loop: Header=BB169_17 Depth=1
	flat_load_ubyte v0, v[0:1]
	s_waitcnt vmcnt(0) lgkmcnt(0)
	v_cvt_f32_ubyte0_e32 v52, v0
.LBB169_1770:                           ;   in Loop: Header=BB169_17 Depth=1
	s_or_b64 exec, exec, s[74:75]
.LBB169_1771:                           ;   in Loop: Header=BB169_17 Depth=1
	s_or_b64 exec, exec, s[72:73]
.LBB169_1772:                           ;   in Loop: Header=BB169_17 Depth=1
	s_or_b64 exec, exec, s[70:71]
	s_andn2_b64 s[66:67], s[66:67], exec
	s_andn2_b64 vcc, vcc, exec
	s_or_b64 s[68:69], s[68:69], exec
	s_or_b64 exec, exec, s[64:65]
	s_mov_b64 s[64:65], 0
	s_and_saveexec_b64 s[70:71], s[68:69]
	s_cbranch_execnz .LBB169_1649
	s_branch .LBB169_1650
.LBB169_1773:                           ;   in Loop: Header=BB169_17 Depth=1
	v_cmp_gt_i16_sdwa vcc, v7, v13 src0_sel:BYTE_0 src1_sel:DWORD
	s_mov_b64 s[70:71], 0
                                        ; implicit-def: $sgpr72_sgpr73
                                        ; implicit-def: $sgpr62_sgpr63
                                        ; implicit-def: $vgpr54
	s_and_saveexec_b64 s[60:61], vcc
	s_xor_b64 s[60:61], exec, s[60:61]
	s_cbranch_execz .LBB169_1805
; %bb.1774:                             ;   in Loop: Header=BB169_17 Depth=1
	v_cmp_gt_i16_sdwa vcc, v7, v14 src0_sel:BYTE_0 src1_sel:DWORD
                                        ; implicit-def: $sgpr72_sgpr73
                                        ; implicit-def: $sgpr74_sgpr75
                                        ; implicit-def: $vgpr54
	s_and_saveexec_b64 s[62:63], vcc
	s_xor_b64 s[62:63], exec, s[62:63]
	s_cbranch_execz .LBB169_1790
; %bb.1775:                             ;   in Loop: Header=BB169_17 Depth=1
	v_cmp_gt_i16_sdwa s[70:71], v7, v15 src0_sel:BYTE_0 src1_sel:DWORD
	s_mov_b64 s[76:77], 0
                                        ; implicit-def: $vcc
                                        ; implicit-def: $sgpr72_sgpr73
                                        ; implicit-def: $vgpr54
	s_and_saveexec_b64 s[74:75], s[70:71]
	s_xor_b64 s[70:71], exec, s[74:75]
	s_cbranch_execz .LBB169_1785
; %bb.1776:                             ;   in Loop: Header=BB169_17 Depth=1
	v_cmp_gt_i16_sdwa vcc, v7, v16 src0_sel:BYTE_0 src1_sel:DWORD
	s_mov_b64 s[74:75], 0
                                        ; implicit-def: $sgpr72_sgpr73
                                        ; implicit-def: $sgpr76_sgpr77
                                        ; implicit-def: $vgpr54
	s_and_saveexec_b64 s[78:79], vcc
	s_xor_b64 vcc, exec, s[78:79]
	s_cbranch_execz .LBB169_1780
; %bb.1777:                             ;   in Loop: Header=BB169_17 Depth=1
	v_cmp_eq_u16_sdwa s[78:79], v7, v17 src0_sel:BYTE_0 src1_sel:DWORD
	s_mov_b64 s[72:73], 0
                                        ; implicit-def: $vgpr54
	s_and_saveexec_b64 s[76:77], s[78:79]
	s_cbranch_execz .LBB169_1779
; %bb.1778:                             ;   in Loop: Header=BB169_17 Depth=1
	flat_load_dword v0, v[0:1]
	s_mov_b64 s[74:75], exec
	s_waitcnt vmcnt(0) lgkmcnt(0)
	v_lshlrev_b32_e32 v54, 16, v0
.LBB169_1779:                           ;   in Loop: Header=BB169_17 Depth=1
	s_or_b64 exec, exec, s[76:77]
	s_mov_b64 s[76:77], -1
	s_and_b64 s[74:75], s[74:75], exec
                                        ; implicit-def: $vgpr0_vgpr1
.LBB169_1780:                           ;   in Loop: Header=BB169_17 Depth=1
	s_andn2_saveexec_b64 s[78:79], vcc
	s_cbranch_execz .LBB169_1784
; %bb.1781:                             ;   in Loop: Header=BB169_17 Depth=1
	v_cmp_eq_u16_sdwa s[82:83], v7, v18 src0_sel:BYTE_0 src1_sel:DWORD
	s_mov_b64 vcc, s[74:75]
                                        ; implicit-def: $vgpr54
	s_and_saveexec_b64 s[80:81], s[82:83]
	s_cbranch_execz .LBB169_1783
; %bb.1782:                             ;   in Loop: Header=BB169_17 Depth=1
	flat_load_ubyte v0, v[0:1]
	s_movk_i32 vcc_lo, 0xff
	s_waitcnt vmcnt(0) lgkmcnt(0)
	v_lshlrev_b32_e32 v1, 23, v0
	v_cmp_ne_u32_e32 vcc, vcc_lo, v0
	v_cndmask_b32_e32 v1, v19, v1, vcc
	v_cmp_ne_u32_e32 vcc, 0, v0
	v_cndmask_b32_e32 v54, v20, v1, vcc
	s_or_b64 vcc, s[74:75], exec
.LBB169_1783:                           ;   in Loop: Header=BB169_17 Depth=1
	s_or_b64 exec, exec, s[80:81]
	s_andn2_b64 s[74:75], s[74:75], exec
	s_and_b64 vcc, vcc, exec
	s_andn2_b64 s[72:73], s[72:73], exec
	s_or_b64 s[76:77], s[76:77], exec
	s_or_b64 s[74:75], s[74:75], vcc
.LBB169_1784:                           ;   in Loop: Header=BB169_17 Depth=1
	s_or_b64 exec, exec, s[78:79]
	s_and_b64 s[72:73], s[72:73], exec
	s_and_b64 vcc, s[76:77], exec
	s_and_b64 s[76:77], s[74:75], exec
                                        ; implicit-def: $vgpr0_vgpr1
.LBB169_1785:                           ;   in Loop: Header=BB169_17 Depth=1
	s_andn2_saveexec_b64 s[70:71], s[70:71]
	s_cbranch_execz .LBB169_1789
; %bb.1786:                             ;   in Loop: Header=BB169_17 Depth=1
	v_cmp_eq_u16_sdwa s[80:81], v7, v21 src0_sel:BYTE_0 src1_sel:DWORD
	s_mov_b64 s[78:79], s[76:77]
                                        ; implicit-def: $vgpr54
	s_and_saveexec_b64 s[74:75], s[80:81]
	s_cbranch_execz .LBB169_1788
; %bb.1787:                             ;   in Loop: Header=BB169_17 Depth=1
	flat_load_dwordx2 v[0:1], v[0:1]
	s_or_b64 s[78:79], s[76:77], exec
	s_waitcnt vmcnt(0) lgkmcnt(0)
	v_ffbh_u32_e32 v53, v1
	v_min_u32_e32 v53, 32, v53
	v_lshlrev_b64 v[0:1], v53, v[0:1]
	v_min_u32_e32 v0, 1, v0
	v_or_b32_e32 v0, v1, v0
	v_cvt_f32_u32_e32 v0, v0
	v_sub_u32_e32 v1, 32, v53
	v_ldexp_f32 v54, v0, v1
.LBB169_1788:                           ;   in Loop: Header=BB169_17 Depth=1
	s_or_b64 exec, exec, s[74:75]
	s_andn2_b64 s[74:75], s[76:77], exec
	s_and_b64 s[76:77], s[78:79], exec
	s_andn2_b64 s[72:73], s[72:73], exec
	s_or_b64 vcc, vcc, exec
	s_or_b64 s[76:77], s[74:75], s[76:77]
.LBB169_1789:                           ;   in Loop: Header=BB169_17 Depth=1
	s_or_b64 exec, exec, s[70:71]
	s_and_b64 s[74:75], s[72:73], exec
	s_and_b64 s[72:73], vcc, exec
	s_and_b64 s[70:71], s[76:77], exec
                                        ; implicit-def: $vgpr0_vgpr1
.LBB169_1790:                           ;   in Loop: Header=BB169_17 Depth=1
	s_andn2_saveexec_b64 s[62:63], s[62:63]
	s_cbranch_execz .LBB169_1804
; %bb.1791:                             ;   in Loop: Header=BB169_17 Depth=1
	v_cmp_gt_i16_sdwa vcc, v7, v22 src0_sel:BYTE_0 src1_sel:DWORD
                                        ; implicit-def: $vgpr54
	s_and_saveexec_b64 s[76:77], vcc
	s_xor_b64 vcc, exec, s[76:77]
	s_cbranch_execz .LBB169_1797
; %bb.1792:                             ;   in Loop: Header=BB169_17 Depth=1
	v_cmp_gt_i16_sdwa s[76:77], v7, v23 src0_sel:BYTE_0 src1_sel:DWORD
                                        ; implicit-def: $vgpr54
	s_and_saveexec_b64 s[78:79], s[76:77]
	s_xor_b64 s[76:77], exec, s[78:79]
	s_cbranch_execz .LBB169_1794
; %bb.1793:                             ;   in Loop: Header=BB169_17 Depth=1
	flat_load_dword v0, v[0:1]
	s_waitcnt vmcnt(0) lgkmcnt(0)
	v_cvt_f32_u32_e32 v54, v0
                                        ; implicit-def: $vgpr0_vgpr1
.LBB169_1794:                           ;   in Loop: Header=BB169_17 Depth=1
	s_andn2_saveexec_b64 s[76:77], s[76:77]
	s_cbranch_execz .LBB169_1796
; %bb.1795:                             ;   in Loop: Header=BB169_17 Depth=1
	flat_load_ushort v0, v[0:1]
	s_waitcnt vmcnt(0) lgkmcnt(0)
	v_cvt_f32_u32_e32 v54, v0
.LBB169_1796:                           ;   in Loop: Header=BB169_17 Depth=1
	s_or_b64 exec, exec, s[76:77]
                                        ; implicit-def: $vgpr0_vgpr1
.LBB169_1797:                           ;   in Loop: Header=BB169_17 Depth=1
	s_andn2_saveexec_b64 s[76:77], vcc
	s_cbranch_execz .LBB169_1803
; %bb.1798:                             ;   in Loop: Header=BB169_17 Depth=1
	flat_load_ubyte v0, v[0:1]
	s_movk_i32 vcc_lo, 0x7f
	s_mov_b64 s[78:79], 0
                                        ; implicit-def: $sgpr84
	s_waitcnt vmcnt(0) lgkmcnt(0)
	v_cmp_lt_i16_e32 vcc, vcc_lo, v0
	s_and_saveexec_b64 s[80:81], vcc
	s_xor_b64 s[80:81], exec, s[80:81]
	s_cbranch_execnz .LBB169_2577
; %bb.1799:                             ;   in Loop: Header=BB169_17 Depth=1
	s_or_saveexec_b64 s[80:81], s[80:81]
	v_mov_b32_e32 v54, s84
	s_xor_b64 exec, exec, s[80:81]
	s_cbranch_execnz .LBB169_2580
.LBB169_1800:                           ;   in Loop: Header=BB169_17 Depth=1
	s_or_b64 exec, exec, s[80:81]
	s_and_saveexec_b64 s[80:81], s[78:79]
	s_cbranch_execz .LBB169_1802
.LBB169_1801:                           ;   in Loop: Header=BB169_17 Depth=1
	v_lshlrev_b32_e32 v1, 24, v0
	v_and_b32_e32 v0, 0xffff, v0
	v_and_b32_e32 v53, 7, v0
	v_ffbh_u32_e32 v55, v53
	v_min_u32_e32 v55, 32, v55
	v_subrev_u32_e32 v64, 28, v55
	v_bfe_u32 v54, v0, 3, 4
	v_lshlrev_b32_e32 v0, v64, v0
	v_sub_u32_e32 v55, 29, v55
	v_and_b32_e32 v0, 7, v0
	v_cmp_eq_u32_e32 vcc, 0, v54
	v_cndmask_b32_e32 v54, v54, v55, vcc
	v_cndmask_b32_e32 v0, v53, v0, vcc
	v_lshlrev_b32_e32 v0, 20, v0
	v_and_b32_e32 v1, 0x80000000, v1
	v_lshl_add_u32 v53, v54, 23, v24
	v_or3_b32 v54, v1, v53, v0
.LBB169_1802:                           ;   in Loop: Header=BB169_17 Depth=1
	s_or_b64 exec, exec, s[80:81]
.LBB169_1803:                           ;   in Loop: Header=BB169_17 Depth=1
	s_or_b64 exec, exec, s[76:77]
	s_andn2_b64 s[74:75], s[74:75], exec
	s_andn2_b64 s[72:73], s[72:73], exec
	s_or_b64 s[70:71], s[70:71], exec
.LBB169_1804:                           ;   in Loop: Header=BB169_17 Depth=1
	s_or_b64 exec, exec, s[62:63]
	s_and_b64 s[62:63], s[74:75], exec
	s_and_b64 s[72:73], s[72:73], exec
	;; [unrolled: 1-line block ×3, first 2 shown]
                                        ; implicit-def: $vgpr0_vgpr1
.LBB169_1805:                           ;   in Loop: Header=BB169_17 Depth=1
	s_andn2_saveexec_b64 s[60:61], s[60:61]
	s_cbranch_execz .LBB169_1831
; %bb.1806:                             ;   in Loop: Header=BB169_17 Depth=1
	v_cmp_gt_i16_sdwa vcc, v7, v25 src0_sel:BYTE_0 src1_sel:DWORD
	s_mov_b64 s[76:77], s[70:71]
                                        ; implicit-def: $vgpr54
	s_and_saveexec_b64 s[74:75], vcc
	s_xor_b64 s[74:75], exec, s[74:75]
	s_cbranch_execz .LBB169_1820
; %bb.1807:                             ;   in Loop: Header=BB169_17 Depth=1
	v_cmp_gt_i16_sdwa vcc, v7, v26 src0_sel:BYTE_0 src1_sel:DWORD
                                        ; implicit-def: $vgpr54
	s_and_saveexec_b64 s[76:77], vcc
	s_xor_b64 s[76:77], exec, s[76:77]
	s_cbranch_execz .LBB169_1817
; %bb.1808:                             ;   in Loop: Header=BB169_17 Depth=1
	v_cmp_gt_i16_sdwa vcc, v7, v27 src0_sel:BYTE_0 src1_sel:DWORD
                                        ; implicit-def: $vgpr54
	s_and_saveexec_b64 s[78:79], vcc
	s_xor_b64 s[78:79], exec, s[78:79]
	s_cbranch_execz .LBB169_1814
; %bb.1809:                             ;   in Loop: Header=BB169_17 Depth=1
	flat_load_ubyte v0, v[0:1]
	s_movk_i32 vcc_lo, 0x7f
	s_mov_b64 s[80:81], 0
                                        ; implicit-def: $sgpr86
	s_waitcnt vmcnt(0) lgkmcnt(0)
	v_cmp_lt_i16_e32 vcc, vcc_lo, v0
	s_and_saveexec_b64 s[82:83], vcc
	s_xor_b64 s[82:83], exec, s[82:83]
	s_cbranch_execnz .LBB169_2896
; %bb.1810:                             ;   in Loop: Header=BB169_17 Depth=1
	s_or_saveexec_b64 s[82:83], s[82:83]
	v_mov_b32_e32 v54, s86
	s_xor_b64 exec, exec, s[82:83]
	s_cbranch_execnz .LBB169_2899
.LBB169_1811:                           ;   in Loop: Header=BB169_17 Depth=1
	s_or_b64 exec, exec, s[82:83]
	s_and_saveexec_b64 s[82:83], s[80:81]
	s_cbranch_execz .LBB169_1813
.LBB169_1812:                           ;   in Loop: Header=BB169_17 Depth=1
	v_lshlrev_b32_e32 v1, 24, v0
	v_and_b32_e32 v0, 0xffff, v0
	v_and_b32_e32 v53, 3, v0
	v_ffbh_u32_e32 v55, v53
	v_min_u32_e32 v55, 32, v55
	v_subrev_u32_e32 v64, 29, v55
	v_bfe_u32 v54, v0, 2, 5
	v_lshlrev_b32_e32 v0, v64, v0
	v_sub_u32_e32 v55, 30, v55
	v_and_b32_e32 v0, 3, v0
	v_cmp_eq_u32_e32 vcc, 0, v54
	v_cndmask_b32_e32 v54, v54, v55, vcc
	v_cndmask_b32_e32 v0, v53, v0, vcc
	v_lshlrev_b32_e32 v0, 21, v0
	v_and_b32_e32 v1, 0x80000000, v1
	v_lshl_add_u32 v53, v54, 23, v28
	v_or3_b32 v54, v1, v53, v0
.LBB169_1813:                           ;   in Loop: Header=BB169_17 Depth=1
	s_or_b64 exec, exec, s[82:83]
                                        ; implicit-def: $vgpr0_vgpr1
.LBB169_1814:                           ;   in Loop: Header=BB169_17 Depth=1
	s_andn2_saveexec_b64 s[78:79], s[78:79]
	s_cbranch_execz .LBB169_1816
; %bb.1815:                             ;   in Loop: Header=BB169_17 Depth=1
	flat_load_ubyte v0, v[0:1]
	s_mov_b32 vcc_lo, 0x7f800000
	s_waitcnt vmcnt(0) lgkmcnt(0)
	v_lshlrev_b32_e32 v0, 24, v0
	v_and_b32_e32 v1, 0x7f000000, v0
	v_ffbh_u32_e32 v53, v1
	v_min_u32_e32 v53, 32, v53
	v_sub_u32_e64 v53, v53, 4 clamp
	v_lshlrev_b32_e32 v55, v53, v1
	v_lshlrev_b32_e32 v53, 23, v53
	v_lshrrev_b32_e32 v55, 4, v55
	v_add_u32_e32 v54, 0x1000000, v1
	v_sub_u32_e32 v53, v55, v53
	v_ashrrev_i32_e32 v54, 8, v54
	v_add_u32_e32 v53, 0x3c000000, v53
	v_and_or_b32 v53, v54, vcc_lo, v53
	v_cmp_ne_u32_e32 vcc, 0, v1
	v_cndmask_b32_e32 v1, 0, v53, vcc
	s_brev_b32 vcc_lo, 1
	v_and_or_b32 v54, v0, vcc_lo, v1
.LBB169_1816:                           ;   in Loop: Header=BB169_17 Depth=1
	s_or_b64 exec, exec, s[78:79]
                                        ; implicit-def: $vgpr0_vgpr1
.LBB169_1817:                           ;   in Loop: Header=BB169_17 Depth=1
	s_andn2_saveexec_b64 s[76:77], s[76:77]
	s_cbranch_execz .LBB169_1819
; %bb.1818:                             ;   in Loop: Header=BB169_17 Depth=1
	flat_load_ubyte v0, v[0:1]
	s_movk_i32 vcc_lo, 0x7f00
	s_waitcnt vmcnt(0) lgkmcnt(0)
	v_lshlrev_b16_e32 v1, 8, v0
	v_lshlrev_b32_e32 v0, 25, v0
	v_lshrrev_b32_e32 v53, 4, v0
	v_and_or_b32 v54, v1, vcc_lo, 0.5
	v_or_b32_e32 v53, 0x70000000, v53
	s_brev_b32 vcc_lo, 16
	v_add_f32_e32 v54, -0.5, v54
	v_mul_f32_e32 v53, 0x7800000, v53
	v_cmp_gt_u32_e32 vcc, vcc_lo, v0
	v_cndmask_b32_e32 v0, v53, v54, vcc
	v_bfe_i32 v1, v1, 0, 16
	s_brev_b32 vcc_lo, 1
	v_and_or_b32 v54, v1, vcc_lo, v0
.LBB169_1819:                           ;   in Loop: Header=BB169_17 Depth=1
	s_or_b64 exec, exec, s[76:77]
	s_or_b64 s[76:77], s[70:71], exec
                                        ; implicit-def: $vgpr0_vgpr1
.LBB169_1820:                           ;   in Loop: Header=BB169_17 Depth=1
	s_or_saveexec_b64 s[74:75], s[74:75]
                                        ; implicit-def: $vcc
                                        ; implicit-def: $sgpr82_sgpr83
	s_xor_b64 exec, exec, s[74:75]
	s_cbranch_execz .LBB169_1830
; %bb.1821:                             ;   in Loop: Header=BB169_17 Depth=1
	v_cmp_gt_i16_sdwa vcc, v7, v29 src0_sel:BYTE_0 src1_sel:DWORD
	s_mov_b64 s[80:81], s[76:77]
                                        ; implicit-def: $sgpr82_sgpr83
                                        ; implicit-def: $sgpr78_sgpr79
                                        ; implicit-def: $vgpr54
	s_and_saveexec_b64 s[84:85], vcc
	s_xor_b64 vcc, exec, s[84:85]
	s_cbranch_execz .LBB169_1825
; %bb.1822:                             ;   in Loop: Header=BB169_17 Depth=1
	v_cmp_eq_u16_sdwa s[82:83], v7, v32 src0_sel:BYTE_0 src1_sel:DWORD
	s_mov_b64 s[80:81], s[76:77]
                                        ; implicit-def: $vgpr54
	s_and_saveexec_b64 s[78:79], s[82:83]
	s_cbranch_execz .LBB169_1824
; %bb.1823:                             ;   in Loop: Header=BB169_17 Depth=1
	flat_load_ushort v0, v[0:1]
	s_or_b64 s[80:81], s[76:77], exec
	s_waitcnt vmcnt(0) lgkmcnt(0)
	v_lshlrev_b32_e32 v54, 16, v0
.LBB169_1824:                           ;   in Loop: Header=BB169_17 Depth=1
	s_or_b64 exec, exec, s[78:79]
	s_andn2_b64 s[84:85], s[76:77], exec
	s_and_b64 s[80:81], s[80:81], exec
	s_mov_b64 s[78:79], -1
	s_mov_b64 s[82:83], 0
	s_or_b64 s[80:81], s[84:85], s[80:81]
                                        ; implicit-def: $vgpr0_vgpr1
.LBB169_1825:                           ;   in Loop: Header=BB169_17 Depth=1
	s_andn2_saveexec_b64 s[84:85], vcc
	s_cbranch_execz .LBB169_1829
; %bb.1826:                             ;   in Loop: Header=BB169_17 Depth=1
	v_cmp_eq_u16_sdwa s[88:89], v7, v33 src0_sel:BYTE_0 src1_sel:DWORD
	s_mov_b64 vcc, s[80:81]
                                        ; implicit-def: $vgpr54
	s_and_saveexec_b64 s[86:87], s[88:89]
	s_cbranch_execz .LBB169_1828
; %bb.1827:                             ;   in Loop: Header=BB169_17 Depth=1
	flat_load_ubyte v0, v[0:1]
	s_waitcnt vmcnt(0) lgkmcnt(0)
	v_cmp_ne_u16_e32 vcc, 0, v0
	v_cndmask_b32_e64 v54, 0, 1.0, vcc
	s_or_b64 vcc, s[80:81], exec
.LBB169_1828:                           ;   in Loop: Header=BB169_17 Depth=1
	s_or_b64 exec, exec, s[86:87]
	s_andn2_b64 s[80:81], s[80:81], exec
	s_and_b64 vcc, vcc, exec
	s_andn2_b64 s[82:83], s[82:83], exec
	s_or_b64 s[78:79], s[78:79], exec
	s_or_b64 s[80:81], s[80:81], vcc
.LBB169_1829:                           ;   in Loop: Header=BB169_17 Depth=1
	s_or_b64 exec, exec, s[84:85]
	s_and_b64 vcc, s[78:79], exec
	s_andn2_b64 s[76:77], s[76:77], exec
	s_and_b64 s[78:79], s[80:81], exec
	s_and_b64 s[82:83], s[82:83], exec
	s_or_b64 s[76:77], s[76:77], s[78:79]
.LBB169_1830:                           ;   in Loop: Header=BB169_17 Depth=1
	s_or_b64 exec, exec, s[74:75]
	s_andn2_b64 s[72:73], s[72:73], exec
	s_and_b64 vcc, vcc, exec
	s_andn2_b64 s[62:63], s[62:63], exec
	s_and_b64 s[74:75], s[82:83], exec
	s_or_b64 s[72:73], s[72:73], vcc
	s_andn2_b64 vcc, s[70:71], exec
	s_and_b64 s[70:71], s[76:77], exec
	s_or_b64 s[62:63], s[62:63], s[74:75]
	s_or_b64 s[70:71], vcc, s[70:71]
.LBB169_1831:                           ;   in Loop: Header=BB169_17 Depth=1
	s_or_b64 exec, exec, s[60:61]
	s_and_b64 s[62:63], s[62:63], exec
	s_and_b64 s[60:61], s[72:73], exec
	s_and_b64 vcc, s[70:71], exec
                                        ; implicit-def: $vgpr0_vgpr1
	s_andn2_saveexec_b64 s[68:69], s[68:69]
	s_cbranch_execz .LBB169_1656
.LBB169_1832:                           ;   in Loop: Header=BB169_17 Depth=1
	v_cmp_gt_i16_sdwa s[70:71], v7, v34 src0_sel:BYTE_0 src1_sel:DWORD
                                        ; implicit-def: $vgpr54
	s_and_saveexec_b64 s[72:73], s[70:71]
	s_xor_b64 s[70:71], exec, s[72:73]
	s_cbranch_execz .LBB169_1854
; %bb.1833:                             ;   in Loop: Header=BB169_17 Depth=1
	v_cmp_gt_i16_sdwa s[72:73], v7, v35 src0_sel:BYTE_0 src1_sel:DWORD
                                        ; implicit-def: $vgpr54
	s_and_saveexec_b64 s[74:75], s[72:73]
	s_xor_b64 s[72:73], exec, s[74:75]
	s_cbranch_execz .LBB169_1843
; %bb.1834:                             ;   in Loop: Header=BB169_17 Depth=1
	v_cmp_gt_i16_sdwa s[74:75], v7, v36 src0_sel:BYTE_0 src1_sel:DWORD
                                        ; implicit-def: $vgpr54
	s_and_saveexec_b64 s[76:77], s[74:75]
	s_xor_b64 s[74:75], exec, s[76:77]
	s_cbranch_execz .LBB169_1840
; %bb.1835:                             ;   in Loop: Header=BB169_17 Depth=1
	v_cmp_gt_i16_sdwa s[76:77], v7, v37 src0_sel:BYTE_0 src1_sel:DWORD
                                        ; implicit-def: $vgpr54
	s_and_saveexec_b64 s[78:79], s[76:77]
	s_xor_b64 s[76:77], exec, s[78:79]
	s_cbranch_execz .LBB169_1837
; %bb.1836:                             ;   in Loop: Header=BB169_17 Depth=1
	flat_load_dwordx2 v[0:1], v[0:1]
	s_waitcnt vmcnt(0) lgkmcnt(0)
	v_cvt_f32_f64_e32 v54, v[0:1]
                                        ; implicit-def: $vgpr0_vgpr1
.LBB169_1837:                           ;   in Loop: Header=BB169_17 Depth=1
	s_andn2_saveexec_b64 s[76:77], s[76:77]
	s_cbranch_execz .LBB169_1839
; %bb.1838:                             ;   in Loop: Header=BB169_17 Depth=1
	flat_load_dword v54, v[0:1]
.LBB169_1839:                           ;   in Loop: Header=BB169_17 Depth=1
	s_or_b64 exec, exec, s[76:77]
                                        ; implicit-def: $vgpr0_vgpr1
.LBB169_1840:                           ;   in Loop: Header=BB169_17 Depth=1
	s_andn2_saveexec_b64 s[74:75], s[74:75]
	s_cbranch_execz .LBB169_1842
; %bb.1841:                             ;   in Loop: Header=BB169_17 Depth=1
	flat_load_dword v0, v[0:1]
	s_waitcnt vmcnt(0) lgkmcnt(0)
	v_cvt_f32_f16_e32 v54, v0
.LBB169_1842:                           ;   in Loop: Header=BB169_17 Depth=1
	s_or_b64 exec, exec, s[74:75]
                                        ; implicit-def: $vgpr0_vgpr1
.LBB169_1843:                           ;   in Loop: Header=BB169_17 Depth=1
	s_andn2_saveexec_b64 s[72:73], s[72:73]
	s_cbranch_execz .LBB169_1853
; %bb.1844:                             ;   in Loop: Header=BB169_17 Depth=1
	v_cmp_gt_i16_sdwa s[74:75], v7, v38 src0_sel:BYTE_0 src1_sel:DWORD
                                        ; implicit-def: $vgpr54
	s_and_saveexec_b64 s[76:77], s[74:75]
	s_xor_b64 s[74:75], exec, s[76:77]
	s_cbranch_execz .LBB169_1850
; %bb.1845:                             ;   in Loop: Header=BB169_17 Depth=1
	v_cmp_gt_i16_sdwa s[76:77], v7, v39 src0_sel:BYTE_0 src1_sel:DWORD
                                        ; implicit-def: $vgpr54
	s_and_saveexec_b64 s[78:79], s[76:77]
	s_xor_b64 s[76:77], exec, s[78:79]
	s_cbranch_execz .LBB169_1847
; %bb.1846:                             ;   in Loop: Header=BB169_17 Depth=1
	flat_load_dwordx2 v[0:1], v[0:1]
	s_waitcnt vmcnt(0) lgkmcnt(0)
	v_cvt_f32_f64_e32 v54, v[0:1]
                                        ; implicit-def: $vgpr0_vgpr1
.LBB169_1847:                           ;   in Loop: Header=BB169_17 Depth=1
	s_andn2_saveexec_b64 s[76:77], s[76:77]
	s_cbranch_execz .LBB169_1849
; %bb.1848:                             ;   in Loop: Header=BB169_17 Depth=1
	s_waitcnt vmcnt(0) lgkmcnt(0)
	flat_load_dword v54, v[0:1]
.LBB169_1849:                           ;   in Loop: Header=BB169_17 Depth=1
	s_or_b64 exec, exec, s[76:77]
                                        ; implicit-def: $vgpr0_vgpr1
.LBB169_1850:                           ;   in Loop: Header=BB169_17 Depth=1
	s_andn2_saveexec_b64 s[74:75], s[74:75]
	s_cbranch_execz .LBB169_1852
; %bb.1851:                             ;   in Loop: Header=BB169_17 Depth=1
	flat_load_ushort v0, v[0:1]
	s_waitcnt vmcnt(0) lgkmcnt(0)
	v_cvt_f32_f16_e32 v54, v0
.LBB169_1852:                           ;   in Loop: Header=BB169_17 Depth=1
	s_or_b64 exec, exec, s[74:75]
.LBB169_1853:                           ;   in Loop: Header=BB169_17 Depth=1
	s_or_b64 exec, exec, s[72:73]
                                        ; implicit-def: $vgpr0_vgpr1
.LBB169_1854:                           ;   in Loop: Header=BB169_17 Depth=1
	s_andn2_saveexec_b64 s[70:71], s[70:71]
	s_cbranch_execz .LBB169_1872
; %bb.1855:                             ;   in Loop: Header=BB169_17 Depth=1
	v_cmp_gt_i16_sdwa s[72:73], v7, v48 src0_sel:BYTE_0 src1_sel:DWORD
                                        ; implicit-def: $vgpr54
	s_and_saveexec_b64 s[74:75], s[72:73]
	s_xor_b64 s[72:73], exec, s[74:75]
	s_cbranch_execz .LBB169_1865
; %bb.1856:                             ;   in Loop: Header=BB169_17 Depth=1
	v_cmp_gt_i16_sdwa s[74:75], v7, v49 src0_sel:BYTE_0 src1_sel:DWORD
                                        ; implicit-def: $vgpr54
	s_and_saveexec_b64 s[76:77], s[74:75]
	s_xor_b64 s[74:75], exec, s[76:77]
	;; [unrolled: 6-line block ×3, first 2 shown]
	s_cbranch_execz .LBB169_1859
; %bb.1858:                             ;   in Loop: Header=BB169_17 Depth=1
	flat_load_dwordx2 v[0:1], v[0:1]
	s_waitcnt vmcnt(0) lgkmcnt(0)
	v_xor_b32_e32 v54, v0, v1
	v_ffbh_i32_e32 v53, v1
	v_ashrrev_i32_e32 v54, 31, v54
	v_add_u32_e32 v53, -1, v53
	v_add_u32_e32 v54, 32, v54
	v_min_u32_e32 v53, v53, v54
	v_lshlrev_b64 v[0:1], v53, v[0:1]
	v_min_u32_e32 v0, 1, v0
	v_or_b32_e32 v0, v1, v0
	v_cvt_f32_i32_e32 v0, v0
	v_sub_u32_e32 v1, 32, v53
	v_ldexp_f32 v54, v0, v1
                                        ; implicit-def: $vgpr0_vgpr1
.LBB169_1859:                           ;   in Loop: Header=BB169_17 Depth=1
	s_andn2_saveexec_b64 s[76:77], s[76:77]
	s_cbranch_execz .LBB169_1861
; %bb.1860:                             ;   in Loop: Header=BB169_17 Depth=1
	flat_load_dword v0, v[0:1]
	s_waitcnt vmcnt(0) lgkmcnt(0)
	v_cvt_f32_i32_e32 v54, v0
.LBB169_1861:                           ;   in Loop: Header=BB169_17 Depth=1
	s_or_b64 exec, exec, s[76:77]
                                        ; implicit-def: $vgpr0_vgpr1
.LBB169_1862:                           ;   in Loop: Header=BB169_17 Depth=1
	s_andn2_saveexec_b64 s[74:75], s[74:75]
	s_cbranch_execz .LBB169_1864
; %bb.1863:                             ;   in Loop: Header=BB169_17 Depth=1
	flat_load_sshort v0, v[0:1]
	s_waitcnt vmcnt(0) lgkmcnt(0)
	v_cvt_f32_i32_e32 v54, v0
.LBB169_1864:                           ;   in Loop: Header=BB169_17 Depth=1
	s_or_b64 exec, exec, s[74:75]
                                        ; implicit-def: $vgpr0_vgpr1
.LBB169_1865:                           ;   in Loop: Header=BB169_17 Depth=1
	s_andn2_saveexec_b64 s[72:73], s[72:73]
	s_cbranch_execz .LBB169_1871
; %bb.1866:                             ;   in Loop: Header=BB169_17 Depth=1
	v_cmp_gt_i16_sdwa s[74:75], v7, v6 src0_sel:BYTE_0 src1_sel:DWORD
                                        ; implicit-def: $vgpr54
	s_and_saveexec_b64 s[76:77], s[74:75]
	s_xor_b64 s[74:75], exec, s[76:77]
	s_cbranch_execz .LBB169_1868
; %bb.1867:                             ;   in Loop: Header=BB169_17 Depth=1
	flat_load_sbyte v0, v[0:1]
	s_waitcnt vmcnt(0) lgkmcnt(0)
	v_cvt_f32_i32_e32 v54, v0
                                        ; implicit-def: $vgpr0_vgpr1
.LBB169_1868:                           ;   in Loop: Header=BB169_17 Depth=1
	s_andn2_saveexec_b64 s[74:75], s[74:75]
	s_cbranch_execz .LBB169_1870
; %bb.1869:                             ;   in Loop: Header=BB169_17 Depth=1
	flat_load_ubyte v0, v[0:1]
	s_waitcnt vmcnt(0) lgkmcnt(0)
	v_cvt_f32_ubyte0_e32 v54, v0
.LBB169_1870:                           ;   in Loop: Header=BB169_17 Depth=1
	s_or_b64 exec, exec, s[74:75]
.LBB169_1871:                           ;   in Loop: Header=BB169_17 Depth=1
	s_or_b64 exec, exec, s[72:73]
.LBB169_1872:                           ;   in Loop: Header=BB169_17 Depth=1
	s_or_b64 exec, exec, s[70:71]
	s_andn2_b64 s[62:63], s[62:63], exec
	s_andn2_b64 s[60:61], s[60:61], exec
	s_or_b64 vcc, vcc, exec
	s_or_b64 exec, exec, s[68:69]
	s_mov_b64 s[70:71], 0
	s_and_saveexec_b64 s[68:69], vcc
	s_cbranch_execz .LBB169_1878
.LBB169_1873:                           ;   in Loop: Header=BB169_17 Depth=1
	v_mul_lo_u32 v0, v52, v10
	v_readlane_b32 s70, v78, 0
	v_add_co_u32_e32 v0, vcc, v4, v0
	v_add_u32_e32 v53, s70, v11
	v_addc_co_u32_e32 v1, vcc, 0, v5, vcc
	v_cmp_gt_i16_sdwa s[70:71], v8, v12 src0_sel:BYTE_0 src1_sel:DWORD
	s_mov_b64 s[74:75], 0
	s_waitcnt vmcnt(0) lgkmcnt(0)
	buffer_store_dword v54, v53, s[0:3], 0 offen offset:68
                                        ; implicit-def: $vcc
                                        ; implicit-def: $sgpr72_sgpr73
                                        ; implicit-def: $vgpr52
	s_and_saveexec_b64 s[76:77], s[70:71]
	s_xor_b64 s[70:71], exec, s[76:77]
	s_cbranch_execnz .LBB169_1900
; %bb.1874:                             ;   in Loop: Header=BB169_17 Depth=1
	s_andn2_saveexec_b64 s[70:71], s[70:71]
	s_cbranch_execnz .LBB169_1959
.LBB169_1875:                           ;   in Loop: Header=BB169_17 Depth=1
	s_or_b64 exec, exec, s[70:71]
	s_mov_b64 s[70:71], 0
	s_and_saveexec_b64 s[76:77], s[74:75]
	s_cbranch_execz .LBB169_1877
.LBB169_1876:                           ;   in Loop: Header=BB169_17 Depth=1
	s_mov_b64 s[70:71], exec
	v_add_u32_e32 v51, 0x200, v51
	s_andn2_b64 s[72:73], s[72:73], exec
	s_andn2_b64 vcc, vcc, exec
	s_waitcnt vmcnt(0) lgkmcnt(0)
	buffer_store_dword v52, v53, s[0:3], 0 offen offset:64
.LBB169_1877:                           ;   in Loop: Header=BB169_17 Depth=1
	s_or_b64 exec, exec, s[76:77]
	s_andn2_b64 s[62:63], s[62:63], exec
	s_and_b64 s[72:73], s[72:73], exec
	s_andn2_b64 s[60:61], s[60:61], exec
	s_and_b64 vcc, vcc, exec
	s_or_b64 s[62:63], s[62:63], s[72:73]
	s_or_b64 s[60:61], s[60:61], vcc
	s_and_b64 s[70:71], s[70:71], exec
.LBB169_1878:                           ;   in Loop: Header=BB169_17 Depth=1
	s_or_b64 exec, exec, s[68:69]
	s_and_b64 vcc, s[62:63], exec
	v_writelane_b32 v78, vcc_lo, 2
	v_writelane_b32 v78, vcc_hi, 3
	s_and_b64 s[60:61], s[60:61], exec
	s_orn2_b64 s[68:69], s[70:71], exec
.LBB169_1879:                           ;   in Loop: Header=BB169_17 Depth=1
	s_or_b64 exec, exec, s[64:65]
	s_and_saveexec_b64 s[64:65], s[68:69]
	s_cbranch_execz .LBB169_8
; %bb.1880:                             ;   in Loop: Header=BB169_17 Depth=1
	v_writelane_b32 v78, s60, 4
	v_cmp_lt_i32_e32 vcc, v51, v72
	s_mov_b64 s[72:73], -1
	v_writelane_b32 v78, s61, 5
                                        ; implicit-def: $sgpr62_sgpr63
                                        ; implicit-def: $sgpr60_sgpr61
                                        ; kill: killed $sgpr60_sgpr61
	s_and_saveexec_b64 s[70:71], vcc
	s_cbranch_execz .LBB169_2106
; %bb.1881:                             ;   in Loop: Header=BB169_17 Depth=1
	v_readlane_b32 vcc_lo, v78, 1
	s_waitcnt vmcnt(0) lgkmcnt(0)
	v_add_u32_e32 v52, vcc_lo, v51
	v_mul_lo_u32 v0, v52, v9
	v_add_co_u32_e32 v0, vcc, v2, v0
	v_addc_co_u32_e32 v1, vcc, 0, v3, vcc
	v_cmp_gt_i16_sdwa s[60:61], v7, v12 src0_sel:BYTE_0 src1_sel:DWORD
	s_mov_b64 vcc, 0
                                        ; implicit-def: $sgpr66_sgpr67
                                        ; implicit-def: $sgpr68_sgpr69
                                        ; implicit-def: $vgpr54
	s_and_saveexec_b64 s[74:75], s[60:61]
	s_xor_b64 s[74:75], exec, s[74:75]
	s_cbranch_execnz .LBB169_2000
; %bb.1882:                             ;   in Loop: Header=BB169_17 Depth=1
	s_andn2_saveexec_b64 s[74:75], s[74:75]
	s_cbranch_execnz .LBB169_2059
.LBB169_1883:                           ;   in Loop: Header=BB169_17 Depth=1
	s_or_b64 exec, exec, s[74:75]
	s_mov_b64 s[76:77], 0
	s_and_saveexec_b64 s[74:75], vcc
	s_cbranch_execnz .LBB169_2100
	s_branch .LBB169_2105
.LBB169_1884:                           ;   in Loop: Header=BB169_17 Depth=1
	s_movk_i32 vcc_lo, 0x80
	v_cmp_eq_u16_e32 vcc, vcc_lo, v0
	s_mov_b64 s[56:57], -1
                                        ; implicit-def: $sgpr62
	s_and_saveexec_b64 s[60:61], vcc
; %bb.1885:                             ;   in Loop: Header=BB169_17 Depth=1
	s_mov_b32 s62, 0x7f800001
	s_xor_b64 s[56:57], exec, -1
; %bb.1886:                             ;   in Loop: Header=BB169_17 Depth=1
	s_or_b64 exec, exec, s[60:61]
	s_and_b64 s[56:57], s[56:57], exec
	s_or_saveexec_b64 s[58:59], s[58:59]
	v_mov_b32_e32 v52, s62
	s_xor_b64 exec, exec, s[58:59]
	s_cbranch_execz .LBB169_807
.LBB169_1887:                           ;   in Loop: Header=BB169_17 Depth=1
	v_cmp_ne_u16_e32 vcc, 0, v0
	s_andn2_b64 s[56:57], s[56:57], exec
	s_and_b64 vcc, vcc, exec
	v_mov_b32_e32 v52, 0
	s_or_b64 s[56:57], s[56:57], vcc
	s_or_b64 exec, exec, s[58:59]
	s_and_saveexec_b64 s[58:59], s[56:57]
	s_cbranch_execnz .LBB169_808
	s_branch .LBB169_809
.LBB169_1888:                           ;   in Loop: Header=BB169_17 Depth=1
	s_movk_i32 vcc_lo, 0x80
	v_cmp_eq_u16_e32 vcc, vcc_lo, v0
	s_mov_b64 s[56:57], -1
                                        ; implicit-def: $sgpr62
	s_and_saveexec_b64 s[60:61], vcc
; %bb.1889:                             ;   in Loop: Header=BB169_17 Depth=1
	s_mov_b32 s62, 0x7f800001
	s_xor_b64 s[56:57], exec, -1
; %bb.1890:                             ;   in Loop: Header=BB169_17 Depth=1
	s_or_b64 exec, exec, s[60:61]
	s_and_b64 s[56:57], s[56:57], exec
	s_or_saveexec_b64 s[58:59], s[58:59]
	v_mov_b32_e32 v54, s62
	s_xor_b64 exec, exec, s[58:59]
	s_cbranch_execz .LBB169_907
.LBB169_1891:                           ;   in Loop: Header=BB169_17 Depth=1
	v_cmp_ne_u16_e32 vcc, 0, v0
	s_andn2_b64 s[56:57], s[56:57], exec
	s_and_b64 vcc, vcc, exec
	v_mov_b32_e32 v54, 0
	s_or_b64 s[56:57], s[56:57], vcc
	s_or_b64 exec, exec, s[58:59]
	s_and_saveexec_b64 s[58:59], s[56:57]
	s_cbranch_execnz .LBB169_908
	s_branch .LBB169_909
.LBB169_1892:                           ;   in Loop: Header=BB169_17 Depth=1
	s_movk_i32 vcc_lo, 0x80
	v_cmp_eq_u16_e32 vcc, vcc_lo, v0
	s_mov_b64 s[60:61], -1
                                        ; implicit-def: $sgpr66
	s_and_saveexec_b64 s[64:65], vcc
; %bb.1893:                             ;   in Loop: Header=BB169_17 Depth=1
	s_mov_b32 s66, 0x7f800001
	s_xor_b64 s[60:61], exec, -1
; %bb.1894:                             ;   in Loop: Header=BB169_17 Depth=1
	s_or_b64 exec, exec, s[64:65]
	s_and_b64 s[60:61], s[60:61], exec
	s_or_saveexec_b64 s[62:63], s[62:63]
	v_mov_b32_e32 v52, s66
	s_xor_b64 exec, exec, s[62:63]
	s_cbranch_execz .LBB169_1019
.LBB169_1895:                           ;   in Loop: Header=BB169_17 Depth=1
	v_cmp_ne_u16_e32 vcc, 0, v0
	s_andn2_b64 s[60:61], s[60:61], exec
	s_and_b64 vcc, vcc, exec
	v_mov_b32_e32 v52, 0
	s_or_b64 s[60:61], s[60:61], vcc
	s_or_b64 exec, exec, s[62:63]
	s_and_saveexec_b64 s[62:63], s[60:61]
	s_cbranch_execnz .LBB169_1020
	s_branch .LBB169_1021
.LBB169_1896:                           ;   in Loop: Header=BB169_17 Depth=1
	s_movk_i32 vcc_lo, 0x80
	v_cmp_eq_u16_e32 vcc, vcc_lo, v0
	s_mov_b64 s[60:61], -1
                                        ; implicit-def: $sgpr66
	s_and_saveexec_b64 s[64:65], vcc
; %bb.1897:                             ;   in Loop: Header=BB169_17 Depth=1
	s_mov_b32 s66, 0x7f800001
	s_xor_b64 s[60:61], exec, -1
; %bb.1898:                             ;   in Loop: Header=BB169_17 Depth=1
	s_or_b64 exec, exec, s[64:65]
	s_and_b64 s[60:61], s[60:61], exec
	s_or_saveexec_b64 s[62:63], s[62:63]
	v_mov_b32_e32 v54, s66
	s_xor_b64 exec, exec, s[62:63]
	s_cbranch_execz .LBB169_1119
.LBB169_1899:                           ;   in Loop: Header=BB169_17 Depth=1
	v_cmp_ne_u16_e32 vcc, 0, v0
	s_andn2_b64 s[60:61], s[60:61], exec
	s_and_b64 vcc, vcc, exec
	v_mov_b32_e32 v54, 0
	s_or_b64 s[60:61], s[60:61], vcc
	s_or_b64 exec, exec, s[62:63]
	s_and_saveexec_b64 s[62:63], s[60:61]
	s_cbranch_execnz .LBB169_1120
	s_branch .LBB169_1121
.LBB169_1900:                           ;   in Loop: Header=BB169_17 Depth=1
	v_cmp_gt_i16_sdwa vcc, v8, v13 src0_sel:BYTE_0 src1_sel:DWORD
                                        ; implicit-def: $sgpr76_sgpr77
                                        ; implicit-def: $sgpr78_sgpr79
                                        ; implicit-def: $vgpr52
	s_and_saveexec_b64 s[72:73], vcc
	s_xor_b64 s[72:73], exec, s[72:73]
	s_cbranch_execz .LBB169_1932
; %bb.1901:                             ;   in Loop: Header=BB169_17 Depth=1
	v_cmp_gt_i16_sdwa vcc, v8, v14 src0_sel:BYTE_0 src1_sel:DWORD
                                        ; implicit-def: $sgpr76_sgpr77
                                        ; implicit-def: $sgpr80_sgpr81
                                        ; implicit-def: $vgpr52
	s_and_saveexec_b64 s[78:79], vcc
	s_xor_b64 s[78:79], exec, s[78:79]
	s_cbranch_execz .LBB169_1917
; %bb.1902:                             ;   in Loop: Header=BB169_17 Depth=1
	v_cmp_gt_i16_sdwa s[74:75], v8, v15 src0_sel:BYTE_0 src1_sel:DWORD
	s_mov_b64 s[82:83], 0
                                        ; implicit-def: $vcc
                                        ; implicit-def: $sgpr80_sgpr81
                                        ; implicit-def: $vgpr52
	s_and_saveexec_b64 s[76:77], s[74:75]
	s_xor_b64 s[74:75], exec, s[76:77]
	s_cbranch_execz .LBB169_1912
; %bb.1903:                             ;   in Loop: Header=BB169_17 Depth=1
	v_cmp_gt_i16_sdwa vcc, v8, v16 src0_sel:BYTE_0 src1_sel:DWORD
                                        ; implicit-def: $sgpr80_sgpr81
                                        ; implicit-def: $sgpr76_sgpr77
                                        ; implicit-def: $vgpr52
	s_and_saveexec_b64 s[84:85], vcc
	s_xor_b64 vcc, exec, s[84:85]
	s_cbranch_execz .LBB169_1907
; %bb.1904:                             ;   in Loop: Header=BB169_17 Depth=1
	v_cmp_eq_u16_sdwa s[84:85], v8, v17 src0_sel:BYTE_0 src1_sel:DWORD
	s_mov_b64 s[76:77], 0
                                        ; implicit-def: $vgpr52
	s_and_saveexec_b64 s[80:81], s[84:85]
	s_cbranch_execz .LBB169_1906
; %bb.1905:                             ;   in Loop: Header=BB169_17 Depth=1
	flat_load_dword v0, v[0:1]
	s_mov_b64 s[82:83], exec
	s_waitcnt vmcnt(0) lgkmcnt(0)
	v_lshlrev_b32_e32 v52, 16, v0
.LBB169_1906:                           ;   in Loop: Header=BB169_17 Depth=1
	s_or_b64 exec, exec, s[80:81]
	s_mov_b64 s[80:81], -1
	s_and_b64 s[82:83], s[82:83], exec
                                        ; implicit-def: $vgpr0_vgpr1
.LBB169_1907:                           ;   in Loop: Header=BB169_17 Depth=1
	s_andn2_saveexec_b64 s[84:85], vcc
	s_cbranch_execz .LBB169_1911
; %bb.1908:                             ;   in Loop: Header=BB169_17 Depth=1
	v_cmp_eq_u16_sdwa s[88:89], v8, v18 src0_sel:BYTE_0 src1_sel:DWORD
	s_mov_b64 vcc, s[82:83]
                                        ; implicit-def: $vgpr52
	s_and_saveexec_b64 s[86:87], s[88:89]
	s_cbranch_execz .LBB169_1910
; %bb.1909:                             ;   in Loop: Header=BB169_17 Depth=1
	flat_load_ubyte v0, v[0:1]
	s_movk_i32 vcc_lo, 0xff
	s_waitcnt vmcnt(0) lgkmcnt(0)
	v_lshlrev_b32_e32 v1, 23, v0
	v_cmp_ne_u32_e32 vcc, vcc_lo, v0
	v_cndmask_b32_e32 v1, v19, v1, vcc
	v_cmp_ne_u32_e32 vcc, 0, v0
	v_cndmask_b32_e32 v52, v20, v1, vcc
	s_or_b64 vcc, s[82:83], exec
.LBB169_1910:                           ;   in Loop: Header=BB169_17 Depth=1
	s_or_b64 exec, exec, s[86:87]
	s_andn2_b64 s[82:83], s[82:83], exec
	s_and_b64 vcc, vcc, exec
	s_or_b64 s[80:81], s[80:81], exec
	s_andn2_b64 s[76:77], s[76:77], exec
	s_or_b64 s[82:83], s[82:83], vcc
.LBB169_1911:                           ;   in Loop: Header=BB169_17 Depth=1
	s_or_b64 exec, exec, s[84:85]
	s_and_b64 s[80:81], s[80:81], exec
	s_and_b64 vcc, s[76:77], exec
	s_and_b64 s[82:83], s[82:83], exec
                                        ; implicit-def: $vgpr0_vgpr1
.LBB169_1912:                           ;   in Loop: Header=BB169_17 Depth=1
	s_andn2_saveexec_b64 s[74:75], s[74:75]
	s_cbranch_execz .LBB169_1916
; %bb.1913:                             ;   in Loop: Header=BB169_17 Depth=1
	v_cmp_eq_u16_sdwa s[86:87], v8, v21 src0_sel:BYTE_0 src1_sel:DWORD
	s_mov_b64 s[84:85], s[82:83]
                                        ; implicit-def: $vgpr52
	s_and_saveexec_b64 s[76:77], s[86:87]
	s_cbranch_execz .LBB169_1915
; %bb.1914:                             ;   in Loop: Header=BB169_17 Depth=1
	flat_load_dwordx2 v[0:1], v[0:1]
	s_or_b64 s[84:85], s[82:83], exec
	s_waitcnt vmcnt(0) lgkmcnt(0)
	v_ffbh_u32_e32 v52, v1
	v_min_u32_e32 v52, 32, v52
	v_lshlrev_b64 v[0:1], v52, v[0:1]
	v_min_u32_e32 v0, 1, v0
	v_or_b32_e32 v0, v1, v0
	v_cvt_f32_u32_e32 v0, v0
	v_sub_u32_e32 v1, 32, v52
	v_ldexp_f32 v52, v0, v1
.LBB169_1915:                           ;   in Loop: Header=BB169_17 Depth=1
	s_or_b64 exec, exec, s[76:77]
	s_andn2_b64 s[76:77], s[82:83], exec
	s_and_b64 s[82:83], s[84:85], exec
	s_or_b64 s[80:81], s[80:81], exec
	s_andn2_b64 vcc, vcc, exec
	s_or_b64 s[82:83], s[76:77], s[82:83]
.LBB169_1916:                           ;   in Loop: Header=BB169_17 Depth=1
	s_or_b64 exec, exec, s[74:75]
	s_and_b64 s[80:81], s[80:81], exec
	s_and_b64 s[76:77], vcc, exec
	s_and_b64 s[74:75], s[82:83], exec
                                        ; implicit-def: $vgpr0_vgpr1
.LBB169_1917:                           ;   in Loop: Header=BB169_17 Depth=1
	s_andn2_saveexec_b64 s[78:79], s[78:79]
	s_cbranch_execz .LBB169_1931
; %bb.1918:                             ;   in Loop: Header=BB169_17 Depth=1
	v_cmp_gt_i16_sdwa vcc, v8, v22 src0_sel:BYTE_0 src1_sel:DWORD
                                        ; implicit-def: $vgpr52
	s_and_saveexec_b64 s[82:83], vcc
	s_xor_b64 vcc, exec, s[82:83]
	s_cbranch_execz .LBB169_1924
; %bb.1919:                             ;   in Loop: Header=BB169_17 Depth=1
	v_cmp_gt_i16_sdwa s[82:83], v8, v23 src0_sel:BYTE_0 src1_sel:DWORD
                                        ; implicit-def: $vgpr52
	s_and_saveexec_b64 s[84:85], s[82:83]
	s_xor_b64 s[82:83], exec, s[84:85]
	s_cbranch_execz .LBB169_1921
; %bb.1920:                             ;   in Loop: Header=BB169_17 Depth=1
	flat_load_dword v0, v[0:1]
	s_waitcnt vmcnt(0) lgkmcnt(0)
	v_cvt_f32_u32_e32 v52, v0
                                        ; implicit-def: $vgpr0_vgpr1
.LBB169_1921:                           ;   in Loop: Header=BB169_17 Depth=1
	s_andn2_saveexec_b64 s[82:83], s[82:83]
	s_cbranch_execz .LBB169_1923
; %bb.1922:                             ;   in Loop: Header=BB169_17 Depth=1
	flat_load_ushort v0, v[0:1]
	s_waitcnt vmcnt(0) lgkmcnt(0)
	v_cvt_f32_u32_e32 v52, v0
.LBB169_1923:                           ;   in Loop: Header=BB169_17 Depth=1
	s_or_b64 exec, exec, s[82:83]
                                        ; implicit-def: $vgpr0_vgpr1
.LBB169_1924:                           ;   in Loop: Header=BB169_17 Depth=1
	s_andn2_saveexec_b64 s[82:83], vcc
	s_cbranch_execz .LBB169_1930
; %bb.1925:                             ;   in Loop: Header=BB169_17 Depth=1
	flat_load_ubyte v0, v[0:1]
	s_movk_i32 vcc_lo, 0x7f
	s_mov_b64 s[84:85], 0
                                        ; implicit-def: $sgpr90
	s_waitcnt vmcnt(0) lgkmcnt(0)
	v_cmp_lt_i16_e32 vcc, vcc_lo, v0
	s_and_saveexec_b64 s[86:87], vcc
	s_xor_b64 s[86:87], exec, s[86:87]
	s_cbranch_execnz .LBB169_2900
; %bb.1926:                             ;   in Loop: Header=BB169_17 Depth=1
	s_or_saveexec_b64 s[86:87], s[86:87]
	v_mov_b32_e32 v52, s90
	s_xor_b64 exec, exec, s[86:87]
	s_cbranch_execnz .LBB169_2903
.LBB169_1927:                           ;   in Loop: Header=BB169_17 Depth=1
	s_or_b64 exec, exec, s[86:87]
	s_and_saveexec_b64 s[86:87], s[84:85]
	s_cbranch_execz .LBB169_1929
.LBB169_1928:                           ;   in Loop: Header=BB169_17 Depth=1
	v_lshlrev_b32_e32 v1, 24, v0
	v_and_b32_e32 v0, 0xffff, v0
	v_and_b32_e32 v52, 7, v0
	v_ffbh_u32_e32 v55, v52
	v_min_u32_e32 v55, 32, v55
	v_subrev_u32_e32 v64, 28, v55
	v_bfe_u32 v54, v0, 3, 4
	v_lshlrev_b32_e32 v0, v64, v0
	v_sub_u32_e32 v55, 29, v55
	v_and_b32_e32 v0, 7, v0
	v_cmp_eq_u32_e32 vcc, 0, v54
	v_cndmask_b32_e32 v54, v54, v55, vcc
	v_cndmask_b32_e32 v0, v52, v0, vcc
	v_lshlrev_b32_e32 v0, 20, v0
	v_and_b32_e32 v1, 0x80000000, v1
	v_lshl_add_u32 v52, v54, 23, v24
	v_or3_b32 v52, v1, v52, v0
.LBB169_1929:                           ;   in Loop: Header=BB169_17 Depth=1
	s_or_b64 exec, exec, s[86:87]
.LBB169_1930:                           ;   in Loop: Header=BB169_17 Depth=1
	s_or_b64 exec, exec, s[82:83]
	s_andn2_b64 s[80:81], s[80:81], exec
	s_andn2_b64 s[76:77], s[76:77], exec
	s_or_b64 s[74:75], s[74:75], exec
.LBB169_1931:                           ;   in Loop: Header=BB169_17 Depth=1
	s_or_b64 exec, exec, s[78:79]
	s_and_b64 s[78:79], s[80:81], exec
	s_and_b64 s[76:77], s[76:77], exec
	;; [unrolled: 1-line block ×3, first 2 shown]
                                        ; implicit-def: $vgpr0_vgpr1
.LBB169_1932:                           ;   in Loop: Header=BB169_17 Depth=1
	s_andn2_saveexec_b64 s[72:73], s[72:73]
	s_cbranch_execz .LBB169_1958
; %bb.1933:                             ;   in Loop: Header=BB169_17 Depth=1
	v_cmp_gt_i16_sdwa vcc, v8, v25 src0_sel:BYTE_0 src1_sel:DWORD
	s_mov_b64 s[82:83], s[74:75]
                                        ; implicit-def: $vgpr52
	s_and_saveexec_b64 s[80:81], vcc
	s_xor_b64 s[80:81], exec, s[80:81]
	s_cbranch_execz .LBB169_1947
; %bb.1934:                             ;   in Loop: Header=BB169_17 Depth=1
	v_cmp_gt_i16_sdwa vcc, v8, v26 src0_sel:BYTE_0 src1_sel:DWORD
                                        ; implicit-def: $vgpr52
	s_and_saveexec_b64 s[82:83], vcc
	s_xor_b64 s[82:83], exec, s[82:83]
	s_cbranch_execz .LBB169_1944
; %bb.1935:                             ;   in Loop: Header=BB169_17 Depth=1
	v_cmp_gt_i16_sdwa vcc, v8, v27 src0_sel:BYTE_0 src1_sel:DWORD
                                        ; implicit-def: $vgpr52
	s_and_saveexec_b64 s[84:85], vcc
	s_xor_b64 s[84:85], exec, s[84:85]
	s_cbranch_execz .LBB169_1941
; %bb.1936:                             ;   in Loop: Header=BB169_17 Depth=1
	flat_load_ubyte v0, v[0:1]
	s_movk_i32 vcc_lo, 0x7f
	s_mov_b64 s[86:87], 0
                                        ; implicit-def: $sgpr92
	s_waitcnt vmcnt(0) lgkmcnt(0)
	v_cmp_lt_i16_e32 vcc, vcc_lo, v0
	s_and_saveexec_b64 s[88:89], vcc
	s_xor_b64 s[88:89], exec, s[88:89]
	s_cbranch_execnz .LBB169_3119
; %bb.1937:                             ;   in Loop: Header=BB169_17 Depth=1
	s_or_saveexec_b64 s[88:89], s[88:89]
	v_mov_b32_e32 v52, s92
	s_xor_b64 exec, exec, s[88:89]
	s_cbranch_execnz .LBB169_3122
.LBB169_1938:                           ;   in Loop: Header=BB169_17 Depth=1
	s_or_b64 exec, exec, s[88:89]
	s_and_saveexec_b64 s[88:89], s[86:87]
	s_cbranch_execz .LBB169_1940
.LBB169_1939:                           ;   in Loop: Header=BB169_17 Depth=1
	v_lshlrev_b32_e32 v1, 24, v0
	v_and_b32_e32 v0, 0xffff, v0
	v_and_b32_e32 v52, 3, v0
	v_ffbh_u32_e32 v55, v52
	v_min_u32_e32 v55, 32, v55
	v_subrev_u32_e32 v64, 29, v55
	v_bfe_u32 v54, v0, 2, 5
	v_lshlrev_b32_e32 v0, v64, v0
	v_sub_u32_e32 v55, 30, v55
	v_and_b32_e32 v0, 3, v0
	v_cmp_eq_u32_e32 vcc, 0, v54
	v_cndmask_b32_e32 v54, v54, v55, vcc
	v_cndmask_b32_e32 v0, v52, v0, vcc
	v_lshlrev_b32_e32 v0, 21, v0
	v_and_b32_e32 v1, 0x80000000, v1
	v_lshl_add_u32 v52, v54, 23, v28
	v_or3_b32 v52, v1, v52, v0
.LBB169_1940:                           ;   in Loop: Header=BB169_17 Depth=1
	s_or_b64 exec, exec, s[88:89]
                                        ; implicit-def: $vgpr0_vgpr1
.LBB169_1941:                           ;   in Loop: Header=BB169_17 Depth=1
	s_andn2_saveexec_b64 s[84:85], s[84:85]
	s_cbranch_execz .LBB169_1943
; %bb.1942:                             ;   in Loop: Header=BB169_17 Depth=1
	flat_load_ubyte v0, v[0:1]
	s_mov_b32 vcc_lo, 0x7f800000
	s_waitcnt vmcnt(0) lgkmcnt(0)
	v_lshlrev_b32_e32 v0, 24, v0
	v_and_b32_e32 v1, 0x7f000000, v0
	v_ffbh_u32_e32 v52, v1
	v_min_u32_e32 v52, 32, v52
	v_sub_u32_e64 v52, v52, 4 clamp
	v_lshlrev_b32_e32 v55, v52, v1
	v_lshlrev_b32_e32 v52, 23, v52
	v_lshrrev_b32_e32 v55, 4, v55
	v_add_u32_e32 v54, 0x1000000, v1
	v_sub_u32_e32 v52, v55, v52
	v_ashrrev_i32_e32 v54, 8, v54
	v_add_u32_e32 v52, 0x3c000000, v52
	v_and_or_b32 v52, v54, vcc_lo, v52
	v_cmp_ne_u32_e32 vcc, 0, v1
	v_cndmask_b32_e32 v1, 0, v52, vcc
	s_brev_b32 vcc_lo, 1
	v_and_or_b32 v52, v0, vcc_lo, v1
.LBB169_1943:                           ;   in Loop: Header=BB169_17 Depth=1
	s_or_b64 exec, exec, s[84:85]
                                        ; implicit-def: $vgpr0_vgpr1
.LBB169_1944:                           ;   in Loop: Header=BB169_17 Depth=1
	s_andn2_saveexec_b64 s[82:83], s[82:83]
	s_cbranch_execz .LBB169_1946
; %bb.1945:                             ;   in Loop: Header=BB169_17 Depth=1
	flat_load_ubyte v0, v[0:1]
	s_movk_i32 vcc_lo, 0x7f00
	s_waitcnt vmcnt(0) lgkmcnt(0)
	v_lshlrev_b16_e32 v1, 8, v0
	v_lshlrev_b32_e32 v0, 25, v0
	v_lshrrev_b32_e32 v52, 4, v0
	v_and_or_b32 v54, v1, vcc_lo, 0.5
	v_or_b32_e32 v52, 0x70000000, v52
	s_brev_b32 vcc_lo, 16
	v_add_f32_e32 v54, -0.5, v54
	v_mul_f32_e32 v52, 0x7800000, v52
	v_cmp_gt_u32_e32 vcc, vcc_lo, v0
	v_cndmask_b32_e32 v0, v52, v54, vcc
	v_bfe_i32 v1, v1, 0, 16
	s_brev_b32 vcc_lo, 1
	v_and_or_b32 v52, v1, vcc_lo, v0
.LBB169_1946:                           ;   in Loop: Header=BB169_17 Depth=1
	s_or_b64 exec, exec, s[82:83]
	s_or_b64 s[82:83], s[74:75], exec
                                        ; implicit-def: $vgpr0_vgpr1
.LBB169_1947:                           ;   in Loop: Header=BB169_17 Depth=1
	s_or_saveexec_b64 s[80:81], s[80:81]
                                        ; implicit-def: $vcc
                                        ; implicit-def: $sgpr88_sgpr89
	s_xor_b64 exec, exec, s[80:81]
	s_cbranch_execz .LBB169_1957
; %bb.1948:                             ;   in Loop: Header=BB169_17 Depth=1
	v_cmp_gt_i16_sdwa vcc, v8, v29 src0_sel:BYTE_0 src1_sel:DWORD
	s_mov_b64 s[86:87], s[82:83]
                                        ; implicit-def: $sgpr88_sgpr89
                                        ; implicit-def: $sgpr84_sgpr85
                                        ; implicit-def: $vgpr52
	s_and_saveexec_b64 s[90:91], vcc
	s_xor_b64 vcc, exec, s[90:91]
	s_cbranch_execz .LBB169_1952
; %bb.1949:                             ;   in Loop: Header=BB169_17 Depth=1
	v_cmp_eq_u16_sdwa s[88:89], v8, v32 src0_sel:BYTE_0 src1_sel:DWORD
	s_mov_b64 s[86:87], s[82:83]
                                        ; implicit-def: $vgpr52
	s_and_saveexec_b64 s[84:85], s[88:89]
	s_cbranch_execz .LBB169_1951
; %bb.1950:                             ;   in Loop: Header=BB169_17 Depth=1
	flat_load_ushort v0, v[0:1]
	s_or_b64 s[86:87], s[82:83], exec
	s_waitcnt vmcnt(0) lgkmcnt(0)
	v_lshlrev_b32_e32 v52, 16, v0
.LBB169_1951:                           ;   in Loop: Header=BB169_17 Depth=1
	s_or_b64 exec, exec, s[84:85]
	s_andn2_b64 s[90:91], s[82:83], exec
	s_and_b64 s[86:87], s[86:87], exec
	s_mov_b64 s[84:85], 0
	s_mov_b64 s[88:89], -1
	s_or_b64 s[86:87], s[90:91], s[86:87]
                                        ; implicit-def: $vgpr0_vgpr1
.LBB169_1952:                           ;   in Loop: Header=BB169_17 Depth=1
	s_andn2_saveexec_b64 s[90:91], vcc
	s_cbranch_execz .LBB169_1956
; %bb.1953:                             ;   in Loop: Header=BB169_17 Depth=1
	v_cmp_eq_u16_sdwa s[94:95], v8, v33 src0_sel:BYTE_0 src1_sel:DWORD
	s_mov_b64 vcc, s[86:87]
                                        ; implicit-def: $vgpr52
	s_and_saveexec_b64 s[92:93], s[94:95]
	s_cbranch_execz .LBB169_1955
; %bb.1954:                             ;   in Loop: Header=BB169_17 Depth=1
	flat_load_ubyte v0, v[0:1]
	s_waitcnt vmcnt(0) lgkmcnt(0)
	v_cmp_ne_u16_e32 vcc, 0, v0
	v_cndmask_b32_e64 v52, 0, 1.0, vcc
	s_or_b64 vcc, s[86:87], exec
.LBB169_1955:                           ;   in Loop: Header=BB169_17 Depth=1
	s_or_b64 exec, exec, s[92:93]
	s_andn2_b64 s[86:87], s[86:87], exec
	s_and_b64 vcc, vcc, exec
	s_or_b64 s[88:89], s[88:89], exec
	s_andn2_b64 s[84:85], s[84:85], exec
	s_or_b64 s[86:87], s[86:87], vcc
.LBB169_1956:                           ;   in Loop: Header=BB169_17 Depth=1
	s_or_b64 exec, exec, s[90:91]
	s_and_b64 vcc, s[84:85], exec
	s_andn2_b64 s[82:83], s[82:83], exec
	s_and_b64 s[84:85], s[86:87], exec
	s_and_b64 s[88:89], s[88:89], exec
	s_or_b64 s[82:83], s[82:83], s[84:85]
.LBB169_1957:                           ;   in Loop: Header=BB169_17 Depth=1
	s_or_b64 exec, exec, s[80:81]
	s_andn2_b64 s[76:77], s[76:77], exec
	s_and_b64 vcc, vcc, exec
	s_andn2_b64 s[78:79], s[78:79], exec
	s_and_b64 s[80:81], s[88:89], exec
	s_or_b64 s[76:77], s[76:77], vcc
	s_andn2_b64 vcc, s[74:75], exec
	s_and_b64 s[74:75], s[82:83], exec
	s_or_b64 s[78:79], s[78:79], s[80:81]
	s_or_b64 s[74:75], vcc, s[74:75]
.LBB169_1958:                           ;   in Loop: Header=BB169_17 Depth=1
	s_or_b64 exec, exec, s[72:73]
	s_and_b64 s[72:73], s[78:79], exec
	s_and_b64 vcc, s[76:77], exec
	s_and_b64 s[74:75], s[74:75], exec
                                        ; implicit-def: $vgpr0_vgpr1
	s_andn2_saveexec_b64 s[70:71], s[70:71]
	s_cbranch_execz .LBB169_1875
.LBB169_1959:                           ;   in Loop: Header=BB169_17 Depth=1
	v_cmp_gt_i16_sdwa s[76:77], v8, v34 src0_sel:BYTE_0 src1_sel:DWORD
                                        ; implicit-def: $vgpr52
	s_and_saveexec_b64 s[78:79], s[76:77]
	s_xor_b64 s[76:77], exec, s[78:79]
	s_cbranch_execz .LBB169_1981
; %bb.1960:                             ;   in Loop: Header=BB169_17 Depth=1
	v_cmp_gt_i16_sdwa s[78:79], v8, v35 src0_sel:BYTE_0 src1_sel:DWORD
                                        ; implicit-def: $vgpr52
	s_and_saveexec_b64 s[80:81], s[78:79]
	s_xor_b64 s[78:79], exec, s[80:81]
	s_cbranch_execz .LBB169_1970
; %bb.1961:                             ;   in Loop: Header=BB169_17 Depth=1
	;; [unrolled: 6-line block ×4, first 2 shown]
	flat_load_dwordx2 v[0:1], v[0:1]
	s_waitcnt vmcnt(0) lgkmcnt(0)
	v_cvt_f32_f64_e32 v52, v[0:1]
                                        ; implicit-def: $vgpr0_vgpr1
.LBB169_1964:                           ;   in Loop: Header=BB169_17 Depth=1
	s_andn2_saveexec_b64 s[82:83], s[82:83]
	s_cbranch_execz .LBB169_1966
; %bb.1965:                             ;   in Loop: Header=BB169_17 Depth=1
	flat_load_dword v52, v[0:1]
.LBB169_1966:                           ;   in Loop: Header=BB169_17 Depth=1
	s_or_b64 exec, exec, s[82:83]
                                        ; implicit-def: $vgpr0_vgpr1
.LBB169_1967:                           ;   in Loop: Header=BB169_17 Depth=1
	s_andn2_saveexec_b64 s[80:81], s[80:81]
	s_cbranch_execz .LBB169_1969
; %bb.1968:                             ;   in Loop: Header=BB169_17 Depth=1
	flat_load_dword v0, v[0:1]
	s_waitcnt vmcnt(0) lgkmcnt(0)
	v_cvt_f32_f16_e32 v52, v0
.LBB169_1969:                           ;   in Loop: Header=BB169_17 Depth=1
	s_or_b64 exec, exec, s[80:81]
                                        ; implicit-def: $vgpr0_vgpr1
.LBB169_1970:                           ;   in Loop: Header=BB169_17 Depth=1
	s_andn2_saveexec_b64 s[78:79], s[78:79]
	s_cbranch_execz .LBB169_1980
; %bb.1971:                             ;   in Loop: Header=BB169_17 Depth=1
	v_cmp_gt_i16_sdwa s[80:81], v8, v38 src0_sel:BYTE_0 src1_sel:DWORD
                                        ; implicit-def: $vgpr52
	s_and_saveexec_b64 s[82:83], s[80:81]
	s_xor_b64 s[80:81], exec, s[82:83]
	s_cbranch_execz .LBB169_1977
; %bb.1972:                             ;   in Loop: Header=BB169_17 Depth=1
	v_cmp_gt_i16_sdwa s[82:83], v8, v39 src0_sel:BYTE_0 src1_sel:DWORD
                                        ; implicit-def: $vgpr52
	s_and_saveexec_b64 s[84:85], s[82:83]
	s_xor_b64 s[82:83], exec, s[84:85]
	s_cbranch_execz .LBB169_1974
; %bb.1973:                             ;   in Loop: Header=BB169_17 Depth=1
	flat_load_dwordx2 v[0:1], v[0:1]
	s_waitcnt vmcnt(0) lgkmcnt(0)
	v_cvt_f32_f64_e32 v52, v[0:1]
                                        ; implicit-def: $vgpr0_vgpr1
.LBB169_1974:                           ;   in Loop: Header=BB169_17 Depth=1
	s_andn2_saveexec_b64 s[82:83], s[82:83]
	s_cbranch_execz .LBB169_1976
; %bb.1975:                             ;   in Loop: Header=BB169_17 Depth=1
	s_waitcnt vmcnt(0) lgkmcnt(0)
	flat_load_dword v52, v[0:1]
.LBB169_1976:                           ;   in Loop: Header=BB169_17 Depth=1
	s_or_b64 exec, exec, s[82:83]
                                        ; implicit-def: $vgpr0_vgpr1
.LBB169_1977:                           ;   in Loop: Header=BB169_17 Depth=1
	s_andn2_saveexec_b64 s[80:81], s[80:81]
	s_cbranch_execz .LBB169_1979
; %bb.1978:                             ;   in Loop: Header=BB169_17 Depth=1
	flat_load_ushort v0, v[0:1]
	s_waitcnt vmcnt(0) lgkmcnt(0)
	v_cvt_f32_f16_e32 v52, v0
.LBB169_1979:                           ;   in Loop: Header=BB169_17 Depth=1
	s_or_b64 exec, exec, s[80:81]
.LBB169_1980:                           ;   in Loop: Header=BB169_17 Depth=1
	s_or_b64 exec, exec, s[78:79]
                                        ; implicit-def: $vgpr0_vgpr1
.LBB169_1981:                           ;   in Loop: Header=BB169_17 Depth=1
	s_andn2_saveexec_b64 s[76:77], s[76:77]
	s_cbranch_execz .LBB169_1999
; %bb.1982:                             ;   in Loop: Header=BB169_17 Depth=1
	v_cmp_gt_i16_sdwa s[78:79], v8, v48 src0_sel:BYTE_0 src1_sel:DWORD
                                        ; implicit-def: $vgpr52
	s_and_saveexec_b64 s[80:81], s[78:79]
	s_xor_b64 s[78:79], exec, s[80:81]
	s_cbranch_execz .LBB169_1992
; %bb.1983:                             ;   in Loop: Header=BB169_17 Depth=1
	v_cmp_gt_i16_sdwa s[80:81], v8, v49 src0_sel:BYTE_0 src1_sel:DWORD
                                        ; implicit-def: $vgpr52
	s_and_saveexec_b64 s[82:83], s[80:81]
	s_xor_b64 s[80:81], exec, s[82:83]
	;; [unrolled: 6-line block ×3, first 2 shown]
	s_cbranch_execz .LBB169_1986
; %bb.1985:                             ;   in Loop: Header=BB169_17 Depth=1
	flat_load_dwordx2 v[0:1], v[0:1]
	s_waitcnt vmcnt(0) lgkmcnt(0)
	v_xor_b32_e32 v54, v0, v1
	v_ffbh_i32_e32 v52, v1
	v_ashrrev_i32_e32 v54, 31, v54
	v_add_u32_e32 v52, -1, v52
	v_add_u32_e32 v54, 32, v54
	v_min_u32_e32 v52, v52, v54
	v_lshlrev_b64 v[0:1], v52, v[0:1]
	v_min_u32_e32 v0, 1, v0
	v_or_b32_e32 v0, v1, v0
	v_cvt_f32_i32_e32 v0, v0
	v_sub_u32_e32 v1, 32, v52
	v_ldexp_f32 v52, v0, v1
                                        ; implicit-def: $vgpr0_vgpr1
.LBB169_1986:                           ;   in Loop: Header=BB169_17 Depth=1
	s_andn2_saveexec_b64 s[82:83], s[82:83]
	s_cbranch_execz .LBB169_1988
; %bb.1987:                             ;   in Loop: Header=BB169_17 Depth=1
	flat_load_dword v0, v[0:1]
	s_waitcnt vmcnt(0) lgkmcnt(0)
	v_cvt_f32_i32_e32 v52, v0
.LBB169_1988:                           ;   in Loop: Header=BB169_17 Depth=1
	s_or_b64 exec, exec, s[82:83]
                                        ; implicit-def: $vgpr0_vgpr1
.LBB169_1989:                           ;   in Loop: Header=BB169_17 Depth=1
	s_andn2_saveexec_b64 s[80:81], s[80:81]
	s_cbranch_execz .LBB169_1991
; %bb.1990:                             ;   in Loop: Header=BB169_17 Depth=1
	flat_load_sshort v0, v[0:1]
	s_waitcnt vmcnt(0) lgkmcnt(0)
	v_cvt_f32_i32_e32 v52, v0
.LBB169_1991:                           ;   in Loop: Header=BB169_17 Depth=1
	s_or_b64 exec, exec, s[80:81]
                                        ; implicit-def: $vgpr0_vgpr1
.LBB169_1992:                           ;   in Loop: Header=BB169_17 Depth=1
	s_andn2_saveexec_b64 s[78:79], s[78:79]
	s_cbranch_execz .LBB169_1998
; %bb.1993:                             ;   in Loop: Header=BB169_17 Depth=1
	v_cmp_gt_i16_sdwa s[80:81], v8, v6 src0_sel:BYTE_0 src1_sel:DWORD
                                        ; implicit-def: $vgpr52
	s_and_saveexec_b64 s[82:83], s[80:81]
	s_xor_b64 s[80:81], exec, s[82:83]
	s_cbranch_execz .LBB169_1995
; %bb.1994:                             ;   in Loop: Header=BB169_17 Depth=1
	flat_load_sbyte v0, v[0:1]
	s_waitcnt vmcnt(0) lgkmcnt(0)
	v_cvt_f32_i32_e32 v52, v0
                                        ; implicit-def: $vgpr0_vgpr1
.LBB169_1995:                           ;   in Loop: Header=BB169_17 Depth=1
	s_andn2_saveexec_b64 s[80:81], s[80:81]
	s_cbranch_execz .LBB169_1997
; %bb.1996:                             ;   in Loop: Header=BB169_17 Depth=1
	flat_load_ubyte v0, v[0:1]
	s_waitcnt vmcnt(0) lgkmcnt(0)
	v_cvt_f32_ubyte0_e32 v52, v0
.LBB169_1997:                           ;   in Loop: Header=BB169_17 Depth=1
	s_or_b64 exec, exec, s[80:81]
.LBB169_1998:                           ;   in Loop: Header=BB169_17 Depth=1
	s_or_b64 exec, exec, s[78:79]
.LBB169_1999:                           ;   in Loop: Header=BB169_17 Depth=1
	s_or_b64 exec, exec, s[76:77]
	s_andn2_b64 s[72:73], s[72:73], exec
	s_andn2_b64 vcc, vcc, exec
	s_or_b64 s[74:75], s[74:75], exec
	s_or_b64 exec, exec, s[70:71]
	s_mov_b64 s[70:71], 0
	s_and_saveexec_b64 s[76:77], s[74:75]
	s_cbranch_execnz .LBB169_1876
	s_branch .LBB169_1877
.LBB169_2000:                           ;   in Loop: Header=BB169_17 Depth=1
	v_cmp_gt_i16_sdwa vcc, v7, v13 src0_sel:BYTE_0 src1_sel:DWORD
	s_mov_b64 s[76:77], 0
                                        ; implicit-def: $sgpr78_sgpr79
                                        ; implicit-def: $sgpr68_sgpr69
                                        ; implicit-def: $vgpr54
	s_and_saveexec_b64 s[60:61], vcc
	s_xor_b64 s[66:67], exec, s[60:61]
	s_cbranch_execz .LBB169_2032
; %bb.2001:                             ;   in Loop: Header=BB169_17 Depth=1
	v_cmp_gt_i16_sdwa vcc, v7, v14 src0_sel:BYTE_0 src1_sel:DWORD
                                        ; implicit-def: $sgpr78_sgpr79
                                        ; implicit-def: $sgpr80_sgpr81
                                        ; implicit-def: $vgpr54
	s_and_saveexec_b64 s[60:61], vcc
	s_xor_b64 s[68:69], exec, s[60:61]
	s_cbranch_execz .LBB169_2017
; %bb.2002:                             ;   in Loop: Header=BB169_17 Depth=1
	v_cmp_gt_i16_sdwa s[60:61], v7, v15 src0_sel:BYTE_0 src1_sel:DWORD
	s_mov_b64 s[82:83], 0
                                        ; implicit-def: $vcc
                                        ; implicit-def: $sgpr78_sgpr79
                                        ; implicit-def: $vgpr54
	s_and_saveexec_b64 s[76:77], s[60:61]
	s_xor_b64 s[76:77], exec, s[76:77]
	s_cbranch_execz .LBB169_2012
; %bb.2003:                             ;   in Loop: Header=BB169_17 Depth=1
	v_cmp_gt_i16_sdwa vcc, v7, v16 src0_sel:BYTE_0 src1_sel:DWORD
	s_mov_b64 s[80:81], 0
                                        ; implicit-def: $sgpr78_sgpr79
                                        ; implicit-def: $sgpr82_sgpr83
                                        ; implicit-def: $vgpr54
	s_and_saveexec_b64 s[60:61], vcc
	s_xor_b64 vcc, exec, s[60:61]
	s_cbranch_execz .LBB169_2007
; %bb.2004:                             ;   in Loop: Header=BB169_17 Depth=1
	v_cmp_eq_u16_sdwa s[60:61], v7, v17 src0_sel:BYTE_0 src1_sel:DWORD
	s_mov_b64 s[78:79], 0
                                        ; implicit-def: $vgpr54
	s_and_saveexec_b64 s[82:83], s[60:61]
	s_cbranch_execz .LBB169_2006
; %bb.2005:                             ;   in Loop: Header=BB169_17 Depth=1
	flat_load_dword v0, v[0:1]
	s_mov_b64 s[80:81], exec
	s_waitcnt vmcnt(0) lgkmcnt(0)
	v_lshlrev_b32_e32 v54, 16, v0
.LBB169_2006:                           ;   in Loop: Header=BB169_17 Depth=1
	s_or_b64 exec, exec, s[82:83]
	s_mov_b64 s[82:83], -1
	s_and_b64 s[80:81], s[80:81], exec
                                        ; implicit-def: $vgpr0_vgpr1
.LBB169_2007:                           ;   in Loop: Header=BB169_17 Depth=1
	s_andn2_saveexec_b64 s[84:85], vcc
	s_cbranch_execz .LBB169_2011
; %bb.2008:                             ;   in Loop: Header=BB169_17 Depth=1
	v_cmp_eq_u16_sdwa s[60:61], v7, v18 src0_sel:BYTE_0 src1_sel:DWORD
	s_mov_b64 vcc, s[80:81]
                                        ; implicit-def: $vgpr54
	s_and_saveexec_b64 s[86:87], s[60:61]
	s_cbranch_execz .LBB169_2010
; %bb.2009:                             ;   in Loop: Header=BB169_17 Depth=1
	flat_load_ubyte v0, v[0:1]
	s_movk_i32 vcc_lo, 0xff
	s_waitcnt vmcnt(0) lgkmcnt(0)
	v_lshlrev_b32_e32 v1, 23, v0
	v_cmp_ne_u32_e32 vcc, vcc_lo, v0
	v_cndmask_b32_e32 v1, v19, v1, vcc
	v_cmp_ne_u32_e32 vcc, 0, v0
	v_cndmask_b32_e32 v54, v20, v1, vcc
	s_or_b64 vcc, s[80:81], exec
.LBB169_2010:                           ;   in Loop: Header=BB169_17 Depth=1
	s_or_b64 exec, exec, s[86:87]
	s_andn2_b64 s[60:61], s[80:81], exec
	s_and_b64 vcc, vcc, exec
	s_andn2_b64 s[78:79], s[78:79], exec
	s_or_b64 s[82:83], s[82:83], exec
	s_or_b64 s[80:81], s[60:61], vcc
.LBB169_2011:                           ;   in Loop: Header=BB169_17 Depth=1
	s_or_b64 exec, exec, s[84:85]
	s_and_b64 s[78:79], s[78:79], exec
	s_and_b64 vcc, s[82:83], exec
	s_and_b64 s[82:83], s[80:81], exec
                                        ; implicit-def: $vgpr0_vgpr1
.LBB169_2012:                           ;   in Loop: Header=BB169_17 Depth=1
	s_andn2_saveexec_b64 s[76:77], s[76:77]
	s_cbranch_execz .LBB169_2016
; %bb.2013:                             ;   in Loop: Header=BB169_17 Depth=1
	v_cmp_eq_u16_sdwa s[60:61], v7, v21 src0_sel:BYTE_0 src1_sel:DWORD
	s_mov_b64 s[84:85], s[82:83]
                                        ; implicit-def: $vgpr54
	s_and_saveexec_b64 s[80:81], s[60:61]
	s_cbranch_execz .LBB169_2015
; %bb.2014:                             ;   in Loop: Header=BB169_17 Depth=1
	flat_load_dwordx2 v[0:1], v[0:1]
	s_or_b64 s[84:85], s[82:83], exec
	s_waitcnt vmcnt(0) lgkmcnt(0)
	v_ffbh_u32_e32 v53, v1
	v_min_u32_e32 v53, 32, v53
	v_lshlrev_b64 v[0:1], v53, v[0:1]
	v_min_u32_e32 v0, 1, v0
	v_or_b32_e32 v0, v1, v0
	v_cvt_f32_u32_e32 v0, v0
	v_sub_u32_e32 v1, 32, v53
	v_ldexp_f32 v54, v0, v1
.LBB169_2015:                           ;   in Loop: Header=BB169_17 Depth=1
	s_or_b64 exec, exec, s[80:81]
	s_andn2_b64 s[60:61], s[82:83], exec
	s_and_b64 s[80:81], s[84:85], exec
	s_andn2_b64 s[78:79], s[78:79], exec
	s_or_b64 vcc, vcc, exec
	s_or_b64 s[82:83], s[60:61], s[80:81]
.LBB169_2016:                           ;   in Loop: Header=BB169_17 Depth=1
	s_or_b64 exec, exec, s[76:77]
	s_and_b64 s[80:81], s[78:79], exec
	s_and_b64 s[78:79], vcc, exec
	s_and_b64 s[76:77], s[82:83], exec
                                        ; implicit-def: $vgpr0_vgpr1
.LBB169_2017:                           ;   in Loop: Header=BB169_17 Depth=1
	s_andn2_saveexec_b64 s[68:69], s[68:69]
	s_cbranch_execz .LBB169_2031
; %bb.2018:                             ;   in Loop: Header=BB169_17 Depth=1
	v_cmp_gt_i16_sdwa vcc, v7, v22 src0_sel:BYTE_0 src1_sel:DWORD
                                        ; implicit-def: $vgpr54
	s_and_saveexec_b64 s[60:61], vcc
	s_xor_b64 vcc, exec, s[60:61]
	s_cbranch_execz .LBB169_2024
; %bb.2019:                             ;   in Loop: Header=BB169_17 Depth=1
	v_cmp_gt_i16_sdwa s[60:61], v7, v23 src0_sel:BYTE_0 src1_sel:DWORD
                                        ; implicit-def: $vgpr54
	s_and_saveexec_b64 s[82:83], s[60:61]
	s_xor_b64 s[60:61], exec, s[82:83]
	s_cbranch_execz .LBB169_2021
; %bb.2020:                             ;   in Loop: Header=BB169_17 Depth=1
	flat_load_dword v0, v[0:1]
	s_waitcnt vmcnt(0) lgkmcnt(0)
	v_cvt_f32_u32_e32 v54, v0
                                        ; implicit-def: $vgpr0_vgpr1
.LBB169_2021:                           ;   in Loop: Header=BB169_17 Depth=1
	s_andn2_saveexec_b64 s[82:83], s[60:61]
	s_cbranch_execz .LBB169_2023
; %bb.2022:                             ;   in Loop: Header=BB169_17 Depth=1
	flat_load_ushort v0, v[0:1]
	s_waitcnt vmcnt(0) lgkmcnt(0)
	v_cvt_f32_u32_e32 v54, v0
.LBB169_2023:                           ;   in Loop: Header=BB169_17 Depth=1
	s_or_b64 exec, exec, s[82:83]
                                        ; implicit-def: $vgpr0_vgpr1
.LBB169_2024:                           ;   in Loop: Header=BB169_17 Depth=1
	s_andn2_saveexec_b64 s[82:83], vcc
	s_cbranch_execz .LBB169_2030
; %bb.2025:                             ;   in Loop: Header=BB169_17 Depth=1
	flat_load_ubyte v0, v[0:1]
	s_movk_i32 vcc_lo, 0x7f
	s_mov_b64 s[84:85], 0
                                        ; implicit-def: $sgpr88
	s_waitcnt vmcnt(0) lgkmcnt(0)
	v_cmp_lt_i16_e32 vcc, vcc_lo, v0
	s_and_saveexec_b64 s[60:61], vcc
	s_xor_b64 s[86:87], exec, s[60:61]
	s_cbranch_execnz .LBB169_2904
; %bb.2026:                             ;   in Loop: Header=BB169_17 Depth=1
	s_or_saveexec_b64 s[86:87], s[86:87]
	v_mov_b32_e32 v54, s88
	s_xor_b64 exec, exec, s[86:87]
	s_cbranch_execnz .LBB169_2907
.LBB169_2027:                           ;   in Loop: Header=BB169_17 Depth=1
	s_or_b64 exec, exec, s[86:87]
	s_and_saveexec_b64 s[86:87], s[84:85]
	s_cbranch_execz .LBB169_2029
.LBB169_2028:                           ;   in Loop: Header=BB169_17 Depth=1
	v_lshlrev_b32_e32 v1, 24, v0
	v_and_b32_e32 v0, 0xffff, v0
	v_and_b32_e32 v53, 7, v0
	v_ffbh_u32_e32 v55, v53
	v_min_u32_e32 v55, 32, v55
	v_subrev_u32_e32 v64, 28, v55
	v_bfe_u32 v54, v0, 3, 4
	v_lshlrev_b32_e32 v0, v64, v0
	v_sub_u32_e32 v55, 29, v55
	v_and_b32_e32 v0, 7, v0
	v_cmp_eq_u32_e32 vcc, 0, v54
	v_cndmask_b32_e32 v54, v54, v55, vcc
	v_cndmask_b32_e32 v0, v53, v0, vcc
	v_lshlrev_b32_e32 v0, 20, v0
	v_and_b32_e32 v1, 0x80000000, v1
	v_lshl_add_u32 v53, v54, 23, v24
	v_or3_b32 v54, v1, v53, v0
.LBB169_2029:                           ;   in Loop: Header=BB169_17 Depth=1
	s_or_b64 exec, exec, s[86:87]
.LBB169_2030:                           ;   in Loop: Header=BB169_17 Depth=1
	s_or_b64 exec, exec, s[82:83]
	s_andn2_b64 s[80:81], s[80:81], exec
	s_andn2_b64 s[78:79], s[78:79], exec
	s_or_b64 s[76:77], s[76:77], exec
.LBB169_2031:                           ;   in Loop: Header=BB169_17 Depth=1
	s_or_b64 exec, exec, s[68:69]
	s_and_b64 s[68:69], s[80:81], exec
	s_and_b64 s[78:79], s[78:79], exec
	;; [unrolled: 1-line block ×3, first 2 shown]
                                        ; implicit-def: $vgpr0_vgpr1
.LBB169_2032:                           ;   in Loop: Header=BB169_17 Depth=1
	s_andn2_saveexec_b64 s[66:67], s[66:67]
	s_cbranch_execz .LBB169_2058
; %bb.2033:                             ;   in Loop: Header=BB169_17 Depth=1
	v_cmp_gt_i16_sdwa vcc, v7, v25 src0_sel:BYTE_0 src1_sel:DWORD
	s_mov_b64 s[82:83], s[76:77]
                                        ; implicit-def: $vgpr54
	s_and_saveexec_b64 s[60:61], vcc
	s_xor_b64 s[80:81], exec, s[60:61]
	s_cbranch_execz .LBB169_2047
; %bb.2034:                             ;   in Loop: Header=BB169_17 Depth=1
	v_cmp_gt_i16_sdwa vcc, v7, v26 src0_sel:BYTE_0 src1_sel:DWORD
                                        ; implicit-def: $vgpr54
	s_and_saveexec_b64 s[60:61], vcc
	s_xor_b64 s[82:83], exec, s[60:61]
	s_cbranch_execz .LBB169_2044
; %bb.2035:                             ;   in Loop: Header=BB169_17 Depth=1
	v_cmp_gt_i16_sdwa vcc, v7, v27 src0_sel:BYTE_0 src1_sel:DWORD
                                        ; implicit-def: $vgpr54
	s_and_saveexec_b64 s[60:61], vcc
	s_xor_b64 s[84:85], exec, s[60:61]
	s_cbranch_execz .LBB169_2041
; %bb.2036:                             ;   in Loop: Header=BB169_17 Depth=1
	flat_load_ubyte v0, v[0:1]
	s_movk_i32 vcc_lo, 0x7f
	s_mov_b64 s[86:87], 0
                                        ; implicit-def: $sgpr90
	s_waitcnt vmcnt(0) lgkmcnt(0)
	v_cmp_lt_i16_e32 vcc, vcc_lo, v0
	s_and_saveexec_b64 s[60:61], vcc
	s_xor_b64 s[88:89], exec, s[60:61]
	s_cbranch_execnz .LBB169_3123
; %bb.2037:                             ;   in Loop: Header=BB169_17 Depth=1
	s_or_saveexec_b64 s[88:89], s[88:89]
	v_mov_b32_e32 v54, s90
	s_xor_b64 exec, exec, s[88:89]
	s_cbranch_execnz .LBB169_3126
.LBB169_2038:                           ;   in Loop: Header=BB169_17 Depth=1
	s_or_b64 exec, exec, s[88:89]
	s_and_saveexec_b64 s[88:89], s[86:87]
	s_cbranch_execz .LBB169_2040
.LBB169_2039:                           ;   in Loop: Header=BB169_17 Depth=1
	v_lshlrev_b32_e32 v1, 24, v0
	v_and_b32_e32 v0, 0xffff, v0
	v_and_b32_e32 v53, 3, v0
	v_ffbh_u32_e32 v55, v53
	v_min_u32_e32 v55, 32, v55
	v_subrev_u32_e32 v64, 29, v55
	v_bfe_u32 v54, v0, 2, 5
	v_lshlrev_b32_e32 v0, v64, v0
	v_sub_u32_e32 v55, 30, v55
	v_and_b32_e32 v0, 3, v0
	v_cmp_eq_u32_e32 vcc, 0, v54
	v_cndmask_b32_e32 v54, v54, v55, vcc
	v_cndmask_b32_e32 v0, v53, v0, vcc
	v_lshlrev_b32_e32 v0, 21, v0
	v_and_b32_e32 v1, 0x80000000, v1
	v_lshl_add_u32 v53, v54, 23, v28
	v_or3_b32 v54, v1, v53, v0
.LBB169_2040:                           ;   in Loop: Header=BB169_17 Depth=1
	s_or_b64 exec, exec, s[88:89]
                                        ; implicit-def: $vgpr0_vgpr1
.LBB169_2041:                           ;   in Loop: Header=BB169_17 Depth=1
	s_andn2_saveexec_b64 s[84:85], s[84:85]
	s_cbranch_execz .LBB169_2043
; %bb.2042:                             ;   in Loop: Header=BB169_17 Depth=1
	flat_load_ubyte v0, v[0:1]
	s_mov_b32 vcc_lo, 0x7f800000
	s_waitcnt vmcnt(0) lgkmcnt(0)
	v_lshlrev_b32_e32 v0, 24, v0
	v_and_b32_e32 v1, 0x7f000000, v0
	v_ffbh_u32_e32 v53, v1
	v_min_u32_e32 v53, 32, v53
	v_sub_u32_e64 v53, v53, 4 clamp
	v_lshlrev_b32_e32 v55, v53, v1
	v_lshlrev_b32_e32 v53, 23, v53
	v_lshrrev_b32_e32 v55, 4, v55
	v_add_u32_e32 v54, 0x1000000, v1
	v_sub_u32_e32 v53, v55, v53
	v_ashrrev_i32_e32 v54, 8, v54
	v_add_u32_e32 v53, 0x3c000000, v53
	v_and_or_b32 v53, v54, vcc_lo, v53
	v_cmp_ne_u32_e32 vcc, 0, v1
	v_cndmask_b32_e32 v1, 0, v53, vcc
	s_brev_b32 vcc_lo, 1
	v_and_or_b32 v54, v0, vcc_lo, v1
.LBB169_2043:                           ;   in Loop: Header=BB169_17 Depth=1
	s_or_b64 exec, exec, s[84:85]
                                        ; implicit-def: $vgpr0_vgpr1
.LBB169_2044:                           ;   in Loop: Header=BB169_17 Depth=1
	s_andn2_saveexec_b64 s[82:83], s[82:83]
	s_cbranch_execz .LBB169_2046
; %bb.2045:                             ;   in Loop: Header=BB169_17 Depth=1
	flat_load_ubyte v0, v[0:1]
	s_movk_i32 vcc_lo, 0x7f00
	s_waitcnt vmcnt(0) lgkmcnt(0)
	v_lshlrev_b16_e32 v1, 8, v0
	v_lshlrev_b32_e32 v0, 25, v0
	v_lshrrev_b32_e32 v53, 4, v0
	v_and_or_b32 v54, v1, vcc_lo, 0.5
	v_or_b32_e32 v53, 0x70000000, v53
	s_brev_b32 vcc_lo, 16
	v_add_f32_e32 v54, -0.5, v54
	v_mul_f32_e32 v53, 0x7800000, v53
	v_cmp_gt_u32_e32 vcc, vcc_lo, v0
	v_cndmask_b32_e32 v0, v53, v54, vcc
	v_bfe_i32 v1, v1, 0, 16
	s_brev_b32 vcc_lo, 1
	v_and_or_b32 v54, v1, vcc_lo, v0
.LBB169_2046:                           ;   in Loop: Header=BB169_17 Depth=1
	s_or_b64 exec, exec, s[82:83]
	s_or_b64 s[82:83], s[76:77], exec
                                        ; implicit-def: $vgpr0_vgpr1
.LBB169_2047:                           ;   in Loop: Header=BB169_17 Depth=1
	s_or_saveexec_b64 s[80:81], s[80:81]
                                        ; implicit-def: $vcc
                                        ; implicit-def: $sgpr88_sgpr89
	s_xor_b64 exec, exec, s[80:81]
	s_cbranch_execz .LBB169_2057
; %bb.2048:                             ;   in Loop: Header=BB169_17 Depth=1
	v_cmp_gt_i16_sdwa vcc, v7, v29 src0_sel:BYTE_0 src1_sel:DWORD
	s_mov_b64 s[86:87], s[82:83]
                                        ; implicit-def: $sgpr88_sgpr89
                                        ; implicit-def: $sgpr84_sgpr85
                                        ; implicit-def: $vgpr54
	s_and_saveexec_b64 s[60:61], vcc
	s_xor_b64 vcc, exec, s[60:61]
	s_cbranch_execz .LBB169_2052
; %bb.2049:                             ;   in Loop: Header=BB169_17 Depth=1
	v_cmp_eq_u16_sdwa s[84:85], v7, v32 src0_sel:BYTE_0 src1_sel:DWORD
	s_mov_b64 s[86:87], s[82:83]
                                        ; implicit-def: $vgpr54
	s_and_saveexec_b64 s[60:61], s[84:85]
	s_cbranch_execz .LBB169_2051
; %bb.2050:                             ;   in Loop: Header=BB169_17 Depth=1
	flat_load_ushort v0, v[0:1]
	s_or_b64 s[86:87], s[82:83], exec
	s_waitcnt vmcnt(0) lgkmcnt(0)
	v_lshlrev_b32_e32 v54, 16, v0
.LBB169_2051:                           ;   in Loop: Header=BB169_17 Depth=1
	s_or_b64 exec, exec, s[60:61]
	s_andn2_b64 s[60:61], s[82:83], exec
	s_and_b64 s[86:87], s[86:87], exec
	s_mov_b64 s[84:85], -1
	s_mov_b64 s[88:89], 0
	s_or_b64 s[86:87], s[60:61], s[86:87]
                                        ; implicit-def: $vgpr0_vgpr1
.LBB169_2052:                           ;   in Loop: Header=BB169_17 Depth=1
	s_andn2_saveexec_b64 s[90:91], vcc
	s_cbranch_execz .LBB169_2056
; %bb.2053:                             ;   in Loop: Header=BB169_17 Depth=1
	v_cmp_eq_u16_sdwa s[60:61], v7, v33 src0_sel:BYTE_0 src1_sel:DWORD
	s_mov_b64 vcc, s[86:87]
                                        ; implicit-def: $vgpr54
	s_and_saveexec_b64 s[92:93], s[60:61]
	s_cbranch_execz .LBB169_2055
; %bb.2054:                             ;   in Loop: Header=BB169_17 Depth=1
	flat_load_ubyte v0, v[0:1]
	s_waitcnt vmcnt(0) lgkmcnt(0)
	v_cmp_ne_u16_e32 vcc, 0, v0
	v_cndmask_b32_e64 v54, 0, 1.0, vcc
	s_or_b64 vcc, s[86:87], exec
.LBB169_2055:                           ;   in Loop: Header=BB169_17 Depth=1
	s_or_b64 exec, exec, s[92:93]
	s_andn2_b64 s[60:61], s[86:87], exec
	s_and_b64 vcc, vcc, exec
	s_andn2_b64 s[88:89], s[88:89], exec
	s_or_b64 s[84:85], s[84:85], exec
	s_or_b64 s[86:87], s[60:61], vcc
.LBB169_2056:                           ;   in Loop: Header=BB169_17 Depth=1
	s_or_b64 exec, exec, s[90:91]
	s_andn2_b64 s[60:61], s[82:83], exec
	s_and_b64 s[82:83], s[86:87], exec
	s_and_b64 s[88:89], s[88:89], exec
	s_and_b64 vcc, s[84:85], exec
	s_or_b64 s[82:83], s[60:61], s[82:83]
.LBB169_2057:                           ;   in Loop: Header=BB169_17 Depth=1
	s_or_b64 exec, exec, s[80:81]
	s_andn2_b64 s[60:61], s[68:69], exec
	s_and_b64 s[68:69], s[88:89], exec
	s_or_b64 s[68:69], s[60:61], s[68:69]
	s_andn2_b64 s[60:61], s[78:79], exec
	s_and_b64 vcc, vcc, exec
	s_or_b64 s[78:79], s[60:61], vcc
	s_andn2_b64 vcc, s[76:77], exec
	s_and_b64 s[60:61], s[82:83], exec
	s_or_b64 s[76:77], vcc, s[60:61]
.LBB169_2058:                           ;   in Loop: Header=BB169_17 Depth=1
	s_or_b64 exec, exec, s[66:67]
	s_and_b64 s[68:69], s[68:69], exec
	s_and_b64 s[66:67], s[78:79], exec
	s_and_b64 vcc, s[76:77], exec
                                        ; implicit-def: $vgpr0_vgpr1
	s_andn2_saveexec_b64 s[74:75], s[74:75]
	s_cbranch_execz .LBB169_1883
.LBB169_2059:                           ;   in Loop: Header=BB169_17 Depth=1
	v_cmp_gt_i16_sdwa s[60:61], v7, v34 src0_sel:BYTE_0 src1_sel:DWORD
                                        ; implicit-def: $vgpr54
	s_and_saveexec_b64 s[76:77], s[60:61]
	s_xor_b64 s[76:77], exec, s[76:77]
	s_cbranch_execz .LBB169_2081
; %bb.2060:                             ;   in Loop: Header=BB169_17 Depth=1
	v_cmp_gt_i16_sdwa s[60:61], v7, v35 src0_sel:BYTE_0 src1_sel:DWORD
                                        ; implicit-def: $vgpr54
	s_and_saveexec_b64 s[78:79], s[60:61]
	s_xor_b64 s[78:79], exec, s[78:79]
	s_cbranch_execz .LBB169_2070
; %bb.2061:                             ;   in Loop: Header=BB169_17 Depth=1
	;; [unrolled: 6-line block ×4, first 2 shown]
	flat_load_dwordx2 v[0:1], v[0:1]
	s_waitcnt vmcnt(0) lgkmcnt(0)
	v_cvt_f32_f64_e32 v54, v[0:1]
                                        ; implicit-def: $vgpr0_vgpr1
.LBB169_2064:                           ;   in Loop: Header=BB169_17 Depth=1
	s_andn2_saveexec_b64 s[60:61], s[60:61]
	s_cbranch_execz .LBB169_2066
; %bb.2065:                             ;   in Loop: Header=BB169_17 Depth=1
	flat_load_dword v54, v[0:1]
.LBB169_2066:                           ;   in Loop: Header=BB169_17 Depth=1
	s_or_b64 exec, exec, s[60:61]
                                        ; implicit-def: $vgpr0_vgpr1
.LBB169_2067:                           ;   in Loop: Header=BB169_17 Depth=1
	s_andn2_saveexec_b64 s[80:81], s[80:81]
	s_cbranch_execz .LBB169_2069
; %bb.2068:                             ;   in Loop: Header=BB169_17 Depth=1
	flat_load_dword v0, v[0:1]
	s_waitcnt vmcnt(0) lgkmcnt(0)
	v_cvt_f32_f16_e32 v54, v0
.LBB169_2069:                           ;   in Loop: Header=BB169_17 Depth=1
	s_or_b64 exec, exec, s[80:81]
                                        ; implicit-def: $vgpr0_vgpr1
.LBB169_2070:                           ;   in Loop: Header=BB169_17 Depth=1
	s_andn2_saveexec_b64 s[78:79], s[78:79]
	s_cbranch_execz .LBB169_2080
; %bb.2071:                             ;   in Loop: Header=BB169_17 Depth=1
	v_cmp_gt_i16_sdwa s[60:61], v7, v38 src0_sel:BYTE_0 src1_sel:DWORD
                                        ; implicit-def: $vgpr54
	s_and_saveexec_b64 s[80:81], s[60:61]
	s_xor_b64 s[80:81], exec, s[80:81]
	s_cbranch_execz .LBB169_2077
; %bb.2072:                             ;   in Loop: Header=BB169_17 Depth=1
	v_cmp_gt_i16_sdwa s[60:61], v7, v39 src0_sel:BYTE_0 src1_sel:DWORD
                                        ; implicit-def: $vgpr54
	s_and_saveexec_b64 s[82:83], s[60:61]
	s_xor_b64 s[60:61], exec, s[82:83]
	s_cbranch_execz .LBB169_2074
; %bb.2073:                             ;   in Loop: Header=BB169_17 Depth=1
	flat_load_dwordx2 v[0:1], v[0:1]
	s_waitcnt vmcnt(0) lgkmcnt(0)
	v_cvt_f32_f64_e32 v54, v[0:1]
                                        ; implicit-def: $vgpr0_vgpr1
.LBB169_2074:                           ;   in Loop: Header=BB169_17 Depth=1
	s_andn2_saveexec_b64 s[60:61], s[60:61]
	s_cbranch_execz .LBB169_2076
; %bb.2075:                             ;   in Loop: Header=BB169_17 Depth=1
	s_waitcnt vmcnt(0) lgkmcnt(0)
	flat_load_dword v54, v[0:1]
.LBB169_2076:                           ;   in Loop: Header=BB169_17 Depth=1
	s_or_b64 exec, exec, s[60:61]
                                        ; implicit-def: $vgpr0_vgpr1
.LBB169_2077:                           ;   in Loop: Header=BB169_17 Depth=1
	s_andn2_saveexec_b64 s[80:81], s[80:81]
	s_cbranch_execz .LBB169_2079
; %bb.2078:                             ;   in Loop: Header=BB169_17 Depth=1
	flat_load_ushort v0, v[0:1]
	s_waitcnt vmcnt(0) lgkmcnt(0)
	v_cvt_f32_f16_e32 v54, v0
.LBB169_2079:                           ;   in Loop: Header=BB169_17 Depth=1
	s_or_b64 exec, exec, s[80:81]
.LBB169_2080:                           ;   in Loop: Header=BB169_17 Depth=1
	s_or_b64 exec, exec, s[78:79]
                                        ; implicit-def: $vgpr0_vgpr1
.LBB169_2081:                           ;   in Loop: Header=BB169_17 Depth=1
	s_andn2_saveexec_b64 s[76:77], s[76:77]
	s_cbranch_execz .LBB169_2099
; %bb.2082:                             ;   in Loop: Header=BB169_17 Depth=1
	v_cmp_gt_i16_sdwa s[60:61], v7, v48 src0_sel:BYTE_0 src1_sel:DWORD
                                        ; implicit-def: $vgpr54
	s_and_saveexec_b64 s[78:79], s[60:61]
	s_xor_b64 s[78:79], exec, s[78:79]
	s_cbranch_execz .LBB169_2092
; %bb.2083:                             ;   in Loop: Header=BB169_17 Depth=1
	v_cmp_gt_i16_sdwa s[60:61], v7, v49 src0_sel:BYTE_0 src1_sel:DWORD
                                        ; implicit-def: $vgpr54
	s_and_saveexec_b64 s[80:81], s[60:61]
	s_xor_b64 s[80:81], exec, s[80:81]
	;; [unrolled: 6-line block ×3, first 2 shown]
	s_cbranch_execz .LBB169_2086
; %bb.2085:                             ;   in Loop: Header=BB169_17 Depth=1
	flat_load_dwordx2 v[0:1], v[0:1]
	s_waitcnt vmcnt(0) lgkmcnt(0)
	v_xor_b32_e32 v54, v0, v1
	v_ffbh_i32_e32 v53, v1
	v_ashrrev_i32_e32 v54, 31, v54
	v_add_u32_e32 v53, -1, v53
	v_add_u32_e32 v54, 32, v54
	v_min_u32_e32 v53, v53, v54
	v_lshlrev_b64 v[0:1], v53, v[0:1]
	v_min_u32_e32 v0, 1, v0
	v_or_b32_e32 v0, v1, v0
	v_cvt_f32_i32_e32 v0, v0
	v_sub_u32_e32 v1, 32, v53
	v_ldexp_f32 v54, v0, v1
                                        ; implicit-def: $vgpr0_vgpr1
.LBB169_2086:                           ;   in Loop: Header=BB169_17 Depth=1
	s_andn2_saveexec_b64 s[82:83], s[82:83]
	s_cbranch_execz .LBB169_2088
; %bb.2087:                             ;   in Loop: Header=BB169_17 Depth=1
	flat_load_dword v0, v[0:1]
	s_waitcnt vmcnt(0) lgkmcnt(0)
	v_cvt_f32_i32_e32 v54, v0
.LBB169_2088:                           ;   in Loop: Header=BB169_17 Depth=1
	s_or_b64 exec, exec, s[82:83]
                                        ; implicit-def: $vgpr0_vgpr1
.LBB169_2089:                           ;   in Loop: Header=BB169_17 Depth=1
	s_andn2_saveexec_b64 s[80:81], s[80:81]
	s_cbranch_execz .LBB169_2091
; %bb.2090:                             ;   in Loop: Header=BB169_17 Depth=1
	flat_load_sshort v0, v[0:1]
	s_waitcnt vmcnt(0) lgkmcnt(0)
	v_cvt_f32_i32_e32 v54, v0
.LBB169_2091:                           ;   in Loop: Header=BB169_17 Depth=1
	s_or_b64 exec, exec, s[80:81]
                                        ; implicit-def: $vgpr0_vgpr1
.LBB169_2092:                           ;   in Loop: Header=BB169_17 Depth=1
	s_andn2_saveexec_b64 s[78:79], s[78:79]
	s_cbranch_execz .LBB169_2098
; %bb.2093:                             ;   in Loop: Header=BB169_17 Depth=1
	v_cmp_gt_i16_sdwa s[60:61], v7, v6 src0_sel:BYTE_0 src1_sel:DWORD
                                        ; implicit-def: $vgpr54
	s_and_saveexec_b64 s[80:81], s[60:61]
	s_xor_b64 s[60:61], exec, s[80:81]
	s_cbranch_execz .LBB169_2095
; %bb.2094:                             ;   in Loop: Header=BB169_17 Depth=1
	flat_load_sbyte v0, v[0:1]
	s_waitcnt vmcnt(0) lgkmcnt(0)
	v_cvt_f32_i32_e32 v54, v0
                                        ; implicit-def: $vgpr0_vgpr1
.LBB169_2095:                           ;   in Loop: Header=BB169_17 Depth=1
	s_andn2_saveexec_b64 s[80:81], s[60:61]
	s_cbranch_execz .LBB169_2097
; %bb.2096:                             ;   in Loop: Header=BB169_17 Depth=1
	flat_load_ubyte v0, v[0:1]
	s_waitcnt vmcnt(0) lgkmcnt(0)
	v_cvt_f32_ubyte0_e32 v54, v0
.LBB169_2097:                           ;   in Loop: Header=BB169_17 Depth=1
	s_or_b64 exec, exec, s[80:81]
.LBB169_2098:                           ;   in Loop: Header=BB169_17 Depth=1
	s_or_b64 exec, exec, s[78:79]
.LBB169_2099:                           ;   in Loop: Header=BB169_17 Depth=1
	s_or_b64 exec, exec, s[76:77]
	s_andn2_b64 s[68:69], s[68:69], exec
	s_andn2_b64 s[66:67], s[66:67], exec
	s_or_b64 vcc, vcc, exec
	s_or_b64 exec, exec, s[74:75]
	s_mov_b64 s[76:77], 0
	s_and_saveexec_b64 s[74:75], vcc
	s_cbranch_execz .LBB169_2105
.LBB169_2100:                           ;   in Loop: Header=BB169_17 Depth=1
	v_mul_lo_u32 v0, v52, v10
	v_readlane_b32 s60, v78, 0
	v_add_co_u32_e32 v0, vcc, v4, v0
	v_add_u32_e32 v53, s60, v11
	v_addc_co_u32_e32 v1, vcc, 0, v5, vcc
	v_cmp_gt_i16_sdwa s[60:61], v8, v12 src0_sel:BYTE_0 src1_sel:DWORD
	s_mov_b64 s[80:81], 0
	s_waitcnt vmcnt(0) lgkmcnt(0)
	buffer_store_dword v54, v53, s[0:3], 0 offen offset:76
                                        ; implicit-def: $vcc
                                        ; implicit-def: $sgpr78_sgpr79
                                        ; implicit-def: $vgpr52
	s_and_saveexec_b64 s[76:77], s[60:61]
	s_xor_b64 s[76:77], exec, s[76:77]
	s_cbranch_execnz .LBB169_2127
; %bb.2101:                             ;   in Loop: Header=BB169_17 Depth=1
	s_andn2_saveexec_b64 s[76:77], s[76:77]
	s_cbranch_execnz .LBB169_2186
.LBB169_2102:                           ;   in Loop: Header=BB169_17 Depth=1
	s_or_b64 exec, exec, s[76:77]
	s_mov_b64 s[76:77], 0
	s_and_saveexec_b64 s[82:83], s[80:81]
	s_cbranch_execz .LBB169_2104
.LBB169_2103:                           ;   in Loop: Header=BB169_17 Depth=1
	s_mov_b64 s[76:77], exec
	v_add_u32_e32 v51, 0x200, v51
	s_andn2_b64 s[78:79], s[78:79], exec
	s_andn2_b64 vcc, vcc, exec
	s_waitcnt vmcnt(0) lgkmcnt(0)
	buffer_store_dword v52, v53, s[0:3], 0 offen offset:72
.LBB169_2104:                           ;   in Loop: Header=BB169_17 Depth=1
	s_or_b64 exec, exec, s[82:83]
	s_andn2_b64 s[60:61], s[68:69], exec
	s_and_b64 s[62:63], s[78:79], exec
	s_or_b64 s[68:69], s[60:61], s[62:63]
	s_andn2_b64 s[60:61], s[66:67], exec
	s_and_b64 vcc, vcc, exec
	s_or_b64 s[66:67], s[60:61], vcc
	s_and_b64 s[76:77], s[76:77], exec
.LBB169_2105:                           ;   in Loop: Header=BB169_17 Depth=1
	s_or_b64 exec, exec, s[74:75]
	s_and_b64 vcc, s[68:69], exec
	v_writelane_b32 v78, vcc_lo, 8
	v_writelane_b32 v78, vcc_hi, 9
	s_and_b64 s[62:63], s[66:67], exec
	s_orn2_b64 s[66:67], s[76:77], exec
.LBB169_2106:                           ;   in Loop: Header=BB169_17 Depth=1
	s_or_b64 exec, exec, s[70:71]
	s_mov_b64 vcc, exec
	v_writelane_b32 v78, vcc_lo, 6
	v_writelane_b32 v78, vcc_hi, 7
	s_and_b64 vcc, vcc, s[66:67]
	s_mov_b64 exec, vcc
	s_cbranch_execz .LBB169_7
; %bb.2107:                             ;   in Loop: Header=BB169_17 Depth=1
	v_writelane_b32 v78, s62, 10
	v_cmp_lt_i32_e32 vcc, v51, v72
	s_mov_b64 s[78:79], -1
	s_mov_b64 s[66:67], -1
	v_writelane_b32 v78, s63, 11
                                        ; implicit-def: $sgpr62_sgpr63
                                        ; implicit-def: $sgpr60_sgpr61
                                        ; kill: killed $sgpr60_sgpr61
	s_and_saveexec_b64 s[76:77], vcc
	s_cbranch_execz .LBB169_2333
; %bb.2108:                             ;   in Loop: Header=BB169_17 Depth=1
	v_readlane_b32 vcc_lo, v78, 1
	s_waitcnt vmcnt(0) lgkmcnt(0)
	v_add_u32_e32 v53, vcc_lo, v51
	v_mul_lo_u32 v0, v53, v9
	v_add_co_u32_e32 v0, vcc, v2, v0
	v_addc_co_u32_e32 v1, vcc, 0, v3, vcc
	v_cmp_gt_i16_sdwa s[60:61], v7, v12 src0_sel:BYTE_0 src1_sel:DWORD
	s_mov_b64 vcc, 0
                                        ; implicit-def: $sgpr72_sgpr73
                                        ; implicit-def: $sgpr74_sgpr75
                                        ; implicit-def: $vgpr54
	s_and_saveexec_b64 s[62:63], s[60:61]
	s_xor_b64 s[80:81], exec, s[62:63]
	s_cbranch_execnz .LBB169_2227
; %bb.2109:                             ;   in Loop: Header=BB169_17 Depth=1
	s_andn2_saveexec_b64 s[80:81], s[80:81]
	s_cbranch_execnz .LBB169_2286
.LBB169_2110:                           ;   in Loop: Header=BB169_17 Depth=1
	s_or_b64 exec, exec, s[80:81]
	s_mov_b64 s[66:67], 0
	s_and_saveexec_b64 s[80:81], vcc
	s_cbranch_execnz .LBB169_2327
	s_branch .LBB169_2332
.LBB169_2111:                           ;   in Loop: Header=BB169_17 Depth=1
	s_movk_i32 vcc_lo, 0x80
	v_cmp_eq_u16_e32 vcc, vcc_lo, v0
	s_mov_b64 s[62:63], -1
                                        ; implicit-def: $sgpr68
	s_and_saveexec_b64 s[66:67], vcc
; %bb.2112:                             ;   in Loop: Header=BB169_17 Depth=1
	s_mov_b32 s68, 0x7f800001
	s_xor_b64 s[62:63], exec, -1
; %bb.2113:                             ;   in Loop: Header=BB169_17 Depth=1
	s_or_b64 exec, exec, s[66:67]
	s_and_b64 s[62:63], s[62:63], exec
	s_or_saveexec_b64 s[64:65], s[64:65]
	v_mov_b32_e32 v52, s68
	s_xor_b64 exec, exec, s[64:65]
	s_cbranch_execz .LBB169_1030
.LBB169_2114:                           ;   in Loop: Header=BB169_17 Depth=1
	v_cmp_ne_u16_e32 vcc, 0, v0
	s_andn2_b64 s[62:63], s[62:63], exec
	s_and_b64 vcc, vcc, exec
	v_mov_b32_e32 v52, 0
	s_or_b64 s[62:63], s[62:63], vcc
	s_or_b64 exec, exec, s[64:65]
	s_and_saveexec_b64 s[64:65], s[62:63]
	s_cbranch_execnz .LBB169_1031
	s_branch .LBB169_1032
.LBB169_2115:                           ;   in Loop: Header=BB169_17 Depth=1
	s_movk_i32 vcc_lo, 0x80
	v_cmp_eq_u16_e32 vcc, vcc_lo, v0
	s_mov_b64 s[62:63], -1
                                        ; implicit-def: $sgpr68
	s_and_saveexec_b64 s[66:67], vcc
; %bb.2116:                             ;   in Loop: Header=BB169_17 Depth=1
	s_mov_b32 s68, 0x7f800001
	s_xor_b64 s[62:63], exec, -1
; %bb.2117:                             ;   in Loop: Header=BB169_17 Depth=1
	s_or_b64 exec, exec, s[66:67]
	s_and_b64 s[62:63], s[62:63], exec
	s_or_saveexec_b64 s[64:65], s[64:65]
	v_mov_b32_e32 v54, s68
	s_xor_b64 exec, exec, s[64:65]
	s_cbranch_execz .LBB169_1130
.LBB169_2118:                           ;   in Loop: Header=BB169_17 Depth=1
	v_cmp_ne_u16_e32 vcc, 0, v0
	s_andn2_b64 s[62:63], s[62:63], exec
	s_and_b64 vcc, vcc, exec
	v_mov_b32_e32 v54, 0
	s_or_b64 s[62:63], s[62:63], vcc
	s_or_b64 exec, exec, s[64:65]
	s_and_saveexec_b64 s[64:65], s[62:63]
	s_cbranch_execnz .LBB169_1131
	s_branch .LBB169_1132
.LBB169_2119:                           ;   in Loop: Header=BB169_17 Depth=1
	s_movk_i32 vcc_lo, 0x80
	v_cmp_eq_u16_e32 vcc, vcc_lo, v0
	s_mov_b64 s[66:67], -1
                                        ; implicit-def: $sgpr72
	s_and_saveexec_b64 s[70:71], vcc
; %bb.2120:                             ;   in Loop: Header=BB169_17 Depth=1
	s_mov_b32 s72, 0x7f800001
	s_xor_b64 s[66:67], exec, -1
; %bb.2121:                             ;   in Loop: Header=BB169_17 Depth=1
	s_or_b64 exec, exec, s[70:71]
	s_and_b64 s[66:67], s[66:67], exec
	s_or_saveexec_b64 s[68:69], s[68:69]
	v_mov_b32_e32 v52, s72
	s_xor_b64 exec, exec, s[68:69]
	s_cbranch_execz .LBB169_1246
.LBB169_2122:                           ;   in Loop: Header=BB169_17 Depth=1
	v_cmp_ne_u16_e32 vcc, 0, v0
	s_andn2_b64 s[66:67], s[66:67], exec
	s_and_b64 vcc, vcc, exec
	v_mov_b32_e32 v52, 0
	s_or_b64 s[66:67], s[66:67], vcc
	s_or_b64 exec, exec, s[68:69]
	s_and_saveexec_b64 s[68:69], s[66:67]
	s_cbranch_execnz .LBB169_1247
	s_branch .LBB169_1248
.LBB169_2123:                           ;   in Loop: Header=BB169_17 Depth=1
	s_movk_i32 vcc_lo, 0x80
	v_cmp_eq_u16_e32 vcc, vcc_lo, v0
	s_mov_b64 s[66:67], -1
                                        ; implicit-def: $sgpr72
	s_and_saveexec_b64 s[70:71], vcc
; %bb.2124:                             ;   in Loop: Header=BB169_17 Depth=1
	s_mov_b32 s72, 0x7f800001
	s_xor_b64 s[66:67], exec, -1
; %bb.2125:                             ;   in Loop: Header=BB169_17 Depth=1
	s_or_b64 exec, exec, s[70:71]
	s_and_b64 s[66:67], s[66:67], exec
	s_or_saveexec_b64 s[68:69], s[68:69]
	v_mov_b32_e32 v54, s72
	s_xor_b64 exec, exec, s[68:69]
	s_cbranch_execz .LBB169_1346
.LBB169_2126:                           ;   in Loop: Header=BB169_17 Depth=1
	v_cmp_ne_u16_e32 vcc, 0, v0
	s_andn2_b64 s[66:67], s[66:67], exec
	s_and_b64 vcc, vcc, exec
	v_mov_b32_e32 v54, 0
	s_or_b64 s[66:67], s[66:67], vcc
	s_or_b64 exec, exec, s[68:69]
	s_and_saveexec_b64 s[68:69], s[66:67]
	s_cbranch_execnz .LBB169_1347
	s_branch .LBB169_1348
.LBB169_2127:                           ;   in Loop: Header=BB169_17 Depth=1
	v_cmp_gt_i16_sdwa vcc, v8, v13 src0_sel:BYTE_0 src1_sel:DWORD
                                        ; implicit-def: $sgpr82_sgpr83
                                        ; implicit-def: $sgpr84_sgpr85
                                        ; implicit-def: $vgpr52
	s_and_saveexec_b64 s[60:61], vcc
	s_xor_b64 s[78:79], exec, s[60:61]
	s_cbranch_execz .LBB169_2159
; %bb.2128:                             ;   in Loop: Header=BB169_17 Depth=1
	v_cmp_gt_i16_sdwa vcc, v8, v14 src0_sel:BYTE_0 src1_sel:DWORD
                                        ; implicit-def: $sgpr82_sgpr83
                                        ; implicit-def: $sgpr86_sgpr87
                                        ; implicit-def: $vgpr52
	s_and_saveexec_b64 s[60:61], vcc
	s_xor_b64 s[84:85], exec, s[60:61]
	s_cbranch_execz .LBB169_2144
; %bb.2129:                             ;   in Loop: Header=BB169_17 Depth=1
	v_cmp_gt_i16_sdwa s[60:61], v8, v15 src0_sel:BYTE_0 src1_sel:DWORD
	s_mov_b64 s[88:89], 0
                                        ; implicit-def: $vcc
                                        ; implicit-def: $sgpr86_sgpr87
                                        ; implicit-def: $vgpr52
	s_and_saveexec_b64 s[80:81], s[60:61]
	s_xor_b64 s[80:81], exec, s[80:81]
	s_cbranch_execz .LBB169_2139
; %bb.2130:                             ;   in Loop: Header=BB169_17 Depth=1
	v_cmp_gt_i16_sdwa vcc, v8, v16 src0_sel:BYTE_0 src1_sel:DWORD
                                        ; implicit-def: $sgpr86_sgpr87
                                        ; implicit-def: $sgpr82_sgpr83
                                        ; implicit-def: $vgpr52
	s_and_saveexec_b64 s[60:61], vcc
	s_xor_b64 vcc, exec, s[60:61]
	s_cbranch_execz .LBB169_2134
; %bb.2131:                             ;   in Loop: Header=BB169_17 Depth=1
	v_cmp_eq_u16_sdwa s[60:61], v8, v17 src0_sel:BYTE_0 src1_sel:DWORD
	s_mov_b64 s[82:83], 0
                                        ; implicit-def: $vgpr52
	s_and_saveexec_b64 s[86:87], s[60:61]
	s_cbranch_execz .LBB169_2133
; %bb.2132:                             ;   in Loop: Header=BB169_17 Depth=1
	flat_load_dword v0, v[0:1]
	s_mov_b64 s[88:89], exec
	s_waitcnt vmcnt(0) lgkmcnt(0)
	v_lshlrev_b32_e32 v52, 16, v0
.LBB169_2133:                           ;   in Loop: Header=BB169_17 Depth=1
	s_or_b64 exec, exec, s[86:87]
	s_mov_b64 s[86:87], -1
	s_and_b64 s[88:89], s[88:89], exec
                                        ; implicit-def: $vgpr0_vgpr1
.LBB169_2134:                           ;   in Loop: Header=BB169_17 Depth=1
	s_andn2_saveexec_b64 s[90:91], vcc
	s_cbranch_execz .LBB169_2138
; %bb.2135:                             ;   in Loop: Header=BB169_17 Depth=1
	v_cmp_eq_u16_sdwa s[60:61], v8, v18 src0_sel:BYTE_0 src1_sel:DWORD
	s_mov_b64 vcc, s[88:89]
                                        ; implicit-def: $vgpr52
	s_and_saveexec_b64 s[92:93], s[60:61]
	s_cbranch_execz .LBB169_2137
; %bb.2136:                             ;   in Loop: Header=BB169_17 Depth=1
	flat_load_ubyte v0, v[0:1]
	s_movk_i32 vcc_lo, 0xff
	s_waitcnt vmcnt(0) lgkmcnt(0)
	v_lshlrev_b32_e32 v1, 23, v0
	v_cmp_ne_u32_e32 vcc, vcc_lo, v0
	v_cndmask_b32_e32 v1, v19, v1, vcc
	v_cmp_ne_u32_e32 vcc, 0, v0
	v_cndmask_b32_e32 v52, v20, v1, vcc
	s_or_b64 vcc, s[88:89], exec
.LBB169_2137:                           ;   in Loop: Header=BB169_17 Depth=1
	s_or_b64 exec, exec, s[92:93]
	s_andn2_b64 s[60:61], s[88:89], exec
	s_and_b64 vcc, vcc, exec
	s_or_b64 s[86:87], s[86:87], exec
	s_andn2_b64 s[82:83], s[82:83], exec
	s_or_b64 s[88:89], s[60:61], vcc
.LBB169_2138:                           ;   in Loop: Header=BB169_17 Depth=1
	s_or_b64 exec, exec, s[90:91]
	s_and_b64 s[86:87], s[86:87], exec
	s_and_b64 vcc, s[82:83], exec
	s_and_b64 s[88:89], s[88:89], exec
                                        ; implicit-def: $vgpr0_vgpr1
.LBB169_2139:                           ;   in Loop: Header=BB169_17 Depth=1
	s_andn2_saveexec_b64 s[80:81], s[80:81]
	s_cbranch_execz .LBB169_2143
; %bb.2140:                             ;   in Loop: Header=BB169_17 Depth=1
	v_cmp_eq_u16_sdwa s[60:61], v8, v21 src0_sel:BYTE_0 src1_sel:DWORD
	s_mov_b64 s[90:91], s[88:89]
                                        ; implicit-def: $vgpr52
	s_and_saveexec_b64 s[82:83], s[60:61]
	s_cbranch_execz .LBB169_2142
; %bb.2141:                             ;   in Loop: Header=BB169_17 Depth=1
	flat_load_dwordx2 v[0:1], v[0:1]
	s_or_b64 s[90:91], s[88:89], exec
	s_waitcnt vmcnt(0) lgkmcnt(0)
	v_ffbh_u32_e32 v52, v1
	v_min_u32_e32 v52, 32, v52
	v_lshlrev_b64 v[0:1], v52, v[0:1]
	v_min_u32_e32 v0, 1, v0
	v_or_b32_e32 v0, v1, v0
	v_cvt_f32_u32_e32 v0, v0
	v_sub_u32_e32 v1, 32, v52
	v_ldexp_f32 v52, v0, v1
.LBB169_2142:                           ;   in Loop: Header=BB169_17 Depth=1
	s_or_b64 exec, exec, s[82:83]
	s_andn2_b64 s[60:61], s[88:89], exec
	s_and_b64 s[82:83], s[90:91], exec
	s_or_b64 s[86:87], s[86:87], exec
	s_andn2_b64 vcc, vcc, exec
	s_or_b64 s[88:89], s[60:61], s[82:83]
.LBB169_2143:                           ;   in Loop: Header=BB169_17 Depth=1
	s_or_b64 exec, exec, s[80:81]
	s_and_b64 s[86:87], s[86:87], exec
	s_and_b64 s[82:83], vcc, exec
	s_and_b64 s[80:81], s[88:89], exec
                                        ; implicit-def: $vgpr0_vgpr1
.LBB169_2144:                           ;   in Loop: Header=BB169_17 Depth=1
	s_andn2_saveexec_b64 s[84:85], s[84:85]
	s_cbranch_execz .LBB169_2158
; %bb.2145:                             ;   in Loop: Header=BB169_17 Depth=1
	v_cmp_gt_i16_sdwa vcc, v8, v22 src0_sel:BYTE_0 src1_sel:DWORD
                                        ; implicit-def: $vgpr52
	s_and_saveexec_b64 s[60:61], vcc
	s_xor_b64 vcc, exec, s[60:61]
	s_cbranch_execz .LBB169_2151
; %bb.2146:                             ;   in Loop: Header=BB169_17 Depth=1
	v_cmp_gt_i16_sdwa s[60:61], v8, v23 src0_sel:BYTE_0 src1_sel:DWORD
                                        ; implicit-def: $vgpr52
	s_and_saveexec_b64 s[88:89], s[60:61]
	s_xor_b64 s[60:61], exec, s[88:89]
	s_cbranch_execz .LBB169_2148
; %bb.2147:                             ;   in Loop: Header=BB169_17 Depth=1
	flat_load_dword v0, v[0:1]
	s_waitcnt vmcnt(0) lgkmcnt(0)
	v_cvt_f32_u32_e32 v52, v0
                                        ; implicit-def: $vgpr0_vgpr1
.LBB169_2148:                           ;   in Loop: Header=BB169_17 Depth=1
	s_andn2_saveexec_b64 s[60:61], s[60:61]
	s_cbranch_execz .LBB169_2150
; %bb.2149:                             ;   in Loop: Header=BB169_17 Depth=1
	flat_load_ushort v0, v[0:1]
	s_waitcnt vmcnt(0) lgkmcnt(0)
	v_cvt_f32_u32_e32 v52, v0
.LBB169_2150:                           ;   in Loop: Header=BB169_17 Depth=1
	s_or_b64 exec, exec, s[60:61]
                                        ; implicit-def: $vgpr0_vgpr1
.LBB169_2151:                           ;   in Loop: Header=BB169_17 Depth=1
	s_andn2_saveexec_b64 s[88:89], vcc
	s_cbranch_execz .LBB169_2157
; %bb.2152:                             ;   in Loop: Header=BB169_17 Depth=1
	flat_load_ubyte v0, v[0:1]
	s_movk_i32 vcc_lo, 0x7f
	s_mov_b64 s[90:91], 0
                                        ; implicit-def: $sgpr94
	s_waitcnt vmcnt(0) lgkmcnt(0)
	v_cmp_lt_i16_e32 vcc, vcc_lo, v0
	s_and_saveexec_b64 s[60:61], vcc
	s_xor_b64 s[92:93], exec, s[60:61]
	s_cbranch_execnz .LBB169_3127
; %bb.2153:                             ;   in Loop: Header=BB169_17 Depth=1
	s_or_saveexec_b64 s[92:93], s[92:93]
	v_mov_b32_e32 v52, s94
	s_xor_b64 exec, exec, s[92:93]
	s_cbranch_execnz .LBB169_3130
.LBB169_2154:                           ;   in Loop: Header=BB169_17 Depth=1
	s_or_b64 exec, exec, s[92:93]
	s_and_saveexec_b64 s[92:93], s[90:91]
	s_cbranch_execz .LBB169_2156
.LBB169_2155:                           ;   in Loop: Header=BB169_17 Depth=1
	v_lshlrev_b32_e32 v1, 24, v0
	v_and_b32_e32 v0, 0xffff, v0
	v_and_b32_e32 v52, 7, v0
	v_ffbh_u32_e32 v55, v52
	v_min_u32_e32 v55, 32, v55
	v_subrev_u32_e32 v64, 28, v55
	v_bfe_u32 v54, v0, 3, 4
	v_lshlrev_b32_e32 v0, v64, v0
	v_sub_u32_e32 v55, 29, v55
	v_and_b32_e32 v0, 7, v0
	v_cmp_eq_u32_e32 vcc, 0, v54
	v_cndmask_b32_e32 v54, v54, v55, vcc
	v_cndmask_b32_e32 v0, v52, v0, vcc
	v_lshlrev_b32_e32 v0, 20, v0
	v_and_b32_e32 v1, 0x80000000, v1
	v_lshl_add_u32 v52, v54, 23, v24
	v_or3_b32 v52, v1, v52, v0
.LBB169_2156:                           ;   in Loop: Header=BB169_17 Depth=1
	s_or_b64 exec, exec, s[92:93]
.LBB169_2157:                           ;   in Loop: Header=BB169_17 Depth=1
	s_or_b64 exec, exec, s[88:89]
	s_andn2_b64 s[86:87], s[86:87], exec
	s_andn2_b64 s[82:83], s[82:83], exec
	s_or_b64 s[80:81], s[80:81], exec
.LBB169_2158:                           ;   in Loop: Header=BB169_17 Depth=1
	s_or_b64 exec, exec, s[84:85]
	s_and_b64 s[84:85], s[86:87], exec
	s_and_b64 s[82:83], s[82:83], exec
	;; [unrolled: 1-line block ×3, first 2 shown]
                                        ; implicit-def: $vgpr0_vgpr1
.LBB169_2159:                           ;   in Loop: Header=BB169_17 Depth=1
	s_andn2_saveexec_b64 s[78:79], s[78:79]
	s_cbranch_execz .LBB169_2185
; %bb.2160:                             ;   in Loop: Header=BB169_17 Depth=1
	v_cmp_gt_i16_sdwa vcc, v8, v25 src0_sel:BYTE_0 src1_sel:DWORD
	s_mov_b64 s[88:89], s[80:81]
                                        ; implicit-def: $vgpr52
	s_and_saveexec_b64 s[60:61], vcc
	s_xor_b64 s[86:87], exec, s[60:61]
	s_cbranch_execz .LBB169_2174
; %bb.2161:                             ;   in Loop: Header=BB169_17 Depth=1
	v_cmp_gt_i16_sdwa vcc, v8, v26 src0_sel:BYTE_0 src1_sel:DWORD
                                        ; implicit-def: $vgpr52
	s_and_saveexec_b64 s[60:61], vcc
	s_xor_b64 s[88:89], exec, s[60:61]
	s_cbranch_execz .LBB169_2171
; %bb.2162:                             ;   in Loop: Header=BB169_17 Depth=1
	v_cmp_gt_i16_sdwa vcc, v8, v27 src0_sel:BYTE_0 src1_sel:DWORD
                                        ; implicit-def: $vgpr52
	s_and_saveexec_b64 s[60:61], vcc
	s_xor_b64 s[90:91], exec, s[60:61]
	s_cbranch_execz .LBB169_2168
; %bb.2163:                             ;   in Loop: Header=BB169_17 Depth=1
	flat_load_ubyte v0, v[0:1]
	s_movk_i32 vcc_lo, 0x7f
	s_mov_b64 s[92:93], 0
                                        ; implicit-def: $sgpr96
	s_waitcnt vmcnt(0) lgkmcnt(0)
	v_cmp_lt_i16_e32 vcc, vcc_lo, v0
	s_and_saveexec_b64 s[60:61], vcc
	s_xor_b64 s[94:95], exec, s[60:61]
	s_cbranch_execnz .LBB169_3346
; %bb.2164:                             ;   in Loop: Header=BB169_17 Depth=1
	s_or_saveexec_b64 s[94:95], s[94:95]
	v_mov_b32_e32 v52, s96
	s_xor_b64 exec, exec, s[94:95]
	s_cbranch_execnz .LBB169_3349
.LBB169_2165:                           ;   in Loop: Header=BB169_17 Depth=1
	s_or_b64 exec, exec, s[94:95]
	s_and_saveexec_b64 s[94:95], s[92:93]
	s_cbranch_execz .LBB169_2167
.LBB169_2166:                           ;   in Loop: Header=BB169_17 Depth=1
	v_lshlrev_b32_e32 v1, 24, v0
	v_and_b32_e32 v0, 0xffff, v0
	v_and_b32_e32 v52, 3, v0
	v_ffbh_u32_e32 v55, v52
	v_min_u32_e32 v55, 32, v55
	v_subrev_u32_e32 v64, 29, v55
	v_bfe_u32 v54, v0, 2, 5
	v_lshlrev_b32_e32 v0, v64, v0
	v_sub_u32_e32 v55, 30, v55
	v_and_b32_e32 v0, 3, v0
	v_cmp_eq_u32_e32 vcc, 0, v54
	v_cndmask_b32_e32 v54, v54, v55, vcc
	v_cndmask_b32_e32 v0, v52, v0, vcc
	v_lshlrev_b32_e32 v0, 21, v0
	v_and_b32_e32 v1, 0x80000000, v1
	v_lshl_add_u32 v52, v54, 23, v28
	v_or3_b32 v52, v1, v52, v0
.LBB169_2167:                           ;   in Loop: Header=BB169_17 Depth=1
	s_or_b64 exec, exec, s[94:95]
                                        ; implicit-def: $vgpr0_vgpr1
.LBB169_2168:                           ;   in Loop: Header=BB169_17 Depth=1
	s_andn2_saveexec_b64 s[90:91], s[90:91]
	s_cbranch_execz .LBB169_2170
; %bb.2169:                             ;   in Loop: Header=BB169_17 Depth=1
	flat_load_ubyte v0, v[0:1]
	s_mov_b32 vcc_lo, 0x7f800000
	s_waitcnt vmcnt(0) lgkmcnt(0)
	v_lshlrev_b32_e32 v0, 24, v0
	v_and_b32_e32 v1, 0x7f000000, v0
	v_ffbh_u32_e32 v52, v1
	v_min_u32_e32 v52, 32, v52
	v_sub_u32_e64 v52, v52, 4 clamp
	v_lshlrev_b32_e32 v55, v52, v1
	v_lshlrev_b32_e32 v52, 23, v52
	v_lshrrev_b32_e32 v55, 4, v55
	v_add_u32_e32 v54, 0x1000000, v1
	v_sub_u32_e32 v52, v55, v52
	v_ashrrev_i32_e32 v54, 8, v54
	v_add_u32_e32 v52, 0x3c000000, v52
	v_and_or_b32 v52, v54, vcc_lo, v52
	v_cmp_ne_u32_e32 vcc, 0, v1
	v_cndmask_b32_e32 v1, 0, v52, vcc
	s_brev_b32 vcc_lo, 1
	v_and_or_b32 v52, v0, vcc_lo, v1
.LBB169_2170:                           ;   in Loop: Header=BB169_17 Depth=1
	s_or_b64 exec, exec, s[90:91]
                                        ; implicit-def: $vgpr0_vgpr1
.LBB169_2171:                           ;   in Loop: Header=BB169_17 Depth=1
	s_andn2_saveexec_b64 s[88:89], s[88:89]
	s_cbranch_execz .LBB169_2173
; %bb.2172:                             ;   in Loop: Header=BB169_17 Depth=1
	flat_load_ubyte v0, v[0:1]
	s_movk_i32 vcc_lo, 0x7f00
	s_waitcnt vmcnt(0) lgkmcnt(0)
	v_lshlrev_b16_e32 v1, 8, v0
	v_lshlrev_b32_e32 v0, 25, v0
	v_lshrrev_b32_e32 v52, 4, v0
	v_and_or_b32 v54, v1, vcc_lo, 0.5
	v_or_b32_e32 v52, 0x70000000, v52
	s_brev_b32 vcc_lo, 16
	v_add_f32_e32 v54, -0.5, v54
	v_mul_f32_e32 v52, 0x7800000, v52
	v_cmp_gt_u32_e32 vcc, vcc_lo, v0
	v_cndmask_b32_e32 v0, v52, v54, vcc
	v_bfe_i32 v1, v1, 0, 16
	s_brev_b32 vcc_lo, 1
	v_and_or_b32 v52, v1, vcc_lo, v0
.LBB169_2173:                           ;   in Loop: Header=BB169_17 Depth=1
	s_or_b64 exec, exec, s[88:89]
	s_or_b64 s[88:89], s[80:81], exec
                                        ; implicit-def: $vgpr0_vgpr1
.LBB169_2174:                           ;   in Loop: Header=BB169_17 Depth=1
	s_or_saveexec_b64 s[86:87], s[86:87]
                                        ; implicit-def: $vcc
                                        ; implicit-def: $sgpr94_sgpr95
	s_xor_b64 exec, exec, s[86:87]
	s_cbranch_execz .LBB169_2184
; %bb.2175:                             ;   in Loop: Header=BB169_17 Depth=1
	v_cmp_gt_i16_sdwa vcc, v8, v29 src0_sel:BYTE_0 src1_sel:DWORD
	s_mov_b64 s[92:93], s[88:89]
                                        ; implicit-def: $sgpr94_sgpr95
                                        ; implicit-def: $sgpr90_sgpr91
                                        ; implicit-def: $vgpr52
	s_and_saveexec_b64 s[60:61], vcc
	s_xor_b64 vcc, exec, s[60:61]
	s_cbranch_execz .LBB169_2179
; %bb.2176:                             ;   in Loop: Header=BB169_17 Depth=1
	v_cmp_eq_u16_sdwa s[90:91], v8, v32 src0_sel:BYTE_0 src1_sel:DWORD
	s_mov_b64 s[92:93], s[88:89]
                                        ; implicit-def: $vgpr52
	s_and_saveexec_b64 s[60:61], s[90:91]
	s_cbranch_execz .LBB169_2178
; %bb.2177:                             ;   in Loop: Header=BB169_17 Depth=1
	flat_load_ushort v0, v[0:1]
	s_or_b64 s[92:93], s[88:89], exec
	s_waitcnt vmcnt(0) lgkmcnt(0)
	v_lshlrev_b32_e32 v52, 16, v0
.LBB169_2178:                           ;   in Loop: Header=BB169_17 Depth=1
	s_or_b64 exec, exec, s[60:61]
	s_andn2_b64 s[60:61], s[88:89], exec
	s_and_b64 s[92:93], s[92:93], exec
	s_mov_b64 s[90:91], 0
	s_mov_b64 s[94:95], -1
	s_or_b64 s[92:93], s[60:61], s[92:93]
                                        ; implicit-def: $vgpr0_vgpr1
.LBB169_2179:                           ;   in Loop: Header=BB169_17 Depth=1
	s_andn2_saveexec_b64 s[96:97], vcc
	s_cbranch_execz .LBB169_2183
; %bb.2180:                             ;   in Loop: Header=BB169_17 Depth=1
	v_cmp_eq_u16_sdwa s[62:63], v8, v33 src0_sel:BYTE_0 src1_sel:DWORD
	s_mov_b64 vcc, s[92:93]
                                        ; implicit-def: $vgpr52
	s_and_saveexec_b64 s[60:61], s[62:63]
	s_cbranch_execz .LBB169_2182
; %bb.2181:                             ;   in Loop: Header=BB169_17 Depth=1
	flat_load_ubyte v0, v[0:1]
	s_waitcnt vmcnt(0) lgkmcnt(0)
	v_cmp_ne_u16_e32 vcc, 0, v0
	v_cndmask_b32_e64 v52, 0, 1.0, vcc
	s_or_b64 vcc, s[92:93], exec
.LBB169_2182:                           ;   in Loop: Header=BB169_17 Depth=1
	s_or_b64 exec, exec, s[60:61]
	s_andn2_b64 s[60:61], s[92:93], exec
	s_and_b64 vcc, vcc, exec
	s_or_b64 s[94:95], s[94:95], exec
	s_andn2_b64 s[90:91], s[90:91], exec
	s_or_b64 s[92:93], s[60:61], vcc
.LBB169_2183:                           ;   in Loop: Header=BB169_17 Depth=1
	s_or_b64 exec, exec, s[96:97]
	s_andn2_b64 s[60:61], s[88:89], exec
	s_and_b64 s[62:63], s[92:93], exec
	s_and_b64 s[94:95], s[94:95], exec
	s_and_b64 vcc, s[90:91], exec
	s_or_b64 s[88:89], s[60:61], s[62:63]
.LBB169_2184:                           ;   in Loop: Header=BB169_17 Depth=1
	s_or_b64 exec, exec, s[86:87]
	s_andn2_b64 s[60:61], s[84:85], exec
	s_and_b64 s[84:85], s[94:95], exec
	s_or_b64 s[84:85], s[60:61], s[84:85]
	s_andn2_b64 s[60:61], s[82:83], exec
	s_and_b64 vcc, vcc, exec
	s_or_b64 s[82:83], s[60:61], vcc
	s_andn2_b64 vcc, s[80:81], exec
	s_and_b64 s[60:61], s[88:89], exec
	s_or_b64 s[80:81], vcc, s[60:61]
.LBB169_2185:                           ;   in Loop: Header=BB169_17 Depth=1
	s_or_b64 exec, exec, s[78:79]
	s_and_b64 s[78:79], s[84:85], exec
	s_and_b64 vcc, s[82:83], exec
	s_and_b64 s[80:81], s[80:81], exec
                                        ; implicit-def: $vgpr0_vgpr1
	s_andn2_saveexec_b64 s[76:77], s[76:77]
	s_cbranch_execz .LBB169_2102
.LBB169_2186:                           ;   in Loop: Header=BB169_17 Depth=1
	v_cmp_gt_i16_sdwa s[60:61], v8, v34 src0_sel:BYTE_0 src1_sel:DWORD
                                        ; implicit-def: $vgpr52
	s_and_saveexec_b64 s[62:63], s[60:61]
	s_xor_b64 s[82:83], exec, s[62:63]
	s_cbranch_execz .LBB169_2208
; %bb.2187:                             ;   in Loop: Header=BB169_17 Depth=1
	v_cmp_gt_i16_sdwa s[60:61], v8, v35 src0_sel:BYTE_0 src1_sel:DWORD
                                        ; implicit-def: $vgpr52
	s_and_saveexec_b64 s[62:63], s[60:61]
	s_xor_b64 s[84:85], exec, s[62:63]
	s_cbranch_execz .LBB169_2197
; %bb.2188:                             ;   in Loop: Header=BB169_17 Depth=1
	;; [unrolled: 6-line block ×4, first 2 shown]
	flat_load_dwordx2 v[0:1], v[0:1]
	s_waitcnt vmcnt(0) lgkmcnt(0)
	v_cvt_f32_f64_e32 v52, v[0:1]
                                        ; implicit-def: $vgpr0_vgpr1
.LBB169_2191:                           ;   in Loop: Header=BB169_17 Depth=1
	s_andn2_saveexec_b64 s[60:61], s[60:61]
	s_cbranch_execz .LBB169_2193
; %bb.2192:                             ;   in Loop: Header=BB169_17 Depth=1
	flat_load_dword v52, v[0:1]
.LBB169_2193:                           ;   in Loop: Header=BB169_17 Depth=1
	s_or_b64 exec, exec, s[60:61]
                                        ; implicit-def: $vgpr0_vgpr1
.LBB169_2194:                           ;   in Loop: Header=BB169_17 Depth=1
	s_andn2_saveexec_b64 s[60:61], s[86:87]
	s_cbranch_execz .LBB169_2196
; %bb.2195:                             ;   in Loop: Header=BB169_17 Depth=1
	flat_load_dword v0, v[0:1]
	s_waitcnt vmcnt(0) lgkmcnt(0)
	v_cvt_f32_f16_e32 v52, v0
.LBB169_2196:                           ;   in Loop: Header=BB169_17 Depth=1
	s_or_b64 exec, exec, s[60:61]
                                        ; implicit-def: $vgpr0_vgpr1
.LBB169_2197:                           ;   in Loop: Header=BB169_17 Depth=1
	s_andn2_saveexec_b64 s[84:85], s[84:85]
	s_cbranch_execz .LBB169_2207
; %bb.2198:                             ;   in Loop: Header=BB169_17 Depth=1
	v_cmp_gt_i16_sdwa s[60:61], v8, v38 src0_sel:BYTE_0 src1_sel:DWORD
                                        ; implicit-def: $vgpr52
	s_and_saveexec_b64 s[62:63], s[60:61]
	s_xor_b64 s[86:87], exec, s[62:63]
	s_cbranch_execz .LBB169_2204
; %bb.2199:                             ;   in Loop: Header=BB169_17 Depth=1
	v_cmp_gt_i16_sdwa s[60:61], v8, v39 src0_sel:BYTE_0 src1_sel:DWORD
                                        ; implicit-def: $vgpr52
	s_and_saveexec_b64 s[62:63], s[60:61]
	s_xor_b64 s[60:61], exec, s[62:63]
	s_cbranch_execz .LBB169_2201
; %bb.2200:                             ;   in Loop: Header=BB169_17 Depth=1
	flat_load_dwordx2 v[0:1], v[0:1]
	s_waitcnt vmcnt(0) lgkmcnt(0)
	v_cvt_f32_f64_e32 v52, v[0:1]
                                        ; implicit-def: $vgpr0_vgpr1
.LBB169_2201:                           ;   in Loop: Header=BB169_17 Depth=1
	s_andn2_saveexec_b64 s[60:61], s[60:61]
	s_cbranch_execz .LBB169_2203
; %bb.2202:                             ;   in Loop: Header=BB169_17 Depth=1
	s_waitcnt vmcnt(0) lgkmcnt(0)
	flat_load_dword v52, v[0:1]
.LBB169_2203:                           ;   in Loop: Header=BB169_17 Depth=1
	s_or_b64 exec, exec, s[60:61]
                                        ; implicit-def: $vgpr0_vgpr1
.LBB169_2204:                           ;   in Loop: Header=BB169_17 Depth=1
	s_andn2_saveexec_b64 s[60:61], s[86:87]
	s_cbranch_execz .LBB169_2206
; %bb.2205:                             ;   in Loop: Header=BB169_17 Depth=1
	flat_load_ushort v0, v[0:1]
	s_waitcnt vmcnt(0) lgkmcnt(0)
	v_cvt_f32_f16_e32 v52, v0
.LBB169_2206:                           ;   in Loop: Header=BB169_17 Depth=1
	s_or_b64 exec, exec, s[60:61]
.LBB169_2207:                           ;   in Loop: Header=BB169_17 Depth=1
	s_or_b64 exec, exec, s[84:85]
                                        ; implicit-def: $vgpr0_vgpr1
.LBB169_2208:                           ;   in Loop: Header=BB169_17 Depth=1
	s_andn2_saveexec_b64 s[82:83], s[82:83]
	s_cbranch_execz .LBB169_2226
; %bb.2209:                             ;   in Loop: Header=BB169_17 Depth=1
	v_cmp_gt_i16_sdwa s[60:61], v8, v48 src0_sel:BYTE_0 src1_sel:DWORD
                                        ; implicit-def: $vgpr52
	s_and_saveexec_b64 s[62:63], s[60:61]
	s_xor_b64 s[84:85], exec, s[62:63]
	s_cbranch_execz .LBB169_2219
; %bb.2210:                             ;   in Loop: Header=BB169_17 Depth=1
	v_cmp_gt_i16_sdwa s[60:61], v8, v49 src0_sel:BYTE_0 src1_sel:DWORD
                                        ; implicit-def: $vgpr52
	s_and_saveexec_b64 s[62:63], s[60:61]
	s_xor_b64 s[86:87], exec, s[62:63]
	;; [unrolled: 6-line block ×3, first 2 shown]
	s_cbranch_execz .LBB169_2213
; %bb.2212:                             ;   in Loop: Header=BB169_17 Depth=1
	flat_load_dwordx2 v[0:1], v[0:1]
	s_waitcnt vmcnt(0) lgkmcnt(0)
	v_xor_b32_e32 v54, v0, v1
	v_ffbh_i32_e32 v52, v1
	v_ashrrev_i32_e32 v54, 31, v54
	v_add_u32_e32 v52, -1, v52
	v_add_u32_e32 v54, 32, v54
	v_min_u32_e32 v52, v52, v54
	v_lshlrev_b64 v[0:1], v52, v[0:1]
	v_min_u32_e32 v0, 1, v0
	v_or_b32_e32 v0, v1, v0
	v_cvt_f32_i32_e32 v0, v0
	v_sub_u32_e32 v1, 32, v52
	v_ldexp_f32 v52, v0, v1
                                        ; implicit-def: $vgpr0_vgpr1
.LBB169_2213:                           ;   in Loop: Header=BB169_17 Depth=1
	s_andn2_saveexec_b64 s[60:61], s[88:89]
	s_cbranch_execz .LBB169_2215
; %bb.2214:                             ;   in Loop: Header=BB169_17 Depth=1
	flat_load_dword v0, v[0:1]
	s_waitcnt vmcnt(0) lgkmcnt(0)
	v_cvt_f32_i32_e32 v52, v0
.LBB169_2215:                           ;   in Loop: Header=BB169_17 Depth=1
	s_or_b64 exec, exec, s[60:61]
                                        ; implicit-def: $vgpr0_vgpr1
.LBB169_2216:                           ;   in Loop: Header=BB169_17 Depth=1
	s_andn2_saveexec_b64 s[60:61], s[86:87]
	s_cbranch_execz .LBB169_2218
; %bb.2217:                             ;   in Loop: Header=BB169_17 Depth=1
	flat_load_sshort v0, v[0:1]
	s_waitcnt vmcnt(0) lgkmcnt(0)
	v_cvt_f32_i32_e32 v52, v0
.LBB169_2218:                           ;   in Loop: Header=BB169_17 Depth=1
	s_or_b64 exec, exec, s[60:61]
                                        ; implicit-def: $vgpr0_vgpr1
.LBB169_2219:                           ;   in Loop: Header=BB169_17 Depth=1
	s_andn2_saveexec_b64 s[84:85], s[84:85]
	s_cbranch_execz .LBB169_2225
; %bb.2220:                             ;   in Loop: Header=BB169_17 Depth=1
	v_cmp_gt_i16_sdwa s[60:61], v8, v6 src0_sel:BYTE_0 src1_sel:DWORD
                                        ; implicit-def: $vgpr52
	s_and_saveexec_b64 s[62:63], s[60:61]
	s_xor_b64 s[60:61], exec, s[62:63]
	s_cbranch_execz .LBB169_2222
; %bb.2221:                             ;   in Loop: Header=BB169_17 Depth=1
	flat_load_sbyte v0, v[0:1]
	s_waitcnt vmcnt(0) lgkmcnt(0)
	v_cvt_f32_i32_e32 v52, v0
                                        ; implicit-def: $vgpr0_vgpr1
.LBB169_2222:                           ;   in Loop: Header=BB169_17 Depth=1
	s_andn2_saveexec_b64 s[60:61], s[60:61]
	s_cbranch_execz .LBB169_2224
; %bb.2223:                             ;   in Loop: Header=BB169_17 Depth=1
	flat_load_ubyte v0, v[0:1]
	s_waitcnt vmcnt(0) lgkmcnt(0)
	v_cvt_f32_ubyte0_e32 v52, v0
.LBB169_2224:                           ;   in Loop: Header=BB169_17 Depth=1
	s_or_b64 exec, exec, s[60:61]
.LBB169_2225:                           ;   in Loop: Header=BB169_17 Depth=1
	s_or_b64 exec, exec, s[84:85]
.LBB169_2226:                           ;   in Loop: Header=BB169_17 Depth=1
	s_or_b64 exec, exec, s[82:83]
	s_andn2_b64 s[78:79], s[78:79], exec
	s_andn2_b64 vcc, vcc, exec
	s_or_b64 s[80:81], s[80:81], exec
	s_or_b64 exec, exec, s[76:77]
	s_mov_b64 s[76:77], 0
	s_and_saveexec_b64 s[82:83], s[80:81]
	s_cbranch_execnz .LBB169_2103
	s_branch .LBB169_2104
.LBB169_2227:                           ;   in Loop: Header=BB169_17 Depth=1
	v_cmp_gt_i16_sdwa vcc, v7, v13 src0_sel:BYTE_0 src1_sel:DWORD
	s_mov_b64 s[82:83], 0
                                        ; implicit-def: $sgpr84_sgpr85
                                        ; implicit-def: $sgpr74_sgpr75
                                        ; implicit-def: $vgpr54
	s_and_saveexec_b64 s[60:61], vcc
	s_xor_b64 s[72:73], exec, s[60:61]
	s_cbranch_execz .LBB169_2259
; %bb.2228:                             ;   in Loop: Header=BB169_17 Depth=1
	v_cmp_gt_i16_sdwa vcc, v7, v14 src0_sel:BYTE_0 src1_sel:DWORD
                                        ; implicit-def: $sgpr84_sgpr85
                                        ; implicit-def: $sgpr86_sgpr87
                                        ; implicit-def: $vgpr54
	s_and_saveexec_b64 s[60:61], vcc
	s_xor_b64 s[74:75], exec, s[60:61]
	s_cbranch_execz .LBB169_2244
; %bb.2229:                             ;   in Loop: Header=BB169_17 Depth=1
	v_cmp_gt_i16_sdwa s[60:61], v7, v15 src0_sel:BYTE_0 src1_sel:DWORD
	s_mov_b64 s[88:89], 0
                                        ; implicit-def: $vcc
                                        ; implicit-def: $sgpr84_sgpr85
                                        ; implicit-def: $vgpr54
	s_and_saveexec_b64 s[62:63], s[60:61]
	s_xor_b64 s[82:83], exec, s[62:63]
	s_cbranch_execz .LBB169_2239
; %bb.2230:                             ;   in Loop: Header=BB169_17 Depth=1
	v_cmp_gt_i16_sdwa vcc, v7, v16 src0_sel:BYTE_0 src1_sel:DWORD
	s_mov_b64 s[86:87], 0
                                        ; implicit-def: $sgpr84_sgpr85
                                        ; implicit-def: $sgpr88_sgpr89
                                        ; implicit-def: $vgpr54
	s_and_saveexec_b64 s[60:61], vcc
	s_xor_b64 vcc, exec, s[60:61]
	s_cbranch_execz .LBB169_2234
; %bb.2231:                             ;   in Loop: Header=BB169_17 Depth=1
	v_cmp_eq_u16_sdwa s[62:63], v7, v17 src0_sel:BYTE_0 src1_sel:DWORD
	s_mov_b64 s[84:85], 0
	s_mov_b64 s[66:67], 0
                                        ; implicit-def: $vgpr54
	s_and_saveexec_b64 s[60:61], s[62:63]
	s_cbranch_execz .LBB169_2233
; %bb.2232:                             ;   in Loop: Header=BB169_17 Depth=1
	flat_load_dword v0, v[0:1]
	s_mov_b64 s[66:67], exec
	s_waitcnt vmcnt(0) lgkmcnt(0)
	v_lshlrev_b32_e32 v54, 16, v0
.LBB169_2233:                           ;   in Loop: Header=BB169_17 Depth=1
	s_or_b64 exec, exec, s[60:61]
	s_mov_b64 s[88:89], -1
	s_and_b64 s[86:87], s[66:67], exec
                                        ; implicit-def: $vgpr0_vgpr1
.LBB169_2234:                           ;   in Loop: Header=BB169_17 Depth=1
	s_andn2_saveexec_b64 s[66:67], vcc
	s_cbranch_execz .LBB169_2238
; %bb.2235:                             ;   in Loop: Header=BB169_17 Depth=1
	v_cmp_eq_u16_sdwa s[60:61], v7, v18 src0_sel:BYTE_0 src1_sel:DWORD
	s_mov_b64 vcc, s[86:87]
                                        ; implicit-def: $vgpr54
	s_and_saveexec_b64 s[68:69], s[60:61]
	s_cbranch_execz .LBB169_2237
; %bb.2236:                             ;   in Loop: Header=BB169_17 Depth=1
	flat_load_ubyte v0, v[0:1]
	s_movk_i32 vcc_lo, 0xff
	s_waitcnt vmcnt(0) lgkmcnt(0)
	v_lshlrev_b32_e32 v1, 23, v0
	v_cmp_ne_u32_e32 vcc, vcc_lo, v0
	v_cndmask_b32_e32 v1, v19, v1, vcc
	v_cmp_ne_u32_e32 vcc, 0, v0
	v_cndmask_b32_e32 v54, v20, v1, vcc
	s_or_b64 vcc, s[86:87], exec
.LBB169_2237:                           ;   in Loop: Header=BB169_17 Depth=1
	s_or_b64 exec, exec, s[68:69]
	s_andn2_b64 s[60:61], s[86:87], exec
	s_and_b64 vcc, vcc, exec
	s_andn2_b64 s[84:85], s[84:85], exec
	s_or_b64 s[88:89], s[88:89], exec
	s_or_b64 s[86:87], s[60:61], vcc
.LBB169_2238:                           ;   in Loop: Header=BB169_17 Depth=1
	s_or_b64 exec, exec, s[66:67]
	s_and_b64 s[84:85], s[84:85], exec
	s_and_b64 vcc, s[88:89], exec
	s_and_b64 s[88:89], s[86:87], exec
                                        ; implicit-def: $vgpr0_vgpr1
.LBB169_2239:                           ;   in Loop: Header=BB169_17 Depth=1
	s_andn2_saveexec_b64 s[66:67], s[82:83]
	s_cbranch_execz .LBB169_2243
; %bb.2240:                             ;   in Loop: Header=BB169_17 Depth=1
	v_cmp_eq_u16_sdwa s[60:61], v7, v21 src0_sel:BYTE_0 src1_sel:DWORD
	s_mov_b64 s[70:71], s[88:89]
                                        ; implicit-def: $vgpr54
	s_and_saveexec_b64 s[68:69], s[60:61]
	s_cbranch_execz .LBB169_2242
; %bb.2241:                             ;   in Loop: Header=BB169_17 Depth=1
	flat_load_dwordx2 v[0:1], v[0:1]
	s_or_b64 s[70:71], s[88:89], exec
	s_waitcnt vmcnt(0) lgkmcnt(0)
	v_ffbh_u32_e32 v52, v1
	v_min_u32_e32 v52, 32, v52
	v_lshlrev_b64 v[0:1], v52, v[0:1]
	v_min_u32_e32 v0, 1, v0
	v_or_b32_e32 v0, v1, v0
	v_cvt_f32_u32_e32 v0, v0
	v_sub_u32_e32 v1, 32, v52
	v_ldexp_f32 v54, v0, v1
.LBB169_2242:                           ;   in Loop: Header=BB169_17 Depth=1
	s_or_b64 exec, exec, s[68:69]
	s_andn2_b64 s[60:61], s[88:89], exec
	s_and_b64 s[62:63], s[70:71], exec
	s_andn2_b64 s[84:85], s[84:85], exec
	s_or_b64 vcc, vcc, exec
	s_or_b64 s[88:89], s[60:61], s[62:63]
.LBB169_2243:                           ;   in Loop: Header=BB169_17 Depth=1
	s_or_b64 exec, exec, s[66:67]
	s_and_b64 s[86:87], s[84:85], exec
	s_and_b64 s[84:85], vcc, exec
	s_and_b64 s[82:83], s[88:89], exec
                                        ; implicit-def: $vgpr0_vgpr1
.LBB169_2244:                           ;   in Loop: Header=BB169_17 Depth=1
	s_andn2_saveexec_b64 s[74:75], s[74:75]
	s_cbranch_execz .LBB169_2258
; %bb.2245:                             ;   in Loop: Header=BB169_17 Depth=1
	v_cmp_gt_i16_sdwa vcc, v7, v22 src0_sel:BYTE_0 src1_sel:DWORD
                                        ; implicit-def: $vgpr54
	s_and_saveexec_b64 s[60:61], vcc
	s_xor_b64 vcc, exec, s[60:61]
	s_cbranch_execz .LBB169_2251
; %bb.2246:                             ;   in Loop: Header=BB169_17 Depth=1
	v_cmp_gt_i16_sdwa s[60:61], v7, v23 src0_sel:BYTE_0 src1_sel:DWORD
                                        ; implicit-def: $vgpr54
	s_and_saveexec_b64 s[62:63], s[60:61]
	s_xor_b64 s[60:61], exec, s[62:63]
	s_cbranch_execz .LBB169_2248
; %bb.2247:                             ;   in Loop: Header=BB169_17 Depth=1
	flat_load_dword v0, v[0:1]
	s_waitcnt vmcnt(0) lgkmcnt(0)
	v_cvt_f32_u32_e32 v54, v0
                                        ; implicit-def: $vgpr0_vgpr1
.LBB169_2248:                           ;   in Loop: Header=BB169_17 Depth=1
	s_andn2_saveexec_b64 s[60:61], s[60:61]
	s_cbranch_execz .LBB169_2250
; %bb.2249:                             ;   in Loop: Header=BB169_17 Depth=1
	flat_load_ushort v0, v[0:1]
	s_waitcnt vmcnt(0) lgkmcnt(0)
	v_cvt_f32_u32_e32 v54, v0
.LBB169_2250:                           ;   in Loop: Header=BB169_17 Depth=1
	s_or_b64 exec, exec, s[60:61]
                                        ; implicit-def: $vgpr0_vgpr1
.LBB169_2251:                           ;   in Loop: Header=BB169_17 Depth=1
	s_andn2_saveexec_b64 s[88:89], vcc
	s_cbranch_execz .LBB169_2257
; %bb.2252:                             ;   in Loop: Header=BB169_17 Depth=1
	flat_load_ubyte v0, v[0:1]
	s_movk_i32 vcc_lo, 0x7f
	s_mov_b64 s[66:67], 0
                                        ; implicit-def: $sgpr70
	s_waitcnt vmcnt(0) lgkmcnt(0)
	v_cmp_lt_i16_e32 vcc, vcc_lo, v0
	s_and_saveexec_b64 s[60:61], vcc
	s_xor_b64 s[68:69], exec, s[60:61]
	s_cbranch_execnz .LBB169_3131
; %bb.2253:                             ;   in Loop: Header=BB169_17 Depth=1
	s_or_saveexec_b64 s[68:69], s[68:69]
	v_mov_b32_e32 v54, s70
	s_xor_b64 exec, exec, s[68:69]
	s_cbranch_execnz .LBB169_3134
.LBB169_2254:                           ;   in Loop: Header=BB169_17 Depth=1
	s_or_b64 exec, exec, s[68:69]
	s_and_saveexec_b64 s[68:69], s[66:67]
	s_cbranch_execz .LBB169_2256
.LBB169_2255:                           ;   in Loop: Header=BB169_17 Depth=1
	v_lshlrev_b32_e32 v1, 24, v0
	v_and_b32_e32 v0, 0xffff, v0
	v_and_b32_e32 v52, 7, v0
	v_ffbh_u32_e32 v55, v52
	v_min_u32_e32 v55, 32, v55
	v_subrev_u32_e32 v64, 28, v55
	v_bfe_u32 v54, v0, 3, 4
	v_lshlrev_b32_e32 v0, v64, v0
	v_sub_u32_e32 v55, 29, v55
	v_and_b32_e32 v0, 7, v0
	v_cmp_eq_u32_e32 vcc, 0, v54
	v_cndmask_b32_e32 v54, v54, v55, vcc
	v_cndmask_b32_e32 v0, v52, v0, vcc
	v_lshlrev_b32_e32 v0, 20, v0
	v_and_b32_e32 v1, 0x80000000, v1
	v_lshl_add_u32 v52, v54, 23, v24
	v_or3_b32 v54, v1, v52, v0
.LBB169_2256:                           ;   in Loop: Header=BB169_17 Depth=1
	s_or_b64 exec, exec, s[68:69]
.LBB169_2257:                           ;   in Loop: Header=BB169_17 Depth=1
	s_or_b64 exec, exec, s[88:89]
	s_andn2_b64 s[86:87], s[86:87], exec
	s_andn2_b64 s[84:85], s[84:85], exec
	s_or_b64 s[82:83], s[82:83], exec
.LBB169_2258:                           ;   in Loop: Header=BB169_17 Depth=1
	s_or_b64 exec, exec, s[74:75]
	s_and_b64 s[74:75], s[86:87], exec
	s_and_b64 s[84:85], s[84:85], exec
	;; [unrolled: 1-line block ×3, first 2 shown]
                                        ; implicit-def: $vgpr0_vgpr1
.LBB169_2259:                           ;   in Loop: Header=BB169_17 Depth=1
	s_andn2_saveexec_b64 s[72:73], s[72:73]
	s_cbranch_execz .LBB169_2285
; %bb.2260:                             ;   in Loop: Header=BB169_17 Depth=1
	v_cmp_gt_i16_sdwa vcc, v7, v25 src0_sel:BYTE_0 src1_sel:DWORD
	s_mov_b64 s[88:89], s[82:83]
                                        ; implicit-def: $vgpr54
	s_and_saveexec_b64 s[60:61], vcc
	s_xor_b64 s[86:87], exec, s[60:61]
	s_cbranch_execz .LBB169_2274
; %bb.2261:                             ;   in Loop: Header=BB169_17 Depth=1
	v_cmp_gt_i16_sdwa vcc, v7, v26 src0_sel:BYTE_0 src1_sel:DWORD
                                        ; implicit-def: $vgpr54
	s_and_saveexec_b64 s[60:61], vcc
	s_xor_b64 s[88:89], exec, s[60:61]
	s_cbranch_execz .LBB169_2271
; %bb.2262:                             ;   in Loop: Header=BB169_17 Depth=1
	v_cmp_gt_i16_sdwa vcc, v7, v27 src0_sel:BYTE_0 src1_sel:DWORD
                                        ; implicit-def: $vgpr54
	s_and_saveexec_b64 s[60:61], vcc
	s_xor_b64 s[90:91], exec, s[60:61]
	s_cbranch_execz .LBB169_2268
; %bb.2263:                             ;   in Loop: Header=BB169_17 Depth=1
	flat_load_ubyte v0, v[0:1]
	s_movk_i32 vcc_lo, 0x7f
	s_mov_b64 s[66:67], 0
                                        ; implicit-def: $sgpr70
	s_waitcnt vmcnt(0) lgkmcnt(0)
	v_cmp_lt_i16_e32 vcc, vcc_lo, v0
	s_and_saveexec_b64 s[60:61], vcc
	s_xor_b64 s[68:69], exec, s[60:61]
	s_cbranch_execnz .LBB169_3350
; %bb.2264:                             ;   in Loop: Header=BB169_17 Depth=1
	s_or_saveexec_b64 s[68:69], s[68:69]
	v_mov_b32_e32 v54, s70
	s_xor_b64 exec, exec, s[68:69]
	s_cbranch_execnz .LBB169_3353
.LBB169_2265:                           ;   in Loop: Header=BB169_17 Depth=1
	s_or_b64 exec, exec, s[68:69]
	s_and_saveexec_b64 s[68:69], s[66:67]
	s_cbranch_execz .LBB169_2267
.LBB169_2266:                           ;   in Loop: Header=BB169_17 Depth=1
	v_lshlrev_b32_e32 v1, 24, v0
	v_and_b32_e32 v0, 0xffff, v0
	v_and_b32_e32 v52, 3, v0
	v_ffbh_u32_e32 v55, v52
	v_min_u32_e32 v55, 32, v55
	v_subrev_u32_e32 v64, 29, v55
	v_bfe_u32 v54, v0, 2, 5
	v_lshlrev_b32_e32 v0, v64, v0
	v_sub_u32_e32 v55, 30, v55
	v_and_b32_e32 v0, 3, v0
	v_cmp_eq_u32_e32 vcc, 0, v54
	v_cndmask_b32_e32 v54, v54, v55, vcc
	v_cndmask_b32_e32 v0, v52, v0, vcc
	v_lshlrev_b32_e32 v0, 21, v0
	v_and_b32_e32 v1, 0x80000000, v1
	v_lshl_add_u32 v52, v54, 23, v28
	v_or3_b32 v54, v1, v52, v0
.LBB169_2267:                           ;   in Loop: Header=BB169_17 Depth=1
	s_or_b64 exec, exec, s[68:69]
                                        ; implicit-def: $vgpr0_vgpr1
.LBB169_2268:                           ;   in Loop: Header=BB169_17 Depth=1
	s_andn2_saveexec_b64 s[66:67], s[90:91]
	s_cbranch_execz .LBB169_2270
; %bb.2269:                             ;   in Loop: Header=BB169_17 Depth=1
	flat_load_ubyte v0, v[0:1]
	s_mov_b32 vcc_lo, 0x7f800000
	s_waitcnt vmcnt(0) lgkmcnt(0)
	v_lshlrev_b32_e32 v0, 24, v0
	v_and_b32_e32 v1, 0x7f000000, v0
	v_ffbh_u32_e32 v52, v1
	v_min_u32_e32 v52, 32, v52
	v_sub_u32_e64 v52, v52, 4 clamp
	v_lshlrev_b32_e32 v55, v52, v1
	v_lshlrev_b32_e32 v52, 23, v52
	v_lshrrev_b32_e32 v55, 4, v55
	v_add_u32_e32 v54, 0x1000000, v1
	v_sub_u32_e32 v52, v55, v52
	v_ashrrev_i32_e32 v54, 8, v54
	v_add_u32_e32 v52, 0x3c000000, v52
	v_and_or_b32 v52, v54, vcc_lo, v52
	v_cmp_ne_u32_e32 vcc, 0, v1
	v_cndmask_b32_e32 v1, 0, v52, vcc
	s_brev_b32 vcc_lo, 1
	v_and_or_b32 v54, v0, vcc_lo, v1
.LBB169_2270:                           ;   in Loop: Header=BB169_17 Depth=1
	s_or_b64 exec, exec, s[66:67]
                                        ; implicit-def: $vgpr0_vgpr1
.LBB169_2271:                           ;   in Loop: Header=BB169_17 Depth=1
	s_andn2_saveexec_b64 s[66:67], s[88:89]
	s_cbranch_execz .LBB169_2273
; %bb.2272:                             ;   in Loop: Header=BB169_17 Depth=1
	flat_load_ubyte v0, v[0:1]
	s_movk_i32 vcc_lo, 0x7f00
	s_waitcnt vmcnt(0) lgkmcnt(0)
	v_lshlrev_b16_e32 v1, 8, v0
	v_lshlrev_b32_e32 v0, 25, v0
	v_lshrrev_b32_e32 v52, 4, v0
	v_and_or_b32 v54, v1, vcc_lo, 0.5
	v_or_b32_e32 v52, 0x70000000, v52
	s_brev_b32 vcc_lo, 16
	v_add_f32_e32 v54, -0.5, v54
	v_mul_f32_e32 v52, 0x7800000, v52
	v_cmp_gt_u32_e32 vcc, vcc_lo, v0
	v_cndmask_b32_e32 v0, v52, v54, vcc
	v_bfe_i32 v1, v1, 0, 16
	s_brev_b32 vcc_lo, 1
	v_and_or_b32 v54, v1, vcc_lo, v0
.LBB169_2273:                           ;   in Loop: Header=BB169_17 Depth=1
	s_or_b64 exec, exec, s[66:67]
	s_or_b64 s[88:89], s[82:83], exec
                                        ; implicit-def: $vgpr0_vgpr1
.LBB169_2274:                           ;   in Loop: Header=BB169_17 Depth=1
	s_or_saveexec_b64 s[86:87], s[86:87]
                                        ; implicit-def: $vcc
                                        ; implicit-def: $sgpr66_sgpr67
	s_xor_b64 exec, exec, s[86:87]
	s_cbranch_execz .LBB169_2284
; %bb.2275:                             ;   in Loop: Header=BB169_17 Depth=1
	v_cmp_gt_i16_sdwa vcc, v7, v29 src0_sel:BYTE_0 src1_sel:DWORD
	s_mov_b64 s[92:93], s[88:89]
                                        ; implicit-def: $sgpr66_sgpr67
                                        ; implicit-def: $sgpr90_sgpr91
                                        ; implicit-def: $vgpr54
	s_and_saveexec_b64 s[60:61], vcc
	s_xor_b64 vcc, exec, s[60:61]
	s_cbranch_execz .LBB169_2279
; %bb.2276:                             ;   in Loop: Header=BB169_17 Depth=1
	v_cmp_eq_u16_sdwa s[62:63], v7, v32 src0_sel:BYTE_0 src1_sel:DWORD
	s_mov_b64 s[68:69], s[88:89]
                                        ; implicit-def: $vgpr54
	s_and_saveexec_b64 s[60:61], s[62:63]
	s_cbranch_execz .LBB169_2278
; %bb.2277:                             ;   in Loop: Header=BB169_17 Depth=1
	flat_load_ushort v0, v[0:1]
	s_or_b64 s[68:69], s[88:89], exec
	s_waitcnt vmcnt(0) lgkmcnt(0)
	v_lshlrev_b32_e32 v54, 16, v0
.LBB169_2278:                           ;   in Loop: Header=BB169_17 Depth=1
	s_or_b64 exec, exec, s[60:61]
	s_andn2_b64 s[60:61], s[88:89], exec
	s_and_b64 s[62:63], s[68:69], exec
	s_mov_b64 s[90:91], -1
	s_mov_b64 s[66:67], 0
	s_or_b64 s[92:93], s[60:61], s[62:63]
                                        ; implicit-def: $vgpr0_vgpr1
.LBB169_2279:                           ;   in Loop: Header=BB169_17 Depth=1
	s_andn2_saveexec_b64 s[68:69], vcc
	s_cbranch_execz .LBB169_2283
; %bb.2280:                             ;   in Loop: Header=BB169_17 Depth=1
	v_cmp_eq_u16_sdwa s[62:63], v7, v33 src0_sel:BYTE_0 src1_sel:DWORD
	s_mov_b64 vcc, s[92:93]
                                        ; implicit-def: $vgpr54
	s_and_saveexec_b64 s[60:61], s[62:63]
	s_cbranch_execz .LBB169_2282
; %bb.2281:                             ;   in Loop: Header=BB169_17 Depth=1
	flat_load_ubyte v0, v[0:1]
	s_waitcnt vmcnt(0) lgkmcnt(0)
	v_cmp_ne_u16_e32 vcc, 0, v0
	v_cndmask_b32_e64 v54, 0, 1.0, vcc
	s_or_b64 vcc, s[92:93], exec
.LBB169_2282:                           ;   in Loop: Header=BB169_17 Depth=1
	s_or_b64 exec, exec, s[60:61]
	s_andn2_b64 s[60:61], s[92:93], exec
	s_and_b64 vcc, vcc, exec
	s_andn2_b64 s[66:67], s[66:67], exec
	s_or_b64 s[90:91], s[90:91], exec
	s_or_b64 s[92:93], s[60:61], vcc
.LBB169_2283:                           ;   in Loop: Header=BB169_17 Depth=1
	s_or_b64 exec, exec, s[68:69]
	s_andn2_b64 s[60:61], s[88:89], exec
	s_and_b64 s[62:63], s[92:93], exec
	s_and_b64 s[66:67], s[66:67], exec
	s_and_b64 vcc, s[90:91], exec
	s_or_b64 s[88:89], s[60:61], s[62:63]
.LBB169_2284:                           ;   in Loop: Header=BB169_17 Depth=1
	s_or_b64 exec, exec, s[86:87]
	s_andn2_b64 s[60:61], s[74:75], exec
	s_and_b64 s[62:63], s[66:67], exec
	s_or_b64 s[74:75], s[60:61], s[62:63]
	s_andn2_b64 s[60:61], s[84:85], exec
	s_and_b64 vcc, vcc, exec
	s_or_b64 s[84:85], s[60:61], vcc
	s_andn2_b64 vcc, s[82:83], exec
	s_and_b64 s[60:61], s[88:89], exec
	s_or_b64 s[82:83], vcc, s[60:61]
.LBB169_2285:                           ;   in Loop: Header=BB169_17 Depth=1
	s_or_b64 exec, exec, s[72:73]
	s_and_b64 s[74:75], s[74:75], exec
	s_and_b64 s[72:73], s[84:85], exec
	s_and_b64 vcc, s[82:83], exec
                                        ; implicit-def: $vgpr0_vgpr1
	s_andn2_saveexec_b64 s[80:81], s[80:81]
	s_cbranch_execz .LBB169_2110
.LBB169_2286:                           ;   in Loop: Header=BB169_17 Depth=1
	v_cmp_gt_i16_sdwa s[60:61], v7, v34 src0_sel:BYTE_0 src1_sel:DWORD
                                        ; implicit-def: $vgpr54
	s_and_saveexec_b64 s[62:63], s[60:61]
	s_xor_b64 s[82:83], exec, s[62:63]
	s_cbranch_execz .LBB169_2308
; %bb.2287:                             ;   in Loop: Header=BB169_17 Depth=1
	v_cmp_gt_i16_sdwa s[60:61], v7, v35 src0_sel:BYTE_0 src1_sel:DWORD
                                        ; implicit-def: $vgpr54
	s_and_saveexec_b64 s[62:63], s[60:61]
	s_xor_b64 s[66:67], exec, s[62:63]
	s_cbranch_execz .LBB169_2297
; %bb.2288:                             ;   in Loop: Header=BB169_17 Depth=1
	;; [unrolled: 6-line block ×4, first 2 shown]
	flat_load_dwordx2 v[0:1], v[0:1]
	s_waitcnt vmcnt(0) lgkmcnt(0)
	v_cvt_f32_f64_e32 v54, v[0:1]
                                        ; implicit-def: $vgpr0_vgpr1
.LBB169_2291:                           ;   in Loop: Header=BB169_17 Depth=1
	s_andn2_saveexec_b64 s[60:61], s[60:61]
	s_cbranch_execz .LBB169_2293
; %bb.2292:                             ;   in Loop: Header=BB169_17 Depth=1
	s_waitcnt vmcnt(0) lgkmcnt(0)
	flat_load_dword v54, v[0:1]
.LBB169_2293:                           ;   in Loop: Header=BB169_17 Depth=1
	s_or_b64 exec, exec, s[60:61]
                                        ; implicit-def: $vgpr0_vgpr1
.LBB169_2294:                           ;   in Loop: Header=BB169_17 Depth=1
	s_andn2_saveexec_b64 s[60:61], s[68:69]
	s_cbranch_execz .LBB169_2296
; %bb.2295:                             ;   in Loop: Header=BB169_17 Depth=1
	flat_load_dword v0, v[0:1]
	s_waitcnt vmcnt(0) lgkmcnt(0)
	v_cvt_f32_f16_e32 v54, v0
.LBB169_2296:                           ;   in Loop: Header=BB169_17 Depth=1
	s_or_b64 exec, exec, s[60:61]
                                        ; implicit-def: $vgpr0_vgpr1
.LBB169_2297:                           ;   in Loop: Header=BB169_17 Depth=1
	s_andn2_saveexec_b64 s[66:67], s[66:67]
	s_cbranch_execz .LBB169_2307
; %bb.2298:                             ;   in Loop: Header=BB169_17 Depth=1
	v_cmp_gt_i16_sdwa s[60:61], v7, v38 src0_sel:BYTE_0 src1_sel:DWORD
                                        ; implicit-def: $vgpr54
	s_and_saveexec_b64 s[62:63], s[60:61]
	s_xor_b64 s[68:69], exec, s[62:63]
	s_cbranch_execz .LBB169_2304
; %bb.2299:                             ;   in Loop: Header=BB169_17 Depth=1
	v_cmp_gt_i16_sdwa s[60:61], v7, v39 src0_sel:BYTE_0 src1_sel:DWORD
                                        ; implicit-def: $vgpr54
	s_and_saveexec_b64 s[62:63], s[60:61]
	s_xor_b64 s[60:61], exec, s[62:63]
	s_cbranch_execz .LBB169_2301
; %bb.2300:                             ;   in Loop: Header=BB169_17 Depth=1
	flat_load_dwordx2 v[0:1], v[0:1]
	s_waitcnt vmcnt(0) lgkmcnt(0)
	v_cvt_f32_f64_e32 v54, v[0:1]
                                        ; implicit-def: $vgpr0_vgpr1
.LBB169_2301:                           ;   in Loop: Header=BB169_17 Depth=1
	s_andn2_saveexec_b64 s[60:61], s[60:61]
	s_cbranch_execz .LBB169_2303
; %bb.2302:                             ;   in Loop: Header=BB169_17 Depth=1
	s_waitcnt vmcnt(0) lgkmcnt(0)
	flat_load_dword v54, v[0:1]
.LBB169_2303:                           ;   in Loop: Header=BB169_17 Depth=1
	s_or_b64 exec, exec, s[60:61]
                                        ; implicit-def: $vgpr0_vgpr1
.LBB169_2304:                           ;   in Loop: Header=BB169_17 Depth=1
	s_andn2_saveexec_b64 s[60:61], s[68:69]
	s_cbranch_execz .LBB169_2306
; %bb.2305:                             ;   in Loop: Header=BB169_17 Depth=1
	flat_load_ushort v0, v[0:1]
	s_waitcnt vmcnt(0) lgkmcnt(0)
	v_cvt_f32_f16_e32 v54, v0
.LBB169_2306:                           ;   in Loop: Header=BB169_17 Depth=1
	s_or_b64 exec, exec, s[60:61]
.LBB169_2307:                           ;   in Loop: Header=BB169_17 Depth=1
	s_or_b64 exec, exec, s[66:67]
                                        ; implicit-def: $vgpr0_vgpr1
.LBB169_2308:                           ;   in Loop: Header=BB169_17 Depth=1
	s_andn2_saveexec_b64 s[82:83], s[82:83]
	s_cbranch_execz .LBB169_2326
; %bb.2309:                             ;   in Loop: Header=BB169_17 Depth=1
	v_cmp_gt_i16_sdwa s[60:61], v7, v48 src0_sel:BYTE_0 src1_sel:DWORD
                                        ; implicit-def: $vgpr54
	s_and_saveexec_b64 s[62:63], s[60:61]
	s_xor_b64 s[84:85], exec, s[62:63]
	s_cbranch_execz .LBB169_2319
; %bb.2310:                             ;   in Loop: Header=BB169_17 Depth=1
	v_cmp_gt_i16_sdwa s[60:61], v7, v49 src0_sel:BYTE_0 src1_sel:DWORD
                                        ; implicit-def: $vgpr54
	s_and_saveexec_b64 s[62:63], s[60:61]
	s_xor_b64 s[66:67], exec, s[62:63]
	;; [unrolled: 6-line block ×3, first 2 shown]
	s_cbranch_execz .LBB169_2313
; %bb.2312:                             ;   in Loop: Header=BB169_17 Depth=1
	flat_load_dwordx2 v[0:1], v[0:1]
	s_waitcnt vmcnt(0) lgkmcnt(0)
	v_xor_b32_e32 v54, v0, v1
	v_ffbh_i32_e32 v52, v1
	v_ashrrev_i32_e32 v54, 31, v54
	v_add_u32_e32 v52, -1, v52
	v_add_u32_e32 v54, 32, v54
	v_min_u32_e32 v52, v52, v54
	v_lshlrev_b64 v[0:1], v52, v[0:1]
	v_min_u32_e32 v0, 1, v0
	v_or_b32_e32 v0, v1, v0
	v_cvt_f32_i32_e32 v0, v0
	v_sub_u32_e32 v1, 32, v52
	v_ldexp_f32 v54, v0, v1
                                        ; implicit-def: $vgpr0_vgpr1
.LBB169_2313:                           ;   in Loop: Header=BB169_17 Depth=1
	s_andn2_saveexec_b64 s[60:61], s[68:69]
	s_cbranch_execz .LBB169_2315
; %bb.2314:                             ;   in Loop: Header=BB169_17 Depth=1
	flat_load_dword v0, v[0:1]
	s_waitcnt vmcnt(0) lgkmcnt(0)
	v_cvt_f32_i32_e32 v54, v0
.LBB169_2315:                           ;   in Loop: Header=BB169_17 Depth=1
	s_or_b64 exec, exec, s[60:61]
                                        ; implicit-def: $vgpr0_vgpr1
.LBB169_2316:                           ;   in Loop: Header=BB169_17 Depth=1
	s_andn2_saveexec_b64 s[60:61], s[66:67]
	s_cbranch_execz .LBB169_2318
; %bb.2317:                             ;   in Loop: Header=BB169_17 Depth=1
	flat_load_sshort v0, v[0:1]
	s_waitcnt vmcnt(0) lgkmcnt(0)
	v_cvt_f32_i32_e32 v54, v0
.LBB169_2318:                           ;   in Loop: Header=BB169_17 Depth=1
	s_or_b64 exec, exec, s[60:61]
                                        ; implicit-def: $vgpr0_vgpr1
.LBB169_2319:                           ;   in Loop: Header=BB169_17 Depth=1
	s_andn2_saveexec_b64 s[66:67], s[84:85]
	s_cbranch_execz .LBB169_2325
; %bb.2320:                             ;   in Loop: Header=BB169_17 Depth=1
	v_cmp_gt_i16_sdwa s[60:61], v7, v6 src0_sel:BYTE_0 src1_sel:DWORD
                                        ; implicit-def: $vgpr54
	s_and_saveexec_b64 s[62:63], s[60:61]
	s_xor_b64 s[60:61], exec, s[62:63]
	s_cbranch_execz .LBB169_2322
; %bb.2321:                             ;   in Loop: Header=BB169_17 Depth=1
	flat_load_sbyte v0, v[0:1]
	s_waitcnt vmcnt(0) lgkmcnt(0)
	v_cvt_f32_i32_e32 v54, v0
                                        ; implicit-def: $vgpr0_vgpr1
.LBB169_2322:                           ;   in Loop: Header=BB169_17 Depth=1
	s_andn2_saveexec_b64 s[60:61], s[60:61]
	s_cbranch_execz .LBB169_2324
; %bb.2323:                             ;   in Loop: Header=BB169_17 Depth=1
	flat_load_ubyte v0, v[0:1]
	s_waitcnt vmcnt(0) lgkmcnt(0)
	v_cvt_f32_ubyte0_e32 v54, v0
.LBB169_2324:                           ;   in Loop: Header=BB169_17 Depth=1
	s_or_b64 exec, exec, s[60:61]
.LBB169_2325:                           ;   in Loop: Header=BB169_17 Depth=1
	s_or_b64 exec, exec, s[66:67]
.LBB169_2326:                           ;   in Loop: Header=BB169_17 Depth=1
	s_or_b64 exec, exec, s[82:83]
	s_andn2_b64 s[74:75], s[74:75], exec
	s_andn2_b64 s[72:73], s[72:73], exec
	s_or_b64 vcc, vcc, exec
	s_or_b64 exec, exec, s[80:81]
	s_mov_b64 s[66:67], 0
	s_and_saveexec_b64 s[80:81], vcc
	s_cbranch_execz .LBB169_2332
.LBB169_2327:                           ;   in Loop: Header=BB169_17 Depth=1
	v_mul_lo_u32 v0, v53, v10
	v_readlane_b32 s60, v78, 0
	v_add_co_u32_e32 v0, vcc, v4, v0
	s_waitcnt vmcnt(0) lgkmcnt(0)
	v_add_u32_e32 v52, s60, v11
	v_addc_co_u32_e32 v1, vcc, 0, v5, vcc
	v_cmp_gt_i16_sdwa s[60:61], v8, v12 src0_sel:BYTE_0 src1_sel:DWORD
	s_mov_b64 s[86:87], 0
	buffer_store_dword v54, v52, s[0:3], 0 offen offset:84
                                        ; implicit-def: $vcc
                                        ; implicit-def: $sgpr84_sgpr85
                                        ; implicit-def: $vgpr53
	s_and_saveexec_b64 s[62:63], s[60:61]
	s_xor_b64 s[82:83], exec, s[62:63]
	s_cbranch_execnz .LBB169_2354
; %bb.2328:                             ;   in Loop: Header=BB169_17 Depth=1
	s_andn2_saveexec_b64 s[82:83], s[82:83]
	s_cbranch_execnz .LBB169_2413
.LBB169_2329:                           ;   in Loop: Header=BB169_17 Depth=1
	s_or_b64 exec, exec, s[82:83]
	s_mov_b64 s[66:67], 0
	s_and_saveexec_b64 s[68:69], s[86:87]
	s_cbranch_execz .LBB169_2331
.LBB169_2330:                           ;   in Loop: Header=BB169_17 Depth=1
	s_mov_b64 s[66:67], exec
	v_add_u32_e32 v51, 0x200, v51
	s_andn2_b64 s[84:85], s[84:85], exec
	s_andn2_b64 vcc, vcc, exec
	s_waitcnt vmcnt(0) lgkmcnt(0)
	buffer_store_dword v53, v52, s[0:3], 0 offen offset:80
.LBB169_2331:                           ;   in Loop: Header=BB169_17 Depth=1
	s_or_b64 exec, exec, s[68:69]
	s_andn2_b64 s[60:61], s[74:75], exec
	s_and_b64 s[62:63], s[84:85], exec
	s_or_b64 s[74:75], s[60:61], s[62:63]
	s_andn2_b64 s[60:61], s[72:73], exec
	s_and_b64 vcc, vcc, exec
	s_or_b64 s[72:73], s[60:61], vcc
	s_and_b64 s[66:67], s[66:67], exec
.LBB169_2332:                           ;   in Loop: Header=BB169_17 Depth=1
	s_or_b64 exec, exec, s[80:81]
	s_and_b64 vcc, s[74:75], exec
	v_writelane_b32 v78, vcc_lo, 14
	v_writelane_b32 v78, vcc_hi, 15
	s_and_b64 s[62:63], s[72:73], exec
	s_orn2_b64 s[66:67], s[66:67], exec
.LBB169_2333:                           ;   in Loop: Header=BB169_17 Depth=1
	s_or_b64 exec, exec, s[76:77]
	s_mov_b64 vcc, exec
	v_writelane_b32 v78, vcc_lo, 12
	v_writelane_b32 v78, vcc_hi, 13
	s_and_b64 vcc, vcc, s[66:67]
	s_mov_b64 exec, vcc
	s_cbranch_execz .LBB169_6
; %bb.2334:                             ;   in Loop: Header=BB169_17 Depth=1
	v_writelane_b32 v78, s62, 16
	v_cmp_lt_i32_e32 vcc, v51, v72
	s_mov_b64 s[84:85], -1
	s_mov_b64 s[66:67], -1
	v_writelane_b32 v78, s63, 17
                                        ; implicit-def: $sgpr62_sgpr63
                                        ; implicit-def: $sgpr60_sgpr61
                                        ; kill: killed $sgpr60_sgpr61
	s_and_saveexec_b64 s[82:83], vcc
	s_cbranch_execz .LBB169_2560
; %bb.2335:                             ;   in Loop: Header=BB169_17 Depth=1
	v_readlane_b32 vcc_lo, v78, 1
	s_waitcnt vmcnt(0) lgkmcnt(0)
	v_add_u32_e32 v53, vcc_lo, v51
	v_mul_lo_u32 v0, v53, v9
	v_add_co_u32_e32 v0, vcc, v2, v0
	v_addc_co_u32_e32 v1, vcc, 0, v3, vcc
	v_cmp_gt_i16_sdwa s[60:61], v7, v12 src0_sel:BYTE_0 src1_sel:DWORD
	s_mov_b64 vcc, 0
                                        ; implicit-def: $sgpr78_sgpr79
                                        ; implicit-def: $sgpr80_sgpr81
                                        ; implicit-def: $vgpr54
	s_and_saveexec_b64 s[62:63], s[60:61]
	s_xor_b64 s[86:87], exec, s[62:63]
	s_cbranch_execnz .LBB169_2454
; %bb.2336:                             ;   in Loop: Header=BB169_17 Depth=1
	s_andn2_saveexec_b64 s[86:87], s[86:87]
	s_cbranch_execnz .LBB169_2513
.LBB169_2337:                           ;   in Loop: Header=BB169_17 Depth=1
	s_or_b64 exec, exec, s[86:87]
	s_mov_b64 s[66:67], 0
	s_and_saveexec_b64 s[86:87], vcc
	s_cbranch_execnz .LBB169_2554
	s_branch .LBB169_2559
.LBB169_2338:                           ;   in Loop: Header=BB169_17 Depth=1
	s_movk_i32 vcc_lo, 0x80
	v_cmp_eq_u16_e32 vcc, vcc_lo, v0
	s_mov_b64 s[68:69], -1
                                        ; implicit-def: $sgpr74
	s_and_saveexec_b64 s[72:73], vcc
; %bb.2339:                             ;   in Loop: Header=BB169_17 Depth=1
	s_mov_b32 s74, 0x7f800001
	s_xor_b64 s[68:69], exec, -1
; %bb.2340:                             ;   in Loop: Header=BB169_17 Depth=1
	s_or_b64 exec, exec, s[72:73]
	s_and_b64 s[68:69], s[68:69], exec
	s_or_saveexec_b64 s[70:71], s[70:71]
	v_mov_b32_e32 v52, s74
	s_xor_b64 exec, exec, s[70:71]
	s_cbranch_execz .LBB169_1257
.LBB169_2341:                           ;   in Loop: Header=BB169_17 Depth=1
	v_cmp_ne_u16_e32 vcc, 0, v0
	s_andn2_b64 s[68:69], s[68:69], exec
	s_and_b64 vcc, vcc, exec
	v_mov_b32_e32 v52, 0
	s_or_b64 s[68:69], s[68:69], vcc
	s_or_b64 exec, exec, s[70:71]
	s_and_saveexec_b64 s[70:71], s[68:69]
	s_cbranch_execnz .LBB169_1258
	s_branch .LBB169_1259
.LBB169_2342:                           ;   in Loop: Header=BB169_17 Depth=1
	s_movk_i32 vcc_lo, 0x80
	v_cmp_eq_u16_e32 vcc, vcc_lo, v0
	s_mov_b64 s[68:69], -1
                                        ; implicit-def: $sgpr74
	s_and_saveexec_b64 s[72:73], vcc
; %bb.2343:                             ;   in Loop: Header=BB169_17 Depth=1
	s_mov_b32 s74, 0x7f800001
	s_xor_b64 s[68:69], exec, -1
; %bb.2344:                             ;   in Loop: Header=BB169_17 Depth=1
	s_or_b64 exec, exec, s[72:73]
	s_and_b64 s[68:69], s[68:69], exec
	s_or_saveexec_b64 s[70:71], s[70:71]
	v_mov_b32_e32 v54, s74
	s_xor_b64 exec, exec, s[70:71]
	s_cbranch_execz .LBB169_1357
.LBB169_2345:                           ;   in Loop: Header=BB169_17 Depth=1
	v_cmp_ne_u16_e32 vcc, 0, v0
	s_andn2_b64 s[68:69], s[68:69], exec
	s_and_b64 vcc, vcc, exec
	v_mov_b32_e32 v54, 0
	s_or_b64 s[68:69], s[68:69], vcc
	s_or_b64 exec, exec, s[70:71]
	s_and_saveexec_b64 s[70:71], s[68:69]
	s_cbranch_execnz .LBB169_1358
	s_branch .LBB169_1359
.LBB169_2346:                           ;   in Loop: Header=BB169_17 Depth=1
	s_movk_i32 vcc_lo, 0x80
	v_cmp_eq_u16_e32 vcc, vcc_lo, v0
	s_mov_b64 s[72:73], -1
                                        ; implicit-def: $sgpr78
	s_and_saveexec_b64 s[76:77], vcc
; %bb.2347:                             ;   in Loop: Header=BB169_17 Depth=1
	s_mov_b32 s78, 0x7f800001
	s_xor_b64 s[72:73], exec, -1
; %bb.2348:                             ;   in Loop: Header=BB169_17 Depth=1
	s_or_b64 exec, exec, s[76:77]
	s_and_b64 s[72:73], s[72:73], exec
	s_or_saveexec_b64 s[74:75], s[74:75]
	v_mov_b32_e32 v52, s78
	s_xor_b64 exec, exec, s[74:75]
	s_cbranch_execz .LBB169_1473
.LBB169_2349:                           ;   in Loop: Header=BB169_17 Depth=1
	v_cmp_ne_u16_e32 vcc, 0, v0
	s_andn2_b64 s[72:73], s[72:73], exec
	s_and_b64 vcc, vcc, exec
	v_mov_b32_e32 v52, 0
	s_or_b64 s[72:73], s[72:73], vcc
	s_or_b64 exec, exec, s[74:75]
	s_and_saveexec_b64 s[74:75], s[72:73]
	s_cbranch_execnz .LBB169_1474
	s_branch .LBB169_1475
.LBB169_2350:                           ;   in Loop: Header=BB169_17 Depth=1
	s_movk_i32 vcc_lo, 0x80
	v_cmp_eq_u16_e32 vcc, vcc_lo, v0
	s_mov_b64 s[72:73], -1
                                        ; implicit-def: $sgpr78
	s_and_saveexec_b64 s[76:77], vcc
; %bb.2351:                             ;   in Loop: Header=BB169_17 Depth=1
	s_mov_b32 s78, 0x7f800001
	s_xor_b64 s[72:73], exec, -1
; %bb.2352:                             ;   in Loop: Header=BB169_17 Depth=1
	s_or_b64 exec, exec, s[76:77]
	s_and_b64 s[72:73], s[72:73], exec
	s_or_saveexec_b64 s[74:75], s[74:75]
	v_mov_b32_e32 v54, s78
	s_xor_b64 exec, exec, s[74:75]
	s_cbranch_execz .LBB169_1573
.LBB169_2353:                           ;   in Loop: Header=BB169_17 Depth=1
	v_cmp_ne_u16_e32 vcc, 0, v0
	s_andn2_b64 s[72:73], s[72:73], exec
	s_and_b64 vcc, vcc, exec
	v_mov_b32_e32 v54, 0
	s_or_b64 s[72:73], s[72:73], vcc
	s_or_b64 exec, exec, s[74:75]
	s_and_saveexec_b64 s[74:75], s[72:73]
	s_cbranch_execnz .LBB169_1574
	s_branch .LBB169_1575
.LBB169_2354:                           ;   in Loop: Header=BB169_17 Depth=1
	v_cmp_gt_i16_sdwa vcc, v8, v13 src0_sel:BYTE_0 src1_sel:DWORD
                                        ; implicit-def: $sgpr88_sgpr89
                                        ; implicit-def: $sgpr90_sgpr91
                                        ; implicit-def: $vgpr53
	s_and_saveexec_b64 s[60:61], vcc
	s_xor_b64 s[84:85], exec, s[60:61]
	s_cbranch_execz .LBB169_2386
; %bb.2355:                             ;   in Loop: Header=BB169_17 Depth=1
	v_cmp_gt_i16_sdwa vcc, v8, v14 src0_sel:BYTE_0 src1_sel:DWORD
                                        ; implicit-def: $sgpr92_sgpr93
                                        ; implicit-def: $sgpr90_sgpr91
                                        ; implicit-def: $vgpr53
	s_and_saveexec_b64 s[60:61], vcc
	s_xor_b64 s[88:89], exec, s[60:61]
	s_cbranch_execz .LBB169_2371
; %bb.2356:                             ;   in Loop: Header=BB169_17 Depth=1
	v_cmp_gt_i16_sdwa s[60:61], v8, v15 src0_sel:BYTE_0 src1_sel:DWORD
	s_mov_b64 s[94:95], 0
                                        ; implicit-def: $vcc
                                        ; implicit-def: $sgpr96_sgpr97
                                        ; implicit-def: $vgpr53
	s_and_saveexec_b64 s[62:63], s[60:61]
	s_xor_b64 s[86:87], exec, s[62:63]
	s_cbranch_execz .LBB169_2366
; %bb.2357:                             ;   in Loop: Header=BB169_17 Depth=1
	v_cmp_gt_i16_sdwa vcc, v8, v16 src0_sel:BYTE_0 src1_sel:DWORD
	s_mov_b64 s[92:93], 0
                                        ; implicit-def: $sgpr94_sgpr95
                                        ; implicit-def: $sgpr90_sgpr91
                                        ; implicit-def: $vgpr53
	s_and_saveexec_b64 s[60:61], vcc
	s_xor_b64 vcc, exec, s[60:61]
	s_cbranch_execz .LBB169_2361
; %bb.2358:                             ;   in Loop: Header=BB169_17 Depth=1
	v_cmp_eq_u16_sdwa s[62:63], v8, v17 src0_sel:BYTE_0 src1_sel:DWORD
	s_mov_b64 s[90:91], 0
                                        ; implicit-def: $vgpr53
	s_and_saveexec_b64 s[60:61], s[62:63]
	s_cbranch_execz .LBB169_2360
; %bb.2359:                             ;   in Loop: Header=BB169_17 Depth=1
	flat_load_dword v0, v[0:1]
	s_mov_b64 s[66:67], exec
	s_waitcnt vmcnt(0) lgkmcnt(0)
	v_lshlrev_b32_e32 v53, 16, v0
.LBB169_2360:                           ;   in Loop: Header=BB169_17 Depth=1
	s_or_b64 exec, exec, s[60:61]
	s_mov_b64 s[94:95], -1
	s_and_b64 s[92:93], s[66:67], exec
                                        ; implicit-def: $vgpr0_vgpr1
.LBB169_2361:                           ;   in Loop: Header=BB169_17 Depth=1
	s_andn2_saveexec_b64 s[66:67], vcc
	s_cbranch_execz .LBB169_2365
; %bb.2362:                             ;   in Loop: Header=BB169_17 Depth=1
	v_cmp_eq_u16_sdwa s[60:61], v8, v18 src0_sel:BYTE_0 src1_sel:DWORD
	s_mov_b64 vcc, s[92:93]
                                        ; implicit-def: $vgpr53
	s_and_saveexec_b64 s[68:69], s[60:61]
	s_cbranch_execz .LBB169_2364
; %bb.2363:                             ;   in Loop: Header=BB169_17 Depth=1
	flat_load_ubyte v0, v[0:1]
	s_movk_i32 vcc_lo, 0xff
	s_waitcnt vmcnt(0) lgkmcnt(0)
	v_lshlrev_b32_e32 v1, 23, v0
	v_cmp_ne_u32_e32 vcc, vcc_lo, v0
	v_cndmask_b32_e32 v1, v19, v1, vcc
	v_cmp_ne_u32_e32 vcc, 0, v0
	v_cndmask_b32_e32 v53, v20, v1, vcc
	s_or_b64 vcc, s[92:93], exec
.LBB169_2364:                           ;   in Loop: Header=BB169_17 Depth=1
	s_or_b64 exec, exec, s[68:69]
	s_andn2_b64 s[60:61], s[92:93], exec
	s_and_b64 vcc, vcc, exec
	s_or_b64 s[94:95], s[94:95], exec
	s_andn2_b64 s[90:91], s[90:91], exec
	s_or_b64 s[92:93], s[60:61], vcc
.LBB169_2365:                           ;   in Loop: Header=BB169_17 Depth=1
	s_or_b64 exec, exec, s[66:67]
	s_and_b64 s[96:97], s[94:95], exec
	s_and_b64 vcc, s[90:91], exec
	s_and_b64 s[94:95], s[92:93], exec
                                        ; implicit-def: $vgpr0_vgpr1
.LBB169_2366:                           ;   in Loop: Header=BB169_17 Depth=1
	s_andn2_saveexec_b64 s[66:67], s[86:87]
	s_cbranch_execz .LBB169_2370
; %bb.2367:                             ;   in Loop: Header=BB169_17 Depth=1
	v_cmp_eq_u16_sdwa s[60:61], v8, v21 src0_sel:BYTE_0 src1_sel:DWORD
	s_mov_b64 s[70:71], s[94:95]
                                        ; implicit-def: $vgpr53
	s_and_saveexec_b64 s[68:69], s[60:61]
	s_cbranch_execz .LBB169_2369
; %bb.2368:                             ;   in Loop: Header=BB169_17 Depth=1
	flat_load_dwordx2 v[0:1], v[0:1]
	s_or_b64 s[70:71], s[94:95], exec
	s_waitcnt vmcnt(0) lgkmcnt(0)
	v_ffbh_u32_e32 v53, v1
	v_min_u32_e32 v53, 32, v53
	v_lshlrev_b64 v[0:1], v53, v[0:1]
	v_min_u32_e32 v0, 1, v0
	v_or_b32_e32 v0, v1, v0
	v_cvt_f32_u32_e32 v0, v0
	v_sub_u32_e32 v1, 32, v53
	v_ldexp_f32 v53, v0, v1
.LBB169_2369:                           ;   in Loop: Header=BB169_17 Depth=1
	s_or_b64 exec, exec, s[68:69]
	s_andn2_b64 s[60:61], s[94:95], exec
	s_and_b64 s[62:63], s[70:71], exec
	s_or_b64 s[96:97], s[96:97], exec
	s_andn2_b64 vcc, vcc, exec
	s_or_b64 s[94:95], s[60:61], s[62:63]
.LBB169_2370:                           ;   in Loop: Header=BB169_17 Depth=1
	s_or_b64 exec, exec, s[66:67]
	s_and_b64 s[90:91], s[96:97], exec
	s_and_b64 s[92:93], vcc, exec
	s_and_b64 s[86:87], s[94:95], exec
                                        ; implicit-def: $vgpr0_vgpr1
.LBB169_2371:                           ;   in Loop: Header=BB169_17 Depth=1
	s_andn2_saveexec_b64 s[88:89], s[88:89]
	s_cbranch_execz .LBB169_2385
; %bb.2372:                             ;   in Loop: Header=BB169_17 Depth=1
	v_cmp_gt_i16_sdwa vcc, v8, v22 src0_sel:BYTE_0 src1_sel:DWORD
                                        ; implicit-def: $vgpr53
	s_and_saveexec_b64 s[60:61], vcc
	s_xor_b64 vcc, exec, s[60:61]
	s_cbranch_execz .LBB169_2378
; %bb.2373:                             ;   in Loop: Header=BB169_17 Depth=1
	v_cmp_gt_i16_sdwa s[60:61], v8, v23 src0_sel:BYTE_0 src1_sel:DWORD
                                        ; implicit-def: $vgpr53
	s_and_saveexec_b64 s[62:63], s[60:61]
	s_xor_b64 s[60:61], exec, s[62:63]
	s_cbranch_execz .LBB169_2375
; %bb.2374:                             ;   in Loop: Header=BB169_17 Depth=1
	flat_load_dword v0, v[0:1]
	s_waitcnt vmcnt(0) lgkmcnt(0)
	v_cvt_f32_u32_e32 v53, v0
                                        ; implicit-def: $vgpr0_vgpr1
.LBB169_2375:                           ;   in Loop: Header=BB169_17 Depth=1
	s_andn2_saveexec_b64 s[60:61], s[60:61]
	s_cbranch_execz .LBB169_2377
; %bb.2376:                             ;   in Loop: Header=BB169_17 Depth=1
	flat_load_ushort v0, v[0:1]
	s_waitcnt vmcnt(0) lgkmcnt(0)
	v_cvt_f32_u32_e32 v53, v0
.LBB169_2377:                           ;   in Loop: Header=BB169_17 Depth=1
	s_or_b64 exec, exec, s[60:61]
                                        ; implicit-def: $vgpr0_vgpr1
.LBB169_2378:                           ;   in Loop: Header=BB169_17 Depth=1
	s_andn2_saveexec_b64 s[94:95], vcc
	s_cbranch_execz .LBB169_2384
; %bb.2379:                             ;   in Loop: Header=BB169_17 Depth=1
	flat_load_ubyte v0, v[0:1]
	s_movk_i32 vcc_lo, 0x7f
	s_mov_b64 s[66:67], 0
                                        ; implicit-def: $sgpr70
	s_waitcnt vmcnt(0) lgkmcnt(0)
	v_cmp_lt_i16_e32 vcc, vcc_lo, v0
	s_and_saveexec_b64 s[60:61], vcc
	s_xor_b64 s[68:69], exec, s[60:61]
	s_cbranch_execnz .LBB169_3354
; %bb.2380:                             ;   in Loop: Header=BB169_17 Depth=1
	s_or_saveexec_b64 s[68:69], s[68:69]
	v_mov_b32_e32 v53, s70
	s_xor_b64 exec, exec, s[68:69]
	s_cbranch_execnz .LBB169_3357
.LBB169_2381:                           ;   in Loop: Header=BB169_17 Depth=1
	s_or_b64 exec, exec, s[68:69]
	s_and_saveexec_b64 s[68:69], s[66:67]
	s_cbranch_execz .LBB169_2383
.LBB169_2382:                           ;   in Loop: Header=BB169_17 Depth=1
	v_lshlrev_b32_e32 v1, 24, v0
	v_and_b32_e32 v0, 0xffff, v0
	v_and_b32_e32 v53, 7, v0
	v_ffbh_u32_e32 v55, v53
	v_min_u32_e32 v55, 32, v55
	v_subrev_u32_e32 v64, 28, v55
	v_bfe_u32 v54, v0, 3, 4
	v_lshlrev_b32_e32 v0, v64, v0
	v_sub_u32_e32 v55, 29, v55
	v_and_b32_e32 v0, 7, v0
	v_cmp_eq_u32_e32 vcc, 0, v54
	v_cndmask_b32_e32 v54, v54, v55, vcc
	v_cndmask_b32_e32 v0, v53, v0, vcc
	v_lshlrev_b32_e32 v0, 20, v0
	v_and_b32_e32 v1, 0x80000000, v1
	v_lshl_add_u32 v53, v54, 23, v24
	v_or3_b32 v53, v1, v53, v0
.LBB169_2383:                           ;   in Loop: Header=BB169_17 Depth=1
	s_or_b64 exec, exec, s[68:69]
.LBB169_2384:                           ;   in Loop: Header=BB169_17 Depth=1
	s_or_b64 exec, exec, s[94:95]
	s_andn2_b64 s[90:91], s[90:91], exec
	s_andn2_b64 s[92:93], s[92:93], exec
	s_or_b64 s[86:87], s[86:87], exec
.LBB169_2385:                           ;   in Loop: Header=BB169_17 Depth=1
	s_or_b64 exec, exec, s[88:89]
	s_and_b64 s[90:91], s[90:91], exec
	s_and_b64 s[88:89], s[92:93], exec
	;; [unrolled: 1-line block ×3, first 2 shown]
                                        ; implicit-def: $vgpr0_vgpr1
.LBB169_2386:                           ;   in Loop: Header=BB169_17 Depth=1
	s_andn2_saveexec_b64 s[84:85], s[84:85]
	s_cbranch_execz .LBB169_2412
; %bb.2387:                             ;   in Loop: Header=BB169_17 Depth=1
	v_cmp_gt_i16_sdwa vcc, v8, v25 src0_sel:BYTE_0 src1_sel:DWORD
	s_mov_b64 s[94:95], s[86:87]
                                        ; implicit-def: $vgpr53
	s_and_saveexec_b64 s[60:61], vcc
	s_xor_b64 s[92:93], exec, s[60:61]
	s_cbranch_execz .LBB169_2401
; %bb.2388:                             ;   in Loop: Header=BB169_17 Depth=1
	v_cmp_gt_i16_sdwa vcc, v8, v26 src0_sel:BYTE_0 src1_sel:DWORD
                                        ; implicit-def: $vgpr53
	s_and_saveexec_b64 s[60:61], vcc
	s_xor_b64 s[94:95], exec, s[60:61]
	s_cbranch_execz .LBB169_2398
; %bb.2389:                             ;   in Loop: Header=BB169_17 Depth=1
	v_cmp_gt_i16_sdwa vcc, v8, v27 src0_sel:BYTE_0 src1_sel:DWORD
                                        ; implicit-def: $vgpr53
	s_and_saveexec_b64 s[60:61], vcc
	s_xor_b64 s[96:97], exec, s[60:61]
	s_cbranch_execz .LBB169_2395
; %bb.2390:                             ;   in Loop: Header=BB169_17 Depth=1
	flat_load_ubyte v0, v[0:1]
	s_movk_i32 vcc_lo, 0x7f
	s_mov_b64 s[66:67], 0
                                        ; implicit-def: $sgpr70
	s_waitcnt vmcnt(0) lgkmcnt(0)
	v_cmp_lt_i16_e32 vcc, vcc_lo, v0
	s_and_saveexec_b64 s[60:61], vcc
	s_xor_b64 s[68:69], exec, s[60:61]
	s_cbranch_execnz .LBB169_3470
; %bb.2391:                             ;   in Loop: Header=BB169_17 Depth=1
	s_or_saveexec_b64 s[68:69], s[68:69]
	v_mov_b32_e32 v53, s70
	s_xor_b64 exec, exec, s[68:69]
	s_cbranch_execnz .LBB169_3473
.LBB169_2392:                           ;   in Loop: Header=BB169_17 Depth=1
	s_or_b64 exec, exec, s[68:69]
	s_and_saveexec_b64 s[68:69], s[66:67]
	s_cbranch_execz .LBB169_2394
.LBB169_2393:                           ;   in Loop: Header=BB169_17 Depth=1
	v_lshlrev_b32_e32 v1, 24, v0
	v_and_b32_e32 v0, 0xffff, v0
	v_and_b32_e32 v53, 3, v0
	v_ffbh_u32_e32 v55, v53
	v_min_u32_e32 v55, 32, v55
	v_subrev_u32_e32 v64, 29, v55
	v_bfe_u32 v54, v0, 2, 5
	v_lshlrev_b32_e32 v0, v64, v0
	v_sub_u32_e32 v55, 30, v55
	v_and_b32_e32 v0, 3, v0
	v_cmp_eq_u32_e32 vcc, 0, v54
	v_cndmask_b32_e32 v54, v54, v55, vcc
	v_cndmask_b32_e32 v0, v53, v0, vcc
	v_lshlrev_b32_e32 v0, 21, v0
	v_and_b32_e32 v1, 0x80000000, v1
	v_lshl_add_u32 v53, v54, 23, v28
	v_or3_b32 v53, v1, v53, v0
.LBB169_2394:                           ;   in Loop: Header=BB169_17 Depth=1
	s_or_b64 exec, exec, s[68:69]
                                        ; implicit-def: $vgpr0_vgpr1
.LBB169_2395:                           ;   in Loop: Header=BB169_17 Depth=1
	s_andn2_saveexec_b64 s[66:67], s[96:97]
	s_cbranch_execz .LBB169_2397
; %bb.2396:                             ;   in Loop: Header=BB169_17 Depth=1
	flat_load_ubyte v0, v[0:1]
	s_mov_b32 vcc_lo, 0x7f800000
	s_waitcnt vmcnt(0) lgkmcnt(0)
	v_lshlrev_b32_e32 v0, 24, v0
	v_and_b32_e32 v1, 0x7f000000, v0
	v_ffbh_u32_e32 v53, v1
	v_min_u32_e32 v53, 32, v53
	v_sub_u32_e64 v53, v53, 4 clamp
	v_lshlrev_b32_e32 v55, v53, v1
	v_lshlrev_b32_e32 v53, 23, v53
	v_lshrrev_b32_e32 v55, 4, v55
	v_add_u32_e32 v54, 0x1000000, v1
	v_sub_u32_e32 v53, v55, v53
	v_ashrrev_i32_e32 v54, 8, v54
	v_add_u32_e32 v53, 0x3c000000, v53
	v_and_or_b32 v53, v54, vcc_lo, v53
	v_cmp_ne_u32_e32 vcc, 0, v1
	v_cndmask_b32_e32 v1, 0, v53, vcc
	s_brev_b32 vcc_lo, 1
	v_and_or_b32 v53, v0, vcc_lo, v1
.LBB169_2397:                           ;   in Loop: Header=BB169_17 Depth=1
	s_or_b64 exec, exec, s[66:67]
                                        ; implicit-def: $vgpr0_vgpr1
.LBB169_2398:                           ;   in Loop: Header=BB169_17 Depth=1
	s_andn2_saveexec_b64 s[66:67], s[94:95]
	s_cbranch_execz .LBB169_2400
; %bb.2399:                             ;   in Loop: Header=BB169_17 Depth=1
	flat_load_ubyte v0, v[0:1]
	s_movk_i32 vcc_lo, 0x7f00
	s_waitcnt vmcnt(0) lgkmcnt(0)
	v_lshlrev_b16_e32 v1, 8, v0
	v_lshlrev_b32_e32 v0, 25, v0
	v_lshrrev_b32_e32 v53, 4, v0
	v_and_or_b32 v54, v1, vcc_lo, 0.5
	v_or_b32_e32 v53, 0x70000000, v53
	s_brev_b32 vcc_lo, 16
	v_add_f32_e32 v54, -0.5, v54
	v_mul_f32_e32 v53, 0x7800000, v53
	v_cmp_gt_u32_e32 vcc, vcc_lo, v0
	v_cndmask_b32_e32 v0, v53, v54, vcc
	v_bfe_i32 v1, v1, 0, 16
	s_brev_b32 vcc_lo, 1
	v_and_or_b32 v53, v1, vcc_lo, v0
.LBB169_2400:                           ;   in Loop: Header=BB169_17 Depth=1
	s_or_b64 exec, exec, s[66:67]
	s_or_b64 s[94:95], s[86:87], exec
                                        ; implicit-def: $vgpr0_vgpr1
.LBB169_2401:                           ;   in Loop: Header=BB169_17 Depth=1
	s_or_saveexec_b64 s[92:93], s[92:93]
                                        ; implicit-def: $vcc
                                        ; implicit-def: $sgpr68_sgpr69
	s_xor_b64 exec, exec, s[92:93]
	s_cbranch_execz .LBB169_2411
; %bb.2402:                             ;   in Loop: Header=BB169_17 Depth=1
	v_cmp_gt_i16_sdwa vcc, v8, v29 src0_sel:BYTE_0 src1_sel:DWORD
	s_mov_b64 s[66:67], s[94:95]
                                        ; implicit-def: $sgpr68_sgpr69
                                        ; implicit-def: $sgpr96_sgpr97
                                        ; implicit-def: $vgpr53
	s_and_saveexec_b64 s[60:61], vcc
	s_xor_b64 vcc, exec, s[60:61]
	s_cbranch_execz .LBB169_2406
; %bb.2403:                             ;   in Loop: Header=BB169_17 Depth=1
	v_cmp_eq_u16_sdwa s[62:63], v8, v32 src0_sel:BYTE_0 src1_sel:DWORD
	s_mov_b64 s[66:67], s[94:95]
                                        ; implicit-def: $vgpr53
	s_and_saveexec_b64 s[60:61], s[62:63]
	s_cbranch_execz .LBB169_2405
; %bb.2404:                             ;   in Loop: Header=BB169_17 Depth=1
	flat_load_ushort v0, v[0:1]
	s_or_b64 s[66:67], s[94:95], exec
	s_waitcnt vmcnt(0) lgkmcnt(0)
	v_lshlrev_b32_e32 v53, 16, v0
.LBB169_2405:                           ;   in Loop: Header=BB169_17 Depth=1
	s_or_b64 exec, exec, s[60:61]
	s_andn2_b64 s[60:61], s[94:95], exec
	s_and_b64 s[62:63], s[66:67], exec
	s_mov_b64 s[96:97], 0
	s_mov_b64 s[68:69], -1
	s_or_b64 s[66:67], s[60:61], s[62:63]
                                        ; implicit-def: $vgpr0_vgpr1
.LBB169_2406:                           ;   in Loop: Header=BB169_17 Depth=1
	s_andn2_saveexec_b64 s[70:71], vcc
	s_cbranch_execz .LBB169_2410
; %bb.2407:                             ;   in Loop: Header=BB169_17 Depth=1
	v_cmp_eq_u16_sdwa s[62:63], v8, v33 src0_sel:BYTE_0 src1_sel:DWORD
	s_mov_b64 vcc, s[66:67]
                                        ; implicit-def: $vgpr53
	s_and_saveexec_b64 s[60:61], s[62:63]
	s_cbranch_execz .LBB169_2409
; %bb.2408:                             ;   in Loop: Header=BB169_17 Depth=1
	flat_load_ubyte v0, v[0:1]
	s_waitcnt vmcnt(0) lgkmcnt(0)
	v_cmp_ne_u16_e32 vcc, 0, v0
	v_cndmask_b32_e64 v53, 0, 1.0, vcc
	s_or_b64 vcc, s[66:67], exec
.LBB169_2409:                           ;   in Loop: Header=BB169_17 Depth=1
	s_or_b64 exec, exec, s[60:61]
	s_andn2_b64 s[60:61], s[66:67], exec
	s_and_b64 vcc, vcc, exec
	s_or_b64 s[68:69], s[68:69], exec
	s_andn2_b64 s[96:97], s[96:97], exec
	s_or_b64 s[66:67], s[60:61], vcc
.LBB169_2410:                           ;   in Loop: Header=BB169_17 Depth=1
	s_or_b64 exec, exec, s[70:71]
	s_andn2_b64 s[60:61], s[94:95], exec
	s_and_b64 s[62:63], s[66:67], exec
	s_and_b64 s[68:69], s[68:69], exec
	s_and_b64 vcc, s[96:97], exec
	s_or_b64 s[94:95], s[60:61], s[62:63]
.LBB169_2411:                           ;   in Loop: Header=BB169_17 Depth=1
	s_or_b64 exec, exec, s[92:93]
	s_andn2_b64 s[60:61], s[90:91], exec
	s_and_b64 s[62:63], s[68:69], exec
	s_or_b64 s[90:91], s[60:61], s[62:63]
	s_andn2_b64 s[60:61], s[88:89], exec
	s_and_b64 vcc, vcc, exec
	s_or_b64 s[88:89], s[60:61], vcc
	s_andn2_b64 vcc, s[86:87], exec
	s_and_b64 s[60:61], s[94:95], exec
	s_or_b64 s[86:87], vcc, s[60:61]
.LBB169_2412:                           ;   in Loop: Header=BB169_17 Depth=1
	s_or_b64 exec, exec, s[84:85]
	s_and_b64 s[84:85], s[90:91], exec
	s_and_b64 vcc, s[88:89], exec
	s_and_b64 s[86:87], s[86:87], exec
                                        ; implicit-def: $vgpr0_vgpr1
	s_andn2_saveexec_b64 s[82:83], s[82:83]
	s_cbranch_execz .LBB169_2329
.LBB169_2413:                           ;   in Loop: Header=BB169_17 Depth=1
	v_cmp_gt_i16_sdwa s[60:61], v8, v34 src0_sel:BYTE_0 src1_sel:DWORD
                                        ; implicit-def: $vgpr53
	s_and_saveexec_b64 s[62:63], s[60:61]
	s_xor_b64 s[88:89], exec, s[62:63]
	s_cbranch_execz .LBB169_2435
; %bb.2414:                             ;   in Loop: Header=BB169_17 Depth=1
	v_cmp_gt_i16_sdwa s[60:61], v8, v35 src0_sel:BYTE_0 src1_sel:DWORD
                                        ; implicit-def: $vgpr53
	s_and_saveexec_b64 s[62:63], s[60:61]
	s_xor_b64 s[66:67], exec, s[62:63]
	s_cbranch_execz .LBB169_2424
; %bb.2415:                             ;   in Loop: Header=BB169_17 Depth=1
	;; [unrolled: 6-line block ×4, first 2 shown]
	flat_load_dwordx2 v[0:1], v[0:1]
	s_waitcnt vmcnt(0) lgkmcnt(0)
	v_cvt_f32_f64_e32 v53, v[0:1]
                                        ; implicit-def: $vgpr0_vgpr1
.LBB169_2418:                           ;   in Loop: Header=BB169_17 Depth=1
	s_andn2_saveexec_b64 s[60:61], s[60:61]
	s_cbranch_execz .LBB169_2420
; %bb.2419:                             ;   in Loop: Header=BB169_17 Depth=1
	flat_load_dword v53, v[0:1]
.LBB169_2420:                           ;   in Loop: Header=BB169_17 Depth=1
	s_or_b64 exec, exec, s[60:61]
                                        ; implicit-def: $vgpr0_vgpr1
.LBB169_2421:                           ;   in Loop: Header=BB169_17 Depth=1
	s_andn2_saveexec_b64 s[60:61], s[68:69]
	s_cbranch_execz .LBB169_2423
; %bb.2422:                             ;   in Loop: Header=BB169_17 Depth=1
	flat_load_dword v0, v[0:1]
	s_waitcnt vmcnt(0) lgkmcnt(0)
	v_cvt_f32_f16_e32 v53, v0
.LBB169_2423:                           ;   in Loop: Header=BB169_17 Depth=1
	s_or_b64 exec, exec, s[60:61]
                                        ; implicit-def: $vgpr0_vgpr1
.LBB169_2424:                           ;   in Loop: Header=BB169_17 Depth=1
	s_andn2_saveexec_b64 s[66:67], s[66:67]
	s_cbranch_execz .LBB169_2434
; %bb.2425:                             ;   in Loop: Header=BB169_17 Depth=1
	v_cmp_gt_i16_sdwa s[60:61], v8, v38 src0_sel:BYTE_0 src1_sel:DWORD
                                        ; implicit-def: $vgpr53
	s_and_saveexec_b64 s[62:63], s[60:61]
	s_xor_b64 s[68:69], exec, s[62:63]
	s_cbranch_execz .LBB169_2431
; %bb.2426:                             ;   in Loop: Header=BB169_17 Depth=1
	v_cmp_gt_i16_sdwa s[60:61], v8, v39 src0_sel:BYTE_0 src1_sel:DWORD
                                        ; implicit-def: $vgpr53
	s_and_saveexec_b64 s[62:63], s[60:61]
	s_xor_b64 s[60:61], exec, s[62:63]
	s_cbranch_execz .LBB169_2428
; %bb.2427:                             ;   in Loop: Header=BB169_17 Depth=1
	flat_load_dwordx2 v[0:1], v[0:1]
	s_waitcnt vmcnt(0) lgkmcnt(0)
	v_cvt_f32_f64_e32 v53, v[0:1]
                                        ; implicit-def: $vgpr0_vgpr1
.LBB169_2428:                           ;   in Loop: Header=BB169_17 Depth=1
	s_andn2_saveexec_b64 s[60:61], s[60:61]
	s_cbranch_execz .LBB169_2430
; %bb.2429:                             ;   in Loop: Header=BB169_17 Depth=1
	s_waitcnt vmcnt(0) lgkmcnt(0)
	flat_load_dword v53, v[0:1]
.LBB169_2430:                           ;   in Loop: Header=BB169_17 Depth=1
	s_or_b64 exec, exec, s[60:61]
                                        ; implicit-def: $vgpr0_vgpr1
.LBB169_2431:                           ;   in Loop: Header=BB169_17 Depth=1
	s_andn2_saveexec_b64 s[60:61], s[68:69]
	s_cbranch_execz .LBB169_2433
; %bb.2432:                             ;   in Loop: Header=BB169_17 Depth=1
	flat_load_ushort v0, v[0:1]
	s_waitcnt vmcnt(0) lgkmcnt(0)
	v_cvt_f32_f16_e32 v53, v0
.LBB169_2433:                           ;   in Loop: Header=BB169_17 Depth=1
	s_or_b64 exec, exec, s[60:61]
.LBB169_2434:                           ;   in Loop: Header=BB169_17 Depth=1
	s_or_b64 exec, exec, s[66:67]
                                        ; implicit-def: $vgpr0_vgpr1
.LBB169_2435:                           ;   in Loop: Header=BB169_17 Depth=1
	s_andn2_saveexec_b64 s[88:89], s[88:89]
	s_cbranch_execz .LBB169_2453
; %bb.2436:                             ;   in Loop: Header=BB169_17 Depth=1
	v_cmp_gt_i16_sdwa s[60:61], v8, v48 src0_sel:BYTE_0 src1_sel:DWORD
                                        ; implicit-def: $vgpr53
	s_and_saveexec_b64 s[62:63], s[60:61]
	s_xor_b64 s[90:91], exec, s[62:63]
	s_cbranch_execz .LBB169_2446
; %bb.2437:                             ;   in Loop: Header=BB169_17 Depth=1
	v_cmp_gt_i16_sdwa s[60:61], v8, v49 src0_sel:BYTE_0 src1_sel:DWORD
                                        ; implicit-def: $vgpr53
	s_and_saveexec_b64 s[62:63], s[60:61]
	s_xor_b64 s[66:67], exec, s[62:63]
	;; [unrolled: 6-line block ×3, first 2 shown]
	s_cbranch_execz .LBB169_2440
; %bb.2439:                             ;   in Loop: Header=BB169_17 Depth=1
	flat_load_dwordx2 v[0:1], v[0:1]
	s_waitcnt vmcnt(0) lgkmcnt(0)
	v_xor_b32_e32 v54, v0, v1
	v_ffbh_i32_e32 v53, v1
	v_ashrrev_i32_e32 v54, 31, v54
	v_add_u32_e32 v53, -1, v53
	v_add_u32_e32 v54, 32, v54
	v_min_u32_e32 v53, v53, v54
	v_lshlrev_b64 v[0:1], v53, v[0:1]
	v_min_u32_e32 v0, 1, v0
	v_or_b32_e32 v0, v1, v0
	v_cvt_f32_i32_e32 v0, v0
	v_sub_u32_e32 v1, 32, v53
	v_ldexp_f32 v53, v0, v1
                                        ; implicit-def: $vgpr0_vgpr1
.LBB169_2440:                           ;   in Loop: Header=BB169_17 Depth=1
	s_andn2_saveexec_b64 s[60:61], s[68:69]
	s_cbranch_execz .LBB169_2442
; %bb.2441:                             ;   in Loop: Header=BB169_17 Depth=1
	flat_load_dword v0, v[0:1]
	s_waitcnt vmcnt(0) lgkmcnt(0)
	v_cvt_f32_i32_e32 v53, v0
.LBB169_2442:                           ;   in Loop: Header=BB169_17 Depth=1
	s_or_b64 exec, exec, s[60:61]
                                        ; implicit-def: $vgpr0_vgpr1
.LBB169_2443:                           ;   in Loop: Header=BB169_17 Depth=1
	s_andn2_saveexec_b64 s[60:61], s[66:67]
	s_cbranch_execz .LBB169_2445
; %bb.2444:                             ;   in Loop: Header=BB169_17 Depth=1
	flat_load_sshort v0, v[0:1]
	s_waitcnt vmcnt(0) lgkmcnt(0)
	v_cvt_f32_i32_e32 v53, v0
.LBB169_2445:                           ;   in Loop: Header=BB169_17 Depth=1
	s_or_b64 exec, exec, s[60:61]
                                        ; implicit-def: $vgpr0_vgpr1
.LBB169_2446:                           ;   in Loop: Header=BB169_17 Depth=1
	s_andn2_saveexec_b64 s[66:67], s[90:91]
	s_cbranch_execz .LBB169_2452
; %bb.2447:                             ;   in Loop: Header=BB169_17 Depth=1
	v_cmp_gt_i16_sdwa s[60:61], v8, v6 src0_sel:BYTE_0 src1_sel:DWORD
                                        ; implicit-def: $vgpr53
	s_and_saveexec_b64 s[62:63], s[60:61]
	s_xor_b64 s[60:61], exec, s[62:63]
	s_cbranch_execz .LBB169_2449
; %bb.2448:                             ;   in Loop: Header=BB169_17 Depth=1
	flat_load_sbyte v0, v[0:1]
	s_waitcnt vmcnt(0) lgkmcnt(0)
	v_cvt_f32_i32_e32 v53, v0
                                        ; implicit-def: $vgpr0_vgpr1
.LBB169_2449:                           ;   in Loop: Header=BB169_17 Depth=1
	s_andn2_saveexec_b64 s[60:61], s[60:61]
	s_cbranch_execz .LBB169_2451
; %bb.2450:                             ;   in Loop: Header=BB169_17 Depth=1
	flat_load_ubyte v0, v[0:1]
	s_waitcnt vmcnt(0) lgkmcnt(0)
	v_cvt_f32_ubyte0_e32 v53, v0
.LBB169_2451:                           ;   in Loop: Header=BB169_17 Depth=1
	s_or_b64 exec, exec, s[60:61]
.LBB169_2452:                           ;   in Loop: Header=BB169_17 Depth=1
	s_or_b64 exec, exec, s[66:67]
.LBB169_2453:                           ;   in Loop: Header=BB169_17 Depth=1
	s_or_b64 exec, exec, s[88:89]
	s_andn2_b64 s[84:85], s[84:85], exec
	s_andn2_b64 vcc, vcc, exec
	s_or_b64 s[86:87], s[86:87], exec
	s_or_b64 exec, exec, s[82:83]
	s_mov_b64 s[66:67], 0
	s_and_saveexec_b64 s[68:69], s[86:87]
	s_cbranch_execnz .LBB169_2330
	s_branch .LBB169_2331
.LBB169_2454:                           ;   in Loop: Header=BB169_17 Depth=1
	v_cmp_gt_i16_sdwa vcc, v7, v13 src0_sel:BYTE_0 src1_sel:DWORD
	s_mov_b64 s[88:89], 0
                                        ; implicit-def: $sgpr90_sgpr91
                                        ; implicit-def: $sgpr80_sgpr81
                                        ; implicit-def: $vgpr54
	s_and_saveexec_b64 s[60:61], vcc
	s_xor_b64 s[78:79], exec, s[60:61]
	s_cbranch_execz .LBB169_2486
; %bb.2455:                             ;   in Loop: Header=BB169_17 Depth=1
	v_cmp_gt_i16_sdwa vcc, v7, v14 src0_sel:BYTE_0 src1_sel:DWORD
                                        ; implicit-def: $sgpr90_sgpr91
                                        ; implicit-def: $sgpr72_sgpr73
                                        ; implicit-def: $vgpr54
	s_and_saveexec_b64 s[60:61], vcc
	s_xor_b64 s[80:81], exec, s[60:61]
	s_cbranch_execz .LBB169_2471
; %bb.2456:                             ;   in Loop: Header=BB169_17 Depth=1
	v_cmp_gt_i16_sdwa s[60:61], v7, v15 src0_sel:BYTE_0 src1_sel:DWORD
	s_mov_b64 s[74:75], 0
                                        ; implicit-def: $vcc
                                        ; implicit-def: $sgpr90_sgpr91
                                        ; implicit-def: $vgpr54
	s_and_saveexec_b64 s[62:63], s[60:61]
	s_xor_b64 s[72:73], exec, s[62:63]
	s_cbranch_execz .LBB169_2466
; %bb.2457:                             ;   in Loop: Header=BB169_17 Depth=1
	v_cmp_gt_i16_sdwa vcc, v7, v16 src0_sel:BYTE_0 src1_sel:DWORD
                                        ; implicit-def: $sgpr74_sgpr75
                                        ; implicit-def: $sgpr92_sgpr93
                                        ; implicit-def: $vgpr54
	s_and_saveexec_b64 s[60:61], vcc
	s_xor_b64 vcc, exec, s[60:61]
	s_cbranch_execz .LBB169_2461
; %bb.2458:                             ;   in Loop: Header=BB169_17 Depth=1
	v_cmp_eq_u16_sdwa s[62:63], v7, v17 src0_sel:BYTE_0 src1_sel:DWORD
	s_mov_b64 s[74:75], 0
	s_mov_b64 s[66:67], 0
                                        ; implicit-def: $vgpr54
	s_and_saveexec_b64 s[60:61], s[62:63]
	s_cbranch_execz .LBB169_2460
; %bb.2459:                             ;   in Loop: Header=BB169_17 Depth=1
	flat_load_dword v0, v[0:1]
	s_mov_b64 s[66:67], exec
	s_waitcnt vmcnt(0) lgkmcnt(0)
	v_lshlrev_b32_e32 v54, 16, v0
.LBB169_2460:                           ;   in Loop: Header=BB169_17 Depth=1
	s_or_b64 exec, exec, s[60:61]
	s_mov_b64 s[92:93], -1
	s_and_b64 s[88:89], s[66:67], exec
                                        ; implicit-def: $vgpr0_vgpr1
.LBB169_2461:                           ;   in Loop: Header=BB169_17 Depth=1
	s_andn2_saveexec_b64 s[66:67], vcc
	s_cbranch_execz .LBB169_2465
; %bb.2462:                             ;   in Loop: Header=BB169_17 Depth=1
	v_cmp_eq_u16_sdwa s[60:61], v7, v18 src0_sel:BYTE_0 src1_sel:DWORD
	s_mov_b64 vcc, s[88:89]
                                        ; implicit-def: $vgpr54
	s_and_saveexec_b64 s[68:69], s[60:61]
	s_cbranch_execz .LBB169_2464
; %bb.2463:                             ;   in Loop: Header=BB169_17 Depth=1
	flat_load_ubyte v0, v[0:1]
	s_movk_i32 vcc_lo, 0xff
	s_waitcnt vmcnt(0) lgkmcnt(0)
	v_lshlrev_b32_e32 v1, 23, v0
	v_cmp_ne_u32_e32 vcc, vcc_lo, v0
	v_cndmask_b32_e32 v1, v19, v1, vcc
	v_cmp_ne_u32_e32 vcc, 0, v0
	v_cndmask_b32_e32 v54, v20, v1, vcc
	s_or_b64 vcc, s[88:89], exec
.LBB169_2464:                           ;   in Loop: Header=BB169_17 Depth=1
	s_or_b64 exec, exec, s[68:69]
	s_andn2_b64 s[60:61], s[88:89], exec
	s_and_b64 vcc, vcc, exec
	s_andn2_b64 s[74:75], s[74:75], exec
	s_or_b64 s[92:93], s[92:93], exec
	s_or_b64 s[88:89], s[60:61], vcc
.LBB169_2465:                           ;   in Loop: Header=BB169_17 Depth=1
	s_or_b64 exec, exec, s[66:67]
	s_and_b64 s[90:91], s[74:75], exec
	s_and_b64 vcc, s[92:93], exec
	s_and_b64 s[74:75], s[88:89], exec
                                        ; implicit-def: $vgpr0_vgpr1
.LBB169_2466:                           ;   in Loop: Header=BB169_17 Depth=1
	s_andn2_saveexec_b64 s[66:67], s[72:73]
	s_cbranch_execz .LBB169_2470
; %bb.2467:                             ;   in Loop: Header=BB169_17 Depth=1
	v_cmp_eq_u16_sdwa s[60:61], v7, v21 src0_sel:BYTE_0 src1_sel:DWORD
	s_mov_b64 s[70:71], s[74:75]
                                        ; implicit-def: $vgpr54
	s_and_saveexec_b64 s[68:69], s[60:61]
	s_cbranch_execz .LBB169_2469
; %bb.2468:                             ;   in Loop: Header=BB169_17 Depth=1
	flat_load_dwordx2 v[0:1], v[0:1]
	s_or_b64 s[70:71], s[74:75], exec
	s_waitcnt vmcnt(0) lgkmcnt(0)
	v_ffbh_u32_e32 v52, v1
	v_min_u32_e32 v52, 32, v52
	v_lshlrev_b64 v[0:1], v52, v[0:1]
	v_min_u32_e32 v0, 1, v0
	v_or_b32_e32 v0, v1, v0
	v_cvt_f32_u32_e32 v0, v0
	v_sub_u32_e32 v1, 32, v52
	v_ldexp_f32 v54, v0, v1
.LBB169_2469:                           ;   in Loop: Header=BB169_17 Depth=1
	s_or_b64 exec, exec, s[68:69]
	s_andn2_b64 s[60:61], s[74:75], exec
	s_and_b64 s[62:63], s[70:71], exec
	s_andn2_b64 s[90:91], s[90:91], exec
	s_or_b64 vcc, vcc, exec
	s_or_b64 s[74:75], s[60:61], s[62:63]
.LBB169_2470:                           ;   in Loop: Header=BB169_17 Depth=1
	s_or_b64 exec, exec, s[66:67]
	s_and_b64 s[72:73], s[90:91], exec
	s_and_b64 s[90:91], vcc, exec
	s_and_b64 s[88:89], s[74:75], exec
                                        ; implicit-def: $vgpr0_vgpr1
.LBB169_2471:                           ;   in Loop: Header=BB169_17 Depth=1
	s_andn2_saveexec_b64 s[80:81], s[80:81]
	s_cbranch_execz .LBB169_2485
; %bb.2472:                             ;   in Loop: Header=BB169_17 Depth=1
	v_cmp_gt_i16_sdwa vcc, v7, v22 src0_sel:BYTE_0 src1_sel:DWORD
                                        ; implicit-def: $vgpr54
	s_and_saveexec_b64 s[60:61], vcc
	s_xor_b64 vcc, exec, s[60:61]
	s_cbranch_execz .LBB169_2478
; %bb.2473:                             ;   in Loop: Header=BB169_17 Depth=1
	v_cmp_gt_i16_sdwa s[60:61], v7, v23 src0_sel:BYTE_0 src1_sel:DWORD
                                        ; implicit-def: $vgpr54
	s_and_saveexec_b64 s[62:63], s[60:61]
	s_xor_b64 s[60:61], exec, s[62:63]
	s_cbranch_execz .LBB169_2475
; %bb.2474:                             ;   in Loop: Header=BB169_17 Depth=1
	flat_load_dword v0, v[0:1]
	s_waitcnt vmcnt(0) lgkmcnt(0)
	v_cvt_f32_u32_e32 v54, v0
                                        ; implicit-def: $vgpr0_vgpr1
.LBB169_2475:                           ;   in Loop: Header=BB169_17 Depth=1
	s_andn2_saveexec_b64 s[60:61], s[60:61]
	s_cbranch_execz .LBB169_2477
; %bb.2476:                             ;   in Loop: Header=BB169_17 Depth=1
	flat_load_ushort v0, v[0:1]
	s_waitcnt vmcnt(0) lgkmcnt(0)
	v_cvt_f32_u32_e32 v54, v0
.LBB169_2477:                           ;   in Loop: Header=BB169_17 Depth=1
	s_or_b64 exec, exec, s[60:61]
                                        ; implicit-def: $vgpr0_vgpr1
.LBB169_2478:                           ;   in Loop: Header=BB169_17 Depth=1
	s_andn2_saveexec_b64 s[74:75], vcc
	s_cbranch_execz .LBB169_2484
; %bb.2479:                             ;   in Loop: Header=BB169_17 Depth=1
	flat_load_ubyte v0, v[0:1]
	s_movk_i32 vcc_lo, 0x7f
	s_mov_b64 s[66:67], 0
                                        ; implicit-def: $sgpr70
	s_waitcnt vmcnt(0) lgkmcnt(0)
	v_cmp_lt_i16_e32 vcc, vcc_lo, v0
	s_and_saveexec_b64 s[60:61], vcc
	s_xor_b64 s[68:69], exec, s[60:61]
	s_cbranch_execnz .LBB169_3358
; %bb.2480:                             ;   in Loop: Header=BB169_17 Depth=1
	s_or_saveexec_b64 s[68:69], s[68:69]
	v_mov_b32_e32 v54, s70
	s_xor_b64 exec, exec, s[68:69]
	s_cbranch_execnz .LBB169_3361
.LBB169_2481:                           ;   in Loop: Header=BB169_17 Depth=1
	s_or_b64 exec, exec, s[68:69]
	s_and_saveexec_b64 s[68:69], s[66:67]
	s_cbranch_execz .LBB169_2483
.LBB169_2482:                           ;   in Loop: Header=BB169_17 Depth=1
	v_lshlrev_b32_e32 v1, 24, v0
	v_and_b32_e32 v0, 0xffff, v0
	v_and_b32_e32 v52, 7, v0
	v_ffbh_u32_e32 v55, v52
	v_min_u32_e32 v55, 32, v55
	v_subrev_u32_e32 v64, 28, v55
	v_bfe_u32 v54, v0, 3, 4
	v_lshlrev_b32_e32 v0, v64, v0
	v_sub_u32_e32 v55, 29, v55
	v_and_b32_e32 v0, 7, v0
	v_cmp_eq_u32_e32 vcc, 0, v54
	v_cndmask_b32_e32 v54, v54, v55, vcc
	v_cndmask_b32_e32 v0, v52, v0, vcc
	v_lshlrev_b32_e32 v0, 20, v0
	v_and_b32_e32 v1, 0x80000000, v1
	v_lshl_add_u32 v52, v54, 23, v24
	v_or3_b32 v54, v1, v52, v0
.LBB169_2483:                           ;   in Loop: Header=BB169_17 Depth=1
	s_or_b64 exec, exec, s[68:69]
.LBB169_2484:                           ;   in Loop: Header=BB169_17 Depth=1
	s_or_b64 exec, exec, s[74:75]
	s_andn2_b64 s[72:73], s[72:73], exec
	s_andn2_b64 s[90:91], s[90:91], exec
	s_or_b64 s[88:89], s[88:89], exec
.LBB169_2485:                           ;   in Loop: Header=BB169_17 Depth=1
	s_or_b64 exec, exec, s[80:81]
	s_and_b64 s[80:81], s[72:73], exec
	s_and_b64 s[90:91], s[90:91], exec
	s_and_b64 s[88:89], s[88:89], exec
                                        ; implicit-def: $vgpr0_vgpr1
.LBB169_2486:                           ;   in Loop: Header=BB169_17 Depth=1
	s_andn2_saveexec_b64 s[78:79], s[78:79]
	s_cbranch_execz .LBB169_2512
; %bb.2487:                             ;   in Loop: Header=BB169_17 Depth=1
	v_cmp_gt_i16_sdwa vcc, v7, v25 src0_sel:BYTE_0 src1_sel:DWORD
	s_mov_b64 s[92:93], s[88:89]
                                        ; implicit-def: $vgpr54
	s_and_saveexec_b64 s[60:61], vcc
	s_xor_b64 s[72:73], exec, s[60:61]
	s_cbranch_execz .LBB169_2501
; %bb.2488:                             ;   in Loop: Header=BB169_17 Depth=1
	v_cmp_gt_i16_sdwa vcc, v7, v26 src0_sel:BYTE_0 src1_sel:DWORD
                                        ; implicit-def: $vgpr54
	s_and_saveexec_b64 s[60:61], vcc
	s_xor_b64 s[92:93], exec, s[60:61]
	s_cbranch_execz .LBB169_2498
; %bb.2489:                             ;   in Loop: Header=BB169_17 Depth=1
	v_cmp_gt_i16_sdwa vcc, v7, v27 src0_sel:BYTE_0 src1_sel:DWORD
                                        ; implicit-def: $vgpr54
	s_and_saveexec_b64 s[60:61], vcc
	s_xor_b64 s[74:75], exec, s[60:61]
	s_cbranch_execz .LBB169_2495
; %bb.2490:                             ;   in Loop: Header=BB169_17 Depth=1
	flat_load_ubyte v0, v[0:1]
	s_movk_i32 vcc_lo, 0x7f
	s_mov_b64 s[66:67], 0
                                        ; implicit-def: $sgpr70
	s_waitcnt vmcnt(0) lgkmcnt(0)
	v_cmp_lt_i16_e32 vcc, vcc_lo, v0
	s_and_saveexec_b64 s[60:61], vcc
	s_xor_b64 s[68:69], exec, s[60:61]
	s_cbranch_execnz .LBB169_3474
; %bb.2491:                             ;   in Loop: Header=BB169_17 Depth=1
	s_or_saveexec_b64 s[68:69], s[68:69]
	v_mov_b32_e32 v54, s70
	s_xor_b64 exec, exec, s[68:69]
	s_cbranch_execnz .LBB169_3477
.LBB169_2492:                           ;   in Loop: Header=BB169_17 Depth=1
	s_or_b64 exec, exec, s[68:69]
	s_and_saveexec_b64 s[68:69], s[66:67]
	s_cbranch_execz .LBB169_2494
.LBB169_2493:                           ;   in Loop: Header=BB169_17 Depth=1
	v_lshlrev_b32_e32 v1, 24, v0
	v_and_b32_e32 v0, 0xffff, v0
	v_and_b32_e32 v52, 3, v0
	v_ffbh_u32_e32 v55, v52
	v_min_u32_e32 v55, 32, v55
	v_subrev_u32_e32 v64, 29, v55
	v_bfe_u32 v54, v0, 2, 5
	v_lshlrev_b32_e32 v0, v64, v0
	v_sub_u32_e32 v55, 30, v55
	v_and_b32_e32 v0, 3, v0
	v_cmp_eq_u32_e32 vcc, 0, v54
	v_cndmask_b32_e32 v54, v54, v55, vcc
	v_cndmask_b32_e32 v0, v52, v0, vcc
	v_lshlrev_b32_e32 v0, 21, v0
	v_and_b32_e32 v1, 0x80000000, v1
	v_lshl_add_u32 v52, v54, 23, v28
	v_or3_b32 v54, v1, v52, v0
.LBB169_2494:                           ;   in Loop: Header=BB169_17 Depth=1
	s_or_b64 exec, exec, s[68:69]
                                        ; implicit-def: $vgpr0_vgpr1
.LBB169_2495:                           ;   in Loop: Header=BB169_17 Depth=1
	s_andn2_saveexec_b64 s[66:67], s[74:75]
	s_cbranch_execz .LBB169_2497
; %bb.2496:                             ;   in Loop: Header=BB169_17 Depth=1
	flat_load_ubyte v0, v[0:1]
	s_mov_b32 vcc_lo, 0x7f800000
	s_waitcnt vmcnt(0) lgkmcnt(0)
	v_lshlrev_b32_e32 v0, 24, v0
	v_and_b32_e32 v1, 0x7f000000, v0
	v_ffbh_u32_e32 v52, v1
	v_min_u32_e32 v52, 32, v52
	v_sub_u32_e64 v52, v52, 4 clamp
	v_lshlrev_b32_e32 v55, v52, v1
	v_lshlrev_b32_e32 v52, 23, v52
	v_lshrrev_b32_e32 v55, 4, v55
	v_add_u32_e32 v54, 0x1000000, v1
	v_sub_u32_e32 v52, v55, v52
	v_ashrrev_i32_e32 v54, 8, v54
	v_add_u32_e32 v52, 0x3c000000, v52
	v_and_or_b32 v52, v54, vcc_lo, v52
	v_cmp_ne_u32_e32 vcc, 0, v1
	v_cndmask_b32_e32 v1, 0, v52, vcc
	s_brev_b32 vcc_lo, 1
	v_and_or_b32 v54, v0, vcc_lo, v1
.LBB169_2497:                           ;   in Loop: Header=BB169_17 Depth=1
	s_or_b64 exec, exec, s[66:67]
                                        ; implicit-def: $vgpr0_vgpr1
.LBB169_2498:                           ;   in Loop: Header=BB169_17 Depth=1
	s_andn2_saveexec_b64 s[66:67], s[92:93]
	s_cbranch_execz .LBB169_2500
; %bb.2499:                             ;   in Loop: Header=BB169_17 Depth=1
	flat_load_ubyte v0, v[0:1]
	s_movk_i32 vcc_lo, 0x7f00
	s_waitcnt vmcnt(0) lgkmcnt(0)
	v_lshlrev_b16_e32 v1, 8, v0
	v_lshlrev_b32_e32 v0, 25, v0
	v_lshrrev_b32_e32 v52, 4, v0
	v_and_or_b32 v54, v1, vcc_lo, 0.5
	v_or_b32_e32 v52, 0x70000000, v52
	s_brev_b32 vcc_lo, 16
	v_add_f32_e32 v54, -0.5, v54
	v_mul_f32_e32 v52, 0x7800000, v52
	v_cmp_gt_u32_e32 vcc, vcc_lo, v0
	v_cndmask_b32_e32 v0, v52, v54, vcc
	v_bfe_i32 v1, v1, 0, 16
	s_brev_b32 vcc_lo, 1
	v_and_or_b32 v54, v1, vcc_lo, v0
.LBB169_2500:                           ;   in Loop: Header=BB169_17 Depth=1
	s_or_b64 exec, exec, s[66:67]
	s_or_b64 s[92:93], s[88:89], exec
                                        ; implicit-def: $vgpr0_vgpr1
.LBB169_2501:                           ;   in Loop: Header=BB169_17 Depth=1
	s_or_saveexec_b64 s[72:73], s[72:73]
                                        ; implicit-def: $vcc
                                        ; implicit-def: $sgpr68_sgpr69
	s_xor_b64 exec, exec, s[72:73]
	s_cbranch_execz .LBB169_2511
; %bb.2502:                             ;   in Loop: Header=BB169_17 Depth=1
	v_cmp_gt_i16_sdwa vcc, v7, v29 src0_sel:BYTE_0 src1_sel:DWORD
	s_mov_b64 s[66:67], s[92:93]
                                        ; implicit-def: $sgpr68_sgpr69
                                        ; implicit-def: $sgpr74_sgpr75
                                        ; implicit-def: $vgpr54
	s_and_saveexec_b64 s[60:61], vcc
	s_xor_b64 vcc, exec, s[60:61]
	s_cbranch_execz .LBB169_2506
; %bb.2503:                             ;   in Loop: Header=BB169_17 Depth=1
	v_cmp_eq_u16_sdwa s[62:63], v7, v32 src0_sel:BYTE_0 src1_sel:DWORD
	s_mov_b64 s[66:67], s[92:93]
                                        ; implicit-def: $vgpr54
	s_and_saveexec_b64 s[60:61], s[62:63]
	s_cbranch_execz .LBB169_2505
; %bb.2504:                             ;   in Loop: Header=BB169_17 Depth=1
	flat_load_ushort v0, v[0:1]
	s_or_b64 s[66:67], s[92:93], exec
	s_waitcnt vmcnt(0) lgkmcnt(0)
	v_lshlrev_b32_e32 v54, 16, v0
.LBB169_2505:                           ;   in Loop: Header=BB169_17 Depth=1
	s_or_b64 exec, exec, s[60:61]
	s_andn2_b64 s[60:61], s[92:93], exec
	s_and_b64 s[62:63], s[66:67], exec
	s_mov_b64 s[74:75], -1
	s_mov_b64 s[68:69], 0
	s_or_b64 s[66:67], s[60:61], s[62:63]
                                        ; implicit-def: $vgpr0_vgpr1
.LBB169_2506:                           ;   in Loop: Header=BB169_17 Depth=1
	s_andn2_saveexec_b64 s[70:71], vcc
	s_cbranch_execz .LBB169_2510
; %bb.2507:                             ;   in Loop: Header=BB169_17 Depth=1
	v_cmp_eq_u16_sdwa s[62:63], v7, v33 src0_sel:BYTE_0 src1_sel:DWORD
	s_mov_b64 vcc, s[66:67]
                                        ; implicit-def: $vgpr54
	s_and_saveexec_b64 s[60:61], s[62:63]
	s_cbranch_execz .LBB169_2509
; %bb.2508:                             ;   in Loop: Header=BB169_17 Depth=1
	flat_load_ubyte v0, v[0:1]
	s_waitcnt vmcnt(0) lgkmcnt(0)
	v_cmp_ne_u16_e32 vcc, 0, v0
	v_cndmask_b32_e64 v54, 0, 1.0, vcc
	s_or_b64 vcc, s[66:67], exec
.LBB169_2509:                           ;   in Loop: Header=BB169_17 Depth=1
	s_or_b64 exec, exec, s[60:61]
	s_andn2_b64 s[60:61], s[66:67], exec
	s_and_b64 vcc, vcc, exec
	s_andn2_b64 s[68:69], s[68:69], exec
	s_or_b64 s[74:75], s[74:75], exec
	s_or_b64 s[66:67], s[60:61], vcc
.LBB169_2510:                           ;   in Loop: Header=BB169_17 Depth=1
	s_or_b64 exec, exec, s[70:71]
	s_andn2_b64 s[60:61], s[92:93], exec
	s_and_b64 s[62:63], s[66:67], exec
	s_and_b64 s[68:69], s[68:69], exec
	s_and_b64 vcc, s[74:75], exec
	s_or_b64 s[92:93], s[60:61], s[62:63]
.LBB169_2511:                           ;   in Loop: Header=BB169_17 Depth=1
	s_or_b64 exec, exec, s[72:73]
	s_andn2_b64 s[60:61], s[80:81], exec
	s_and_b64 s[62:63], s[68:69], exec
	s_or_b64 s[80:81], s[60:61], s[62:63]
	s_andn2_b64 s[60:61], s[90:91], exec
	s_and_b64 vcc, vcc, exec
	s_or_b64 s[90:91], s[60:61], vcc
	s_andn2_b64 vcc, s[88:89], exec
	s_and_b64 s[60:61], s[92:93], exec
	s_or_b64 s[88:89], vcc, s[60:61]
.LBB169_2512:                           ;   in Loop: Header=BB169_17 Depth=1
	s_or_b64 exec, exec, s[78:79]
	s_and_b64 s[80:81], s[80:81], exec
	s_and_b64 s[78:79], s[90:91], exec
	s_and_b64 vcc, s[88:89], exec
                                        ; implicit-def: $vgpr0_vgpr1
	s_andn2_saveexec_b64 s[86:87], s[86:87]
	s_cbranch_execz .LBB169_2337
.LBB169_2513:                           ;   in Loop: Header=BB169_17 Depth=1
	v_cmp_gt_i16_sdwa s[60:61], v7, v34 src0_sel:BYTE_0 src1_sel:DWORD
                                        ; implicit-def: $vgpr54
	s_and_saveexec_b64 s[62:63], s[60:61]
	s_xor_b64 s[72:73], exec, s[62:63]
	s_cbranch_execz .LBB169_2535
; %bb.2514:                             ;   in Loop: Header=BB169_17 Depth=1
	v_cmp_gt_i16_sdwa s[60:61], v7, v35 src0_sel:BYTE_0 src1_sel:DWORD
                                        ; implicit-def: $vgpr54
	s_and_saveexec_b64 s[62:63], s[60:61]
	s_xor_b64 s[66:67], exec, s[62:63]
	s_cbranch_execz .LBB169_2524
; %bb.2515:                             ;   in Loop: Header=BB169_17 Depth=1
	;; [unrolled: 6-line block ×4, first 2 shown]
	flat_load_dwordx2 v[0:1], v[0:1]
	s_waitcnt vmcnt(0) lgkmcnt(0)
	v_cvt_f32_f64_e32 v54, v[0:1]
                                        ; implicit-def: $vgpr0_vgpr1
.LBB169_2518:                           ;   in Loop: Header=BB169_17 Depth=1
	s_andn2_saveexec_b64 s[60:61], s[60:61]
	s_cbranch_execz .LBB169_2520
; %bb.2519:                             ;   in Loop: Header=BB169_17 Depth=1
	flat_load_dword v54, v[0:1]
.LBB169_2520:                           ;   in Loop: Header=BB169_17 Depth=1
	s_or_b64 exec, exec, s[60:61]
                                        ; implicit-def: $vgpr0_vgpr1
.LBB169_2521:                           ;   in Loop: Header=BB169_17 Depth=1
	s_andn2_saveexec_b64 s[60:61], s[68:69]
	s_cbranch_execz .LBB169_2523
; %bb.2522:                             ;   in Loop: Header=BB169_17 Depth=1
	flat_load_dword v0, v[0:1]
	s_waitcnt vmcnt(0) lgkmcnt(0)
	v_cvt_f32_f16_e32 v54, v0
.LBB169_2523:                           ;   in Loop: Header=BB169_17 Depth=1
	s_or_b64 exec, exec, s[60:61]
                                        ; implicit-def: $vgpr0_vgpr1
.LBB169_2524:                           ;   in Loop: Header=BB169_17 Depth=1
	s_andn2_saveexec_b64 s[66:67], s[66:67]
	s_cbranch_execz .LBB169_2534
; %bb.2525:                             ;   in Loop: Header=BB169_17 Depth=1
	v_cmp_gt_i16_sdwa s[60:61], v7, v38 src0_sel:BYTE_0 src1_sel:DWORD
                                        ; implicit-def: $vgpr54
	s_and_saveexec_b64 s[62:63], s[60:61]
	s_xor_b64 s[68:69], exec, s[62:63]
	s_cbranch_execz .LBB169_2531
; %bb.2526:                             ;   in Loop: Header=BB169_17 Depth=1
	v_cmp_gt_i16_sdwa s[60:61], v7, v39 src0_sel:BYTE_0 src1_sel:DWORD
                                        ; implicit-def: $vgpr54
	s_and_saveexec_b64 s[62:63], s[60:61]
	s_xor_b64 s[60:61], exec, s[62:63]
	s_cbranch_execz .LBB169_2528
; %bb.2527:                             ;   in Loop: Header=BB169_17 Depth=1
	flat_load_dwordx2 v[0:1], v[0:1]
	s_waitcnt vmcnt(0) lgkmcnt(0)
	v_cvt_f32_f64_e32 v54, v[0:1]
                                        ; implicit-def: $vgpr0_vgpr1
.LBB169_2528:                           ;   in Loop: Header=BB169_17 Depth=1
	s_andn2_saveexec_b64 s[60:61], s[60:61]
	s_cbranch_execz .LBB169_2530
; %bb.2529:                             ;   in Loop: Header=BB169_17 Depth=1
	s_waitcnt vmcnt(0) lgkmcnt(0)
	flat_load_dword v54, v[0:1]
.LBB169_2530:                           ;   in Loop: Header=BB169_17 Depth=1
	s_or_b64 exec, exec, s[60:61]
                                        ; implicit-def: $vgpr0_vgpr1
.LBB169_2531:                           ;   in Loop: Header=BB169_17 Depth=1
	s_andn2_saveexec_b64 s[60:61], s[68:69]
	s_cbranch_execz .LBB169_2533
; %bb.2532:                             ;   in Loop: Header=BB169_17 Depth=1
	flat_load_ushort v0, v[0:1]
	s_waitcnt vmcnt(0) lgkmcnt(0)
	v_cvt_f32_f16_e32 v54, v0
.LBB169_2533:                           ;   in Loop: Header=BB169_17 Depth=1
	s_or_b64 exec, exec, s[60:61]
.LBB169_2534:                           ;   in Loop: Header=BB169_17 Depth=1
	s_or_b64 exec, exec, s[66:67]
                                        ; implicit-def: $vgpr0_vgpr1
.LBB169_2535:                           ;   in Loop: Header=BB169_17 Depth=1
	s_andn2_saveexec_b64 s[72:73], s[72:73]
	s_cbranch_execz .LBB169_2553
; %bb.2536:                             ;   in Loop: Header=BB169_17 Depth=1
	v_cmp_gt_i16_sdwa s[60:61], v7, v48 src0_sel:BYTE_0 src1_sel:DWORD
                                        ; implicit-def: $vgpr54
	s_and_saveexec_b64 s[62:63], s[60:61]
	s_xor_b64 s[74:75], exec, s[62:63]
	s_cbranch_execz .LBB169_2546
; %bb.2537:                             ;   in Loop: Header=BB169_17 Depth=1
	v_cmp_gt_i16_sdwa s[60:61], v7, v49 src0_sel:BYTE_0 src1_sel:DWORD
                                        ; implicit-def: $vgpr54
	s_and_saveexec_b64 s[62:63], s[60:61]
	s_xor_b64 s[66:67], exec, s[62:63]
	;; [unrolled: 6-line block ×3, first 2 shown]
	s_cbranch_execz .LBB169_2540
; %bb.2539:                             ;   in Loop: Header=BB169_17 Depth=1
	flat_load_dwordx2 v[0:1], v[0:1]
	s_waitcnt vmcnt(0) lgkmcnt(0)
	v_xor_b32_e32 v54, v0, v1
	v_ffbh_i32_e32 v52, v1
	v_ashrrev_i32_e32 v54, 31, v54
	v_add_u32_e32 v52, -1, v52
	v_add_u32_e32 v54, 32, v54
	v_min_u32_e32 v52, v52, v54
	v_lshlrev_b64 v[0:1], v52, v[0:1]
	v_min_u32_e32 v0, 1, v0
	v_or_b32_e32 v0, v1, v0
	v_cvt_f32_i32_e32 v0, v0
	v_sub_u32_e32 v1, 32, v52
	v_ldexp_f32 v54, v0, v1
                                        ; implicit-def: $vgpr0_vgpr1
.LBB169_2540:                           ;   in Loop: Header=BB169_17 Depth=1
	s_andn2_saveexec_b64 s[60:61], s[68:69]
	s_cbranch_execz .LBB169_2542
; %bb.2541:                             ;   in Loop: Header=BB169_17 Depth=1
	flat_load_dword v0, v[0:1]
	s_waitcnt vmcnt(0) lgkmcnt(0)
	v_cvt_f32_i32_e32 v54, v0
.LBB169_2542:                           ;   in Loop: Header=BB169_17 Depth=1
	s_or_b64 exec, exec, s[60:61]
                                        ; implicit-def: $vgpr0_vgpr1
.LBB169_2543:                           ;   in Loop: Header=BB169_17 Depth=1
	s_andn2_saveexec_b64 s[60:61], s[66:67]
	s_cbranch_execz .LBB169_2545
; %bb.2544:                             ;   in Loop: Header=BB169_17 Depth=1
	flat_load_sshort v0, v[0:1]
	s_waitcnt vmcnt(0) lgkmcnt(0)
	v_cvt_f32_i32_e32 v54, v0
.LBB169_2545:                           ;   in Loop: Header=BB169_17 Depth=1
	s_or_b64 exec, exec, s[60:61]
                                        ; implicit-def: $vgpr0_vgpr1
.LBB169_2546:                           ;   in Loop: Header=BB169_17 Depth=1
	s_andn2_saveexec_b64 s[66:67], s[74:75]
	s_cbranch_execz .LBB169_2552
; %bb.2547:                             ;   in Loop: Header=BB169_17 Depth=1
	v_cmp_gt_i16_sdwa s[60:61], v7, v6 src0_sel:BYTE_0 src1_sel:DWORD
                                        ; implicit-def: $vgpr54
	s_and_saveexec_b64 s[62:63], s[60:61]
	s_xor_b64 s[60:61], exec, s[62:63]
	s_cbranch_execz .LBB169_2549
; %bb.2548:                             ;   in Loop: Header=BB169_17 Depth=1
	flat_load_sbyte v0, v[0:1]
	s_waitcnt vmcnt(0) lgkmcnt(0)
	v_cvt_f32_i32_e32 v54, v0
                                        ; implicit-def: $vgpr0_vgpr1
.LBB169_2549:                           ;   in Loop: Header=BB169_17 Depth=1
	s_andn2_saveexec_b64 s[60:61], s[60:61]
	s_cbranch_execz .LBB169_2551
; %bb.2550:                             ;   in Loop: Header=BB169_17 Depth=1
	flat_load_ubyte v0, v[0:1]
	s_waitcnt vmcnt(0) lgkmcnt(0)
	v_cvt_f32_ubyte0_e32 v54, v0
.LBB169_2551:                           ;   in Loop: Header=BB169_17 Depth=1
	s_or_b64 exec, exec, s[60:61]
.LBB169_2552:                           ;   in Loop: Header=BB169_17 Depth=1
	s_or_b64 exec, exec, s[66:67]
.LBB169_2553:                           ;   in Loop: Header=BB169_17 Depth=1
	s_or_b64 exec, exec, s[72:73]
	s_andn2_b64 s[80:81], s[80:81], exec
	s_andn2_b64 s[78:79], s[78:79], exec
	s_or_b64 vcc, vcc, exec
	s_or_b64 exec, exec, s[86:87]
	s_mov_b64 s[66:67], 0
	s_and_saveexec_b64 s[86:87], vcc
	s_cbranch_execz .LBB169_2559
.LBB169_2554:                           ;   in Loop: Header=BB169_17 Depth=1
	v_mul_lo_u32 v0, v53, v10
	v_readlane_b32 s60, v78, 0
	v_add_co_u32_e32 v0, vcc, v4, v0
	v_add_u32_e32 v52, s60, v11
	v_addc_co_u32_e32 v1, vcc, 0, v5, vcc
	v_cmp_gt_i16_sdwa s[60:61], v8, v12 src0_sel:BYTE_0 src1_sel:DWORD
	s_mov_b64 s[92:93], 0
	s_waitcnt vmcnt(0) lgkmcnt(0)
	buffer_store_dword v54, v52, s[0:3], 0 offen offset:92
                                        ; implicit-def: $vcc
                                        ; implicit-def: $sgpr90_sgpr91
                                        ; implicit-def: $vgpr53
	s_and_saveexec_b64 s[62:63], s[60:61]
	s_xor_b64 s[88:89], exec, s[62:63]
	s_cbranch_execnz .LBB169_2581
; %bb.2555:                             ;   in Loop: Header=BB169_17 Depth=1
	s_andn2_saveexec_b64 s[88:89], s[88:89]
	s_cbranch_execnz .LBB169_2640
.LBB169_2556:                           ;   in Loop: Header=BB169_17 Depth=1
	s_or_b64 exec, exec, s[88:89]
	s_mov_b64 s[66:67], 0
	s_and_saveexec_b64 s[68:69], s[92:93]
	s_cbranch_execz .LBB169_2558
.LBB169_2557:                           ;   in Loop: Header=BB169_17 Depth=1
	s_mov_b64 s[66:67], exec
	v_add_u32_e32 v51, 0x200, v51
	s_andn2_b64 s[90:91], s[90:91], exec
	s_andn2_b64 vcc, vcc, exec
	s_waitcnt vmcnt(0) lgkmcnt(0)
	buffer_store_dword v53, v52, s[0:3], 0 offen offset:88
.LBB169_2558:                           ;   in Loop: Header=BB169_17 Depth=1
	s_or_b64 exec, exec, s[68:69]
	s_andn2_b64 s[60:61], s[80:81], exec
	s_and_b64 s[62:63], s[90:91], exec
	s_or_b64 s[80:81], s[60:61], s[62:63]
	s_andn2_b64 s[60:61], s[78:79], exec
	s_and_b64 vcc, vcc, exec
	s_or_b64 s[78:79], s[60:61], vcc
	s_and_b64 s[66:67], s[66:67], exec
.LBB169_2559:                           ;   in Loop: Header=BB169_17 Depth=1
	s_or_b64 exec, exec, s[86:87]
	s_and_b64 vcc, s[80:81], exec
	v_writelane_b32 v78, vcc_lo, 18
	v_writelane_b32 v78, vcc_hi, 19
	s_and_b64 s[62:63], s[78:79], exec
	s_orn2_b64 s[66:67], s[66:67], exec
.LBB169_2560:                           ;   in Loop: Header=BB169_17 Depth=1
	s_or_b64 exec, exec, s[82:83]
	s_and_saveexec_b64 s[82:83], s[66:67]
	s_cbranch_execz .LBB169_5
; %bb.2561:                             ;   in Loop: Header=BB169_17 Depth=1
	v_writelane_b32 v78, s62, 20
	v_cmp_lt_i32_e32 vcc, v51, v72
	s_mov_b64 s[90:91], -1
	s_mov_b64 s[66:67], -1
	v_writelane_b32 v78, s63, 21
                                        ; implicit-def: $sgpr62_sgpr63
                                        ; implicit-def: $sgpr60_sgpr61
                                        ; kill: killed $sgpr60_sgpr61
	s_and_saveexec_b64 s[88:89], vcc
	s_cbranch_execz .LBB169_2887
; %bb.2562:                             ;   in Loop: Header=BB169_17 Depth=1
	v_readlane_b32 vcc_lo, v78, 1
	s_waitcnt vmcnt(0) lgkmcnt(0)
	v_add_u32_e32 v53, vcc_lo, v51
	v_mul_lo_u32 v0, v53, v9
	v_add_co_u32_e32 v0, vcc, v2, v0
	v_addc_co_u32_e32 v1, vcc, 0, v3, vcc
	v_cmp_gt_i16_sdwa s[60:61], v7, v12 src0_sel:BYTE_0 src1_sel:DWORD
	s_mov_b64 vcc, 0
                                        ; implicit-def: $sgpr84_sgpr85
                                        ; implicit-def: $sgpr86_sgpr87
                                        ; implicit-def: $vgpr54
	s_and_saveexec_b64 s[62:63], s[60:61]
	s_xor_b64 s[92:93], exec, s[62:63]
	s_cbranch_execnz .LBB169_2681
; %bb.2563:                             ;   in Loop: Header=BB169_17 Depth=1
	s_andn2_saveexec_b64 s[78:79], s[92:93]
	s_cbranch_execnz .LBB169_2740
.LBB169_2564:                           ;   in Loop: Header=BB169_17 Depth=1
	s_or_b64 exec, exec, s[78:79]
	s_mov_b64 s[66:67], 0
	s_and_saveexec_b64 s[92:93], vcc
	s_cbranch_execnz .LBB169_2781
	s_branch .LBB169_2886
.LBB169_2565:                           ;   in Loop: Header=BB169_17 Depth=1
	s_movk_i32 vcc_lo, 0x80
	v_cmp_eq_u16_e32 vcc, vcc_lo, v0
	s_mov_b64 s[74:75], -1
                                        ; implicit-def: $sgpr80
	s_and_saveexec_b64 s[78:79], vcc
; %bb.2566:                             ;   in Loop: Header=BB169_17 Depth=1
	s_mov_b32 s80, 0x7f800001
	s_xor_b64 s[74:75], exec, -1
; %bb.2567:                             ;   in Loop: Header=BB169_17 Depth=1
	s_or_b64 exec, exec, s[78:79]
	s_and_b64 s[74:75], s[74:75], exec
	s_or_saveexec_b64 s[76:77], s[76:77]
	v_mov_b32_e32 v52, s80
	s_xor_b64 exec, exec, s[76:77]
	s_cbranch_execz .LBB169_1484
.LBB169_2568:                           ;   in Loop: Header=BB169_17 Depth=1
	v_cmp_ne_u16_e32 vcc, 0, v0
	s_andn2_b64 s[74:75], s[74:75], exec
	s_and_b64 vcc, vcc, exec
	v_mov_b32_e32 v52, 0
	s_or_b64 s[74:75], s[74:75], vcc
	s_or_b64 exec, exec, s[76:77]
	s_and_saveexec_b64 s[76:77], s[74:75]
	s_cbranch_execnz .LBB169_1485
	s_branch .LBB169_1486
.LBB169_2569:                           ;   in Loop: Header=BB169_17 Depth=1
	s_movk_i32 vcc_lo, 0x80
	v_cmp_eq_u16_e32 vcc, vcc_lo, v0
	s_mov_b64 s[74:75], -1
                                        ; implicit-def: $sgpr80
	s_and_saveexec_b64 s[78:79], vcc
; %bb.2570:                             ;   in Loop: Header=BB169_17 Depth=1
	s_mov_b32 s80, 0x7f800001
	s_xor_b64 s[74:75], exec, -1
; %bb.2571:                             ;   in Loop: Header=BB169_17 Depth=1
	s_or_b64 exec, exec, s[78:79]
	s_and_b64 s[74:75], s[74:75], exec
	s_or_saveexec_b64 s[76:77], s[76:77]
	v_mov_b32_e32 v54, s80
	s_xor_b64 exec, exec, s[76:77]
	s_cbranch_execz .LBB169_1584
.LBB169_2572:                           ;   in Loop: Header=BB169_17 Depth=1
	v_cmp_ne_u16_e32 vcc, 0, v0
	s_andn2_b64 s[74:75], s[74:75], exec
	s_and_b64 vcc, vcc, exec
	v_mov_b32_e32 v54, 0
	s_or_b64 s[74:75], s[74:75], vcc
	s_or_b64 exec, exec, s[76:77]
	s_and_saveexec_b64 s[76:77], s[74:75]
	s_cbranch_execnz .LBB169_1585
	s_branch .LBB169_1586
.LBB169_2573:                           ;   in Loop: Header=BB169_17 Depth=1
	s_movk_i32 vcc_lo, 0x80
	v_cmp_eq_u16_e32 vcc, vcc_lo, v0
	s_mov_b64 s[78:79], -1
                                        ; implicit-def: $sgpr84
	s_and_saveexec_b64 s[82:83], vcc
; %bb.2574:                             ;   in Loop: Header=BB169_17 Depth=1
	s_mov_b32 s84, 0x7f800001
	s_xor_b64 s[78:79], exec, -1
; %bb.2575:                             ;   in Loop: Header=BB169_17 Depth=1
	s_or_b64 exec, exec, s[82:83]
	s_and_b64 s[78:79], s[78:79], exec
	s_or_saveexec_b64 s[80:81], s[80:81]
	v_mov_b32_e32 v52, s84
	s_xor_b64 exec, exec, s[80:81]
	s_cbranch_execz .LBB169_1700
.LBB169_2576:                           ;   in Loop: Header=BB169_17 Depth=1
	v_cmp_ne_u16_e32 vcc, 0, v0
	s_andn2_b64 s[78:79], s[78:79], exec
	s_and_b64 vcc, vcc, exec
	v_mov_b32_e32 v52, 0
	s_or_b64 s[78:79], s[78:79], vcc
	s_or_b64 exec, exec, s[80:81]
	s_and_saveexec_b64 s[80:81], s[78:79]
	s_cbranch_execnz .LBB169_1701
	s_branch .LBB169_1702
.LBB169_2577:                           ;   in Loop: Header=BB169_17 Depth=1
	s_movk_i32 vcc_lo, 0x80
	v_cmp_eq_u16_e32 vcc, vcc_lo, v0
	s_mov_b64 s[78:79], -1
                                        ; implicit-def: $sgpr84
	s_and_saveexec_b64 s[82:83], vcc
; %bb.2578:                             ;   in Loop: Header=BB169_17 Depth=1
	s_mov_b32 s84, 0x7f800001
	s_xor_b64 s[78:79], exec, -1
; %bb.2579:                             ;   in Loop: Header=BB169_17 Depth=1
	s_or_b64 exec, exec, s[82:83]
	s_and_b64 s[78:79], s[78:79], exec
	s_or_saveexec_b64 s[80:81], s[80:81]
	v_mov_b32_e32 v54, s84
	s_xor_b64 exec, exec, s[80:81]
	s_cbranch_execz .LBB169_1800
.LBB169_2580:                           ;   in Loop: Header=BB169_17 Depth=1
	v_cmp_ne_u16_e32 vcc, 0, v0
	s_andn2_b64 s[78:79], s[78:79], exec
	s_and_b64 vcc, vcc, exec
	v_mov_b32_e32 v54, 0
	s_or_b64 s[78:79], s[78:79], vcc
	s_or_b64 exec, exec, s[80:81]
	s_and_saveexec_b64 s[80:81], s[78:79]
	s_cbranch_execnz .LBB169_1801
	s_branch .LBB169_1802
.LBB169_2581:                           ;   in Loop: Header=BB169_17 Depth=1
	v_cmp_gt_i16_sdwa vcc, v8, v13 src0_sel:BYTE_0 src1_sel:DWORD
	s_mov_b64 s[74:75], 0
                                        ; implicit-def: $sgpr94_sgpr95
                                        ; implicit-def: $sgpr96_sgpr97
                                        ; implicit-def: $vgpr53
	s_and_saveexec_b64 s[60:61], vcc
	s_xor_b64 s[90:91], exec, s[60:61]
	s_cbranch_execz .LBB169_2613
; %bb.2582:                             ;   in Loop: Header=BB169_17 Depth=1
	v_cmp_gt_i16_sdwa vcc, v8, v14 src0_sel:BYTE_0 src1_sel:DWORD
                                        ; implicit-def: $sgpr72_sgpr73
                                        ; implicit-def: $sgpr96_sgpr97
                                        ; implicit-def: $vgpr53
	s_and_saveexec_b64 s[60:61], vcc
	s_xor_b64 s[94:95], exec, s[60:61]
	s_cbranch_execz .LBB169_2598
; %bb.2583:                             ;   in Loop: Header=BB169_17 Depth=1
	v_cmp_gt_i16_sdwa s[60:61], v8, v15 src0_sel:BYTE_0 src1_sel:DWORD
                                        ; implicit-def: $vcc
                                        ; implicit-def: $sgpr96_sgpr97
                                        ; implicit-def: $vgpr53
	s_and_saveexec_b64 s[62:63], s[60:61]
	s_xor_b64 s[72:73], exec, s[62:63]
	s_cbranch_execz .LBB169_2593
; %bb.2584:                             ;   in Loop: Header=BB169_17 Depth=1
	v_cmp_gt_i16_sdwa vcc, v8, v16 src0_sel:BYTE_0 src1_sel:DWORD
                                        ; implicit-def: $sgpr96_sgpr97
                                        ; implicit-def: $sgpr74_sgpr75
                                        ; implicit-def: $vgpr53
	s_and_saveexec_b64 s[60:61], vcc
	s_xor_b64 vcc, exec, s[60:61]
	s_cbranch_execz .LBB169_2588
; %bb.2585:                             ;   in Loop: Header=BB169_17 Depth=1
	v_cmp_eq_u16_sdwa s[62:63], v8, v17 src0_sel:BYTE_0 src1_sel:DWORD
	s_mov_b64 s[74:75], 0
                                        ; implicit-def: $vgpr53
	s_and_saveexec_b64 s[60:61], s[62:63]
	s_cbranch_execz .LBB169_2587
; %bb.2586:                             ;   in Loop: Header=BB169_17 Depth=1
	flat_load_dword v0, v[0:1]
	s_mov_b64 s[66:67], exec
	s_waitcnt vmcnt(0) lgkmcnt(0)
	v_lshlrev_b32_e32 v53, 16, v0
.LBB169_2587:                           ;   in Loop: Header=BB169_17 Depth=1
	s_or_b64 exec, exec, s[60:61]
	s_mov_b64 s[96:97], -1
	s_and_b64 s[92:93], s[66:67], exec
                                        ; implicit-def: $vgpr0_vgpr1
.LBB169_2588:                           ;   in Loop: Header=BB169_17 Depth=1
	s_andn2_saveexec_b64 s[66:67], vcc
	s_cbranch_execz .LBB169_2592
; %bb.2589:                             ;   in Loop: Header=BB169_17 Depth=1
	v_cmp_eq_u16_sdwa s[60:61], v8, v18 src0_sel:BYTE_0 src1_sel:DWORD
	s_mov_b64 vcc, s[92:93]
                                        ; implicit-def: $vgpr53
	s_and_saveexec_b64 s[68:69], s[60:61]
	s_cbranch_execz .LBB169_2591
; %bb.2590:                             ;   in Loop: Header=BB169_17 Depth=1
	flat_load_ubyte v0, v[0:1]
	s_movk_i32 vcc_lo, 0xff
	s_waitcnt vmcnt(0) lgkmcnt(0)
	v_lshlrev_b32_e32 v1, 23, v0
	v_cmp_ne_u32_e32 vcc, vcc_lo, v0
	v_cndmask_b32_e32 v1, v19, v1, vcc
	v_cmp_ne_u32_e32 vcc, 0, v0
	v_cndmask_b32_e32 v53, v20, v1, vcc
	s_or_b64 vcc, s[92:93], exec
.LBB169_2591:                           ;   in Loop: Header=BB169_17 Depth=1
	s_or_b64 exec, exec, s[68:69]
	s_andn2_b64 s[60:61], s[92:93], exec
	s_and_b64 vcc, vcc, exec
	s_or_b64 s[96:97], s[96:97], exec
	s_andn2_b64 s[74:75], s[74:75], exec
	s_or_b64 s[92:93], s[60:61], vcc
.LBB169_2592:                           ;   in Loop: Header=BB169_17 Depth=1
	s_or_b64 exec, exec, s[66:67]
	s_and_b64 s[96:97], s[96:97], exec
	s_and_b64 vcc, s[74:75], exec
	s_and_b64 s[74:75], s[92:93], exec
                                        ; implicit-def: $vgpr0_vgpr1
.LBB169_2593:                           ;   in Loop: Header=BB169_17 Depth=1
	s_andn2_saveexec_b64 s[66:67], s[72:73]
	s_cbranch_execz .LBB169_2597
; %bb.2594:                             ;   in Loop: Header=BB169_17 Depth=1
	v_cmp_eq_u16_sdwa s[60:61], v8, v21 src0_sel:BYTE_0 src1_sel:DWORD
	s_mov_b64 s[70:71], s[74:75]
                                        ; implicit-def: $vgpr53
	s_and_saveexec_b64 s[68:69], s[60:61]
	s_cbranch_execz .LBB169_2596
; %bb.2595:                             ;   in Loop: Header=BB169_17 Depth=1
	flat_load_dwordx2 v[0:1], v[0:1]
	s_or_b64 s[70:71], s[74:75], exec
	s_waitcnt vmcnt(0) lgkmcnt(0)
	v_ffbh_u32_e32 v53, v1
	v_min_u32_e32 v53, 32, v53
	v_lshlrev_b64 v[0:1], v53, v[0:1]
	v_min_u32_e32 v0, 1, v0
	v_or_b32_e32 v0, v1, v0
	v_cvt_f32_u32_e32 v0, v0
	v_sub_u32_e32 v1, 32, v53
	v_ldexp_f32 v53, v0, v1
.LBB169_2596:                           ;   in Loop: Header=BB169_17 Depth=1
	s_or_b64 exec, exec, s[68:69]
	s_andn2_b64 s[60:61], s[74:75], exec
	s_and_b64 s[62:63], s[70:71], exec
	s_or_b64 s[96:97], s[96:97], exec
	s_andn2_b64 vcc, vcc, exec
	s_or_b64 s[74:75], s[60:61], s[62:63]
.LBB169_2597:                           ;   in Loop: Header=BB169_17 Depth=1
	s_or_b64 exec, exec, s[66:67]
	s_and_b64 s[96:97], s[96:97], exec
	s_and_b64 s[72:73], vcc, exec
	s_and_b64 s[92:93], s[74:75], exec
                                        ; implicit-def: $vgpr0_vgpr1
.LBB169_2598:                           ;   in Loop: Header=BB169_17 Depth=1
	s_andn2_saveexec_b64 s[94:95], s[94:95]
	s_cbranch_execz .LBB169_2612
; %bb.2599:                             ;   in Loop: Header=BB169_17 Depth=1
	v_cmp_gt_i16_sdwa vcc, v8, v22 src0_sel:BYTE_0 src1_sel:DWORD
                                        ; implicit-def: $vgpr53
	s_and_saveexec_b64 s[60:61], vcc
	s_xor_b64 vcc, exec, s[60:61]
	s_cbranch_execz .LBB169_2605
; %bb.2600:                             ;   in Loop: Header=BB169_17 Depth=1
	v_cmp_gt_i16_sdwa s[60:61], v8, v23 src0_sel:BYTE_0 src1_sel:DWORD
                                        ; implicit-def: $vgpr53
	s_and_saveexec_b64 s[62:63], s[60:61]
	s_xor_b64 s[60:61], exec, s[62:63]
	s_cbranch_execz .LBB169_2602
; %bb.2601:                             ;   in Loop: Header=BB169_17 Depth=1
	flat_load_dword v0, v[0:1]
	s_waitcnt vmcnt(0) lgkmcnt(0)
	v_cvt_f32_u32_e32 v53, v0
                                        ; implicit-def: $vgpr0_vgpr1
.LBB169_2602:                           ;   in Loop: Header=BB169_17 Depth=1
	s_andn2_saveexec_b64 s[60:61], s[60:61]
	s_cbranch_execz .LBB169_2604
; %bb.2603:                             ;   in Loop: Header=BB169_17 Depth=1
	flat_load_ushort v0, v[0:1]
	s_waitcnt vmcnt(0) lgkmcnt(0)
	v_cvt_f32_u32_e32 v53, v0
.LBB169_2604:                           ;   in Loop: Header=BB169_17 Depth=1
	s_or_b64 exec, exec, s[60:61]
                                        ; implicit-def: $vgpr0_vgpr1
.LBB169_2605:                           ;   in Loop: Header=BB169_17 Depth=1
	s_andn2_saveexec_b64 s[74:75], vcc
	s_cbranch_execz .LBB169_2611
; %bb.2606:                             ;   in Loop: Header=BB169_17 Depth=1
	flat_load_ubyte v0, v[0:1]
	s_movk_i32 vcc_lo, 0x7f
	s_mov_b64 s[66:67], 0
                                        ; implicit-def: $sgpr70
	s_waitcnt vmcnt(0) lgkmcnt(0)
	v_cmp_lt_i16_e32 vcc, vcc_lo, v0
	s_and_saveexec_b64 s[60:61], vcc
	s_xor_b64 s[68:69], exec, s[60:61]
	s_cbranch_execnz .LBB169_3478
; %bb.2607:                             ;   in Loop: Header=BB169_17 Depth=1
	s_or_saveexec_b64 s[68:69], s[68:69]
	v_mov_b32_e32 v53, s70
	s_xor_b64 exec, exec, s[68:69]
	s_cbranch_execnz .LBB169_3481
.LBB169_2608:                           ;   in Loop: Header=BB169_17 Depth=1
	s_or_b64 exec, exec, s[68:69]
	s_and_saveexec_b64 s[68:69], s[66:67]
	s_cbranch_execz .LBB169_2610
.LBB169_2609:                           ;   in Loop: Header=BB169_17 Depth=1
	v_lshlrev_b32_e32 v1, 24, v0
	v_and_b32_e32 v0, 0xffff, v0
	v_and_b32_e32 v53, 7, v0
	v_ffbh_u32_e32 v55, v53
	v_min_u32_e32 v55, 32, v55
	v_subrev_u32_e32 v64, 28, v55
	v_bfe_u32 v54, v0, 3, 4
	v_lshlrev_b32_e32 v0, v64, v0
	v_sub_u32_e32 v55, 29, v55
	v_and_b32_e32 v0, 7, v0
	v_cmp_eq_u32_e32 vcc, 0, v54
	v_cndmask_b32_e32 v54, v54, v55, vcc
	v_cndmask_b32_e32 v0, v53, v0, vcc
	v_lshlrev_b32_e32 v0, 20, v0
	v_and_b32_e32 v1, 0x80000000, v1
	v_lshl_add_u32 v53, v54, 23, v24
	v_or3_b32 v53, v1, v53, v0
.LBB169_2610:                           ;   in Loop: Header=BB169_17 Depth=1
	s_or_b64 exec, exec, s[68:69]
.LBB169_2611:                           ;   in Loop: Header=BB169_17 Depth=1
	s_or_b64 exec, exec, s[74:75]
	s_andn2_b64 s[96:97], s[96:97], exec
	s_andn2_b64 s[72:73], s[72:73], exec
	s_or_b64 s[92:93], s[92:93], exec
.LBB169_2612:                           ;   in Loop: Header=BB169_17 Depth=1
	s_or_b64 exec, exec, s[94:95]
	s_and_b64 s[96:97], s[96:97], exec
	s_and_b64 s[94:95], s[72:73], exec
	;; [unrolled: 1-line block ×3, first 2 shown]
                                        ; implicit-def: $vgpr0_vgpr1
.LBB169_2613:                           ;   in Loop: Header=BB169_17 Depth=1
	s_andn2_saveexec_b64 s[90:91], s[90:91]
	s_cbranch_execz .LBB169_2639
; %bb.2614:                             ;   in Loop: Header=BB169_17 Depth=1
	v_cmp_gt_i16_sdwa vcc, v8, v25 src0_sel:BYTE_0 src1_sel:DWORD
	s_mov_b64 s[92:93], s[74:75]
                                        ; implicit-def: $vgpr53
	s_and_saveexec_b64 s[60:61], vcc
	s_xor_b64 s[72:73], exec, s[60:61]
	s_cbranch_execz .LBB169_2628
; %bb.2615:                             ;   in Loop: Header=BB169_17 Depth=1
	v_cmp_gt_i16_sdwa vcc, v8, v26 src0_sel:BYTE_0 src1_sel:DWORD
                                        ; implicit-def: $vgpr53
	s_and_saveexec_b64 s[60:61], vcc
	s_xor_b64 s[62:63], exec, s[60:61]
	s_cbranch_execz .LBB169_2625
; %bb.2616:                             ;   in Loop: Header=BB169_17 Depth=1
	v_cmp_gt_i16_sdwa vcc, v8, v27 src0_sel:BYTE_0 src1_sel:DWORD
                                        ; implicit-def: $vgpr53
	s_and_saveexec_b64 s[60:61], vcc
	s_xor_b64 s[92:93], exec, s[60:61]
	s_cbranch_execz .LBB169_2622
; %bb.2617:                             ;   in Loop: Header=BB169_17 Depth=1
	flat_load_ubyte v0, v[0:1]
	s_movk_i32 vcc_lo, 0x7f
	s_mov_b64 s[66:67], 0
                                        ; implicit-def: $sgpr70
	s_waitcnt vmcnt(0) lgkmcnt(0)
	v_cmp_lt_i16_e32 vcc, vcc_lo, v0
	s_and_saveexec_b64 s[60:61], vcc
	s_xor_b64 s[68:69], exec, s[60:61]
	s_cbranch_execnz .LBB169_3586
; %bb.2618:                             ;   in Loop: Header=BB169_17 Depth=1
	s_or_saveexec_b64 s[68:69], s[68:69]
	v_mov_b32_e32 v53, s70
	s_xor_b64 exec, exec, s[68:69]
	s_cbranch_execnz .LBB169_3589
.LBB169_2619:                           ;   in Loop: Header=BB169_17 Depth=1
	s_or_b64 exec, exec, s[68:69]
	s_and_saveexec_b64 s[68:69], s[66:67]
	s_cbranch_execz .LBB169_2621
.LBB169_2620:                           ;   in Loop: Header=BB169_17 Depth=1
	v_lshlrev_b32_e32 v1, 24, v0
	v_and_b32_e32 v0, 0xffff, v0
	v_and_b32_e32 v53, 3, v0
	v_ffbh_u32_e32 v55, v53
	v_min_u32_e32 v55, 32, v55
	v_subrev_u32_e32 v64, 29, v55
	v_bfe_u32 v54, v0, 2, 5
	v_lshlrev_b32_e32 v0, v64, v0
	v_sub_u32_e32 v55, 30, v55
	v_and_b32_e32 v0, 3, v0
	v_cmp_eq_u32_e32 vcc, 0, v54
	v_cndmask_b32_e32 v54, v54, v55, vcc
	v_cndmask_b32_e32 v0, v53, v0, vcc
	v_lshlrev_b32_e32 v0, 21, v0
	v_and_b32_e32 v1, 0x80000000, v1
	v_lshl_add_u32 v53, v54, 23, v28
	v_or3_b32 v53, v1, v53, v0
.LBB169_2621:                           ;   in Loop: Header=BB169_17 Depth=1
	s_or_b64 exec, exec, s[68:69]
                                        ; implicit-def: $vgpr0_vgpr1
.LBB169_2622:                           ;   in Loop: Header=BB169_17 Depth=1
	s_andn2_saveexec_b64 s[66:67], s[92:93]
	s_cbranch_execz .LBB169_2624
; %bb.2623:                             ;   in Loop: Header=BB169_17 Depth=1
	flat_load_ubyte v0, v[0:1]
	s_mov_b32 vcc_lo, 0x7f800000
	s_waitcnt vmcnt(0) lgkmcnt(0)
	v_lshlrev_b32_e32 v0, 24, v0
	v_and_b32_e32 v1, 0x7f000000, v0
	v_ffbh_u32_e32 v53, v1
	v_min_u32_e32 v53, 32, v53
	v_sub_u32_e64 v53, v53, 4 clamp
	v_lshlrev_b32_e32 v55, v53, v1
	v_lshlrev_b32_e32 v53, 23, v53
	v_lshrrev_b32_e32 v55, 4, v55
	v_add_u32_e32 v54, 0x1000000, v1
	v_sub_u32_e32 v53, v55, v53
	v_ashrrev_i32_e32 v54, 8, v54
	v_add_u32_e32 v53, 0x3c000000, v53
	v_and_or_b32 v53, v54, vcc_lo, v53
	v_cmp_ne_u32_e32 vcc, 0, v1
	v_cndmask_b32_e32 v1, 0, v53, vcc
	s_brev_b32 vcc_lo, 1
	v_and_or_b32 v53, v0, vcc_lo, v1
.LBB169_2624:                           ;   in Loop: Header=BB169_17 Depth=1
	s_or_b64 exec, exec, s[66:67]
                                        ; implicit-def: $vgpr0_vgpr1
.LBB169_2625:                           ;   in Loop: Header=BB169_17 Depth=1
	s_andn2_saveexec_b64 s[66:67], s[62:63]
	s_cbranch_execz .LBB169_2627
; %bb.2626:                             ;   in Loop: Header=BB169_17 Depth=1
	flat_load_ubyte v0, v[0:1]
	s_movk_i32 vcc_lo, 0x7f00
	s_waitcnt vmcnt(0) lgkmcnt(0)
	v_lshlrev_b16_e32 v1, 8, v0
	v_lshlrev_b32_e32 v0, 25, v0
	v_lshrrev_b32_e32 v53, 4, v0
	v_and_or_b32 v54, v1, vcc_lo, 0.5
	v_or_b32_e32 v53, 0x70000000, v53
	s_brev_b32 vcc_lo, 16
	v_add_f32_e32 v54, -0.5, v54
	v_mul_f32_e32 v53, 0x7800000, v53
	v_cmp_gt_u32_e32 vcc, vcc_lo, v0
	v_cndmask_b32_e32 v0, v53, v54, vcc
	v_bfe_i32 v1, v1, 0, 16
	s_brev_b32 vcc_lo, 1
	v_and_or_b32 v53, v1, vcc_lo, v0
.LBB169_2627:                           ;   in Loop: Header=BB169_17 Depth=1
	s_or_b64 exec, exec, s[66:67]
	s_or_b64 s[92:93], s[74:75], exec
                                        ; implicit-def: $vgpr0_vgpr1
.LBB169_2628:                           ;   in Loop: Header=BB169_17 Depth=1
	s_or_saveexec_b64 s[72:73], s[72:73]
                                        ; implicit-def: $vcc
                                        ; implicit-def: $sgpr68_sgpr69
	s_xor_b64 exec, exec, s[72:73]
	s_cbranch_execz .LBB169_2638
; %bb.2629:                             ;   in Loop: Header=BB169_17 Depth=1
	v_cmp_gt_i16_sdwa vcc, v8, v29 src0_sel:BYTE_0 src1_sel:DWORD
	s_mov_b64 s[66:67], s[92:93]
                                        ; implicit-def: $sgpr68_sgpr69
                                        ; implicit-def: $sgpr76_sgpr77
                                        ; implicit-def: $vgpr53
	s_and_saveexec_b64 s[60:61], vcc
	s_xor_b64 vcc, exec, s[60:61]
	s_cbranch_execz .LBB169_2633
; %bb.2630:                             ;   in Loop: Header=BB169_17 Depth=1
	v_cmp_eq_u16_sdwa s[62:63], v8, v32 src0_sel:BYTE_0 src1_sel:DWORD
	s_mov_b64 s[66:67], s[92:93]
                                        ; implicit-def: $vgpr53
	s_and_saveexec_b64 s[60:61], s[62:63]
	s_cbranch_execz .LBB169_2632
; %bb.2631:                             ;   in Loop: Header=BB169_17 Depth=1
	flat_load_ushort v0, v[0:1]
	s_or_b64 s[66:67], s[92:93], exec
	s_waitcnt vmcnt(0) lgkmcnt(0)
	v_lshlrev_b32_e32 v53, 16, v0
.LBB169_2632:                           ;   in Loop: Header=BB169_17 Depth=1
	s_or_b64 exec, exec, s[60:61]
	s_andn2_b64 s[60:61], s[92:93], exec
	s_and_b64 s[62:63], s[66:67], exec
	s_mov_b64 s[76:77], 0
	s_mov_b64 s[68:69], -1
	s_or_b64 s[66:67], s[60:61], s[62:63]
                                        ; implicit-def: $vgpr0_vgpr1
.LBB169_2633:                           ;   in Loop: Header=BB169_17 Depth=1
	s_andn2_saveexec_b64 s[70:71], vcc
	s_cbranch_execz .LBB169_2637
; %bb.2634:                             ;   in Loop: Header=BB169_17 Depth=1
	v_cmp_eq_u16_sdwa s[62:63], v8, v33 src0_sel:BYTE_0 src1_sel:DWORD
	s_mov_b64 vcc, s[66:67]
                                        ; implicit-def: $vgpr53
	s_and_saveexec_b64 s[60:61], s[62:63]
	s_cbranch_execz .LBB169_2636
; %bb.2635:                             ;   in Loop: Header=BB169_17 Depth=1
	flat_load_ubyte v0, v[0:1]
	s_waitcnt vmcnt(0) lgkmcnt(0)
	v_cmp_ne_u16_e32 vcc, 0, v0
	v_cndmask_b32_e64 v53, 0, 1.0, vcc
	s_or_b64 vcc, s[66:67], exec
.LBB169_2636:                           ;   in Loop: Header=BB169_17 Depth=1
	s_or_b64 exec, exec, s[60:61]
	s_andn2_b64 s[60:61], s[66:67], exec
	s_and_b64 vcc, vcc, exec
	s_or_b64 s[68:69], s[68:69], exec
	s_andn2_b64 s[76:77], s[76:77], exec
	s_or_b64 s[66:67], s[60:61], vcc
.LBB169_2637:                           ;   in Loop: Header=BB169_17 Depth=1
	s_or_b64 exec, exec, s[70:71]
	s_andn2_b64 s[60:61], s[92:93], exec
	s_and_b64 s[62:63], s[66:67], exec
	s_and_b64 s[68:69], s[68:69], exec
	s_and_b64 vcc, s[76:77], exec
	s_or_b64 s[92:93], s[60:61], s[62:63]
.LBB169_2638:                           ;   in Loop: Header=BB169_17 Depth=1
	s_or_b64 exec, exec, s[72:73]
	s_andn2_b64 s[60:61], s[96:97], exec
	s_and_b64 s[62:63], s[68:69], exec
	s_or_b64 s[96:97], s[60:61], s[62:63]
	s_andn2_b64 s[60:61], s[94:95], exec
	s_and_b64 vcc, vcc, exec
	s_or_b64 s[94:95], s[60:61], vcc
	s_andn2_b64 vcc, s[74:75], exec
	s_and_b64 s[60:61], s[92:93], exec
	s_or_b64 s[74:75], vcc, s[60:61]
.LBB169_2639:                           ;   in Loop: Header=BB169_17 Depth=1
	s_or_b64 exec, exec, s[90:91]
	s_and_b64 s[90:91], s[96:97], exec
	s_and_b64 vcc, s[94:95], exec
	s_and_b64 s[92:93], s[74:75], exec
                                        ; implicit-def: $vgpr0_vgpr1
	s_andn2_saveexec_b64 s[88:89], s[88:89]
	s_cbranch_execz .LBB169_2556
.LBB169_2640:                           ;   in Loop: Header=BB169_17 Depth=1
	v_cmp_gt_i16_sdwa s[60:61], v8, v34 src0_sel:BYTE_0 src1_sel:DWORD
                                        ; implicit-def: $vgpr53
	s_and_saveexec_b64 s[62:63], s[60:61]
	s_xor_b64 s[72:73], exec, s[62:63]
	s_cbranch_execz .LBB169_2662
; %bb.2641:                             ;   in Loop: Header=BB169_17 Depth=1
	v_cmp_gt_i16_sdwa s[60:61], v8, v35 src0_sel:BYTE_0 src1_sel:DWORD
                                        ; implicit-def: $vgpr53
	s_and_saveexec_b64 s[62:63], s[60:61]
	s_xor_b64 s[66:67], exec, s[62:63]
	s_cbranch_execz .LBB169_2651
; %bb.2642:                             ;   in Loop: Header=BB169_17 Depth=1
	;; [unrolled: 6-line block ×4, first 2 shown]
	flat_load_dwordx2 v[0:1], v[0:1]
	s_waitcnt vmcnt(0) lgkmcnt(0)
	v_cvt_f32_f64_e32 v53, v[0:1]
                                        ; implicit-def: $vgpr0_vgpr1
.LBB169_2645:                           ;   in Loop: Header=BB169_17 Depth=1
	s_andn2_saveexec_b64 s[60:61], s[60:61]
	s_cbranch_execz .LBB169_2647
; %bb.2646:                             ;   in Loop: Header=BB169_17 Depth=1
	flat_load_dword v53, v[0:1]
.LBB169_2647:                           ;   in Loop: Header=BB169_17 Depth=1
	s_or_b64 exec, exec, s[60:61]
                                        ; implicit-def: $vgpr0_vgpr1
.LBB169_2648:                           ;   in Loop: Header=BB169_17 Depth=1
	s_andn2_saveexec_b64 s[60:61], s[68:69]
	s_cbranch_execz .LBB169_2650
; %bb.2649:                             ;   in Loop: Header=BB169_17 Depth=1
	flat_load_dword v0, v[0:1]
	s_waitcnt vmcnt(0) lgkmcnt(0)
	v_cvt_f32_f16_e32 v53, v0
.LBB169_2650:                           ;   in Loop: Header=BB169_17 Depth=1
	s_or_b64 exec, exec, s[60:61]
                                        ; implicit-def: $vgpr0_vgpr1
.LBB169_2651:                           ;   in Loop: Header=BB169_17 Depth=1
	s_andn2_saveexec_b64 s[66:67], s[66:67]
	s_cbranch_execz .LBB169_2661
; %bb.2652:                             ;   in Loop: Header=BB169_17 Depth=1
	v_cmp_gt_i16_sdwa s[60:61], v8, v38 src0_sel:BYTE_0 src1_sel:DWORD
                                        ; implicit-def: $vgpr53
	s_and_saveexec_b64 s[62:63], s[60:61]
	s_xor_b64 s[68:69], exec, s[62:63]
	s_cbranch_execz .LBB169_2658
; %bb.2653:                             ;   in Loop: Header=BB169_17 Depth=1
	v_cmp_gt_i16_sdwa s[60:61], v8, v39 src0_sel:BYTE_0 src1_sel:DWORD
                                        ; implicit-def: $vgpr53
	s_and_saveexec_b64 s[62:63], s[60:61]
	s_xor_b64 s[60:61], exec, s[62:63]
	s_cbranch_execz .LBB169_2655
; %bb.2654:                             ;   in Loop: Header=BB169_17 Depth=1
	flat_load_dwordx2 v[0:1], v[0:1]
	s_waitcnt vmcnt(0) lgkmcnt(0)
	v_cvt_f32_f64_e32 v53, v[0:1]
                                        ; implicit-def: $vgpr0_vgpr1
.LBB169_2655:                           ;   in Loop: Header=BB169_17 Depth=1
	s_andn2_saveexec_b64 s[60:61], s[60:61]
	s_cbranch_execz .LBB169_2657
; %bb.2656:                             ;   in Loop: Header=BB169_17 Depth=1
	s_waitcnt vmcnt(0) lgkmcnt(0)
	flat_load_dword v53, v[0:1]
.LBB169_2657:                           ;   in Loop: Header=BB169_17 Depth=1
	s_or_b64 exec, exec, s[60:61]
                                        ; implicit-def: $vgpr0_vgpr1
.LBB169_2658:                           ;   in Loop: Header=BB169_17 Depth=1
	s_andn2_saveexec_b64 s[60:61], s[68:69]
	s_cbranch_execz .LBB169_2660
; %bb.2659:                             ;   in Loop: Header=BB169_17 Depth=1
	flat_load_ushort v0, v[0:1]
	s_waitcnt vmcnt(0) lgkmcnt(0)
	v_cvt_f32_f16_e32 v53, v0
.LBB169_2660:                           ;   in Loop: Header=BB169_17 Depth=1
	s_or_b64 exec, exec, s[60:61]
.LBB169_2661:                           ;   in Loop: Header=BB169_17 Depth=1
	s_or_b64 exec, exec, s[66:67]
                                        ; implicit-def: $vgpr0_vgpr1
.LBB169_2662:                           ;   in Loop: Header=BB169_17 Depth=1
	s_andn2_saveexec_b64 s[72:73], s[72:73]
	s_cbranch_execz .LBB169_2680
; %bb.2663:                             ;   in Loop: Header=BB169_17 Depth=1
	v_cmp_gt_i16_sdwa s[60:61], v8, v48 src0_sel:BYTE_0 src1_sel:DWORD
                                        ; implicit-def: $vgpr53
	s_and_saveexec_b64 s[62:63], s[60:61]
	s_xor_b64 s[74:75], exec, s[62:63]
	s_cbranch_execz .LBB169_2673
; %bb.2664:                             ;   in Loop: Header=BB169_17 Depth=1
	v_cmp_gt_i16_sdwa s[60:61], v8, v49 src0_sel:BYTE_0 src1_sel:DWORD
                                        ; implicit-def: $vgpr53
	s_and_saveexec_b64 s[62:63], s[60:61]
	s_xor_b64 s[66:67], exec, s[62:63]
	;; [unrolled: 6-line block ×3, first 2 shown]
	s_cbranch_execz .LBB169_2667
; %bb.2666:                             ;   in Loop: Header=BB169_17 Depth=1
	flat_load_dwordx2 v[0:1], v[0:1]
	s_waitcnt vmcnt(0) lgkmcnt(0)
	v_xor_b32_e32 v54, v0, v1
	v_ffbh_i32_e32 v53, v1
	v_ashrrev_i32_e32 v54, 31, v54
	v_add_u32_e32 v53, -1, v53
	v_add_u32_e32 v54, 32, v54
	v_min_u32_e32 v53, v53, v54
	v_lshlrev_b64 v[0:1], v53, v[0:1]
	v_min_u32_e32 v0, 1, v0
	v_or_b32_e32 v0, v1, v0
	v_cvt_f32_i32_e32 v0, v0
	v_sub_u32_e32 v1, 32, v53
	v_ldexp_f32 v53, v0, v1
                                        ; implicit-def: $vgpr0_vgpr1
.LBB169_2667:                           ;   in Loop: Header=BB169_17 Depth=1
	s_andn2_saveexec_b64 s[60:61], s[68:69]
	s_cbranch_execz .LBB169_2669
; %bb.2668:                             ;   in Loop: Header=BB169_17 Depth=1
	flat_load_dword v0, v[0:1]
	s_waitcnt vmcnt(0) lgkmcnt(0)
	v_cvt_f32_i32_e32 v53, v0
.LBB169_2669:                           ;   in Loop: Header=BB169_17 Depth=1
	s_or_b64 exec, exec, s[60:61]
                                        ; implicit-def: $vgpr0_vgpr1
.LBB169_2670:                           ;   in Loop: Header=BB169_17 Depth=1
	s_andn2_saveexec_b64 s[60:61], s[66:67]
	s_cbranch_execz .LBB169_2672
; %bb.2671:                             ;   in Loop: Header=BB169_17 Depth=1
	flat_load_sshort v0, v[0:1]
	s_waitcnt vmcnt(0) lgkmcnt(0)
	v_cvt_f32_i32_e32 v53, v0
.LBB169_2672:                           ;   in Loop: Header=BB169_17 Depth=1
	s_or_b64 exec, exec, s[60:61]
                                        ; implicit-def: $vgpr0_vgpr1
.LBB169_2673:                           ;   in Loop: Header=BB169_17 Depth=1
	s_andn2_saveexec_b64 s[66:67], s[74:75]
	s_cbranch_execz .LBB169_2679
; %bb.2674:                             ;   in Loop: Header=BB169_17 Depth=1
	v_cmp_gt_i16_sdwa s[60:61], v8, v6 src0_sel:BYTE_0 src1_sel:DWORD
                                        ; implicit-def: $vgpr53
	s_and_saveexec_b64 s[62:63], s[60:61]
	s_xor_b64 s[60:61], exec, s[62:63]
	s_cbranch_execz .LBB169_2676
; %bb.2675:                             ;   in Loop: Header=BB169_17 Depth=1
	flat_load_sbyte v0, v[0:1]
	s_waitcnt vmcnt(0) lgkmcnt(0)
	v_cvt_f32_i32_e32 v53, v0
                                        ; implicit-def: $vgpr0_vgpr1
.LBB169_2676:                           ;   in Loop: Header=BB169_17 Depth=1
	s_andn2_saveexec_b64 s[60:61], s[60:61]
	s_cbranch_execz .LBB169_2678
; %bb.2677:                             ;   in Loop: Header=BB169_17 Depth=1
	flat_load_ubyte v0, v[0:1]
	s_waitcnt vmcnt(0) lgkmcnt(0)
	v_cvt_f32_ubyte0_e32 v53, v0
.LBB169_2678:                           ;   in Loop: Header=BB169_17 Depth=1
	s_or_b64 exec, exec, s[60:61]
.LBB169_2679:                           ;   in Loop: Header=BB169_17 Depth=1
	s_or_b64 exec, exec, s[66:67]
.LBB169_2680:                           ;   in Loop: Header=BB169_17 Depth=1
	s_or_b64 exec, exec, s[72:73]
	s_andn2_b64 s[90:91], s[90:91], exec
	s_andn2_b64 vcc, vcc, exec
	s_or_b64 s[92:93], s[92:93], exec
	s_or_b64 exec, exec, s[88:89]
	s_mov_b64 s[66:67], 0
	s_and_saveexec_b64 s[68:69], s[92:93]
	s_cbranch_execnz .LBB169_2557
	s_branch .LBB169_2558
.LBB169_2681:                           ;   in Loop: Header=BB169_17 Depth=1
	v_cmp_gt_i16_sdwa vcc, v7, v13 src0_sel:BYTE_0 src1_sel:DWORD
	s_mov_b64 s[94:95], 0
                                        ; implicit-def: $sgpr78_sgpr79
                                        ; implicit-def: $sgpr80_sgpr81
                                        ; implicit-def: $vgpr54
	s_and_saveexec_b64 s[60:61], vcc
	s_xor_b64 s[84:85], exec, s[60:61]
	s_cbranch_execz .LBB169_2713
; %bb.2682:                             ;   in Loop: Header=BB169_17 Depth=1
	v_cmp_gt_i16_sdwa vcc, v7, v14 src0_sel:BYTE_0 src1_sel:DWORD
	s_mov_b64 s[86:87], 0
                                        ; implicit-def: $sgpr72_sgpr73
                                        ; implicit-def: $sgpr80_sgpr81
                                        ; implicit-def: $vgpr54
	s_and_saveexec_b64 s[60:61], vcc
	s_xor_b64 s[78:79], exec, s[60:61]
	s_cbranch_execz .LBB169_2698
; %bb.2683:                             ;   in Loop: Header=BB169_17 Depth=1
	v_cmp_gt_i16_sdwa s[60:61], v7, v15 src0_sel:BYTE_0 src1_sel:DWORD
	s_mov_b64 s[74:75], 0
                                        ; implicit-def: $vcc
                                        ; implicit-def: $sgpr86_sgpr87
                                        ; implicit-def: $vgpr54
	s_and_saveexec_b64 s[62:63], s[60:61]
	s_xor_b64 s[72:73], exec, s[62:63]
	s_cbranch_execz .LBB169_2693
; %bb.2684:                             ;   in Loop: Header=BB169_17 Depth=1
	v_cmp_gt_i16_sdwa vcc, v7, v16 src0_sel:BYTE_0 src1_sel:DWORD
	s_mov_b64 s[80:81], 0
                                        ; implicit-def: $sgpr74_sgpr75
                                        ; implicit-def: $sgpr94_sgpr95
                                        ; implicit-def: $vgpr54
	s_and_saveexec_b64 s[60:61], vcc
	s_xor_b64 vcc, exec, s[60:61]
	s_cbranch_execz .LBB169_2688
; %bb.2685:                             ;   in Loop: Header=BB169_17 Depth=1
	v_cmp_eq_u16_sdwa s[62:63], v7, v17 src0_sel:BYTE_0 src1_sel:DWORD
	s_mov_b64 s[74:75], 0
	s_mov_b64 s[66:67], 0
                                        ; implicit-def: $vgpr54
	s_and_saveexec_b64 s[60:61], s[62:63]
	s_cbranch_execz .LBB169_2687
; %bb.2686:                             ;   in Loop: Header=BB169_17 Depth=1
	flat_load_dword v0, v[0:1]
	s_mov_b64 s[66:67], exec
	s_waitcnt vmcnt(0) lgkmcnt(0)
	v_lshlrev_b32_e32 v54, 16, v0
.LBB169_2687:                           ;   in Loop: Header=BB169_17 Depth=1
	s_or_b64 exec, exec, s[60:61]
	s_mov_b64 s[94:95], -1
	s_and_b64 s[80:81], s[66:67], exec
                                        ; implicit-def: $vgpr0_vgpr1
.LBB169_2688:                           ;   in Loop: Header=BB169_17 Depth=1
	s_andn2_saveexec_b64 s[66:67], vcc
	s_cbranch_execz .LBB169_2692
; %bb.2689:                             ;   in Loop: Header=BB169_17 Depth=1
	v_cmp_eq_u16_sdwa s[60:61], v7, v18 src0_sel:BYTE_0 src1_sel:DWORD
	s_mov_b64 vcc, s[80:81]
                                        ; implicit-def: $vgpr54
	s_and_saveexec_b64 s[68:69], s[60:61]
	s_cbranch_execz .LBB169_2691
; %bb.2690:                             ;   in Loop: Header=BB169_17 Depth=1
	flat_load_ubyte v0, v[0:1]
	s_movk_i32 vcc_lo, 0xff
	s_waitcnt vmcnt(0) lgkmcnt(0)
	v_lshlrev_b32_e32 v1, 23, v0
	v_cmp_ne_u32_e32 vcc, vcc_lo, v0
	v_cndmask_b32_e32 v1, v19, v1, vcc
	v_cmp_ne_u32_e32 vcc, 0, v0
	v_cndmask_b32_e32 v54, v20, v1, vcc
	s_or_b64 vcc, s[80:81], exec
.LBB169_2691:                           ;   in Loop: Header=BB169_17 Depth=1
	s_or_b64 exec, exec, s[68:69]
	s_andn2_b64 s[60:61], s[80:81], exec
	s_and_b64 vcc, vcc, exec
	s_andn2_b64 s[74:75], s[74:75], exec
	s_or_b64 s[94:95], s[94:95], exec
	s_or_b64 s[80:81], s[60:61], vcc
.LBB169_2692:                           ;   in Loop: Header=BB169_17 Depth=1
	s_or_b64 exec, exec, s[66:67]
	s_and_b64 s[86:87], s[74:75], exec
	s_and_b64 vcc, s[94:95], exec
	s_and_b64 s[74:75], s[80:81], exec
                                        ; implicit-def: $vgpr0_vgpr1
.LBB169_2693:                           ;   in Loop: Header=BB169_17 Depth=1
	s_andn2_saveexec_b64 s[66:67], s[72:73]
	s_cbranch_execz .LBB169_2697
; %bb.2694:                             ;   in Loop: Header=BB169_17 Depth=1
	v_cmp_eq_u16_sdwa s[60:61], v7, v21 src0_sel:BYTE_0 src1_sel:DWORD
	s_mov_b64 s[70:71], s[74:75]
                                        ; implicit-def: $vgpr54
	s_and_saveexec_b64 s[68:69], s[60:61]
	s_cbranch_execz .LBB169_2696
; %bb.2695:                             ;   in Loop: Header=BB169_17 Depth=1
	flat_load_dwordx2 v[0:1], v[0:1]
	s_or_b64 s[70:71], s[74:75], exec
	s_waitcnt vmcnt(0) lgkmcnt(0)
	v_ffbh_u32_e32 v52, v1
	v_min_u32_e32 v52, 32, v52
	v_lshlrev_b64 v[0:1], v52, v[0:1]
	v_min_u32_e32 v0, 1, v0
	v_or_b32_e32 v0, v1, v0
	v_cvt_f32_u32_e32 v0, v0
	v_sub_u32_e32 v1, 32, v52
	v_ldexp_f32 v54, v0, v1
.LBB169_2696:                           ;   in Loop: Header=BB169_17 Depth=1
	s_or_b64 exec, exec, s[68:69]
	s_andn2_b64 s[60:61], s[74:75], exec
	s_and_b64 s[62:63], s[70:71], exec
	s_andn2_b64 s[86:87], s[86:87], exec
	s_or_b64 vcc, vcc, exec
	s_or_b64 s[74:75], s[60:61], s[62:63]
.LBB169_2697:                           ;   in Loop: Header=BB169_17 Depth=1
	s_or_b64 exec, exec, s[66:67]
	s_and_b64 s[80:81], s[86:87], exec
	s_and_b64 s[72:73], vcc, exec
	s_and_b64 s[86:87], s[74:75], exec
                                        ; implicit-def: $vgpr0_vgpr1
.LBB169_2698:                           ;   in Loop: Header=BB169_17 Depth=1
	s_andn2_saveexec_b64 s[78:79], s[78:79]
	s_cbranch_execz .LBB169_2712
; %bb.2699:                             ;   in Loop: Header=BB169_17 Depth=1
	v_cmp_gt_i16_sdwa vcc, v7, v22 src0_sel:BYTE_0 src1_sel:DWORD
                                        ; implicit-def: $vgpr54
	s_and_saveexec_b64 s[60:61], vcc
	s_xor_b64 vcc, exec, s[60:61]
	s_cbranch_execz .LBB169_2705
; %bb.2700:                             ;   in Loop: Header=BB169_17 Depth=1
	v_cmp_gt_i16_sdwa s[60:61], v7, v23 src0_sel:BYTE_0 src1_sel:DWORD
                                        ; implicit-def: $vgpr54
	s_and_saveexec_b64 s[62:63], s[60:61]
	s_xor_b64 s[60:61], exec, s[62:63]
	s_cbranch_execz .LBB169_2702
; %bb.2701:                             ;   in Loop: Header=BB169_17 Depth=1
	flat_load_dword v0, v[0:1]
	s_waitcnt vmcnt(0) lgkmcnt(0)
	v_cvt_f32_u32_e32 v54, v0
                                        ; implicit-def: $vgpr0_vgpr1
.LBB169_2702:                           ;   in Loop: Header=BB169_17 Depth=1
	s_andn2_saveexec_b64 s[60:61], s[60:61]
	s_cbranch_execz .LBB169_2704
; %bb.2703:                             ;   in Loop: Header=BB169_17 Depth=1
	flat_load_ushort v0, v[0:1]
	s_waitcnt vmcnt(0) lgkmcnt(0)
	v_cvt_f32_u32_e32 v54, v0
.LBB169_2704:                           ;   in Loop: Header=BB169_17 Depth=1
	s_or_b64 exec, exec, s[60:61]
                                        ; implicit-def: $vgpr0_vgpr1
.LBB169_2705:                           ;   in Loop: Header=BB169_17 Depth=1
	s_andn2_saveexec_b64 s[74:75], vcc
	s_cbranch_execz .LBB169_2711
; %bb.2706:                             ;   in Loop: Header=BB169_17 Depth=1
	flat_load_ubyte v0, v[0:1]
	s_movk_i32 vcc_lo, 0x7f
	s_mov_b64 s[66:67], 0
                                        ; implicit-def: $sgpr70
	s_waitcnt vmcnt(0) lgkmcnt(0)
	v_cmp_lt_i16_e32 vcc, vcc_lo, v0
	s_and_saveexec_b64 s[60:61], vcc
	s_xor_b64 s[68:69], exec, s[60:61]
	s_cbranch_execnz .LBB169_3482
; %bb.2707:                             ;   in Loop: Header=BB169_17 Depth=1
	s_or_saveexec_b64 s[68:69], s[68:69]
	v_mov_b32_e32 v54, s70
	s_xor_b64 exec, exec, s[68:69]
	s_cbranch_execnz .LBB169_3485
.LBB169_2708:                           ;   in Loop: Header=BB169_17 Depth=1
	s_or_b64 exec, exec, s[68:69]
	s_and_saveexec_b64 s[68:69], s[66:67]
	s_cbranch_execz .LBB169_2710
.LBB169_2709:                           ;   in Loop: Header=BB169_17 Depth=1
	v_lshlrev_b32_e32 v1, 24, v0
	v_and_b32_e32 v0, 0xffff, v0
	v_and_b32_e32 v52, 7, v0
	v_ffbh_u32_e32 v55, v52
	v_min_u32_e32 v55, 32, v55
	v_subrev_u32_e32 v64, 28, v55
	v_bfe_u32 v54, v0, 3, 4
	v_lshlrev_b32_e32 v0, v64, v0
	v_sub_u32_e32 v55, 29, v55
	v_and_b32_e32 v0, 7, v0
	v_cmp_eq_u32_e32 vcc, 0, v54
	v_cndmask_b32_e32 v54, v54, v55, vcc
	v_cndmask_b32_e32 v0, v52, v0, vcc
	v_lshlrev_b32_e32 v0, 20, v0
	v_and_b32_e32 v1, 0x80000000, v1
	v_lshl_add_u32 v52, v54, 23, v24
	v_or3_b32 v54, v1, v52, v0
.LBB169_2710:                           ;   in Loop: Header=BB169_17 Depth=1
	s_or_b64 exec, exec, s[68:69]
.LBB169_2711:                           ;   in Loop: Header=BB169_17 Depth=1
	s_or_b64 exec, exec, s[74:75]
	s_andn2_b64 s[80:81], s[80:81], exec
	s_andn2_b64 s[72:73], s[72:73], exec
	s_or_b64 s[86:87], s[86:87], exec
.LBB169_2712:                           ;   in Loop: Header=BB169_17 Depth=1
	s_or_b64 exec, exec, s[78:79]
	s_and_b64 s[80:81], s[80:81], exec
	s_and_b64 s[78:79], s[72:73], exec
	;; [unrolled: 1-line block ×3, first 2 shown]
                                        ; implicit-def: $vgpr0_vgpr1
.LBB169_2713:                           ;   in Loop: Header=BB169_17 Depth=1
	s_andn2_saveexec_b64 s[84:85], s[84:85]
	s_cbranch_execz .LBB169_2739
; %bb.2714:                             ;   in Loop: Header=BB169_17 Depth=1
	v_cmp_gt_i16_sdwa vcc, v7, v25 src0_sel:BYTE_0 src1_sel:DWORD
	s_mov_b64 s[74:75], s[94:95]
                                        ; implicit-def: $vgpr54
	s_and_saveexec_b64 s[60:61], vcc
	s_xor_b64 s[72:73], exec, s[60:61]
	s_cbranch_execz .LBB169_2728
; %bb.2715:                             ;   in Loop: Header=BB169_17 Depth=1
	v_cmp_gt_i16_sdwa vcc, v7, v26 src0_sel:BYTE_0 src1_sel:DWORD
                                        ; implicit-def: $vgpr54
	s_and_saveexec_b64 s[60:61], vcc
	s_xor_b64 s[86:87], exec, s[60:61]
	s_cbranch_execz .LBB169_2725
; %bb.2716:                             ;   in Loop: Header=BB169_17 Depth=1
	v_cmp_gt_i16_sdwa vcc, v7, v27 src0_sel:BYTE_0 src1_sel:DWORD
                                        ; implicit-def: $vgpr54
	s_and_saveexec_b64 s[60:61], vcc
	s_xor_b64 s[74:75], exec, s[60:61]
	s_cbranch_execz .LBB169_2722
; %bb.2717:                             ;   in Loop: Header=BB169_17 Depth=1
	flat_load_ubyte v0, v[0:1]
	s_movk_i32 vcc_lo, 0x7f
	s_mov_b64 s[66:67], 0
                                        ; implicit-def: $sgpr70
	s_waitcnt vmcnt(0) lgkmcnt(0)
	v_cmp_lt_i16_e32 vcc, vcc_lo, v0
	s_and_saveexec_b64 s[60:61], vcc
	s_xor_b64 s[68:69], exec, s[60:61]
	s_cbranch_execnz .LBB169_3590
; %bb.2718:                             ;   in Loop: Header=BB169_17 Depth=1
	s_or_saveexec_b64 s[68:69], s[68:69]
	v_mov_b32_e32 v54, s70
	s_xor_b64 exec, exec, s[68:69]
	s_cbranch_execnz .LBB169_3593
.LBB169_2719:                           ;   in Loop: Header=BB169_17 Depth=1
	s_or_b64 exec, exec, s[68:69]
	s_and_saveexec_b64 s[68:69], s[66:67]
	s_cbranch_execz .LBB169_2721
.LBB169_2720:                           ;   in Loop: Header=BB169_17 Depth=1
	v_lshlrev_b32_e32 v1, 24, v0
	v_and_b32_e32 v0, 0xffff, v0
	v_and_b32_e32 v52, 3, v0
	v_ffbh_u32_e32 v55, v52
	v_min_u32_e32 v55, 32, v55
	v_subrev_u32_e32 v64, 29, v55
	v_bfe_u32 v54, v0, 2, 5
	v_lshlrev_b32_e32 v0, v64, v0
	v_sub_u32_e32 v55, 30, v55
	v_and_b32_e32 v0, 3, v0
	v_cmp_eq_u32_e32 vcc, 0, v54
	v_cndmask_b32_e32 v54, v54, v55, vcc
	v_cndmask_b32_e32 v0, v52, v0, vcc
	v_lshlrev_b32_e32 v0, 21, v0
	v_and_b32_e32 v1, 0x80000000, v1
	v_lshl_add_u32 v52, v54, 23, v28
	v_or3_b32 v54, v1, v52, v0
.LBB169_2721:                           ;   in Loop: Header=BB169_17 Depth=1
	s_or_b64 exec, exec, s[68:69]
                                        ; implicit-def: $vgpr0_vgpr1
.LBB169_2722:                           ;   in Loop: Header=BB169_17 Depth=1
	s_andn2_saveexec_b64 s[66:67], s[74:75]
	s_cbranch_execz .LBB169_2724
; %bb.2723:                             ;   in Loop: Header=BB169_17 Depth=1
	flat_load_ubyte v0, v[0:1]
	s_mov_b32 vcc_lo, 0x7f800000
	s_waitcnt vmcnt(0) lgkmcnt(0)
	v_lshlrev_b32_e32 v0, 24, v0
	v_and_b32_e32 v1, 0x7f000000, v0
	v_ffbh_u32_e32 v52, v1
	v_min_u32_e32 v52, 32, v52
	v_sub_u32_e64 v52, v52, 4 clamp
	v_lshlrev_b32_e32 v55, v52, v1
	v_lshlrev_b32_e32 v52, 23, v52
	v_lshrrev_b32_e32 v55, 4, v55
	v_add_u32_e32 v54, 0x1000000, v1
	v_sub_u32_e32 v52, v55, v52
	v_ashrrev_i32_e32 v54, 8, v54
	v_add_u32_e32 v52, 0x3c000000, v52
	v_and_or_b32 v52, v54, vcc_lo, v52
	v_cmp_ne_u32_e32 vcc, 0, v1
	v_cndmask_b32_e32 v1, 0, v52, vcc
	s_brev_b32 vcc_lo, 1
	v_and_or_b32 v54, v0, vcc_lo, v1
.LBB169_2724:                           ;   in Loop: Header=BB169_17 Depth=1
	s_or_b64 exec, exec, s[66:67]
                                        ; implicit-def: $vgpr0_vgpr1
.LBB169_2725:                           ;   in Loop: Header=BB169_17 Depth=1
	s_andn2_saveexec_b64 s[66:67], s[86:87]
	s_cbranch_execz .LBB169_2727
; %bb.2726:                             ;   in Loop: Header=BB169_17 Depth=1
	flat_load_ubyte v0, v[0:1]
	s_movk_i32 vcc_lo, 0x7f00
	s_waitcnt vmcnt(0) lgkmcnt(0)
	v_lshlrev_b16_e32 v1, 8, v0
	v_lshlrev_b32_e32 v0, 25, v0
	v_lshrrev_b32_e32 v52, 4, v0
	v_and_or_b32 v54, v1, vcc_lo, 0.5
	v_or_b32_e32 v52, 0x70000000, v52
	s_brev_b32 vcc_lo, 16
	v_add_f32_e32 v54, -0.5, v54
	v_mul_f32_e32 v52, 0x7800000, v52
	v_cmp_gt_u32_e32 vcc, vcc_lo, v0
	v_cndmask_b32_e32 v0, v52, v54, vcc
	v_bfe_i32 v1, v1, 0, 16
	s_brev_b32 vcc_lo, 1
	v_and_or_b32 v54, v1, vcc_lo, v0
.LBB169_2727:                           ;   in Loop: Header=BB169_17 Depth=1
	s_or_b64 exec, exec, s[66:67]
	s_or_b64 s[74:75], s[94:95], exec
                                        ; implicit-def: $vgpr0_vgpr1
.LBB169_2728:                           ;   in Loop: Header=BB169_17 Depth=1
	s_or_saveexec_b64 s[72:73], s[72:73]
                                        ; implicit-def: $vcc
                                        ; implicit-def: $sgpr68_sgpr69
	s_xor_b64 exec, exec, s[72:73]
	s_cbranch_execz .LBB169_2738
; %bb.2729:                             ;   in Loop: Header=BB169_17 Depth=1
	v_cmp_gt_i16_sdwa vcc, v7, v29 src0_sel:BYTE_0 src1_sel:DWORD
	s_mov_b64 s[66:67], s[74:75]
                                        ; implicit-def: $sgpr68_sgpr69
                                        ; implicit-def: $sgpr76_sgpr77
                                        ; implicit-def: $vgpr54
	s_and_saveexec_b64 s[60:61], vcc
	s_xor_b64 vcc, exec, s[60:61]
	s_cbranch_execz .LBB169_2733
; %bb.2730:                             ;   in Loop: Header=BB169_17 Depth=1
	v_cmp_eq_u16_sdwa s[62:63], v7, v32 src0_sel:BYTE_0 src1_sel:DWORD
	s_mov_b64 s[66:67], s[74:75]
                                        ; implicit-def: $vgpr54
	s_and_saveexec_b64 s[60:61], s[62:63]
	s_cbranch_execz .LBB169_2732
; %bb.2731:                             ;   in Loop: Header=BB169_17 Depth=1
	flat_load_ushort v0, v[0:1]
	s_or_b64 s[66:67], s[74:75], exec
	s_waitcnt vmcnt(0) lgkmcnt(0)
	v_lshlrev_b32_e32 v54, 16, v0
.LBB169_2732:                           ;   in Loop: Header=BB169_17 Depth=1
	s_or_b64 exec, exec, s[60:61]
	s_andn2_b64 s[60:61], s[74:75], exec
	s_and_b64 s[62:63], s[66:67], exec
	s_mov_b64 s[76:77], -1
	s_mov_b64 s[68:69], 0
	s_or_b64 s[66:67], s[60:61], s[62:63]
                                        ; implicit-def: $vgpr0_vgpr1
.LBB169_2733:                           ;   in Loop: Header=BB169_17 Depth=1
	s_andn2_saveexec_b64 s[70:71], vcc
	s_cbranch_execz .LBB169_2737
; %bb.2734:                             ;   in Loop: Header=BB169_17 Depth=1
	v_cmp_eq_u16_sdwa s[62:63], v7, v33 src0_sel:BYTE_0 src1_sel:DWORD
	s_mov_b64 vcc, s[66:67]
                                        ; implicit-def: $vgpr54
	s_and_saveexec_b64 s[60:61], s[62:63]
	s_cbranch_execz .LBB169_2736
; %bb.2735:                             ;   in Loop: Header=BB169_17 Depth=1
	flat_load_ubyte v0, v[0:1]
	s_waitcnt vmcnt(0) lgkmcnt(0)
	v_cmp_ne_u16_e32 vcc, 0, v0
	v_cndmask_b32_e64 v54, 0, 1.0, vcc
	s_or_b64 vcc, s[66:67], exec
.LBB169_2736:                           ;   in Loop: Header=BB169_17 Depth=1
	s_or_b64 exec, exec, s[60:61]
	s_andn2_b64 s[60:61], s[66:67], exec
	s_and_b64 vcc, vcc, exec
	s_andn2_b64 s[68:69], s[68:69], exec
	s_or_b64 s[76:77], s[76:77], exec
	s_or_b64 s[66:67], s[60:61], vcc
.LBB169_2737:                           ;   in Loop: Header=BB169_17 Depth=1
	s_or_b64 exec, exec, s[70:71]
	s_andn2_b64 s[60:61], s[74:75], exec
	s_and_b64 s[62:63], s[66:67], exec
	s_and_b64 s[68:69], s[68:69], exec
	s_and_b64 vcc, s[76:77], exec
	s_or_b64 s[74:75], s[60:61], s[62:63]
.LBB169_2738:                           ;   in Loop: Header=BB169_17 Depth=1
	s_or_b64 exec, exec, s[72:73]
	s_andn2_b64 s[60:61], s[80:81], exec
	s_and_b64 s[62:63], s[68:69], exec
	s_or_b64 s[80:81], s[60:61], s[62:63]
	s_andn2_b64 s[60:61], s[78:79], exec
	s_and_b64 vcc, vcc, exec
	s_or_b64 s[78:79], s[60:61], vcc
	s_andn2_b64 vcc, s[94:95], exec
	s_and_b64 s[60:61], s[74:75], exec
	s_or_b64 s[94:95], vcc, s[60:61]
.LBB169_2739:                           ;   in Loop: Header=BB169_17 Depth=1
	s_or_b64 exec, exec, s[84:85]
	s_and_b64 s[86:87], s[80:81], exec
	s_and_b64 s[84:85], s[78:79], exec
	s_and_b64 vcc, s[94:95], exec
                                        ; implicit-def: $vgpr0_vgpr1
	s_andn2_saveexec_b64 s[78:79], s[92:93]
	s_cbranch_execz .LBB169_2564
.LBB169_2740:                           ;   in Loop: Header=BB169_17 Depth=1
	v_cmp_gt_i16_sdwa s[60:61], v7, v34 src0_sel:BYTE_0 src1_sel:DWORD
                                        ; implicit-def: $vgpr54
	s_and_saveexec_b64 s[62:63], s[60:61]
	s_xor_b64 s[72:73], exec, s[62:63]
	s_cbranch_execz .LBB169_2762
; %bb.2741:                             ;   in Loop: Header=BB169_17 Depth=1
	v_cmp_gt_i16_sdwa s[60:61], v7, v35 src0_sel:BYTE_0 src1_sel:DWORD
                                        ; implicit-def: $vgpr54
	s_and_saveexec_b64 s[62:63], s[60:61]
	s_xor_b64 s[66:67], exec, s[62:63]
	s_cbranch_execz .LBB169_2751
; %bb.2742:                             ;   in Loop: Header=BB169_17 Depth=1
	;; [unrolled: 6-line block ×4, first 2 shown]
	flat_load_dwordx2 v[0:1], v[0:1]
	s_waitcnt vmcnt(0) lgkmcnt(0)
	v_cvt_f32_f64_e32 v54, v[0:1]
                                        ; implicit-def: $vgpr0_vgpr1
.LBB169_2745:                           ;   in Loop: Header=BB169_17 Depth=1
	s_andn2_saveexec_b64 s[60:61], s[60:61]
	s_cbranch_execz .LBB169_2747
; %bb.2746:                             ;   in Loop: Header=BB169_17 Depth=1
	flat_load_dword v54, v[0:1]
.LBB169_2747:                           ;   in Loop: Header=BB169_17 Depth=1
	s_or_b64 exec, exec, s[60:61]
                                        ; implicit-def: $vgpr0_vgpr1
.LBB169_2748:                           ;   in Loop: Header=BB169_17 Depth=1
	s_andn2_saveexec_b64 s[60:61], s[68:69]
	s_cbranch_execz .LBB169_2750
; %bb.2749:                             ;   in Loop: Header=BB169_17 Depth=1
	flat_load_dword v0, v[0:1]
	s_waitcnt vmcnt(0) lgkmcnt(0)
	v_cvt_f32_f16_e32 v54, v0
.LBB169_2750:                           ;   in Loop: Header=BB169_17 Depth=1
	s_or_b64 exec, exec, s[60:61]
                                        ; implicit-def: $vgpr0_vgpr1
.LBB169_2751:                           ;   in Loop: Header=BB169_17 Depth=1
	s_andn2_saveexec_b64 s[66:67], s[66:67]
	s_cbranch_execz .LBB169_2761
; %bb.2752:                             ;   in Loop: Header=BB169_17 Depth=1
	v_cmp_gt_i16_sdwa s[60:61], v7, v38 src0_sel:BYTE_0 src1_sel:DWORD
                                        ; implicit-def: $vgpr54
	s_and_saveexec_b64 s[62:63], s[60:61]
	s_xor_b64 s[68:69], exec, s[62:63]
	s_cbranch_execz .LBB169_2758
; %bb.2753:                             ;   in Loop: Header=BB169_17 Depth=1
	v_cmp_gt_i16_sdwa s[60:61], v7, v39 src0_sel:BYTE_0 src1_sel:DWORD
                                        ; implicit-def: $vgpr54
	s_and_saveexec_b64 s[62:63], s[60:61]
	s_xor_b64 s[60:61], exec, s[62:63]
	s_cbranch_execz .LBB169_2755
; %bb.2754:                             ;   in Loop: Header=BB169_17 Depth=1
	flat_load_dwordx2 v[0:1], v[0:1]
	s_waitcnt vmcnt(0) lgkmcnt(0)
	v_cvt_f32_f64_e32 v54, v[0:1]
                                        ; implicit-def: $vgpr0_vgpr1
.LBB169_2755:                           ;   in Loop: Header=BB169_17 Depth=1
	s_andn2_saveexec_b64 s[60:61], s[60:61]
	s_cbranch_execz .LBB169_2757
; %bb.2756:                             ;   in Loop: Header=BB169_17 Depth=1
	s_waitcnt vmcnt(0) lgkmcnt(0)
	flat_load_dword v54, v[0:1]
.LBB169_2757:                           ;   in Loop: Header=BB169_17 Depth=1
	s_or_b64 exec, exec, s[60:61]
                                        ; implicit-def: $vgpr0_vgpr1
.LBB169_2758:                           ;   in Loop: Header=BB169_17 Depth=1
	s_andn2_saveexec_b64 s[60:61], s[68:69]
	s_cbranch_execz .LBB169_2760
; %bb.2759:                             ;   in Loop: Header=BB169_17 Depth=1
	flat_load_ushort v0, v[0:1]
	s_waitcnt vmcnt(0) lgkmcnt(0)
	v_cvt_f32_f16_e32 v54, v0
.LBB169_2760:                           ;   in Loop: Header=BB169_17 Depth=1
	s_or_b64 exec, exec, s[60:61]
.LBB169_2761:                           ;   in Loop: Header=BB169_17 Depth=1
	s_or_b64 exec, exec, s[66:67]
                                        ; implicit-def: $vgpr0_vgpr1
.LBB169_2762:                           ;   in Loop: Header=BB169_17 Depth=1
	s_andn2_saveexec_b64 s[72:73], s[72:73]
	s_cbranch_execz .LBB169_2780
; %bb.2763:                             ;   in Loop: Header=BB169_17 Depth=1
	v_cmp_gt_i16_sdwa s[60:61], v7, v48 src0_sel:BYTE_0 src1_sel:DWORD
                                        ; implicit-def: $vgpr54
	s_and_saveexec_b64 s[62:63], s[60:61]
	s_xor_b64 s[74:75], exec, s[62:63]
	s_cbranch_execz .LBB169_2773
; %bb.2764:                             ;   in Loop: Header=BB169_17 Depth=1
	v_cmp_gt_i16_sdwa s[60:61], v7, v49 src0_sel:BYTE_0 src1_sel:DWORD
                                        ; implicit-def: $vgpr54
	s_and_saveexec_b64 s[62:63], s[60:61]
	s_xor_b64 s[66:67], exec, s[62:63]
	;; [unrolled: 6-line block ×3, first 2 shown]
	s_cbranch_execz .LBB169_2767
; %bb.2766:                             ;   in Loop: Header=BB169_17 Depth=1
	flat_load_dwordx2 v[0:1], v[0:1]
	s_waitcnt vmcnt(0) lgkmcnt(0)
	v_xor_b32_e32 v54, v0, v1
	v_ffbh_i32_e32 v52, v1
	v_ashrrev_i32_e32 v54, 31, v54
	v_add_u32_e32 v52, -1, v52
	v_add_u32_e32 v54, 32, v54
	v_min_u32_e32 v52, v52, v54
	v_lshlrev_b64 v[0:1], v52, v[0:1]
	v_min_u32_e32 v0, 1, v0
	v_or_b32_e32 v0, v1, v0
	v_cvt_f32_i32_e32 v0, v0
	v_sub_u32_e32 v1, 32, v52
	v_ldexp_f32 v54, v0, v1
                                        ; implicit-def: $vgpr0_vgpr1
.LBB169_2767:                           ;   in Loop: Header=BB169_17 Depth=1
	s_andn2_saveexec_b64 s[60:61], s[68:69]
	s_cbranch_execz .LBB169_2769
; %bb.2768:                             ;   in Loop: Header=BB169_17 Depth=1
	flat_load_dword v0, v[0:1]
	s_waitcnt vmcnt(0) lgkmcnt(0)
	v_cvt_f32_i32_e32 v54, v0
.LBB169_2769:                           ;   in Loop: Header=BB169_17 Depth=1
	s_or_b64 exec, exec, s[60:61]
                                        ; implicit-def: $vgpr0_vgpr1
.LBB169_2770:                           ;   in Loop: Header=BB169_17 Depth=1
	s_andn2_saveexec_b64 s[60:61], s[66:67]
	s_cbranch_execz .LBB169_2772
; %bb.2771:                             ;   in Loop: Header=BB169_17 Depth=1
	flat_load_sshort v0, v[0:1]
	s_waitcnt vmcnt(0) lgkmcnt(0)
	v_cvt_f32_i32_e32 v54, v0
.LBB169_2772:                           ;   in Loop: Header=BB169_17 Depth=1
	s_or_b64 exec, exec, s[60:61]
                                        ; implicit-def: $vgpr0_vgpr1
.LBB169_2773:                           ;   in Loop: Header=BB169_17 Depth=1
	s_andn2_saveexec_b64 s[66:67], s[74:75]
	s_cbranch_execz .LBB169_2779
; %bb.2774:                             ;   in Loop: Header=BB169_17 Depth=1
	v_cmp_gt_i16_sdwa s[60:61], v7, v6 src0_sel:BYTE_0 src1_sel:DWORD
                                        ; implicit-def: $vgpr54
	s_and_saveexec_b64 s[62:63], s[60:61]
	s_xor_b64 s[60:61], exec, s[62:63]
	s_cbranch_execz .LBB169_2776
; %bb.2775:                             ;   in Loop: Header=BB169_17 Depth=1
	flat_load_sbyte v0, v[0:1]
	s_waitcnt vmcnt(0) lgkmcnt(0)
	v_cvt_f32_i32_e32 v54, v0
                                        ; implicit-def: $vgpr0_vgpr1
.LBB169_2776:                           ;   in Loop: Header=BB169_17 Depth=1
	s_andn2_saveexec_b64 s[60:61], s[60:61]
	s_cbranch_execz .LBB169_2778
; %bb.2777:                             ;   in Loop: Header=BB169_17 Depth=1
	flat_load_ubyte v0, v[0:1]
	s_waitcnt vmcnt(0) lgkmcnt(0)
	v_cvt_f32_ubyte0_e32 v54, v0
.LBB169_2778:                           ;   in Loop: Header=BB169_17 Depth=1
	s_or_b64 exec, exec, s[60:61]
.LBB169_2779:                           ;   in Loop: Header=BB169_17 Depth=1
	s_or_b64 exec, exec, s[66:67]
.LBB169_2780:                           ;   in Loop: Header=BB169_17 Depth=1
	s_or_b64 exec, exec, s[72:73]
	s_andn2_b64 s[86:87], s[86:87], exec
	s_andn2_b64 s[84:85], s[84:85], exec
	s_or_b64 vcc, vcc, exec
	s_or_b64 exec, exec, s[78:79]
	s_mov_b64 s[66:67], 0
	s_and_saveexec_b64 s[92:93], vcc
	s_cbranch_execz .LBB169_2886
.LBB169_2781:                           ;   in Loop: Header=BB169_17 Depth=1
	v_mul_lo_u32 v0, v53, v10
	v_readlane_b32 s60, v78, 0
	v_add_co_u32_e32 v0, vcc, v4, v0
	v_add_u32_e32 v52, s60, v11
	v_addc_co_u32_e32 v1, vcc, 0, v5, vcc
	v_cmp_gt_i16_sdwa s[60:61], v8, v12 src0_sel:BYTE_0 src1_sel:DWORD
	s_mov_b64 s[78:79], 0
	s_waitcnt vmcnt(0) lgkmcnt(0)
	buffer_store_dword v54, v52, s[0:3], 0 offen offset:100
                                        ; implicit-def: $vcc
                                        ; implicit-def: $sgpr96_sgpr97
                                        ; implicit-def: $vgpr53
	s_and_saveexec_b64 s[62:63], s[60:61]
	s_xor_b64 s[62:63], exec, s[62:63]
	v_writelane_b32 v78, s62, 24
	v_writelane_b32 v78, s63, 25
	s_cbranch_execz .LBB169_2841
; %bb.2782:                             ;   in Loop: Header=BB169_17 Depth=1
	v_cmp_gt_i16_sdwa vcc, v8, v13 src0_sel:BYTE_0 src1_sel:DWORD
                                        ; implicit-def: $sgpr80_sgpr81
                                        ; implicit-def: $sgpr96_sgpr97
                                        ; implicit-def: $vgpr53
	s_and_saveexec_b64 s[60:61], vcc
	s_xor_b64 s[76:77], exec, s[60:61]
	s_cbranch_execz .LBB169_2814
; %bb.2783:                             ;   in Loop: Header=BB169_17 Depth=1
	v_cmp_gt_i16_sdwa vcc, v8, v14 src0_sel:BYTE_0 src1_sel:DWORD
                                        ; implicit-def: $sgpr72_sgpr73
                                        ; implicit-def: $sgpr94_sgpr95
                                        ; implicit-def: $vgpr53
	s_and_saveexec_b64 s[60:61], vcc
	s_xor_b64 s[80:81], exec, s[60:61]
	s_cbranch_execz .LBB169_2799
; %bb.2784:                             ;   in Loop: Header=BB169_17 Depth=1
	v_cmp_gt_i16_sdwa s[60:61], v8, v15 src0_sel:BYTE_0 src1_sel:DWORD
	s_mov_b64 s[74:75], 0
                                        ; implicit-def: $vcc
                                        ; implicit-def: $sgpr94_sgpr95
                                        ; implicit-def: $vgpr53
	s_and_saveexec_b64 s[62:63], s[60:61]
	s_xor_b64 s[72:73], exec, s[62:63]
	s_cbranch_execz .LBB169_2794
; %bb.2785:                             ;   in Loop: Header=BB169_17 Depth=1
	v_cmp_gt_i16_sdwa vcc, v8, v16 src0_sel:BYTE_0 src1_sel:DWORD
                                        ; implicit-def: $sgpr94_sgpr95
                                        ; implicit-def: $sgpr74_sgpr75
                                        ; implicit-def: $vgpr53
	s_and_saveexec_b64 s[60:61], vcc
	s_xor_b64 vcc, exec, s[60:61]
	s_cbranch_execz .LBB169_2789
; %bb.2786:                             ;   in Loop: Header=BB169_17 Depth=1
	v_cmp_eq_u16_sdwa s[62:63], v8, v17 src0_sel:BYTE_0 src1_sel:DWORD
	s_mov_b64 s[74:75], 0
                                        ; implicit-def: $vgpr53
	s_and_saveexec_b64 s[60:61], s[62:63]
	s_cbranch_execz .LBB169_2788
; %bb.2787:                             ;   in Loop: Header=BB169_17 Depth=1
	flat_load_dword v0, v[0:1]
	s_mov_b64 s[66:67], exec
	s_waitcnt vmcnt(0) lgkmcnt(0)
	v_lshlrev_b32_e32 v53, 16, v0
.LBB169_2788:                           ;   in Loop: Header=BB169_17 Depth=1
	s_or_b64 exec, exec, s[60:61]
	s_mov_b64 s[94:95], -1
	s_and_b64 s[78:79], s[66:67], exec
                                        ; implicit-def: $vgpr0_vgpr1
.LBB169_2789:                           ;   in Loop: Header=BB169_17 Depth=1
	s_andn2_saveexec_b64 s[66:67], vcc
	s_cbranch_execz .LBB169_2793
; %bb.2790:                             ;   in Loop: Header=BB169_17 Depth=1
	v_cmp_eq_u16_sdwa s[60:61], v8, v18 src0_sel:BYTE_0 src1_sel:DWORD
	s_mov_b64 vcc, s[78:79]
                                        ; implicit-def: $vgpr53
	s_and_saveexec_b64 s[68:69], s[60:61]
	s_cbranch_execz .LBB169_2792
; %bb.2791:                             ;   in Loop: Header=BB169_17 Depth=1
	flat_load_ubyte v0, v[0:1]
	s_movk_i32 vcc_lo, 0xff
	s_waitcnt vmcnt(0) lgkmcnt(0)
	v_lshlrev_b32_e32 v1, 23, v0
	v_cmp_ne_u32_e32 vcc, vcc_lo, v0
	v_cndmask_b32_e32 v1, v19, v1, vcc
	v_cmp_ne_u32_e32 vcc, 0, v0
	v_cndmask_b32_e32 v53, v20, v1, vcc
	s_or_b64 vcc, s[78:79], exec
.LBB169_2792:                           ;   in Loop: Header=BB169_17 Depth=1
	s_or_b64 exec, exec, s[68:69]
	s_andn2_b64 s[60:61], s[78:79], exec
	s_and_b64 vcc, vcc, exec
	s_or_b64 s[94:95], s[94:95], exec
	s_andn2_b64 s[74:75], s[74:75], exec
	s_or_b64 s[78:79], s[60:61], vcc
.LBB169_2793:                           ;   in Loop: Header=BB169_17 Depth=1
	s_or_b64 exec, exec, s[66:67]
	s_and_b64 s[94:95], s[94:95], exec
	s_and_b64 vcc, s[74:75], exec
	s_and_b64 s[74:75], s[78:79], exec
                                        ; implicit-def: $vgpr0_vgpr1
.LBB169_2794:                           ;   in Loop: Header=BB169_17 Depth=1
	s_andn2_saveexec_b64 s[66:67], s[72:73]
	s_cbranch_execz .LBB169_2798
; %bb.2795:                             ;   in Loop: Header=BB169_17 Depth=1
	v_cmp_eq_u16_sdwa s[60:61], v8, v21 src0_sel:BYTE_0 src1_sel:DWORD
	s_mov_b64 s[70:71], s[74:75]
                                        ; implicit-def: $vgpr53
	s_and_saveexec_b64 s[68:69], s[60:61]
	s_cbranch_execz .LBB169_2797
; %bb.2796:                             ;   in Loop: Header=BB169_17 Depth=1
	flat_load_dwordx2 v[0:1], v[0:1]
	s_or_b64 s[70:71], s[74:75], exec
	s_waitcnt vmcnt(0) lgkmcnt(0)
	v_ffbh_u32_e32 v53, v1
	v_min_u32_e32 v53, 32, v53
	v_lshlrev_b64 v[0:1], v53, v[0:1]
	v_min_u32_e32 v0, 1, v0
	v_or_b32_e32 v0, v1, v0
	v_cvt_f32_u32_e32 v0, v0
	v_sub_u32_e32 v1, 32, v53
	v_ldexp_f32 v53, v0, v1
.LBB169_2797:                           ;   in Loop: Header=BB169_17 Depth=1
	s_or_b64 exec, exec, s[68:69]
	s_andn2_b64 s[60:61], s[74:75], exec
	s_and_b64 s[62:63], s[70:71], exec
	s_or_b64 s[94:95], s[94:95], exec
	s_andn2_b64 vcc, vcc, exec
	s_or_b64 s[74:75], s[60:61], s[62:63]
.LBB169_2798:                           ;   in Loop: Header=BB169_17 Depth=1
	s_or_b64 exec, exec, s[66:67]
	s_and_b64 s[94:95], s[94:95], exec
	s_and_b64 s[72:73], vcc, exec
	s_and_b64 s[78:79], s[74:75], exec
                                        ; implicit-def: $vgpr0_vgpr1
.LBB169_2799:                           ;   in Loop: Header=BB169_17 Depth=1
	s_andn2_saveexec_b64 s[80:81], s[80:81]
	s_cbranch_execz .LBB169_2813
; %bb.2800:                             ;   in Loop: Header=BB169_17 Depth=1
	v_cmp_gt_i16_sdwa vcc, v8, v22 src0_sel:BYTE_0 src1_sel:DWORD
                                        ; implicit-def: $vgpr53
	s_and_saveexec_b64 s[60:61], vcc
	s_xor_b64 vcc, exec, s[60:61]
	s_cbranch_execz .LBB169_2806
; %bb.2801:                             ;   in Loop: Header=BB169_17 Depth=1
	v_cmp_gt_i16_sdwa s[60:61], v8, v23 src0_sel:BYTE_0 src1_sel:DWORD
                                        ; implicit-def: $vgpr53
	s_and_saveexec_b64 s[62:63], s[60:61]
	s_xor_b64 s[60:61], exec, s[62:63]
	s_cbranch_execz .LBB169_2803
; %bb.2802:                             ;   in Loop: Header=BB169_17 Depth=1
	flat_load_dword v0, v[0:1]
	s_waitcnt vmcnt(0) lgkmcnt(0)
	v_cvt_f32_u32_e32 v53, v0
                                        ; implicit-def: $vgpr0_vgpr1
.LBB169_2803:                           ;   in Loop: Header=BB169_17 Depth=1
	s_andn2_saveexec_b64 s[60:61], s[60:61]
	s_cbranch_execz .LBB169_2805
; %bb.2804:                             ;   in Loop: Header=BB169_17 Depth=1
	flat_load_ushort v0, v[0:1]
	s_waitcnt vmcnt(0) lgkmcnt(0)
	v_cvt_f32_u32_e32 v53, v0
.LBB169_2805:                           ;   in Loop: Header=BB169_17 Depth=1
	s_or_b64 exec, exec, s[60:61]
                                        ; implicit-def: $vgpr0_vgpr1
.LBB169_2806:                           ;   in Loop: Header=BB169_17 Depth=1
	s_andn2_saveexec_b64 s[74:75], vcc
	s_cbranch_execz .LBB169_2812
; %bb.2807:                             ;   in Loop: Header=BB169_17 Depth=1
	flat_load_ubyte v0, v[0:1]
	s_movk_i32 vcc_lo, 0x7f
	s_mov_b64 s[66:67], 0
                                        ; implicit-def: $sgpr70
	s_waitcnt vmcnt(0) lgkmcnt(0)
	v_cmp_lt_i16_e32 vcc, vcc_lo, v0
	s_and_saveexec_b64 s[60:61], vcc
	s_xor_b64 s[68:69], exec, s[60:61]
	s_cbranch_execnz .LBB169_3594
; %bb.2808:                             ;   in Loop: Header=BB169_17 Depth=1
	s_or_saveexec_b64 s[68:69], s[68:69]
	v_mov_b32_e32 v53, s70
	s_xor_b64 exec, exec, s[68:69]
	s_cbranch_execnz .LBB169_3597
.LBB169_2809:                           ;   in Loop: Header=BB169_17 Depth=1
	s_or_b64 exec, exec, s[68:69]
	s_and_saveexec_b64 s[68:69], s[66:67]
	s_cbranch_execz .LBB169_2811
.LBB169_2810:                           ;   in Loop: Header=BB169_17 Depth=1
	v_lshlrev_b32_e32 v1, 24, v0
	v_and_b32_e32 v0, 0xffff, v0
	v_and_b32_e32 v53, 7, v0
	v_ffbh_u32_e32 v55, v53
	v_min_u32_e32 v55, 32, v55
	v_subrev_u32_e32 v64, 28, v55
	v_bfe_u32 v54, v0, 3, 4
	v_lshlrev_b32_e32 v0, v64, v0
	v_sub_u32_e32 v55, 29, v55
	v_and_b32_e32 v0, 7, v0
	v_cmp_eq_u32_e32 vcc, 0, v54
	v_cndmask_b32_e32 v54, v54, v55, vcc
	v_cndmask_b32_e32 v0, v53, v0, vcc
	v_lshlrev_b32_e32 v0, 20, v0
	v_and_b32_e32 v1, 0x80000000, v1
	v_lshl_add_u32 v53, v54, 23, v24
	v_or3_b32 v53, v1, v53, v0
.LBB169_2811:                           ;   in Loop: Header=BB169_17 Depth=1
	s_or_b64 exec, exec, s[68:69]
.LBB169_2812:                           ;   in Loop: Header=BB169_17 Depth=1
	s_or_b64 exec, exec, s[74:75]
	s_andn2_b64 s[94:95], s[94:95], exec
	s_andn2_b64 s[72:73], s[72:73], exec
	s_or_b64 s[78:79], s[78:79], exec
.LBB169_2813:                           ;   in Loop: Header=BB169_17 Depth=1
	s_or_b64 exec, exec, s[80:81]
	s_and_b64 s[96:97], s[94:95], exec
	s_and_b64 s[80:81], s[72:73], exec
	s_and_b64 s[78:79], s[78:79], exec
                                        ; implicit-def: $vgpr0_vgpr1
.LBB169_2814:                           ;   in Loop: Header=BB169_17 Depth=1
	s_andn2_saveexec_b64 s[94:95], s[76:77]
	s_cbranch_execz .LBB169_2840
; %bb.2815:                             ;   in Loop: Header=BB169_17 Depth=1
	v_cmp_gt_i16_sdwa vcc, v8, v25 src0_sel:BYTE_0 src1_sel:DWORD
	s_mov_b64 s[74:75], s[78:79]
                                        ; implicit-def: $vgpr53
	s_and_saveexec_b64 s[60:61], vcc
	s_xor_b64 s[72:73], exec, s[60:61]
	s_cbranch_execz .LBB169_2829
; %bb.2816:                             ;   in Loop: Header=BB169_17 Depth=1
	v_cmp_gt_i16_sdwa vcc, v8, v26 src0_sel:BYTE_0 src1_sel:DWORD
                                        ; implicit-def: $vgpr53
	s_and_saveexec_b64 s[60:61], vcc
	s_xor_b64 s[62:63], exec, s[60:61]
	s_cbranch_execz .LBB169_2826
; %bb.2817:                             ;   in Loop: Header=BB169_17 Depth=1
	v_cmp_gt_i16_sdwa vcc, v8, v27 src0_sel:BYTE_0 src1_sel:DWORD
                                        ; implicit-def: $vgpr53
	s_and_saveexec_b64 s[60:61], vcc
	s_xor_b64 s[74:75], exec, s[60:61]
	s_cbranch_execz .LBB169_2823
; %bb.2818:                             ;   in Loop: Header=BB169_17 Depth=1
	flat_load_ubyte v0, v[0:1]
	s_movk_i32 vcc_lo, 0x7f
	s_mov_b64 s[66:67], 0
                                        ; implicit-def: $sgpr70
	s_waitcnt vmcnt(0) lgkmcnt(0)
	v_cmp_lt_i16_e32 vcc, vcc_lo, v0
	s_and_saveexec_b64 s[60:61], vcc
	s_xor_b64 s[68:69], exec, s[60:61]
	s_cbranch_execnz .LBB169_3602
; %bb.2819:                             ;   in Loop: Header=BB169_17 Depth=1
	s_or_saveexec_b64 s[68:69], s[68:69]
	v_mov_b32_e32 v53, s70
	s_xor_b64 exec, exec, s[68:69]
	s_cbranch_execnz .LBB169_3605
.LBB169_2820:                           ;   in Loop: Header=BB169_17 Depth=1
	s_or_b64 exec, exec, s[68:69]
	s_and_saveexec_b64 s[68:69], s[66:67]
	s_cbranch_execz .LBB169_2822
.LBB169_2821:                           ;   in Loop: Header=BB169_17 Depth=1
	v_lshlrev_b32_e32 v1, 24, v0
	v_and_b32_e32 v0, 0xffff, v0
	v_and_b32_e32 v53, 3, v0
	v_ffbh_u32_e32 v55, v53
	v_min_u32_e32 v55, 32, v55
	v_subrev_u32_e32 v64, 29, v55
	v_bfe_u32 v54, v0, 2, 5
	v_lshlrev_b32_e32 v0, v64, v0
	v_sub_u32_e32 v55, 30, v55
	v_and_b32_e32 v0, 3, v0
	v_cmp_eq_u32_e32 vcc, 0, v54
	v_cndmask_b32_e32 v54, v54, v55, vcc
	v_cndmask_b32_e32 v0, v53, v0, vcc
	v_lshlrev_b32_e32 v0, 21, v0
	v_and_b32_e32 v1, 0x80000000, v1
	v_lshl_add_u32 v53, v54, 23, v28
	v_or3_b32 v53, v1, v53, v0
.LBB169_2822:                           ;   in Loop: Header=BB169_17 Depth=1
	s_or_b64 exec, exec, s[68:69]
                                        ; implicit-def: $vgpr0_vgpr1
.LBB169_2823:                           ;   in Loop: Header=BB169_17 Depth=1
	s_andn2_saveexec_b64 s[66:67], s[74:75]
	s_cbranch_execz .LBB169_2825
; %bb.2824:                             ;   in Loop: Header=BB169_17 Depth=1
	flat_load_ubyte v0, v[0:1]
	s_mov_b32 vcc_lo, 0x7f800000
	s_waitcnt vmcnt(0) lgkmcnt(0)
	v_lshlrev_b32_e32 v0, 24, v0
	v_and_b32_e32 v1, 0x7f000000, v0
	v_ffbh_u32_e32 v53, v1
	v_min_u32_e32 v53, 32, v53
	v_sub_u32_e64 v53, v53, 4 clamp
	v_lshlrev_b32_e32 v55, v53, v1
	v_lshlrev_b32_e32 v53, 23, v53
	v_lshrrev_b32_e32 v55, 4, v55
	v_add_u32_e32 v54, 0x1000000, v1
	v_sub_u32_e32 v53, v55, v53
	v_ashrrev_i32_e32 v54, 8, v54
	v_add_u32_e32 v53, 0x3c000000, v53
	v_and_or_b32 v53, v54, vcc_lo, v53
	v_cmp_ne_u32_e32 vcc, 0, v1
	v_cndmask_b32_e32 v1, 0, v53, vcc
	s_brev_b32 vcc_lo, 1
	v_and_or_b32 v53, v0, vcc_lo, v1
.LBB169_2825:                           ;   in Loop: Header=BB169_17 Depth=1
	s_or_b64 exec, exec, s[66:67]
                                        ; implicit-def: $vgpr0_vgpr1
.LBB169_2826:                           ;   in Loop: Header=BB169_17 Depth=1
	s_andn2_saveexec_b64 s[66:67], s[62:63]
	s_cbranch_execz .LBB169_2828
; %bb.2827:                             ;   in Loop: Header=BB169_17 Depth=1
	flat_load_ubyte v0, v[0:1]
	s_movk_i32 vcc_lo, 0x7f00
	s_waitcnt vmcnt(0) lgkmcnt(0)
	v_lshlrev_b16_e32 v1, 8, v0
	v_lshlrev_b32_e32 v0, 25, v0
	v_lshrrev_b32_e32 v53, 4, v0
	v_and_or_b32 v54, v1, vcc_lo, 0.5
	v_or_b32_e32 v53, 0x70000000, v53
	s_brev_b32 vcc_lo, 16
	v_add_f32_e32 v54, -0.5, v54
	v_mul_f32_e32 v53, 0x7800000, v53
	v_cmp_gt_u32_e32 vcc, vcc_lo, v0
	v_cndmask_b32_e32 v0, v53, v54, vcc
	v_bfe_i32 v1, v1, 0, 16
	s_brev_b32 vcc_lo, 1
	v_and_or_b32 v53, v1, vcc_lo, v0
.LBB169_2828:                           ;   in Loop: Header=BB169_17 Depth=1
	s_or_b64 exec, exec, s[66:67]
	s_or_b64 s[74:75], s[78:79], exec
                                        ; implicit-def: $vgpr0_vgpr1
.LBB169_2829:                           ;   in Loop: Header=BB169_17 Depth=1
	s_or_saveexec_b64 s[72:73], s[72:73]
                                        ; implicit-def: $vcc
                                        ; implicit-def: $sgpr68_sgpr69
	s_xor_b64 exec, exec, s[72:73]
	s_cbranch_execz .LBB169_2839
; %bb.2830:                             ;   in Loop: Header=BB169_17 Depth=1
	v_cmp_gt_i16_sdwa vcc, v8, v29 src0_sel:BYTE_0 src1_sel:DWORD
	s_mov_b64 s[66:67], s[74:75]
                                        ; implicit-def: $sgpr68_sgpr69
                                        ; implicit-def: $sgpr76_sgpr77
                                        ; implicit-def: $vgpr53
	s_and_saveexec_b64 s[60:61], vcc
	s_xor_b64 vcc, exec, s[60:61]
	s_cbranch_execz .LBB169_2834
; %bb.2831:                             ;   in Loop: Header=BB169_17 Depth=1
	v_cmp_eq_u16_sdwa s[62:63], v8, v32 src0_sel:BYTE_0 src1_sel:DWORD
	s_mov_b64 s[66:67], s[74:75]
                                        ; implicit-def: $vgpr53
	s_and_saveexec_b64 s[60:61], s[62:63]
	s_cbranch_execz .LBB169_2833
; %bb.2832:                             ;   in Loop: Header=BB169_17 Depth=1
	flat_load_ushort v0, v[0:1]
	s_or_b64 s[66:67], s[74:75], exec
	s_waitcnt vmcnt(0) lgkmcnt(0)
	v_lshlrev_b32_e32 v53, 16, v0
.LBB169_2833:                           ;   in Loop: Header=BB169_17 Depth=1
	s_or_b64 exec, exec, s[60:61]
	s_andn2_b64 s[60:61], s[74:75], exec
	s_and_b64 s[62:63], s[66:67], exec
	s_mov_b64 s[76:77], 0
	s_mov_b64 s[68:69], -1
	s_or_b64 s[66:67], s[60:61], s[62:63]
                                        ; implicit-def: $vgpr0_vgpr1
.LBB169_2834:                           ;   in Loop: Header=BB169_17 Depth=1
	s_andn2_saveexec_b64 s[70:71], vcc
	s_cbranch_execz .LBB169_2838
; %bb.2835:                             ;   in Loop: Header=BB169_17 Depth=1
	v_cmp_eq_u16_sdwa s[62:63], v8, v33 src0_sel:BYTE_0 src1_sel:DWORD
	s_mov_b64 vcc, s[66:67]
                                        ; implicit-def: $vgpr53
	s_and_saveexec_b64 s[60:61], s[62:63]
	s_cbranch_execz .LBB169_2837
; %bb.2836:                             ;   in Loop: Header=BB169_17 Depth=1
	flat_load_ubyte v0, v[0:1]
	s_waitcnt vmcnt(0) lgkmcnt(0)
	v_cmp_ne_u16_e32 vcc, 0, v0
	v_cndmask_b32_e64 v53, 0, 1.0, vcc
	s_or_b64 vcc, s[66:67], exec
.LBB169_2837:                           ;   in Loop: Header=BB169_17 Depth=1
	s_or_b64 exec, exec, s[60:61]
	s_andn2_b64 s[60:61], s[66:67], exec
	s_and_b64 vcc, vcc, exec
	s_or_b64 s[68:69], s[68:69], exec
	s_andn2_b64 s[76:77], s[76:77], exec
	s_or_b64 s[66:67], s[60:61], vcc
.LBB169_2838:                           ;   in Loop: Header=BB169_17 Depth=1
	s_or_b64 exec, exec, s[70:71]
	s_andn2_b64 s[60:61], s[74:75], exec
	s_and_b64 s[62:63], s[66:67], exec
	s_and_b64 s[68:69], s[68:69], exec
	s_and_b64 vcc, s[76:77], exec
	s_or_b64 s[74:75], s[60:61], s[62:63]
.LBB169_2839:                           ;   in Loop: Header=BB169_17 Depth=1
	s_or_b64 exec, exec, s[72:73]
	s_andn2_b64 s[60:61], s[96:97], exec
	s_and_b64 s[62:63], s[68:69], exec
	s_or_b64 s[96:97], s[60:61], s[62:63]
	s_andn2_b64 s[60:61], s[80:81], exec
	s_and_b64 vcc, vcc, exec
	s_or_b64 s[80:81], s[60:61], vcc
	s_andn2_b64 vcc, s[78:79], exec
	s_and_b64 s[60:61], s[74:75], exec
	s_or_b64 s[78:79], vcc, s[60:61]
.LBB169_2840:                           ;   in Loop: Header=BB169_17 Depth=1
	s_or_b64 exec, exec, s[94:95]
	s_and_b64 s[96:97], s[96:97], exec
	s_and_b64 vcc, s[80:81], exec
	s_and_b64 s[78:79], s[78:79], exec
                                        ; implicit-def: $vgpr0_vgpr1
.LBB169_2841:                           ;   in Loop: Header=BB169_17 Depth=1
	v_readlane_b32 s60, v78, 24
	v_readlane_b32 s61, v78, 25
	s_andn2_saveexec_b64 s[80:81], s[60:61]
	s_cbranch_execz .LBB169_2883
; %bb.2842:                             ;   in Loop: Header=BB169_17 Depth=1
	v_cmp_gt_i16_sdwa s[60:61], v8, v34 src0_sel:BYTE_0 src1_sel:DWORD
                                        ; implicit-def: $vgpr53
	s_and_saveexec_b64 s[62:63], s[60:61]
	s_xor_b64 s[72:73], exec, s[62:63]
	s_cbranch_execz .LBB169_2864
; %bb.2843:                             ;   in Loop: Header=BB169_17 Depth=1
	v_cmp_gt_i16_sdwa s[60:61], v8, v35 src0_sel:BYTE_0 src1_sel:DWORD
                                        ; implicit-def: $vgpr53
	s_and_saveexec_b64 s[62:63], s[60:61]
	s_xor_b64 s[66:67], exec, s[62:63]
	;; [unrolled: 6-line block ×4, first 2 shown]
	s_cbranch_execz .LBB169_2847
; %bb.2846:                             ;   in Loop: Header=BB169_17 Depth=1
	flat_load_dwordx2 v[0:1], v[0:1]
	s_waitcnt vmcnt(0) lgkmcnt(0)
	v_cvt_f32_f64_e32 v53, v[0:1]
                                        ; implicit-def: $vgpr0_vgpr1
.LBB169_2847:                           ;   in Loop: Header=BB169_17 Depth=1
	s_andn2_saveexec_b64 s[60:61], s[60:61]
	s_cbranch_execz .LBB169_2849
; %bb.2848:                             ;   in Loop: Header=BB169_17 Depth=1
	flat_load_dword v53, v[0:1]
.LBB169_2849:                           ;   in Loop: Header=BB169_17 Depth=1
	s_or_b64 exec, exec, s[60:61]
                                        ; implicit-def: $vgpr0_vgpr1
.LBB169_2850:                           ;   in Loop: Header=BB169_17 Depth=1
	s_andn2_saveexec_b64 s[60:61], s[68:69]
	s_cbranch_execz .LBB169_2852
; %bb.2851:                             ;   in Loop: Header=BB169_17 Depth=1
	flat_load_dword v0, v[0:1]
	s_waitcnt vmcnt(0) lgkmcnt(0)
	v_cvt_f32_f16_e32 v53, v0
.LBB169_2852:                           ;   in Loop: Header=BB169_17 Depth=1
	s_or_b64 exec, exec, s[60:61]
                                        ; implicit-def: $vgpr0_vgpr1
.LBB169_2853:                           ;   in Loop: Header=BB169_17 Depth=1
	s_andn2_saveexec_b64 s[66:67], s[66:67]
	s_cbranch_execz .LBB169_2863
; %bb.2854:                             ;   in Loop: Header=BB169_17 Depth=1
	v_cmp_gt_i16_sdwa s[60:61], v8, v38 src0_sel:BYTE_0 src1_sel:DWORD
                                        ; implicit-def: $vgpr53
	s_and_saveexec_b64 s[62:63], s[60:61]
	s_xor_b64 s[68:69], exec, s[62:63]
	s_cbranch_execz .LBB169_2860
; %bb.2855:                             ;   in Loop: Header=BB169_17 Depth=1
	v_cmp_gt_i16_sdwa s[60:61], v8, v39 src0_sel:BYTE_0 src1_sel:DWORD
                                        ; implicit-def: $vgpr53
	s_and_saveexec_b64 s[62:63], s[60:61]
	s_xor_b64 s[60:61], exec, s[62:63]
	s_cbranch_execz .LBB169_2857
; %bb.2856:                             ;   in Loop: Header=BB169_17 Depth=1
	flat_load_dwordx2 v[0:1], v[0:1]
	s_waitcnt vmcnt(0) lgkmcnt(0)
	v_cvt_f32_f64_e32 v53, v[0:1]
                                        ; implicit-def: $vgpr0_vgpr1
.LBB169_2857:                           ;   in Loop: Header=BB169_17 Depth=1
	s_andn2_saveexec_b64 s[60:61], s[60:61]
	s_cbranch_execz .LBB169_2859
; %bb.2858:                             ;   in Loop: Header=BB169_17 Depth=1
	s_waitcnt vmcnt(0) lgkmcnt(0)
	flat_load_dword v53, v[0:1]
.LBB169_2859:                           ;   in Loop: Header=BB169_17 Depth=1
	s_or_b64 exec, exec, s[60:61]
                                        ; implicit-def: $vgpr0_vgpr1
.LBB169_2860:                           ;   in Loop: Header=BB169_17 Depth=1
	s_andn2_saveexec_b64 s[60:61], s[68:69]
	s_cbranch_execz .LBB169_2862
; %bb.2861:                             ;   in Loop: Header=BB169_17 Depth=1
	flat_load_ushort v0, v[0:1]
	s_waitcnt vmcnt(0) lgkmcnt(0)
	v_cvt_f32_f16_e32 v53, v0
.LBB169_2862:                           ;   in Loop: Header=BB169_17 Depth=1
	s_or_b64 exec, exec, s[60:61]
.LBB169_2863:                           ;   in Loop: Header=BB169_17 Depth=1
	s_or_b64 exec, exec, s[66:67]
                                        ; implicit-def: $vgpr0_vgpr1
.LBB169_2864:                           ;   in Loop: Header=BB169_17 Depth=1
	s_andn2_saveexec_b64 s[72:73], s[72:73]
	s_cbranch_execz .LBB169_2882
; %bb.2865:                             ;   in Loop: Header=BB169_17 Depth=1
	v_cmp_gt_i16_sdwa s[60:61], v8, v48 src0_sel:BYTE_0 src1_sel:DWORD
                                        ; implicit-def: $vgpr53
	s_and_saveexec_b64 s[62:63], s[60:61]
	s_xor_b64 s[74:75], exec, s[62:63]
	s_cbranch_execz .LBB169_2875
; %bb.2866:                             ;   in Loop: Header=BB169_17 Depth=1
	v_cmp_gt_i16_sdwa s[60:61], v8, v49 src0_sel:BYTE_0 src1_sel:DWORD
                                        ; implicit-def: $vgpr53
	s_and_saveexec_b64 s[62:63], s[60:61]
	s_xor_b64 s[66:67], exec, s[62:63]
	;; [unrolled: 6-line block ×3, first 2 shown]
	s_cbranch_execz .LBB169_2869
; %bb.2868:                             ;   in Loop: Header=BB169_17 Depth=1
	flat_load_dwordx2 v[0:1], v[0:1]
	s_waitcnt vmcnt(0) lgkmcnt(0)
	v_xor_b32_e32 v54, v0, v1
	v_ffbh_i32_e32 v53, v1
	v_ashrrev_i32_e32 v54, 31, v54
	v_add_u32_e32 v53, -1, v53
	v_add_u32_e32 v54, 32, v54
	v_min_u32_e32 v53, v53, v54
	v_lshlrev_b64 v[0:1], v53, v[0:1]
	v_min_u32_e32 v0, 1, v0
	v_or_b32_e32 v0, v1, v0
	v_cvt_f32_i32_e32 v0, v0
	v_sub_u32_e32 v1, 32, v53
	v_ldexp_f32 v53, v0, v1
                                        ; implicit-def: $vgpr0_vgpr1
.LBB169_2869:                           ;   in Loop: Header=BB169_17 Depth=1
	s_andn2_saveexec_b64 s[60:61], s[68:69]
	s_cbranch_execz .LBB169_2871
; %bb.2870:                             ;   in Loop: Header=BB169_17 Depth=1
	flat_load_dword v0, v[0:1]
	s_waitcnt vmcnt(0) lgkmcnt(0)
	v_cvt_f32_i32_e32 v53, v0
.LBB169_2871:                           ;   in Loop: Header=BB169_17 Depth=1
	s_or_b64 exec, exec, s[60:61]
                                        ; implicit-def: $vgpr0_vgpr1
.LBB169_2872:                           ;   in Loop: Header=BB169_17 Depth=1
	s_andn2_saveexec_b64 s[60:61], s[66:67]
	s_cbranch_execz .LBB169_2874
; %bb.2873:                             ;   in Loop: Header=BB169_17 Depth=1
	flat_load_sshort v0, v[0:1]
	s_waitcnt vmcnt(0) lgkmcnt(0)
	v_cvt_f32_i32_e32 v53, v0
.LBB169_2874:                           ;   in Loop: Header=BB169_17 Depth=1
	s_or_b64 exec, exec, s[60:61]
                                        ; implicit-def: $vgpr0_vgpr1
.LBB169_2875:                           ;   in Loop: Header=BB169_17 Depth=1
	s_andn2_saveexec_b64 s[66:67], s[74:75]
	s_cbranch_execz .LBB169_2881
; %bb.2876:                             ;   in Loop: Header=BB169_17 Depth=1
	v_cmp_gt_i16_sdwa s[60:61], v8, v6 src0_sel:BYTE_0 src1_sel:DWORD
                                        ; implicit-def: $vgpr53
	s_and_saveexec_b64 s[62:63], s[60:61]
	s_xor_b64 s[60:61], exec, s[62:63]
	s_cbranch_execz .LBB169_2878
; %bb.2877:                             ;   in Loop: Header=BB169_17 Depth=1
	flat_load_sbyte v0, v[0:1]
	s_waitcnt vmcnt(0) lgkmcnt(0)
	v_cvt_f32_i32_e32 v53, v0
                                        ; implicit-def: $vgpr0_vgpr1
.LBB169_2878:                           ;   in Loop: Header=BB169_17 Depth=1
	s_andn2_saveexec_b64 s[60:61], s[60:61]
	s_cbranch_execz .LBB169_2880
; %bb.2879:                             ;   in Loop: Header=BB169_17 Depth=1
	flat_load_ubyte v0, v[0:1]
	s_waitcnt vmcnt(0) lgkmcnt(0)
	v_cvt_f32_ubyte0_e32 v53, v0
.LBB169_2880:                           ;   in Loop: Header=BB169_17 Depth=1
	s_or_b64 exec, exec, s[60:61]
.LBB169_2881:                           ;   in Loop: Header=BB169_17 Depth=1
	s_or_b64 exec, exec, s[66:67]
.LBB169_2882:                           ;   in Loop: Header=BB169_17 Depth=1
	s_or_b64 exec, exec, s[72:73]
	s_andn2_b64 s[96:97], s[96:97], exec
	s_andn2_b64 vcc, vcc, exec
	s_or_b64 s[78:79], s[78:79], exec
.LBB169_2883:                           ;   in Loop: Header=BB169_17 Depth=1
	s_or_b64 exec, exec, s[80:81]
	s_mov_b64 s[66:67], 0
	s_and_saveexec_b64 s[68:69], s[78:79]
	s_cbranch_execz .LBB169_2885
; %bb.2884:                             ;   in Loop: Header=BB169_17 Depth=1
	s_mov_b64 s[66:67], exec
	v_add_u32_e32 v51, 0x200, v51
	s_andn2_b64 s[96:97], s[96:97], exec
	s_andn2_b64 vcc, vcc, exec
	s_waitcnt vmcnt(0) lgkmcnt(0)
	buffer_store_dword v53, v52, s[0:3], 0 offen offset:96
.LBB169_2885:                           ;   in Loop: Header=BB169_17 Depth=1
	s_or_b64 exec, exec, s[68:69]
	s_andn2_b64 s[60:61], s[86:87], exec
	s_and_b64 s[62:63], s[96:97], exec
	s_or_b64 s[86:87], s[60:61], s[62:63]
	s_andn2_b64 s[60:61], s[84:85], exec
	s_and_b64 vcc, vcc, exec
	s_or_b64 s[84:85], s[60:61], vcc
	s_and_b64 s[66:67], s[66:67], exec
.LBB169_2886:                           ;   in Loop: Header=BB169_17 Depth=1
	s_or_b64 exec, exec, s[92:93]
	s_and_b64 vcc, s[86:87], exec
	v_writelane_b32 v78, vcc_lo, 22
	v_writelane_b32 v78, vcc_hi, 23
	s_and_b64 s[62:63], s[84:85], exec
	s_orn2_b64 s[66:67], s[66:67], exec
.LBB169_2887:                           ;   in Loop: Header=BB169_17 Depth=1
	s_or_b64 exec, exec, s[88:89]
	s_and_saveexec_b64 s[88:89], s[66:67]
	s_cbranch_execz .LBB169_4
; %bb.2888:                             ;   in Loop: Header=BB169_17 Depth=1
	v_writelane_b32 v78, s62, 26
	v_cmp_lt_i32_e32 vcc, v51, v72
	s_mov_b64 s[96:97], -1
	s_mov_b64 s[66:67], -1
                                        ; implicit-def: $sgpr60_sgpr61
	v_writelane_b32 v78, s63, 27
                                        ; kill: killed $sgpr60_sgpr61
                                        ; implicit-def: $sgpr60_sgpr61
                                        ; kill: killed $sgpr60_sgpr61
	s_and_saveexec_b64 s[90:91], vcc
	s_cbranch_execz .LBB169_3114
; %bb.2889:                             ;   in Loop: Header=BB169_17 Depth=1
	v_readlane_b32 vcc_lo, v78, 1
	s_waitcnt vmcnt(0) lgkmcnt(0)
	v_add_u32_e32 v53, vcc_lo, v51
	v_mul_lo_u32 v0, v53, v9
	v_add_co_u32_e32 v0, vcc, v2, v0
	v_addc_co_u32_e32 v1, vcc, 0, v3, vcc
	v_cmp_gt_i16_sdwa s[60:61], v7, v12 src0_sel:BYTE_0 src1_sel:DWORD
	s_mov_b64 vcc, 0
                                        ; implicit-def: $sgpr94_sgpr95
                                        ; implicit-def: $sgpr92_sgpr93
                                        ; implicit-def: $vgpr54
	s_and_saveexec_b64 s[62:63], s[60:61]
	s_xor_b64 s[84:85], exec, s[62:63]
	s_cbranch_execnz .LBB169_2908
; %bb.2890:                             ;   in Loop: Header=BB169_17 Depth=1
	s_andn2_saveexec_b64 s[78:79], s[84:85]
	s_cbranch_execnz .LBB169_2967
.LBB169_2891:                           ;   in Loop: Header=BB169_17 Depth=1
	s_or_b64 exec, exec, s[78:79]
	s_mov_b64 s[66:67], 0
	s_and_saveexec_b64 s[84:85], vcc
	s_cbranch_execnz .LBB169_3008
	s_branch .LBB169_3113
.LBB169_2892:                           ;   in Loop: Header=BB169_17 Depth=1
	s_movk_i32 vcc_lo, 0x80
	v_cmp_eq_u16_e32 vcc, vcc_lo, v0
	s_mov_b64 s[80:81], -1
                                        ; implicit-def: $sgpr86
	s_and_saveexec_b64 s[84:85], vcc
; %bb.2893:                             ;   in Loop: Header=BB169_17 Depth=1
	s_mov_b32 s86, 0x7f800001
	s_xor_b64 s[80:81], exec, -1
; %bb.2894:                             ;   in Loop: Header=BB169_17 Depth=1
	s_or_b64 exec, exec, s[84:85]
	s_and_b64 s[80:81], s[80:81], exec
	s_or_saveexec_b64 s[82:83], s[82:83]
	v_mov_b32_e32 v52, s86
	s_xor_b64 exec, exec, s[82:83]
	s_cbranch_execz .LBB169_1711
.LBB169_2895:                           ;   in Loop: Header=BB169_17 Depth=1
	v_cmp_ne_u16_e32 vcc, 0, v0
	s_andn2_b64 s[80:81], s[80:81], exec
	s_and_b64 vcc, vcc, exec
	v_mov_b32_e32 v52, 0
	s_or_b64 s[80:81], s[80:81], vcc
	s_or_b64 exec, exec, s[82:83]
	s_and_saveexec_b64 s[82:83], s[80:81]
	s_cbranch_execnz .LBB169_1712
	s_branch .LBB169_1713
.LBB169_2896:                           ;   in Loop: Header=BB169_17 Depth=1
	s_movk_i32 vcc_lo, 0x80
	v_cmp_eq_u16_e32 vcc, vcc_lo, v0
	s_mov_b64 s[80:81], -1
                                        ; implicit-def: $sgpr86
	s_and_saveexec_b64 s[84:85], vcc
; %bb.2897:                             ;   in Loop: Header=BB169_17 Depth=1
	s_mov_b32 s86, 0x7f800001
	s_xor_b64 s[80:81], exec, -1
; %bb.2898:                             ;   in Loop: Header=BB169_17 Depth=1
	s_or_b64 exec, exec, s[84:85]
	s_and_b64 s[80:81], s[80:81], exec
	s_or_saveexec_b64 s[82:83], s[82:83]
	v_mov_b32_e32 v54, s86
	s_xor_b64 exec, exec, s[82:83]
	s_cbranch_execz .LBB169_1811
.LBB169_2899:                           ;   in Loop: Header=BB169_17 Depth=1
	v_cmp_ne_u16_e32 vcc, 0, v0
	s_andn2_b64 s[80:81], s[80:81], exec
	s_and_b64 vcc, vcc, exec
	v_mov_b32_e32 v54, 0
	s_or_b64 s[80:81], s[80:81], vcc
	s_or_b64 exec, exec, s[82:83]
	s_and_saveexec_b64 s[82:83], s[80:81]
	s_cbranch_execnz .LBB169_1812
	s_branch .LBB169_1813
.LBB169_2900:                           ;   in Loop: Header=BB169_17 Depth=1
	s_movk_i32 vcc_lo, 0x80
	v_cmp_eq_u16_e32 vcc, vcc_lo, v0
	s_mov_b64 s[84:85], -1
                                        ; implicit-def: $sgpr90
	s_and_saveexec_b64 s[88:89], vcc
; %bb.2901:                             ;   in Loop: Header=BB169_17 Depth=1
	s_mov_b32 s90, 0x7f800001
	s_xor_b64 s[84:85], exec, -1
; %bb.2902:                             ;   in Loop: Header=BB169_17 Depth=1
	s_or_b64 exec, exec, s[88:89]
	s_and_b64 s[84:85], s[84:85], exec
	s_or_saveexec_b64 s[86:87], s[86:87]
	v_mov_b32_e32 v52, s90
	s_xor_b64 exec, exec, s[86:87]
	s_cbranch_execz .LBB169_1927
.LBB169_2903:                           ;   in Loop: Header=BB169_17 Depth=1
	v_cmp_ne_u16_e32 vcc, 0, v0
	s_andn2_b64 s[84:85], s[84:85], exec
	s_and_b64 vcc, vcc, exec
	v_mov_b32_e32 v52, 0
	s_or_b64 s[84:85], s[84:85], vcc
	s_or_b64 exec, exec, s[86:87]
	s_and_saveexec_b64 s[86:87], s[84:85]
	s_cbranch_execnz .LBB169_1928
	s_branch .LBB169_1929
.LBB169_2904:                           ;   in Loop: Header=BB169_17 Depth=1
	s_movk_i32 vcc_lo, 0x80
	v_cmp_eq_u16_e32 vcc, vcc_lo, v0
	s_mov_b64 s[84:85], -1
                                        ; implicit-def: $sgpr88
	s_and_saveexec_b64 s[60:61], vcc
; %bb.2905:                             ;   in Loop: Header=BB169_17 Depth=1
	s_mov_b32 s88, 0x7f800001
	s_xor_b64 s[84:85], exec, -1
; %bb.2906:                             ;   in Loop: Header=BB169_17 Depth=1
	s_or_b64 exec, exec, s[60:61]
	s_and_b64 s[84:85], s[84:85], exec
	s_or_saveexec_b64 s[86:87], s[86:87]
	v_mov_b32_e32 v54, s88
	s_xor_b64 exec, exec, s[86:87]
	s_cbranch_execz .LBB169_2027
.LBB169_2907:                           ;   in Loop: Header=BB169_17 Depth=1
	v_cmp_ne_u16_e32 vcc, 0, v0
	s_andn2_b64 s[60:61], s[84:85], exec
	s_and_b64 vcc, vcc, exec
	v_mov_b32_e32 v54, 0
	s_or_b64 s[84:85], s[60:61], vcc
	s_or_b64 exec, exec, s[86:87]
	s_and_saveexec_b64 s[86:87], s[84:85]
	s_cbranch_execnz .LBB169_2028
	s_branch .LBB169_2029
.LBB169_2908:                           ;   in Loop: Header=BB169_17 Depth=1
	v_cmp_gt_i16_sdwa vcc, v7, v13 src0_sel:BYTE_0 src1_sel:DWORD
	s_mov_b64 s[78:79], 0
                                        ; implicit-def: $sgpr80_sgpr81
                                        ; implicit-def: $sgpr94_sgpr95
                                        ; implicit-def: $vgpr54
	s_and_saveexec_b64 s[60:61], vcc
	s_xor_b64 s[92:93], exec, s[60:61]
	s_cbranch_execz .LBB169_2940
; %bb.2909:                             ;   in Loop: Header=BB169_17 Depth=1
	v_cmp_gt_i16_sdwa vcc, v7, v14 src0_sel:BYTE_0 src1_sel:DWORD
                                        ; implicit-def: $sgpr72_sgpr73
                                        ; implicit-def: $sgpr86_sgpr87
                                        ; implicit-def: $vgpr54
	s_and_saveexec_b64 s[60:61], vcc
	s_xor_b64 s[80:81], exec, s[60:61]
	s_cbranch_execz .LBB169_2925
; %bb.2910:                             ;   in Loop: Header=BB169_17 Depth=1
	v_cmp_gt_i16_sdwa s[60:61], v7, v15 src0_sel:BYTE_0 src1_sel:DWORD
	s_mov_b64 s[74:75], 0
                                        ; implicit-def: $vcc
                                        ; implicit-def: $sgpr86_sgpr87
                                        ; implicit-def: $vgpr54
	s_and_saveexec_b64 s[62:63], s[60:61]
	s_xor_b64 s[72:73], exec, s[62:63]
	s_cbranch_execz .LBB169_2920
; %bb.2911:                             ;   in Loop: Header=BB169_17 Depth=1
	v_cmp_gt_i16_sdwa vcc, v7, v16 src0_sel:BYTE_0 src1_sel:DWORD
                                        ; implicit-def: $sgpr74_sgpr75
                                        ; implicit-def: $sgpr94_sgpr95
                                        ; implicit-def: $vgpr54
	s_and_saveexec_b64 s[60:61], vcc
	s_xor_b64 vcc, exec, s[60:61]
	s_cbranch_execz .LBB169_2915
; %bb.2912:                             ;   in Loop: Header=BB169_17 Depth=1
	v_cmp_eq_u16_sdwa s[62:63], v7, v17 src0_sel:BYTE_0 src1_sel:DWORD
	s_mov_b64 s[74:75], 0
	s_mov_b64 s[66:67], 0
                                        ; implicit-def: $vgpr54
	s_and_saveexec_b64 s[60:61], s[62:63]
	s_cbranch_execz .LBB169_2914
; %bb.2913:                             ;   in Loop: Header=BB169_17 Depth=1
	flat_load_dword v0, v[0:1]
	s_mov_b64 s[66:67], exec
	s_waitcnt vmcnt(0) lgkmcnt(0)
	v_lshlrev_b32_e32 v54, 16, v0
.LBB169_2914:                           ;   in Loop: Header=BB169_17 Depth=1
	s_or_b64 exec, exec, s[60:61]
	s_mov_b64 s[94:95], -1
	s_and_b64 s[78:79], s[66:67], exec
                                        ; implicit-def: $vgpr0_vgpr1
.LBB169_2915:                           ;   in Loop: Header=BB169_17 Depth=1
	s_andn2_saveexec_b64 s[66:67], vcc
	s_cbranch_execz .LBB169_2919
; %bb.2916:                             ;   in Loop: Header=BB169_17 Depth=1
	v_cmp_eq_u16_sdwa s[60:61], v7, v18 src0_sel:BYTE_0 src1_sel:DWORD
	s_mov_b64 vcc, s[78:79]
                                        ; implicit-def: $vgpr54
	s_and_saveexec_b64 s[68:69], s[60:61]
	s_cbranch_execz .LBB169_2918
; %bb.2917:                             ;   in Loop: Header=BB169_17 Depth=1
	flat_load_ubyte v0, v[0:1]
	s_movk_i32 vcc_lo, 0xff
	s_waitcnt vmcnt(0) lgkmcnt(0)
	v_lshlrev_b32_e32 v1, 23, v0
	v_cmp_ne_u32_e32 vcc, vcc_lo, v0
	v_cndmask_b32_e32 v1, v19, v1, vcc
	v_cmp_ne_u32_e32 vcc, 0, v0
	v_cndmask_b32_e32 v54, v20, v1, vcc
	s_or_b64 vcc, s[78:79], exec
.LBB169_2918:                           ;   in Loop: Header=BB169_17 Depth=1
	s_or_b64 exec, exec, s[68:69]
	s_andn2_b64 s[60:61], s[78:79], exec
	s_and_b64 vcc, vcc, exec
	s_andn2_b64 s[74:75], s[74:75], exec
	s_or_b64 s[94:95], s[94:95], exec
	s_or_b64 s[78:79], s[60:61], vcc
.LBB169_2919:                           ;   in Loop: Header=BB169_17 Depth=1
	s_or_b64 exec, exec, s[66:67]
	s_and_b64 s[86:87], s[74:75], exec
	s_and_b64 vcc, s[94:95], exec
	s_and_b64 s[74:75], s[78:79], exec
                                        ; implicit-def: $vgpr0_vgpr1
.LBB169_2920:                           ;   in Loop: Header=BB169_17 Depth=1
	s_andn2_saveexec_b64 s[66:67], s[72:73]
	s_cbranch_execz .LBB169_2924
; %bb.2921:                             ;   in Loop: Header=BB169_17 Depth=1
	v_cmp_eq_u16_sdwa s[60:61], v7, v21 src0_sel:BYTE_0 src1_sel:DWORD
	s_mov_b64 s[70:71], s[74:75]
                                        ; implicit-def: $vgpr54
	s_and_saveexec_b64 s[68:69], s[60:61]
	s_cbranch_execz .LBB169_2923
; %bb.2922:                             ;   in Loop: Header=BB169_17 Depth=1
	flat_load_dwordx2 v[0:1], v[0:1]
	s_or_b64 s[70:71], s[74:75], exec
	s_waitcnt vmcnt(0) lgkmcnt(0)
	v_ffbh_u32_e32 v52, v1
	v_min_u32_e32 v52, 32, v52
	v_lshlrev_b64 v[0:1], v52, v[0:1]
	v_min_u32_e32 v0, 1, v0
	v_or_b32_e32 v0, v1, v0
	v_cvt_f32_u32_e32 v0, v0
	v_sub_u32_e32 v1, 32, v52
	v_ldexp_f32 v54, v0, v1
.LBB169_2923:                           ;   in Loop: Header=BB169_17 Depth=1
	s_or_b64 exec, exec, s[68:69]
	s_andn2_b64 s[60:61], s[74:75], exec
	s_and_b64 s[62:63], s[70:71], exec
	s_andn2_b64 s[86:87], s[86:87], exec
	s_or_b64 vcc, vcc, exec
	s_or_b64 s[74:75], s[60:61], s[62:63]
.LBB169_2924:                           ;   in Loop: Header=BB169_17 Depth=1
	s_or_b64 exec, exec, s[66:67]
	s_and_b64 s[86:87], s[86:87], exec
	s_and_b64 s[72:73], vcc, exec
	s_and_b64 s[78:79], s[74:75], exec
                                        ; implicit-def: $vgpr0_vgpr1
.LBB169_2925:                           ;   in Loop: Header=BB169_17 Depth=1
	s_andn2_saveexec_b64 s[80:81], s[80:81]
	s_cbranch_execz .LBB169_2939
; %bb.2926:                             ;   in Loop: Header=BB169_17 Depth=1
	v_cmp_gt_i16_sdwa vcc, v7, v22 src0_sel:BYTE_0 src1_sel:DWORD
                                        ; implicit-def: $vgpr54
	s_and_saveexec_b64 s[60:61], vcc
	s_xor_b64 vcc, exec, s[60:61]
	s_cbranch_execz .LBB169_2932
; %bb.2927:                             ;   in Loop: Header=BB169_17 Depth=1
	v_cmp_gt_i16_sdwa s[60:61], v7, v23 src0_sel:BYTE_0 src1_sel:DWORD
                                        ; implicit-def: $vgpr54
	s_and_saveexec_b64 s[62:63], s[60:61]
	s_xor_b64 s[60:61], exec, s[62:63]
	s_cbranch_execz .LBB169_2929
; %bb.2928:                             ;   in Loop: Header=BB169_17 Depth=1
	flat_load_dword v0, v[0:1]
	s_waitcnt vmcnt(0) lgkmcnt(0)
	v_cvt_f32_u32_e32 v54, v0
                                        ; implicit-def: $vgpr0_vgpr1
.LBB169_2929:                           ;   in Loop: Header=BB169_17 Depth=1
	s_andn2_saveexec_b64 s[60:61], s[60:61]
	s_cbranch_execz .LBB169_2931
; %bb.2930:                             ;   in Loop: Header=BB169_17 Depth=1
	flat_load_ushort v0, v[0:1]
	s_waitcnt vmcnt(0) lgkmcnt(0)
	v_cvt_f32_u32_e32 v54, v0
.LBB169_2931:                           ;   in Loop: Header=BB169_17 Depth=1
	s_or_b64 exec, exec, s[60:61]
                                        ; implicit-def: $vgpr0_vgpr1
.LBB169_2932:                           ;   in Loop: Header=BB169_17 Depth=1
	s_andn2_saveexec_b64 s[74:75], vcc
	s_cbranch_execz .LBB169_2938
; %bb.2933:                             ;   in Loop: Header=BB169_17 Depth=1
	flat_load_ubyte v0, v[0:1]
	s_movk_i32 vcc_lo, 0x7f
	s_mov_b64 s[66:67], 0
                                        ; implicit-def: $sgpr70
	s_waitcnt vmcnt(0) lgkmcnt(0)
	v_cmp_lt_i16_e32 vcc, vcc_lo, v0
	s_and_saveexec_b64 s[60:61], vcc
	s_xor_b64 s[68:69], exec, s[60:61]
	s_cbranch_execnz .LBB169_3598
; %bb.2934:                             ;   in Loop: Header=BB169_17 Depth=1
	s_or_saveexec_b64 s[68:69], s[68:69]
	v_mov_b32_e32 v54, s70
	s_xor_b64 exec, exec, s[68:69]
	s_cbranch_execnz .LBB169_3601
.LBB169_2935:                           ;   in Loop: Header=BB169_17 Depth=1
	s_or_b64 exec, exec, s[68:69]
	s_and_saveexec_b64 s[68:69], s[66:67]
	s_cbranch_execz .LBB169_2937
.LBB169_2936:                           ;   in Loop: Header=BB169_17 Depth=1
	v_lshlrev_b32_e32 v1, 24, v0
	v_and_b32_e32 v0, 0xffff, v0
	v_and_b32_e32 v52, 7, v0
	v_ffbh_u32_e32 v55, v52
	v_min_u32_e32 v55, 32, v55
	v_subrev_u32_e32 v64, 28, v55
	v_bfe_u32 v54, v0, 3, 4
	v_lshlrev_b32_e32 v0, v64, v0
	v_sub_u32_e32 v55, 29, v55
	v_and_b32_e32 v0, 7, v0
	v_cmp_eq_u32_e32 vcc, 0, v54
	v_cndmask_b32_e32 v54, v54, v55, vcc
	v_cndmask_b32_e32 v0, v52, v0, vcc
	v_lshlrev_b32_e32 v0, 20, v0
	v_and_b32_e32 v1, 0x80000000, v1
	v_lshl_add_u32 v52, v54, 23, v24
	v_or3_b32 v54, v1, v52, v0
.LBB169_2937:                           ;   in Loop: Header=BB169_17 Depth=1
	s_or_b64 exec, exec, s[68:69]
.LBB169_2938:                           ;   in Loop: Header=BB169_17 Depth=1
	s_or_b64 exec, exec, s[74:75]
	s_andn2_b64 s[86:87], s[86:87], exec
	s_andn2_b64 s[72:73], s[72:73], exec
	s_or_b64 s[78:79], s[78:79], exec
.LBB169_2939:                           ;   in Loop: Header=BB169_17 Depth=1
	s_or_b64 exec, exec, s[80:81]
	s_and_b64 s[94:95], s[86:87], exec
	s_and_b64 s[80:81], s[72:73], exec
	;; [unrolled: 1-line block ×3, first 2 shown]
                                        ; implicit-def: $vgpr0_vgpr1
.LBB169_2940:                           ;   in Loop: Header=BB169_17 Depth=1
	s_andn2_saveexec_b64 s[86:87], s[92:93]
	s_cbranch_execz .LBB169_2966
; %bb.2941:                             ;   in Loop: Header=BB169_17 Depth=1
	v_cmp_gt_i16_sdwa vcc, v7, v25 src0_sel:BYTE_0 src1_sel:DWORD
	s_mov_b64 s[74:75], s[78:79]
                                        ; implicit-def: $vgpr54
	s_and_saveexec_b64 s[60:61], vcc
	s_xor_b64 s[72:73], exec, s[60:61]
	s_cbranch_execz .LBB169_2955
; %bb.2942:                             ;   in Loop: Header=BB169_17 Depth=1
	v_cmp_gt_i16_sdwa vcc, v7, v26 src0_sel:BYTE_0 src1_sel:DWORD
                                        ; implicit-def: $vgpr54
	s_and_saveexec_b64 s[60:61], vcc
	s_xor_b64 s[92:93], exec, s[60:61]
	s_cbranch_execz .LBB169_2952
; %bb.2943:                             ;   in Loop: Header=BB169_17 Depth=1
	v_cmp_gt_i16_sdwa vcc, v7, v27 src0_sel:BYTE_0 src1_sel:DWORD
                                        ; implicit-def: $vgpr54
	s_and_saveexec_b64 s[60:61], vcc
	s_xor_b64 s[74:75], exec, s[60:61]
	s_cbranch_execz .LBB169_2949
; %bb.2944:                             ;   in Loop: Header=BB169_17 Depth=1
	flat_load_ubyte v0, v[0:1]
	s_movk_i32 vcc_lo, 0x7f
	s_mov_b64 s[66:67], 0
                                        ; implicit-def: $sgpr70
	s_waitcnt vmcnt(0) lgkmcnt(0)
	v_cmp_lt_i16_e32 vcc, vcc_lo, v0
	s_and_saveexec_b64 s[60:61], vcc
	s_xor_b64 s[68:69], exec, s[60:61]
	s_cbranch_execnz .LBB169_3606
; %bb.2945:                             ;   in Loop: Header=BB169_17 Depth=1
	s_or_saveexec_b64 s[68:69], s[68:69]
	v_mov_b32_e32 v54, s70
	s_xor_b64 exec, exec, s[68:69]
	s_cbranch_execnz .LBB169_3609
.LBB169_2946:                           ;   in Loop: Header=BB169_17 Depth=1
	s_or_b64 exec, exec, s[68:69]
	s_and_saveexec_b64 s[68:69], s[66:67]
	s_cbranch_execz .LBB169_2948
.LBB169_2947:                           ;   in Loop: Header=BB169_17 Depth=1
	v_lshlrev_b32_e32 v1, 24, v0
	v_and_b32_e32 v0, 0xffff, v0
	v_and_b32_e32 v52, 3, v0
	v_ffbh_u32_e32 v55, v52
	v_min_u32_e32 v55, 32, v55
	v_subrev_u32_e32 v64, 29, v55
	v_bfe_u32 v54, v0, 2, 5
	v_lshlrev_b32_e32 v0, v64, v0
	v_sub_u32_e32 v55, 30, v55
	v_and_b32_e32 v0, 3, v0
	v_cmp_eq_u32_e32 vcc, 0, v54
	v_cndmask_b32_e32 v54, v54, v55, vcc
	v_cndmask_b32_e32 v0, v52, v0, vcc
	v_lshlrev_b32_e32 v0, 21, v0
	v_and_b32_e32 v1, 0x80000000, v1
	v_lshl_add_u32 v52, v54, 23, v28
	v_or3_b32 v54, v1, v52, v0
.LBB169_2948:                           ;   in Loop: Header=BB169_17 Depth=1
	s_or_b64 exec, exec, s[68:69]
                                        ; implicit-def: $vgpr0_vgpr1
.LBB169_2949:                           ;   in Loop: Header=BB169_17 Depth=1
	s_andn2_saveexec_b64 s[66:67], s[74:75]
	s_cbranch_execz .LBB169_2951
; %bb.2950:                             ;   in Loop: Header=BB169_17 Depth=1
	flat_load_ubyte v0, v[0:1]
	s_mov_b32 vcc_lo, 0x7f800000
	s_waitcnt vmcnt(0) lgkmcnt(0)
	v_lshlrev_b32_e32 v0, 24, v0
	v_and_b32_e32 v1, 0x7f000000, v0
	v_ffbh_u32_e32 v52, v1
	v_min_u32_e32 v52, 32, v52
	v_sub_u32_e64 v52, v52, 4 clamp
	v_lshlrev_b32_e32 v55, v52, v1
	v_lshlrev_b32_e32 v52, 23, v52
	v_lshrrev_b32_e32 v55, 4, v55
	v_add_u32_e32 v54, 0x1000000, v1
	v_sub_u32_e32 v52, v55, v52
	v_ashrrev_i32_e32 v54, 8, v54
	v_add_u32_e32 v52, 0x3c000000, v52
	v_and_or_b32 v52, v54, vcc_lo, v52
	v_cmp_ne_u32_e32 vcc, 0, v1
	v_cndmask_b32_e32 v1, 0, v52, vcc
	s_brev_b32 vcc_lo, 1
	v_and_or_b32 v54, v0, vcc_lo, v1
.LBB169_2951:                           ;   in Loop: Header=BB169_17 Depth=1
	s_or_b64 exec, exec, s[66:67]
                                        ; implicit-def: $vgpr0_vgpr1
.LBB169_2952:                           ;   in Loop: Header=BB169_17 Depth=1
	s_andn2_saveexec_b64 s[66:67], s[92:93]
	s_cbranch_execz .LBB169_2954
; %bb.2953:                             ;   in Loop: Header=BB169_17 Depth=1
	flat_load_ubyte v0, v[0:1]
	s_movk_i32 vcc_lo, 0x7f00
	s_waitcnt vmcnt(0) lgkmcnt(0)
	v_lshlrev_b16_e32 v1, 8, v0
	v_lshlrev_b32_e32 v0, 25, v0
	v_lshrrev_b32_e32 v52, 4, v0
	v_and_or_b32 v54, v1, vcc_lo, 0.5
	v_or_b32_e32 v52, 0x70000000, v52
	s_brev_b32 vcc_lo, 16
	v_add_f32_e32 v54, -0.5, v54
	v_mul_f32_e32 v52, 0x7800000, v52
	v_cmp_gt_u32_e32 vcc, vcc_lo, v0
	v_cndmask_b32_e32 v0, v52, v54, vcc
	v_bfe_i32 v1, v1, 0, 16
	s_brev_b32 vcc_lo, 1
	v_and_or_b32 v54, v1, vcc_lo, v0
.LBB169_2954:                           ;   in Loop: Header=BB169_17 Depth=1
	s_or_b64 exec, exec, s[66:67]
	s_or_b64 s[74:75], s[78:79], exec
                                        ; implicit-def: $vgpr0_vgpr1
.LBB169_2955:                           ;   in Loop: Header=BB169_17 Depth=1
	s_or_saveexec_b64 s[72:73], s[72:73]
                                        ; implicit-def: $vcc
                                        ; implicit-def: $sgpr68_sgpr69
	s_xor_b64 exec, exec, s[72:73]
	s_cbranch_execz .LBB169_2965
; %bb.2956:                             ;   in Loop: Header=BB169_17 Depth=1
	v_cmp_gt_i16_sdwa vcc, v7, v29 src0_sel:BYTE_0 src1_sel:DWORD
	s_mov_b64 s[66:67], s[74:75]
                                        ; implicit-def: $sgpr68_sgpr69
                                        ; implicit-def: $sgpr76_sgpr77
                                        ; implicit-def: $vgpr54
	s_and_saveexec_b64 s[60:61], vcc
	s_xor_b64 vcc, exec, s[60:61]
	s_cbranch_execz .LBB169_2960
; %bb.2957:                             ;   in Loop: Header=BB169_17 Depth=1
	v_cmp_eq_u16_sdwa s[62:63], v7, v32 src0_sel:BYTE_0 src1_sel:DWORD
	s_mov_b64 s[66:67], s[74:75]
                                        ; implicit-def: $vgpr54
	s_and_saveexec_b64 s[60:61], s[62:63]
	s_cbranch_execz .LBB169_2959
; %bb.2958:                             ;   in Loop: Header=BB169_17 Depth=1
	flat_load_ushort v0, v[0:1]
	s_or_b64 s[66:67], s[74:75], exec
	s_waitcnt vmcnt(0) lgkmcnt(0)
	v_lshlrev_b32_e32 v54, 16, v0
.LBB169_2959:                           ;   in Loop: Header=BB169_17 Depth=1
	s_or_b64 exec, exec, s[60:61]
	s_andn2_b64 s[60:61], s[74:75], exec
	s_and_b64 s[62:63], s[66:67], exec
	s_mov_b64 s[76:77], -1
	s_mov_b64 s[68:69], 0
	s_or_b64 s[66:67], s[60:61], s[62:63]
                                        ; implicit-def: $vgpr0_vgpr1
.LBB169_2960:                           ;   in Loop: Header=BB169_17 Depth=1
	s_andn2_saveexec_b64 s[70:71], vcc
	s_cbranch_execz .LBB169_2964
; %bb.2961:                             ;   in Loop: Header=BB169_17 Depth=1
	v_cmp_eq_u16_sdwa s[62:63], v7, v33 src0_sel:BYTE_0 src1_sel:DWORD
	s_mov_b64 vcc, s[66:67]
                                        ; implicit-def: $vgpr54
	s_and_saveexec_b64 s[60:61], s[62:63]
	s_cbranch_execz .LBB169_2963
; %bb.2962:                             ;   in Loop: Header=BB169_17 Depth=1
	flat_load_ubyte v0, v[0:1]
	s_waitcnt vmcnt(0) lgkmcnt(0)
	v_cmp_ne_u16_e32 vcc, 0, v0
	v_cndmask_b32_e64 v54, 0, 1.0, vcc
	s_or_b64 vcc, s[66:67], exec
.LBB169_2963:                           ;   in Loop: Header=BB169_17 Depth=1
	s_or_b64 exec, exec, s[60:61]
	s_andn2_b64 s[60:61], s[66:67], exec
	s_and_b64 vcc, vcc, exec
	s_andn2_b64 s[68:69], s[68:69], exec
	s_or_b64 s[76:77], s[76:77], exec
	s_or_b64 s[66:67], s[60:61], vcc
.LBB169_2964:                           ;   in Loop: Header=BB169_17 Depth=1
	s_or_b64 exec, exec, s[70:71]
	s_andn2_b64 s[60:61], s[74:75], exec
	s_and_b64 s[62:63], s[66:67], exec
	s_and_b64 s[68:69], s[68:69], exec
	s_and_b64 vcc, s[76:77], exec
	s_or_b64 s[74:75], s[60:61], s[62:63]
.LBB169_2965:                           ;   in Loop: Header=BB169_17 Depth=1
	s_or_b64 exec, exec, s[72:73]
	s_andn2_b64 s[60:61], s[94:95], exec
	s_and_b64 s[62:63], s[68:69], exec
	s_or_b64 s[94:95], s[60:61], s[62:63]
	s_andn2_b64 s[60:61], s[80:81], exec
	s_and_b64 vcc, vcc, exec
	s_or_b64 s[80:81], s[60:61], vcc
	s_andn2_b64 vcc, s[78:79], exec
	s_and_b64 s[60:61], s[74:75], exec
	s_or_b64 s[78:79], vcc, s[60:61]
.LBB169_2966:                           ;   in Loop: Header=BB169_17 Depth=1
	s_or_b64 exec, exec, s[86:87]
	s_and_b64 s[92:93], s[94:95], exec
	s_and_b64 s[94:95], s[80:81], exec
	s_and_b64 vcc, s[78:79], exec
                                        ; implicit-def: $vgpr0_vgpr1
	s_andn2_saveexec_b64 s[78:79], s[84:85]
	s_cbranch_execz .LBB169_2891
.LBB169_2967:                           ;   in Loop: Header=BB169_17 Depth=1
	v_cmp_gt_i16_sdwa s[60:61], v7, v34 src0_sel:BYTE_0 src1_sel:DWORD
                                        ; implicit-def: $vgpr54
	s_and_saveexec_b64 s[62:63], s[60:61]
	s_xor_b64 s[72:73], exec, s[62:63]
	s_cbranch_execz .LBB169_2989
; %bb.2968:                             ;   in Loop: Header=BB169_17 Depth=1
	v_cmp_gt_i16_sdwa s[60:61], v7, v35 src0_sel:BYTE_0 src1_sel:DWORD
                                        ; implicit-def: $vgpr54
	s_and_saveexec_b64 s[62:63], s[60:61]
	s_xor_b64 s[66:67], exec, s[62:63]
	s_cbranch_execz .LBB169_2978
; %bb.2969:                             ;   in Loop: Header=BB169_17 Depth=1
	;; [unrolled: 6-line block ×4, first 2 shown]
	flat_load_dwordx2 v[0:1], v[0:1]
	s_waitcnt vmcnt(0) lgkmcnt(0)
	v_cvt_f32_f64_e32 v54, v[0:1]
                                        ; implicit-def: $vgpr0_vgpr1
.LBB169_2972:                           ;   in Loop: Header=BB169_17 Depth=1
	s_andn2_saveexec_b64 s[60:61], s[60:61]
	s_cbranch_execz .LBB169_2974
; %bb.2973:                             ;   in Loop: Header=BB169_17 Depth=1
	flat_load_dword v54, v[0:1]
.LBB169_2974:                           ;   in Loop: Header=BB169_17 Depth=1
	s_or_b64 exec, exec, s[60:61]
                                        ; implicit-def: $vgpr0_vgpr1
.LBB169_2975:                           ;   in Loop: Header=BB169_17 Depth=1
	s_andn2_saveexec_b64 s[60:61], s[68:69]
	s_cbranch_execz .LBB169_2977
; %bb.2976:                             ;   in Loop: Header=BB169_17 Depth=1
	flat_load_dword v0, v[0:1]
	s_waitcnt vmcnt(0) lgkmcnt(0)
	v_cvt_f32_f16_e32 v54, v0
.LBB169_2977:                           ;   in Loop: Header=BB169_17 Depth=1
	s_or_b64 exec, exec, s[60:61]
                                        ; implicit-def: $vgpr0_vgpr1
.LBB169_2978:                           ;   in Loop: Header=BB169_17 Depth=1
	s_andn2_saveexec_b64 s[66:67], s[66:67]
	s_cbranch_execz .LBB169_2988
; %bb.2979:                             ;   in Loop: Header=BB169_17 Depth=1
	v_cmp_gt_i16_sdwa s[60:61], v7, v38 src0_sel:BYTE_0 src1_sel:DWORD
                                        ; implicit-def: $vgpr54
	s_and_saveexec_b64 s[62:63], s[60:61]
	s_xor_b64 s[68:69], exec, s[62:63]
	s_cbranch_execz .LBB169_2985
; %bb.2980:                             ;   in Loop: Header=BB169_17 Depth=1
	v_cmp_gt_i16_sdwa s[60:61], v7, v39 src0_sel:BYTE_0 src1_sel:DWORD
                                        ; implicit-def: $vgpr54
	s_and_saveexec_b64 s[62:63], s[60:61]
	s_xor_b64 s[60:61], exec, s[62:63]
	s_cbranch_execz .LBB169_2982
; %bb.2981:                             ;   in Loop: Header=BB169_17 Depth=1
	flat_load_dwordx2 v[0:1], v[0:1]
	s_waitcnt vmcnt(0) lgkmcnt(0)
	v_cvt_f32_f64_e32 v54, v[0:1]
                                        ; implicit-def: $vgpr0_vgpr1
.LBB169_2982:                           ;   in Loop: Header=BB169_17 Depth=1
	s_andn2_saveexec_b64 s[60:61], s[60:61]
	s_cbranch_execz .LBB169_2984
; %bb.2983:                             ;   in Loop: Header=BB169_17 Depth=1
	s_waitcnt vmcnt(0) lgkmcnt(0)
	flat_load_dword v54, v[0:1]
.LBB169_2984:                           ;   in Loop: Header=BB169_17 Depth=1
	s_or_b64 exec, exec, s[60:61]
                                        ; implicit-def: $vgpr0_vgpr1
.LBB169_2985:                           ;   in Loop: Header=BB169_17 Depth=1
	s_andn2_saveexec_b64 s[60:61], s[68:69]
	s_cbranch_execz .LBB169_2987
; %bb.2986:                             ;   in Loop: Header=BB169_17 Depth=1
	flat_load_ushort v0, v[0:1]
	s_waitcnt vmcnt(0) lgkmcnt(0)
	v_cvt_f32_f16_e32 v54, v0
.LBB169_2987:                           ;   in Loop: Header=BB169_17 Depth=1
	s_or_b64 exec, exec, s[60:61]
.LBB169_2988:                           ;   in Loop: Header=BB169_17 Depth=1
	s_or_b64 exec, exec, s[66:67]
                                        ; implicit-def: $vgpr0_vgpr1
.LBB169_2989:                           ;   in Loop: Header=BB169_17 Depth=1
	s_andn2_saveexec_b64 s[72:73], s[72:73]
	s_cbranch_execz .LBB169_3007
; %bb.2990:                             ;   in Loop: Header=BB169_17 Depth=1
	v_cmp_gt_i16_sdwa s[60:61], v7, v48 src0_sel:BYTE_0 src1_sel:DWORD
                                        ; implicit-def: $vgpr54
	s_and_saveexec_b64 s[62:63], s[60:61]
	s_xor_b64 s[74:75], exec, s[62:63]
	s_cbranch_execz .LBB169_3000
; %bb.2991:                             ;   in Loop: Header=BB169_17 Depth=1
	v_cmp_gt_i16_sdwa s[60:61], v7, v49 src0_sel:BYTE_0 src1_sel:DWORD
                                        ; implicit-def: $vgpr54
	s_and_saveexec_b64 s[62:63], s[60:61]
	s_xor_b64 s[66:67], exec, s[62:63]
	;; [unrolled: 6-line block ×3, first 2 shown]
	s_cbranch_execz .LBB169_2994
; %bb.2993:                             ;   in Loop: Header=BB169_17 Depth=1
	flat_load_dwordx2 v[0:1], v[0:1]
	s_waitcnt vmcnt(0) lgkmcnt(0)
	v_xor_b32_e32 v54, v0, v1
	v_ffbh_i32_e32 v52, v1
	v_ashrrev_i32_e32 v54, 31, v54
	v_add_u32_e32 v52, -1, v52
	v_add_u32_e32 v54, 32, v54
	v_min_u32_e32 v52, v52, v54
	v_lshlrev_b64 v[0:1], v52, v[0:1]
	v_min_u32_e32 v0, 1, v0
	v_or_b32_e32 v0, v1, v0
	v_cvt_f32_i32_e32 v0, v0
	v_sub_u32_e32 v1, 32, v52
	v_ldexp_f32 v54, v0, v1
                                        ; implicit-def: $vgpr0_vgpr1
.LBB169_2994:                           ;   in Loop: Header=BB169_17 Depth=1
	s_andn2_saveexec_b64 s[60:61], s[68:69]
	s_cbranch_execz .LBB169_2996
; %bb.2995:                             ;   in Loop: Header=BB169_17 Depth=1
	flat_load_dword v0, v[0:1]
	s_waitcnt vmcnt(0) lgkmcnt(0)
	v_cvt_f32_i32_e32 v54, v0
.LBB169_2996:                           ;   in Loop: Header=BB169_17 Depth=1
	s_or_b64 exec, exec, s[60:61]
                                        ; implicit-def: $vgpr0_vgpr1
.LBB169_2997:                           ;   in Loop: Header=BB169_17 Depth=1
	s_andn2_saveexec_b64 s[60:61], s[66:67]
	s_cbranch_execz .LBB169_2999
; %bb.2998:                             ;   in Loop: Header=BB169_17 Depth=1
	flat_load_sshort v0, v[0:1]
	s_waitcnt vmcnt(0) lgkmcnt(0)
	v_cvt_f32_i32_e32 v54, v0
.LBB169_2999:                           ;   in Loop: Header=BB169_17 Depth=1
	s_or_b64 exec, exec, s[60:61]
                                        ; implicit-def: $vgpr0_vgpr1
.LBB169_3000:                           ;   in Loop: Header=BB169_17 Depth=1
	s_andn2_saveexec_b64 s[66:67], s[74:75]
	s_cbranch_execz .LBB169_3006
; %bb.3001:                             ;   in Loop: Header=BB169_17 Depth=1
	v_cmp_gt_i16_sdwa s[60:61], v7, v6 src0_sel:BYTE_0 src1_sel:DWORD
                                        ; implicit-def: $vgpr54
	s_and_saveexec_b64 s[62:63], s[60:61]
	s_xor_b64 s[60:61], exec, s[62:63]
	s_cbranch_execz .LBB169_3003
; %bb.3002:                             ;   in Loop: Header=BB169_17 Depth=1
	flat_load_sbyte v0, v[0:1]
	s_waitcnt vmcnt(0) lgkmcnt(0)
	v_cvt_f32_i32_e32 v54, v0
                                        ; implicit-def: $vgpr0_vgpr1
.LBB169_3003:                           ;   in Loop: Header=BB169_17 Depth=1
	s_andn2_saveexec_b64 s[60:61], s[60:61]
	s_cbranch_execz .LBB169_3005
; %bb.3004:                             ;   in Loop: Header=BB169_17 Depth=1
	flat_load_ubyte v0, v[0:1]
	s_waitcnt vmcnt(0) lgkmcnt(0)
	v_cvt_f32_ubyte0_e32 v54, v0
.LBB169_3005:                           ;   in Loop: Header=BB169_17 Depth=1
	s_or_b64 exec, exec, s[60:61]
.LBB169_3006:                           ;   in Loop: Header=BB169_17 Depth=1
	s_or_b64 exec, exec, s[66:67]
.LBB169_3007:                           ;   in Loop: Header=BB169_17 Depth=1
	s_or_b64 exec, exec, s[72:73]
	s_andn2_b64 s[92:93], s[92:93], exec
	s_andn2_b64 s[94:95], s[94:95], exec
	s_or_b64 vcc, vcc, exec
	s_or_b64 exec, exec, s[78:79]
	s_mov_b64 s[66:67], 0
	s_and_saveexec_b64 s[84:85], vcc
	s_cbranch_execz .LBB169_3113
.LBB169_3008:                           ;   in Loop: Header=BB169_17 Depth=1
	v_mul_lo_u32 v0, v53, v10
	v_readlane_b32 s60, v78, 0
	v_add_co_u32_e32 v0, vcc, v4, v0
	v_add_u32_e32 v52, s60, v11
	v_addc_co_u32_e32 v1, vcc, 0, v5, vcc
	v_cmp_gt_i16_sdwa s[60:61], v8, v12 src0_sel:BYTE_0 src1_sel:DWORD
	s_mov_b64 s[78:79], 0
	s_waitcnt vmcnt(0) lgkmcnt(0)
	buffer_store_dword v54, v52, s[0:3], 0 offen offset:108
                                        ; implicit-def: $vcc
                                        ; implicit-def: $sgpr86_sgpr87
                                        ; implicit-def: $vgpr53
	s_and_saveexec_b64 s[62:63], s[60:61]
	s_xor_b64 s[62:63], exec, s[62:63]
	v_writelane_b32 v78, s62, 32
	v_writelane_b32 v78, s63, 33
	s_cbranch_execz .LBB169_3068
; %bb.3009:                             ;   in Loop: Header=BB169_17 Depth=1
	v_cmp_gt_i16_sdwa vcc, v8, v13 src0_sel:BYTE_0 src1_sel:DWORD
                                        ; implicit-def: $sgpr62_sgpr63
                                        ; implicit-def: $sgpr86_sgpr87
                                        ; implicit-def: $vgpr53
	s_and_saveexec_b64 s[60:61], vcc
	s_xor_b64 s[76:77], exec, s[60:61]
	s_cbranch_execz .LBB169_3041
; %bb.3010:                             ;   in Loop: Header=BB169_17 Depth=1
	v_cmp_gt_i16_sdwa vcc, v8, v14 src0_sel:BYTE_0 src1_sel:DWORD
                                        ; implicit-def: $sgpr72_sgpr73
                                        ; implicit-def: $sgpr86_sgpr87
                                        ; implicit-def: $vgpr53
	s_and_saveexec_b64 s[60:61], vcc
	s_xor_b64 s[80:81], exec, s[60:61]
	s_cbranch_execz .LBB169_3026
; %bb.3011:                             ;   in Loop: Header=BB169_17 Depth=1
	v_cmp_gt_i16_sdwa s[60:61], v8, v15 src0_sel:BYTE_0 src1_sel:DWORD
	s_mov_b64 s[74:75], 0
                                        ; implicit-def: $vcc
                                        ; implicit-def: $sgpr86_sgpr87
                                        ; implicit-def: $vgpr53
	s_and_saveexec_b64 s[62:63], s[60:61]
	s_xor_b64 s[72:73], exec, s[62:63]
	s_cbranch_execz .LBB169_3021
; %bb.3012:                             ;   in Loop: Header=BB169_17 Depth=1
	v_cmp_gt_i16_sdwa vcc, v8, v16 src0_sel:BYTE_0 src1_sel:DWORD
                                        ; implicit-def: $sgpr86_sgpr87
                                        ; implicit-def: $sgpr74_sgpr75
                                        ; implicit-def: $vgpr53
	s_and_saveexec_b64 s[60:61], vcc
	s_xor_b64 vcc, exec, s[60:61]
	s_cbranch_execz .LBB169_3016
; %bb.3013:                             ;   in Loop: Header=BB169_17 Depth=1
	v_cmp_eq_u16_sdwa s[62:63], v8, v17 src0_sel:BYTE_0 src1_sel:DWORD
	s_mov_b64 s[74:75], 0
                                        ; implicit-def: $vgpr53
	s_and_saveexec_b64 s[60:61], s[62:63]
	s_cbranch_execz .LBB169_3015
; %bb.3014:                             ;   in Loop: Header=BB169_17 Depth=1
	flat_load_dword v0, v[0:1]
	s_mov_b64 s[66:67], exec
	s_waitcnt vmcnt(0) lgkmcnt(0)
	v_lshlrev_b32_e32 v53, 16, v0
.LBB169_3015:                           ;   in Loop: Header=BB169_17 Depth=1
	s_or_b64 exec, exec, s[60:61]
	s_mov_b64 s[86:87], -1
	s_and_b64 s[78:79], s[66:67], exec
                                        ; implicit-def: $vgpr0_vgpr1
.LBB169_3016:                           ;   in Loop: Header=BB169_17 Depth=1
	s_andn2_saveexec_b64 s[66:67], vcc
	s_cbranch_execz .LBB169_3020
; %bb.3017:                             ;   in Loop: Header=BB169_17 Depth=1
	v_cmp_eq_u16_sdwa s[60:61], v8, v18 src0_sel:BYTE_0 src1_sel:DWORD
	s_mov_b64 vcc, s[78:79]
                                        ; implicit-def: $vgpr53
	s_and_saveexec_b64 s[68:69], s[60:61]
	s_cbranch_execz .LBB169_3019
; %bb.3018:                             ;   in Loop: Header=BB169_17 Depth=1
	flat_load_ubyte v0, v[0:1]
	s_movk_i32 vcc_lo, 0xff
	s_waitcnt vmcnt(0) lgkmcnt(0)
	v_lshlrev_b32_e32 v1, 23, v0
	v_cmp_ne_u32_e32 vcc, vcc_lo, v0
	v_cndmask_b32_e32 v1, v19, v1, vcc
	v_cmp_ne_u32_e32 vcc, 0, v0
	v_cndmask_b32_e32 v53, v20, v1, vcc
	s_or_b64 vcc, s[78:79], exec
.LBB169_3019:                           ;   in Loop: Header=BB169_17 Depth=1
	s_or_b64 exec, exec, s[68:69]
	s_andn2_b64 s[60:61], s[78:79], exec
	s_and_b64 vcc, vcc, exec
	s_or_b64 s[86:87], s[86:87], exec
	s_andn2_b64 s[74:75], s[74:75], exec
	s_or_b64 s[78:79], s[60:61], vcc
.LBB169_3020:                           ;   in Loop: Header=BB169_17 Depth=1
	s_or_b64 exec, exec, s[66:67]
	s_and_b64 s[86:87], s[86:87], exec
	s_and_b64 vcc, s[74:75], exec
	s_and_b64 s[74:75], s[78:79], exec
                                        ; implicit-def: $vgpr0_vgpr1
.LBB169_3021:                           ;   in Loop: Header=BB169_17 Depth=1
	s_andn2_saveexec_b64 s[66:67], s[72:73]
	s_cbranch_execz .LBB169_3025
; %bb.3022:                             ;   in Loop: Header=BB169_17 Depth=1
	v_cmp_eq_u16_sdwa s[60:61], v8, v21 src0_sel:BYTE_0 src1_sel:DWORD
	s_mov_b64 s[70:71], s[74:75]
                                        ; implicit-def: $vgpr53
	s_and_saveexec_b64 s[68:69], s[60:61]
	s_cbranch_execz .LBB169_3024
; %bb.3023:                             ;   in Loop: Header=BB169_17 Depth=1
	flat_load_dwordx2 v[0:1], v[0:1]
	s_or_b64 s[70:71], s[74:75], exec
	s_waitcnt vmcnt(0) lgkmcnt(0)
	v_ffbh_u32_e32 v53, v1
	v_min_u32_e32 v53, 32, v53
	v_lshlrev_b64 v[0:1], v53, v[0:1]
	v_min_u32_e32 v0, 1, v0
	v_or_b32_e32 v0, v1, v0
	v_cvt_f32_u32_e32 v0, v0
	v_sub_u32_e32 v1, 32, v53
	v_ldexp_f32 v53, v0, v1
.LBB169_3024:                           ;   in Loop: Header=BB169_17 Depth=1
	s_or_b64 exec, exec, s[68:69]
	s_andn2_b64 s[60:61], s[74:75], exec
	s_and_b64 s[62:63], s[70:71], exec
	s_or_b64 s[86:87], s[86:87], exec
	s_andn2_b64 vcc, vcc, exec
	s_or_b64 s[74:75], s[60:61], s[62:63]
.LBB169_3025:                           ;   in Loop: Header=BB169_17 Depth=1
	s_or_b64 exec, exec, s[66:67]
	s_and_b64 s[86:87], s[86:87], exec
	s_and_b64 s[72:73], vcc, exec
	s_and_b64 s[78:79], s[74:75], exec
                                        ; implicit-def: $vgpr0_vgpr1
.LBB169_3026:                           ;   in Loop: Header=BB169_17 Depth=1
	s_andn2_saveexec_b64 s[80:81], s[80:81]
	s_cbranch_execz .LBB169_3040
; %bb.3027:                             ;   in Loop: Header=BB169_17 Depth=1
	v_cmp_gt_i16_sdwa vcc, v8, v22 src0_sel:BYTE_0 src1_sel:DWORD
                                        ; implicit-def: $vgpr53
	s_and_saveexec_b64 s[60:61], vcc
	s_xor_b64 vcc, exec, s[60:61]
	s_cbranch_execz .LBB169_3033
; %bb.3028:                             ;   in Loop: Header=BB169_17 Depth=1
	v_cmp_gt_i16_sdwa s[60:61], v8, v23 src0_sel:BYTE_0 src1_sel:DWORD
                                        ; implicit-def: $vgpr53
	s_and_saveexec_b64 s[62:63], s[60:61]
	s_xor_b64 s[60:61], exec, s[62:63]
	s_cbranch_execz .LBB169_3030
; %bb.3029:                             ;   in Loop: Header=BB169_17 Depth=1
	flat_load_dword v0, v[0:1]
	s_waitcnt vmcnt(0) lgkmcnt(0)
	v_cvt_f32_u32_e32 v53, v0
                                        ; implicit-def: $vgpr0_vgpr1
.LBB169_3030:                           ;   in Loop: Header=BB169_17 Depth=1
	s_andn2_saveexec_b64 s[60:61], s[60:61]
	s_cbranch_execz .LBB169_3032
; %bb.3031:                             ;   in Loop: Header=BB169_17 Depth=1
	flat_load_ushort v0, v[0:1]
	s_waitcnt vmcnt(0) lgkmcnt(0)
	v_cvt_f32_u32_e32 v53, v0
.LBB169_3032:                           ;   in Loop: Header=BB169_17 Depth=1
	s_or_b64 exec, exec, s[60:61]
                                        ; implicit-def: $vgpr0_vgpr1
.LBB169_3033:                           ;   in Loop: Header=BB169_17 Depth=1
	s_andn2_saveexec_b64 s[74:75], vcc
	s_cbranch_execz .LBB169_3039
; %bb.3034:                             ;   in Loop: Header=BB169_17 Depth=1
	flat_load_ubyte v0, v[0:1]
	s_movk_i32 vcc_lo, 0x7f
	s_mov_b64 s[66:67], 0
                                        ; implicit-def: $sgpr70
	s_waitcnt vmcnt(0) lgkmcnt(0)
	v_cmp_lt_i16_e32 vcc, vcc_lo, v0
	s_and_saveexec_b64 s[60:61], vcc
	s_xor_b64 s[68:69], exec, s[60:61]
	s_cbranch_execnz .LBB169_3610
; %bb.3035:                             ;   in Loop: Header=BB169_17 Depth=1
	s_or_saveexec_b64 s[68:69], s[68:69]
	v_mov_b32_e32 v53, s70
	s_xor_b64 exec, exec, s[68:69]
	s_cbranch_execnz .LBB169_3613
.LBB169_3036:                           ;   in Loop: Header=BB169_17 Depth=1
	s_or_b64 exec, exec, s[68:69]
	s_and_saveexec_b64 s[68:69], s[66:67]
	s_cbranch_execz .LBB169_3038
.LBB169_3037:                           ;   in Loop: Header=BB169_17 Depth=1
	v_lshlrev_b32_e32 v1, 24, v0
	v_and_b32_e32 v0, 0xffff, v0
	v_and_b32_e32 v53, 7, v0
	v_ffbh_u32_e32 v55, v53
	v_min_u32_e32 v55, 32, v55
	v_subrev_u32_e32 v64, 28, v55
	v_bfe_u32 v54, v0, 3, 4
	v_lshlrev_b32_e32 v0, v64, v0
	v_sub_u32_e32 v55, 29, v55
	v_and_b32_e32 v0, 7, v0
	v_cmp_eq_u32_e32 vcc, 0, v54
	v_cndmask_b32_e32 v54, v54, v55, vcc
	v_cndmask_b32_e32 v0, v53, v0, vcc
	v_lshlrev_b32_e32 v0, 20, v0
	v_and_b32_e32 v1, 0x80000000, v1
	v_lshl_add_u32 v53, v54, 23, v24
	v_or3_b32 v53, v1, v53, v0
.LBB169_3038:                           ;   in Loop: Header=BB169_17 Depth=1
	s_or_b64 exec, exec, s[68:69]
.LBB169_3039:                           ;   in Loop: Header=BB169_17 Depth=1
	s_or_b64 exec, exec, s[74:75]
	s_andn2_b64 s[86:87], s[86:87], exec
	s_andn2_b64 s[72:73], s[72:73], exec
	s_or_b64 s[78:79], s[78:79], exec
.LBB169_3040:                           ;   in Loop: Header=BB169_17 Depth=1
	s_or_b64 exec, exec, s[80:81]
	s_and_b64 s[86:87], s[86:87], exec
	s_and_b64 s[62:63], s[72:73], exec
	s_and_b64 s[78:79], s[78:79], exec
                                        ; implicit-def: $vgpr0_vgpr1
.LBB169_3041:                           ;   in Loop: Header=BB169_17 Depth=1
	s_andn2_saveexec_b64 s[80:81], s[76:77]
	s_cbranch_execz .LBB169_3067
; %bb.3042:                             ;   in Loop: Header=BB169_17 Depth=1
	v_writelane_b32 v78, s62, 34
	v_cmp_gt_i16_sdwa vcc, v8, v25 src0_sel:BYTE_0 src1_sel:DWORD
	s_mov_b64 s[74:75], s[78:79]
	v_writelane_b32 v78, s63, 35
                                        ; implicit-def: $vgpr53
	s_and_saveexec_b64 s[60:61], vcc
	s_xor_b64 s[72:73], exec, s[60:61]
	s_cbranch_execz .LBB169_3056
; %bb.3043:                             ;   in Loop: Header=BB169_17 Depth=1
	v_cmp_gt_i16_sdwa vcc, v8, v26 src0_sel:BYTE_0 src1_sel:DWORD
                                        ; implicit-def: $vgpr53
	s_and_saveexec_b64 s[60:61], vcc
	s_xor_b64 s[62:63], exec, s[60:61]
	s_cbranch_execz .LBB169_3053
; %bb.3044:                             ;   in Loop: Header=BB169_17 Depth=1
	v_cmp_gt_i16_sdwa vcc, v8, v27 src0_sel:BYTE_0 src1_sel:DWORD
                                        ; implicit-def: $vgpr53
	s_and_saveexec_b64 s[60:61], vcc
	s_xor_b64 s[74:75], exec, s[60:61]
	s_cbranch_execz .LBB169_3050
; %bb.3045:                             ;   in Loop: Header=BB169_17 Depth=1
	flat_load_ubyte v0, v[0:1]
	s_movk_i32 vcc_lo, 0x7f
	s_mov_b64 s[66:67], 0
                                        ; implicit-def: $sgpr70
	s_waitcnt vmcnt(0) lgkmcnt(0)
	v_cmp_lt_i16_e32 vcc, vcc_lo, v0
	s_and_saveexec_b64 s[60:61], vcc
	s_xor_b64 s[68:69], exec, s[60:61]
	s_cbranch_execnz .LBB169_3618
; %bb.3046:                             ;   in Loop: Header=BB169_17 Depth=1
	s_or_saveexec_b64 s[68:69], s[68:69]
	v_mov_b32_e32 v53, s70
	s_xor_b64 exec, exec, s[68:69]
	s_cbranch_execnz .LBB169_3621
.LBB169_3047:                           ;   in Loop: Header=BB169_17 Depth=1
	s_or_b64 exec, exec, s[68:69]
	s_and_saveexec_b64 s[68:69], s[66:67]
	s_cbranch_execz .LBB169_3049
.LBB169_3048:                           ;   in Loop: Header=BB169_17 Depth=1
	v_lshlrev_b32_e32 v1, 24, v0
	v_and_b32_e32 v0, 0xffff, v0
	v_and_b32_e32 v53, 3, v0
	v_ffbh_u32_e32 v55, v53
	v_min_u32_e32 v55, 32, v55
	v_subrev_u32_e32 v64, 29, v55
	v_bfe_u32 v54, v0, 2, 5
	v_lshlrev_b32_e32 v0, v64, v0
	v_sub_u32_e32 v55, 30, v55
	v_and_b32_e32 v0, 3, v0
	v_cmp_eq_u32_e32 vcc, 0, v54
	v_cndmask_b32_e32 v54, v54, v55, vcc
	v_cndmask_b32_e32 v0, v53, v0, vcc
	v_lshlrev_b32_e32 v0, 21, v0
	v_and_b32_e32 v1, 0x80000000, v1
	v_lshl_add_u32 v53, v54, 23, v28
	v_or3_b32 v53, v1, v53, v0
.LBB169_3049:                           ;   in Loop: Header=BB169_17 Depth=1
	s_or_b64 exec, exec, s[68:69]
                                        ; implicit-def: $vgpr0_vgpr1
.LBB169_3050:                           ;   in Loop: Header=BB169_17 Depth=1
	s_andn2_saveexec_b64 s[66:67], s[74:75]
	s_cbranch_execz .LBB169_3052
; %bb.3051:                             ;   in Loop: Header=BB169_17 Depth=1
	flat_load_ubyte v0, v[0:1]
	s_mov_b32 vcc_lo, 0x7f800000
	s_waitcnt vmcnt(0) lgkmcnt(0)
	v_lshlrev_b32_e32 v0, 24, v0
	v_and_b32_e32 v1, 0x7f000000, v0
	v_ffbh_u32_e32 v53, v1
	v_min_u32_e32 v53, 32, v53
	v_sub_u32_e64 v53, v53, 4 clamp
	v_lshlrev_b32_e32 v55, v53, v1
	v_lshlrev_b32_e32 v53, 23, v53
	v_lshrrev_b32_e32 v55, 4, v55
	v_add_u32_e32 v54, 0x1000000, v1
	v_sub_u32_e32 v53, v55, v53
	v_ashrrev_i32_e32 v54, 8, v54
	v_add_u32_e32 v53, 0x3c000000, v53
	v_and_or_b32 v53, v54, vcc_lo, v53
	v_cmp_ne_u32_e32 vcc, 0, v1
	v_cndmask_b32_e32 v1, 0, v53, vcc
	s_brev_b32 vcc_lo, 1
	v_and_or_b32 v53, v0, vcc_lo, v1
.LBB169_3052:                           ;   in Loop: Header=BB169_17 Depth=1
	s_or_b64 exec, exec, s[66:67]
                                        ; implicit-def: $vgpr0_vgpr1
.LBB169_3053:                           ;   in Loop: Header=BB169_17 Depth=1
	s_andn2_saveexec_b64 s[66:67], s[62:63]
	s_cbranch_execz .LBB169_3055
; %bb.3054:                             ;   in Loop: Header=BB169_17 Depth=1
	flat_load_ubyte v0, v[0:1]
	s_movk_i32 vcc_lo, 0x7f00
	s_waitcnt vmcnt(0) lgkmcnt(0)
	v_lshlrev_b16_e32 v1, 8, v0
	v_lshlrev_b32_e32 v0, 25, v0
	v_lshrrev_b32_e32 v53, 4, v0
	v_and_or_b32 v54, v1, vcc_lo, 0.5
	v_or_b32_e32 v53, 0x70000000, v53
	s_brev_b32 vcc_lo, 16
	v_add_f32_e32 v54, -0.5, v54
	v_mul_f32_e32 v53, 0x7800000, v53
	v_cmp_gt_u32_e32 vcc, vcc_lo, v0
	v_cndmask_b32_e32 v0, v53, v54, vcc
	v_bfe_i32 v1, v1, 0, 16
	s_brev_b32 vcc_lo, 1
	v_and_or_b32 v53, v1, vcc_lo, v0
.LBB169_3055:                           ;   in Loop: Header=BB169_17 Depth=1
	s_or_b64 exec, exec, s[66:67]
	s_or_b64 s[74:75], s[78:79], exec
                                        ; implicit-def: $vgpr0_vgpr1
.LBB169_3056:                           ;   in Loop: Header=BB169_17 Depth=1
	s_or_saveexec_b64 s[72:73], s[72:73]
                                        ; implicit-def: $vcc
                                        ; implicit-def: $sgpr68_sgpr69
	s_xor_b64 exec, exec, s[72:73]
	s_cbranch_execz .LBB169_3066
; %bb.3057:                             ;   in Loop: Header=BB169_17 Depth=1
	v_cmp_gt_i16_sdwa vcc, v8, v29 src0_sel:BYTE_0 src1_sel:DWORD
	s_mov_b64 s[66:67], s[74:75]
                                        ; implicit-def: $sgpr68_sgpr69
                                        ; implicit-def: $sgpr76_sgpr77
                                        ; implicit-def: $vgpr53
	s_and_saveexec_b64 s[60:61], vcc
	s_xor_b64 vcc, exec, s[60:61]
	s_cbranch_execz .LBB169_3061
; %bb.3058:                             ;   in Loop: Header=BB169_17 Depth=1
	v_cmp_eq_u16_sdwa s[62:63], v8, v32 src0_sel:BYTE_0 src1_sel:DWORD
	s_mov_b64 s[66:67], s[74:75]
                                        ; implicit-def: $vgpr53
	s_and_saveexec_b64 s[60:61], s[62:63]
	s_cbranch_execz .LBB169_3060
; %bb.3059:                             ;   in Loop: Header=BB169_17 Depth=1
	flat_load_ushort v0, v[0:1]
	s_or_b64 s[66:67], s[74:75], exec
	s_waitcnt vmcnt(0) lgkmcnt(0)
	v_lshlrev_b32_e32 v53, 16, v0
.LBB169_3060:                           ;   in Loop: Header=BB169_17 Depth=1
	s_or_b64 exec, exec, s[60:61]
	s_andn2_b64 s[60:61], s[74:75], exec
	s_and_b64 s[62:63], s[66:67], exec
	s_mov_b64 s[76:77], 0
	s_mov_b64 s[68:69], -1
	s_or_b64 s[66:67], s[60:61], s[62:63]
                                        ; implicit-def: $vgpr0_vgpr1
.LBB169_3061:                           ;   in Loop: Header=BB169_17 Depth=1
	s_andn2_saveexec_b64 s[70:71], vcc
	s_cbranch_execz .LBB169_3065
; %bb.3062:                             ;   in Loop: Header=BB169_17 Depth=1
	v_cmp_eq_u16_sdwa s[62:63], v8, v33 src0_sel:BYTE_0 src1_sel:DWORD
	s_mov_b64 vcc, s[66:67]
                                        ; implicit-def: $vgpr53
	s_and_saveexec_b64 s[60:61], s[62:63]
	s_cbranch_execz .LBB169_3064
; %bb.3063:                             ;   in Loop: Header=BB169_17 Depth=1
	flat_load_ubyte v0, v[0:1]
	s_waitcnt vmcnt(0) lgkmcnt(0)
	v_cmp_ne_u16_e32 vcc, 0, v0
	v_cndmask_b32_e64 v53, 0, 1.0, vcc
	s_or_b64 vcc, s[66:67], exec
.LBB169_3064:                           ;   in Loop: Header=BB169_17 Depth=1
	s_or_b64 exec, exec, s[60:61]
	s_andn2_b64 s[60:61], s[66:67], exec
	s_and_b64 vcc, vcc, exec
	s_or_b64 s[68:69], s[68:69], exec
	s_andn2_b64 s[76:77], s[76:77], exec
	s_or_b64 s[66:67], s[60:61], vcc
.LBB169_3065:                           ;   in Loop: Header=BB169_17 Depth=1
	s_or_b64 exec, exec, s[70:71]
	s_andn2_b64 s[60:61], s[74:75], exec
	s_and_b64 s[62:63], s[66:67], exec
	s_and_b64 s[68:69], s[68:69], exec
	s_and_b64 vcc, s[76:77], exec
	s_or_b64 s[74:75], s[60:61], s[62:63]
.LBB169_3066:                           ;   in Loop: Header=BB169_17 Depth=1
	s_or_b64 exec, exec, s[72:73]
	s_andn2_b64 s[60:61], s[86:87], exec
	s_and_b64 s[62:63], s[68:69], exec
	s_or_b64 s[86:87], s[60:61], s[62:63]
	v_readlane_b32 s60, v78, 34
	v_readlane_b32 s61, v78, 35
	s_andn2_b64 s[60:61], s[60:61], exec
	s_and_b64 vcc, vcc, exec
	s_or_b64 s[62:63], s[60:61], vcc
	s_andn2_b64 vcc, s[78:79], exec
	s_and_b64 s[60:61], s[74:75], exec
	s_or_b64 s[78:79], vcc, s[60:61]
.LBB169_3067:                           ;   in Loop: Header=BB169_17 Depth=1
	s_or_b64 exec, exec, s[80:81]
	s_and_b64 s[86:87], s[86:87], exec
	s_and_b64 vcc, s[62:63], exec
	s_and_b64 s[78:79], s[78:79], exec
                                        ; implicit-def: $vgpr0_vgpr1
.LBB169_3068:                           ;   in Loop: Header=BB169_17 Depth=1
	v_readlane_b32 s60, v78, 32
	v_readlane_b32 s61, v78, 33
	s_andn2_saveexec_b64 s[80:81], s[60:61]
	s_cbranch_execz .LBB169_3110
; %bb.3069:                             ;   in Loop: Header=BB169_17 Depth=1
	v_cmp_gt_i16_sdwa s[60:61], v8, v34 src0_sel:BYTE_0 src1_sel:DWORD
                                        ; implicit-def: $vgpr53
	s_and_saveexec_b64 s[62:63], s[60:61]
	s_xor_b64 s[72:73], exec, s[62:63]
	s_cbranch_execz .LBB169_3091
; %bb.3070:                             ;   in Loop: Header=BB169_17 Depth=1
	v_cmp_gt_i16_sdwa s[60:61], v8, v35 src0_sel:BYTE_0 src1_sel:DWORD
                                        ; implicit-def: $vgpr53
	s_and_saveexec_b64 s[62:63], s[60:61]
	s_xor_b64 s[66:67], exec, s[62:63]
	;; [unrolled: 6-line block ×4, first 2 shown]
	s_cbranch_execz .LBB169_3074
; %bb.3073:                             ;   in Loop: Header=BB169_17 Depth=1
	flat_load_dwordx2 v[0:1], v[0:1]
	s_waitcnt vmcnt(0) lgkmcnt(0)
	v_cvt_f32_f64_e32 v53, v[0:1]
                                        ; implicit-def: $vgpr0_vgpr1
.LBB169_3074:                           ;   in Loop: Header=BB169_17 Depth=1
	s_andn2_saveexec_b64 s[60:61], s[60:61]
	s_cbranch_execz .LBB169_3076
; %bb.3075:                             ;   in Loop: Header=BB169_17 Depth=1
	flat_load_dword v53, v[0:1]
.LBB169_3076:                           ;   in Loop: Header=BB169_17 Depth=1
	s_or_b64 exec, exec, s[60:61]
                                        ; implicit-def: $vgpr0_vgpr1
.LBB169_3077:                           ;   in Loop: Header=BB169_17 Depth=1
	s_andn2_saveexec_b64 s[60:61], s[68:69]
	s_cbranch_execz .LBB169_3079
; %bb.3078:                             ;   in Loop: Header=BB169_17 Depth=1
	flat_load_dword v0, v[0:1]
	s_waitcnt vmcnt(0) lgkmcnt(0)
	v_cvt_f32_f16_e32 v53, v0
.LBB169_3079:                           ;   in Loop: Header=BB169_17 Depth=1
	s_or_b64 exec, exec, s[60:61]
                                        ; implicit-def: $vgpr0_vgpr1
.LBB169_3080:                           ;   in Loop: Header=BB169_17 Depth=1
	s_andn2_saveexec_b64 s[66:67], s[66:67]
	s_cbranch_execz .LBB169_3090
; %bb.3081:                             ;   in Loop: Header=BB169_17 Depth=1
	v_cmp_gt_i16_sdwa s[60:61], v8, v38 src0_sel:BYTE_0 src1_sel:DWORD
                                        ; implicit-def: $vgpr53
	s_and_saveexec_b64 s[62:63], s[60:61]
	s_xor_b64 s[68:69], exec, s[62:63]
	s_cbranch_execz .LBB169_3087
; %bb.3082:                             ;   in Loop: Header=BB169_17 Depth=1
	v_cmp_gt_i16_sdwa s[60:61], v8, v39 src0_sel:BYTE_0 src1_sel:DWORD
                                        ; implicit-def: $vgpr53
	s_and_saveexec_b64 s[62:63], s[60:61]
	s_xor_b64 s[60:61], exec, s[62:63]
	s_cbranch_execz .LBB169_3084
; %bb.3083:                             ;   in Loop: Header=BB169_17 Depth=1
	flat_load_dwordx2 v[0:1], v[0:1]
	s_waitcnt vmcnt(0) lgkmcnt(0)
	v_cvt_f32_f64_e32 v53, v[0:1]
                                        ; implicit-def: $vgpr0_vgpr1
.LBB169_3084:                           ;   in Loop: Header=BB169_17 Depth=1
	s_andn2_saveexec_b64 s[60:61], s[60:61]
	s_cbranch_execz .LBB169_3086
; %bb.3085:                             ;   in Loop: Header=BB169_17 Depth=1
	s_waitcnt vmcnt(0) lgkmcnt(0)
	flat_load_dword v53, v[0:1]
.LBB169_3086:                           ;   in Loop: Header=BB169_17 Depth=1
	s_or_b64 exec, exec, s[60:61]
                                        ; implicit-def: $vgpr0_vgpr1
.LBB169_3087:                           ;   in Loop: Header=BB169_17 Depth=1
	s_andn2_saveexec_b64 s[60:61], s[68:69]
	s_cbranch_execz .LBB169_3089
; %bb.3088:                             ;   in Loop: Header=BB169_17 Depth=1
	flat_load_ushort v0, v[0:1]
	s_waitcnt vmcnt(0) lgkmcnt(0)
	v_cvt_f32_f16_e32 v53, v0
.LBB169_3089:                           ;   in Loop: Header=BB169_17 Depth=1
	s_or_b64 exec, exec, s[60:61]
.LBB169_3090:                           ;   in Loop: Header=BB169_17 Depth=1
	s_or_b64 exec, exec, s[66:67]
                                        ; implicit-def: $vgpr0_vgpr1
.LBB169_3091:                           ;   in Loop: Header=BB169_17 Depth=1
	s_andn2_saveexec_b64 s[72:73], s[72:73]
	s_cbranch_execz .LBB169_3109
; %bb.3092:                             ;   in Loop: Header=BB169_17 Depth=1
	v_cmp_gt_i16_sdwa s[60:61], v8, v48 src0_sel:BYTE_0 src1_sel:DWORD
                                        ; implicit-def: $vgpr53
	s_and_saveexec_b64 s[62:63], s[60:61]
	s_xor_b64 s[74:75], exec, s[62:63]
	s_cbranch_execz .LBB169_3102
; %bb.3093:                             ;   in Loop: Header=BB169_17 Depth=1
	v_cmp_gt_i16_sdwa s[60:61], v8, v49 src0_sel:BYTE_0 src1_sel:DWORD
                                        ; implicit-def: $vgpr53
	s_and_saveexec_b64 s[62:63], s[60:61]
	s_xor_b64 s[66:67], exec, s[62:63]
	;; [unrolled: 6-line block ×3, first 2 shown]
	s_cbranch_execz .LBB169_3096
; %bb.3095:                             ;   in Loop: Header=BB169_17 Depth=1
	flat_load_dwordx2 v[0:1], v[0:1]
	s_waitcnt vmcnt(0) lgkmcnt(0)
	v_xor_b32_e32 v54, v0, v1
	v_ffbh_i32_e32 v53, v1
	v_ashrrev_i32_e32 v54, 31, v54
	v_add_u32_e32 v53, -1, v53
	v_add_u32_e32 v54, 32, v54
	v_min_u32_e32 v53, v53, v54
	v_lshlrev_b64 v[0:1], v53, v[0:1]
	v_min_u32_e32 v0, 1, v0
	v_or_b32_e32 v0, v1, v0
	v_cvt_f32_i32_e32 v0, v0
	v_sub_u32_e32 v1, 32, v53
	v_ldexp_f32 v53, v0, v1
                                        ; implicit-def: $vgpr0_vgpr1
.LBB169_3096:                           ;   in Loop: Header=BB169_17 Depth=1
	s_andn2_saveexec_b64 s[60:61], s[68:69]
	s_cbranch_execz .LBB169_3098
; %bb.3097:                             ;   in Loop: Header=BB169_17 Depth=1
	flat_load_dword v0, v[0:1]
	s_waitcnt vmcnt(0) lgkmcnt(0)
	v_cvt_f32_i32_e32 v53, v0
.LBB169_3098:                           ;   in Loop: Header=BB169_17 Depth=1
	s_or_b64 exec, exec, s[60:61]
                                        ; implicit-def: $vgpr0_vgpr1
.LBB169_3099:                           ;   in Loop: Header=BB169_17 Depth=1
	s_andn2_saveexec_b64 s[60:61], s[66:67]
	s_cbranch_execz .LBB169_3101
; %bb.3100:                             ;   in Loop: Header=BB169_17 Depth=1
	flat_load_sshort v0, v[0:1]
	s_waitcnt vmcnt(0) lgkmcnt(0)
	v_cvt_f32_i32_e32 v53, v0
.LBB169_3101:                           ;   in Loop: Header=BB169_17 Depth=1
	s_or_b64 exec, exec, s[60:61]
                                        ; implicit-def: $vgpr0_vgpr1
.LBB169_3102:                           ;   in Loop: Header=BB169_17 Depth=1
	s_andn2_saveexec_b64 s[66:67], s[74:75]
	s_cbranch_execz .LBB169_3108
; %bb.3103:                             ;   in Loop: Header=BB169_17 Depth=1
	v_cmp_gt_i16_sdwa s[60:61], v8, v6 src0_sel:BYTE_0 src1_sel:DWORD
                                        ; implicit-def: $vgpr53
	s_and_saveexec_b64 s[62:63], s[60:61]
	s_xor_b64 s[60:61], exec, s[62:63]
	s_cbranch_execz .LBB169_3105
; %bb.3104:                             ;   in Loop: Header=BB169_17 Depth=1
	flat_load_sbyte v0, v[0:1]
	s_waitcnt vmcnt(0) lgkmcnt(0)
	v_cvt_f32_i32_e32 v53, v0
                                        ; implicit-def: $vgpr0_vgpr1
.LBB169_3105:                           ;   in Loop: Header=BB169_17 Depth=1
	s_andn2_saveexec_b64 s[60:61], s[60:61]
	s_cbranch_execz .LBB169_3107
; %bb.3106:                             ;   in Loop: Header=BB169_17 Depth=1
	flat_load_ubyte v0, v[0:1]
	s_waitcnt vmcnt(0) lgkmcnt(0)
	v_cvt_f32_ubyte0_e32 v53, v0
.LBB169_3107:                           ;   in Loop: Header=BB169_17 Depth=1
	s_or_b64 exec, exec, s[60:61]
.LBB169_3108:                           ;   in Loop: Header=BB169_17 Depth=1
	s_or_b64 exec, exec, s[66:67]
.LBB169_3109:                           ;   in Loop: Header=BB169_17 Depth=1
	s_or_b64 exec, exec, s[72:73]
	s_andn2_b64 s[86:87], s[86:87], exec
	s_andn2_b64 vcc, vcc, exec
	s_or_b64 s[78:79], s[78:79], exec
.LBB169_3110:                           ;   in Loop: Header=BB169_17 Depth=1
	s_or_b64 exec, exec, s[80:81]
	s_mov_b64 s[66:67], 0
	s_and_saveexec_b64 s[68:69], s[78:79]
	s_cbranch_execz .LBB169_3112
; %bb.3111:                             ;   in Loop: Header=BB169_17 Depth=1
	s_mov_b64 s[66:67], exec
	v_add_u32_e32 v51, 0x200, v51
	s_andn2_b64 s[86:87], s[86:87], exec
	s_andn2_b64 vcc, vcc, exec
	s_waitcnt vmcnt(0) lgkmcnt(0)
	buffer_store_dword v53, v52, s[0:3], 0 offen offset:104
.LBB169_3112:                           ;   in Loop: Header=BB169_17 Depth=1
	s_or_b64 exec, exec, s[68:69]
	s_andn2_b64 s[60:61], s[92:93], exec
	s_and_b64 s[62:63], s[86:87], exec
	s_or_b64 s[92:93], s[60:61], s[62:63]
	s_andn2_b64 s[60:61], s[94:95], exec
	s_and_b64 vcc, vcc, exec
	s_or_b64 s[94:95], s[60:61], vcc
	s_and_b64 s[66:67], s[66:67], exec
.LBB169_3113:                           ;   in Loop: Header=BB169_17 Depth=1
	s_or_b64 exec, exec, s[84:85]
	s_and_b64 vcc, s[92:93], exec
	v_writelane_b32 v78, vcc_lo, 28
	v_writelane_b32 v78, vcc_hi, 29
	s_and_b64 vcc, s[94:95], exec
	v_writelane_b32 v78, vcc_lo, 30
	v_writelane_b32 v78, vcc_hi, 31
	s_orn2_b64 s[66:67], s[66:67], exec
.LBB169_3114:                           ;   in Loop: Header=BB169_17 Depth=1
	s_or_b64 exec, exec, s[90:91]
	s_and_saveexec_b64 s[94:95], s[66:67]
	s_cbranch_execz .LBB169_3
; %bb.3115:                             ;   in Loop: Header=BB169_17 Depth=1
	s_mov_b64 s[60:61], -1
	v_cmp_lt_i32_e32 vcc, v51, v72
	v_writelane_b32 v78, s60, 36
	s_mov_b64 s[66:67], -1
	v_writelane_b32 v78, s61, 37
                                        ; implicit-def: $sgpr62_sgpr63
                                        ; implicit-def: $sgpr60_sgpr61
                                        ; kill: killed $sgpr60_sgpr61
	s_and_saveexec_b64 s[96:97], vcc
	s_cbranch_execz .LBB169_3341
; %bb.3116:                             ;   in Loop: Header=BB169_17 Depth=1
	v_readlane_b32 vcc_lo, v78, 1
	s_waitcnt vmcnt(0) lgkmcnt(0)
	v_add_u32_e32 v53, vcc_lo, v51
	v_mul_lo_u32 v0, v53, v9
	v_add_co_u32_e32 v0, vcc, v2, v0
	v_addc_co_u32_e32 v1, vcc, 0, v3, vcc
	v_cmp_gt_i16_sdwa s[60:61], v7, v12 src0_sel:BYTE_0 src1_sel:DWORD
	s_mov_b64 vcc, 0
                                        ; implicit-def: $sgpr92_sgpr93
                                        ; implicit-def: $sgpr90_sgpr91
                                        ; implicit-def: $vgpr54
	s_and_saveexec_b64 s[62:63], s[60:61]
	s_xor_b64 s[84:85], exec, s[62:63]
	s_cbranch_execnz .LBB169_3135
; %bb.3117:                             ;   in Loop: Header=BB169_17 Depth=1
	s_andn2_saveexec_b64 s[78:79], s[84:85]
	s_cbranch_execnz .LBB169_3194
.LBB169_3118:                           ;   in Loop: Header=BB169_17 Depth=1
	s_or_b64 exec, exec, s[78:79]
	s_mov_b64 s[66:67], 0
	s_and_saveexec_b64 s[84:85], vcc
	s_cbranch_execnz .LBB169_3235
	s_branch .LBB169_3340
.LBB169_3119:                           ;   in Loop: Header=BB169_17 Depth=1
	s_movk_i32 vcc_lo, 0x80
	v_cmp_eq_u16_e32 vcc, vcc_lo, v0
	s_mov_b64 s[86:87], -1
                                        ; implicit-def: $sgpr92
	s_and_saveexec_b64 s[90:91], vcc
; %bb.3120:                             ;   in Loop: Header=BB169_17 Depth=1
	s_mov_b32 s92, 0x7f800001
	s_xor_b64 s[86:87], exec, -1
; %bb.3121:                             ;   in Loop: Header=BB169_17 Depth=1
	s_or_b64 exec, exec, s[90:91]
	s_and_b64 s[86:87], s[86:87], exec
	s_or_saveexec_b64 s[88:89], s[88:89]
	v_mov_b32_e32 v52, s92
	s_xor_b64 exec, exec, s[88:89]
	s_cbranch_execz .LBB169_1938
.LBB169_3122:                           ;   in Loop: Header=BB169_17 Depth=1
	v_cmp_ne_u16_e32 vcc, 0, v0
	s_andn2_b64 s[86:87], s[86:87], exec
	s_and_b64 vcc, vcc, exec
	v_mov_b32_e32 v52, 0
	s_or_b64 s[86:87], s[86:87], vcc
	s_or_b64 exec, exec, s[88:89]
	s_and_saveexec_b64 s[88:89], s[86:87]
	s_cbranch_execnz .LBB169_1939
	s_branch .LBB169_1940
.LBB169_3123:                           ;   in Loop: Header=BB169_17 Depth=1
	s_movk_i32 vcc_lo, 0x80
	v_cmp_eq_u16_e32 vcc, vcc_lo, v0
	s_mov_b64 s[86:87], -1
                                        ; implicit-def: $sgpr90
	s_and_saveexec_b64 s[60:61], vcc
; %bb.3124:                             ;   in Loop: Header=BB169_17 Depth=1
	s_mov_b32 s90, 0x7f800001
	s_xor_b64 s[86:87], exec, -1
; %bb.3125:                             ;   in Loop: Header=BB169_17 Depth=1
	s_or_b64 exec, exec, s[60:61]
	s_and_b64 s[86:87], s[86:87], exec
	s_or_saveexec_b64 s[88:89], s[88:89]
	v_mov_b32_e32 v54, s90
	s_xor_b64 exec, exec, s[88:89]
	s_cbranch_execz .LBB169_2038
.LBB169_3126:                           ;   in Loop: Header=BB169_17 Depth=1
	v_cmp_ne_u16_e32 vcc, 0, v0
	s_andn2_b64 s[60:61], s[86:87], exec
	s_and_b64 vcc, vcc, exec
	v_mov_b32_e32 v54, 0
	s_or_b64 s[86:87], s[60:61], vcc
	s_or_b64 exec, exec, s[88:89]
	s_and_saveexec_b64 s[88:89], s[86:87]
	s_cbranch_execnz .LBB169_2039
	s_branch .LBB169_2040
.LBB169_3127:                           ;   in Loop: Header=BB169_17 Depth=1
	s_movk_i32 vcc_lo, 0x80
	v_cmp_eq_u16_e32 vcc, vcc_lo, v0
	s_mov_b64 s[90:91], -1
                                        ; implicit-def: $sgpr94
	s_and_saveexec_b64 s[60:61], vcc
; %bb.3128:                             ;   in Loop: Header=BB169_17 Depth=1
	s_mov_b32 s94, 0x7f800001
	s_xor_b64 s[90:91], exec, -1
; %bb.3129:                             ;   in Loop: Header=BB169_17 Depth=1
	s_or_b64 exec, exec, s[60:61]
	s_and_b64 s[90:91], s[90:91], exec
	s_or_saveexec_b64 s[92:93], s[92:93]
	v_mov_b32_e32 v52, s94
	s_xor_b64 exec, exec, s[92:93]
	s_cbranch_execz .LBB169_2154
.LBB169_3130:                           ;   in Loop: Header=BB169_17 Depth=1
	v_cmp_ne_u16_e32 vcc, 0, v0
	s_andn2_b64 s[60:61], s[90:91], exec
	s_and_b64 vcc, vcc, exec
	v_mov_b32_e32 v52, 0
	s_or_b64 s[90:91], s[60:61], vcc
	s_or_b64 exec, exec, s[92:93]
	s_and_saveexec_b64 s[92:93], s[90:91]
	s_cbranch_execnz .LBB169_2155
	s_branch .LBB169_2156
.LBB169_3131:                           ;   in Loop: Header=BB169_17 Depth=1
	s_movk_i32 vcc_lo, 0x80
	v_cmp_eq_u16_e32 vcc, vcc_lo, v0
	s_mov_b64 s[66:67], -1
                                        ; implicit-def: $sgpr70
	s_and_saveexec_b64 s[60:61], vcc
; %bb.3132:                             ;   in Loop: Header=BB169_17 Depth=1
	s_mov_b32 s70, 0x7f800001
	s_xor_b64 s[66:67], exec, -1
; %bb.3133:                             ;   in Loop: Header=BB169_17 Depth=1
	s_or_b64 exec, exec, s[60:61]
	s_and_b64 s[66:67], s[66:67], exec
	s_or_saveexec_b64 s[68:69], s[68:69]
	v_mov_b32_e32 v54, s70
	s_xor_b64 exec, exec, s[68:69]
	s_cbranch_execz .LBB169_2254
.LBB169_3134:                           ;   in Loop: Header=BB169_17 Depth=1
	v_cmp_ne_u16_e32 vcc, 0, v0
	s_andn2_b64 s[60:61], s[66:67], exec
	s_and_b64 vcc, vcc, exec
	v_mov_b32_e32 v54, 0
	s_or_b64 s[66:67], s[60:61], vcc
	s_or_b64 exec, exec, s[68:69]
	s_and_saveexec_b64 s[68:69], s[66:67]
	s_cbranch_execnz .LBB169_2255
	s_branch .LBB169_2256
.LBB169_3135:                           ;   in Loop: Header=BB169_17 Depth=1
	v_cmp_gt_i16_sdwa vcc, v7, v13 src0_sel:BYTE_0 src1_sel:DWORD
	s_mov_b64 s[78:79], 0
                                        ; implicit-def: $sgpr80_sgpr81
                                        ; implicit-def: $sgpr86_sgpr87
                                        ; implicit-def: $vgpr54
	s_and_saveexec_b64 s[60:61], vcc
	s_xor_b64 s[90:91], exec, s[60:61]
	s_cbranch_execz .LBB169_3167
; %bb.3136:                             ;   in Loop: Header=BB169_17 Depth=1
	v_cmp_gt_i16_sdwa vcc, v7, v14 src0_sel:BYTE_0 src1_sel:DWORD
                                        ; implicit-def: $sgpr72_sgpr73
                                        ; implicit-def: $sgpr86_sgpr87
                                        ; implicit-def: $vgpr54
	s_and_saveexec_b64 s[60:61], vcc
	s_xor_b64 s[80:81], exec, s[60:61]
	s_cbranch_execz .LBB169_3152
; %bb.3137:                             ;   in Loop: Header=BB169_17 Depth=1
	v_cmp_gt_i16_sdwa s[60:61], v7, v15 src0_sel:BYTE_0 src1_sel:DWORD
	s_mov_b64 s[74:75], 0
                                        ; implicit-def: $vcc
                                        ; implicit-def: $sgpr86_sgpr87
                                        ; implicit-def: $vgpr54
	s_and_saveexec_b64 s[62:63], s[60:61]
	s_xor_b64 s[72:73], exec, s[62:63]
	s_cbranch_execz .LBB169_3147
; %bb.3138:                             ;   in Loop: Header=BB169_17 Depth=1
	v_cmp_gt_i16_sdwa vcc, v7, v16 src0_sel:BYTE_0 src1_sel:DWORD
                                        ; implicit-def: $sgpr74_sgpr75
                                        ; implicit-def: $sgpr92_sgpr93
                                        ; implicit-def: $vgpr54
	s_and_saveexec_b64 s[60:61], vcc
	s_xor_b64 vcc, exec, s[60:61]
	s_cbranch_execz .LBB169_3142
; %bb.3139:                             ;   in Loop: Header=BB169_17 Depth=1
	v_cmp_eq_u16_sdwa s[62:63], v7, v17 src0_sel:BYTE_0 src1_sel:DWORD
	s_mov_b64 s[74:75], 0
	s_mov_b64 s[66:67], 0
                                        ; implicit-def: $vgpr54
	s_and_saveexec_b64 s[60:61], s[62:63]
	s_cbranch_execz .LBB169_3141
; %bb.3140:                             ;   in Loop: Header=BB169_17 Depth=1
	flat_load_dword v0, v[0:1]
	s_mov_b64 s[66:67], exec
	s_waitcnt vmcnt(0) lgkmcnt(0)
	v_lshlrev_b32_e32 v54, 16, v0
.LBB169_3141:                           ;   in Loop: Header=BB169_17 Depth=1
	s_or_b64 exec, exec, s[60:61]
	s_mov_b64 s[92:93], -1
	s_and_b64 s[78:79], s[66:67], exec
                                        ; implicit-def: $vgpr0_vgpr1
.LBB169_3142:                           ;   in Loop: Header=BB169_17 Depth=1
	s_andn2_saveexec_b64 s[66:67], vcc
	s_cbranch_execz .LBB169_3146
; %bb.3143:                             ;   in Loop: Header=BB169_17 Depth=1
	v_cmp_eq_u16_sdwa s[60:61], v7, v18 src0_sel:BYTE_0 src1_sel:DWORD
	s_mov_b64 vcc, s[78:79]
                                        ; implicit-def: $vgpr54
	s_and_saveexec_b64 s[68:69], s[60:61]
	s_cbranch_execz .LBB169_3145
; %bb.3144:                             ;   in Loop: Header=BB169_17 Depth=1
	flat_load_ubyte v0, v[0:1]
	s_movk_i32 vcc_lo, 0xff
	s_waitcnt vmcnt(0) lgkmcnt(0)
	v_lshlrev_b32_e32 v1, 23, v0
	v_cmp_ne_u32_e32 vcc, vcc_lo, v0
	v_cndmask_b32_e32 v1, v19, v1, vcc
	v_cmp_ne_u32_e32 vcc, 0, v0
	v_cndmask_b32_e32 v54, v20, v1, vcc
	s_or_b64 vcc, s[78:79], exec
.LBB169_3145:                           ;   in Loop: Header=BB169_17 Depth=1
	s_or_b64 exec, exec, s[68:69]
	s_andn2_b64 s[60:61], s[78:79], exec
	s_and_b64 vcc, vcc, exec
	s_andn2_b64 s[74:75], s[74:75], exec
	s_or_b64 s[92:93], s[92:93], exec
	s_or_b64 s[78:79], s[60:61], vcc
.LBB169_3146:                           ;   in Loop: Header=BB169_17 Depth=1
	s_or_b64 exec, exec, s[66:67]
	s_and_b64 s[86:87], s[74:75], exec
	s_and_b64 vcc, s[92:93], exec
	s_and_b64 s[74:75], s[78:79], exec
                                        ; implicit-def: $vgpr0_vgpr1
.LBB169_3147:                           ;   in Loop: Header=BB169_17 Depth=1
	s_andn2_saveexec_b64 s[66:67], s[72:73]
	s_cbranch_execz .LBB169_3151
; %bb.3148:                             ;   in Loop: Header=BB169_17 Depth=1
	v_cmp_eq_u16_sdwa s[60:61], v7, v21 src0_sel:BYTE_0 src1_sel:DWORD
	s_mov_b64 s[70:71], s[74:75]
                                        ; implicit-def: $vgpr54
	s_and_saveexec_b64 s[68:69], s[60:61]
	s_cbranch_execz .LBB169_3150
; %bb.3149:                             ;   in Loop: Header=BB169_17 Depth=1
	flat_load_dwordx2 v[0:1], v[0:1]
	s_or_b64 s[70:71], s[74:75], exec
	s_waitcnt vmcnt(0) lgkmcnt(0)
	v_ffbh_u32_e32 v52, v1
	v_min_u32_e32 v52, 32, v52
	v_lshlrev_b64 v[0:1], v52, v[0:1]
	v_min_u32_e32 v0, 1, v0
	v_or_b32_e32 v0, v1, v0
	v_cvt_f32_u32_e32 v0, v0
	v_sub_u32_e32 v1, 32, v52
	v_ldexp_f32 v54, v0, v1
.LBB169_3150:                           ;   in Loop: Header=BB169_17 Depth=1
	s_or_b64 exec, exec, s[68:69]
	s_andn2_b64 s[60:61], s[74:75], exec
	s_and_b64 s[62:63], s[70:71], exec
	s_andn2_b64 s[86:87], s[86:87], exec
	s_or_b64 vcc, vcc, exec
	s_or_b64 s[74:75], s[60:61], s[62:63]
.LBB169_3151:                           ;   in Loop: Header=BB169_17 Depth=1
	s_or_b64 exec, exec, s[66:67]
	s_and_b64 s[86:87], s[86:87], exec
	s_and_b64 s[72:73], vcc, exec
	s_and_b64 s[78:79], s[74:75], exec
                                        ; implicit-def: $vgpr0_vgpr1
.LBB169_3152:                           ;   in Loop: Header=BB169_17 Depth=1
	s_andn2_saveexec_b64 s[80:81], s[80:81]
	s_cbranch_execz .LBB169_3166
; %bb.3153:                             ;   in Loop: Header=BB169_17 Depth=1
	v_cmp_gt_i16_sdwa vcc, v7, v22 src0_sel:BYTE_0 src1_sel:DWORD
                                        ; implicit-def: $vgpr54
	s_and_saveexec_b64 s[60:61], vcc
	s_xor_b64 vcc, exec, s[60:61]
	s_cbranch_execz .LBB169_3159
; %bb.3154:                             ;   in Loop: Header=BB169_17 Depth=1
	v_cmp_gt_i16_sdwa s[60:61], v7, v23 src0_sel:BYTE_0 src1_sel:DWORD
                                        ; implicit-def: $vgpr54
	s_and_saveexec_b64 s[62:63], s[60:61]
	s_xor_b64 s[60:61], exec, s[62:63]
	s_cbranch_execz .LBB169_3156
; %bb.3155:                             ;   in Loop: Header=BB169_17 Depth=1
	flat_load_dword v0, v[0:1]
	s_waitcnt vmcnt(0) lgkmcnt(0)
	v_cvt_f32_u32_e32 v54, v0
                                        ; implicit-def: $vgpr0_vgpr1
.LBB169_3156:                           ;   in Loop: Header=BB169_17 Depth=1
	s_andn2_saveexec_b64 s[60:61], s[60:61]
	s_cbranch_execz .LBB169_3158
; %bb.3157:                             ;   in Loop: Header=BB169_17 Depth=1
	flat_load_ushort v0, v[0:1]
	s_waitcnt vmcnt(0) lgkmcnt(0)
	v_cvt_f32_u32_e32 v54, v0
.LBB169_3158:                           ;   in Loop: Header=BB169_17 Depth=1
	s_or_b64 exec, exec, s[60:61]
                                        ; implicit-def: $vgpr0_vgpr1
.LBB169_3159:                           ;   in Loop: Header=BB169_17 Depth=1
	s_andn2_saveexec_b64 s[74:75], vcc
	s_cbranch_execz .LBB169_3165
; %bb.3160:                             ;   in Loop: Header=BB169_17 Depth=1
	flat_load_ubyte v0, v[0:1]
	s_movk_i32 vcc_lo, 0x7f
	s_mov_b64 s[66:67], 0
                                        ; implicit-def: $sgpr70
	s_waitcnt vmcnt(0) lgkmcnt(0)
	v_cmp_lt_i16_e32 vcc, vcc_lo, v0
	s_and_saveexec_b64 s[60:61], vcc
	s_xor_b64 s[68:69], exec, s[60:61]
	s_cbranch_execnz .LBB169_3614
; %bb.3161:                             ;   in Loop: Header=BB169_17 Depth=1
	s_or_saveexec_b64 s[68:69], s[68:69]
	v_mov_b32_e32 v54, s70
	s_xor_b64 exec, exec, s[68:69]
	s_cbranch_execnz .LBB169_3617
.LBB169_3162:                           ;   in Loop: Header=BB169_17 Depth=1
	s_or_b64 exec, exec, s[68:69]
	s_and_saveexec_b64 s[68:69], s[66:67]
	s_cbranch_execz .LBB169_3164
.LBB169_3163:                           ;   in Loop: Header=BB169_17 Depth=1
	v_lshlrev_b32_e32 v1, 24, v0
	v_and_b32_e32 v0, 0xffff, v0
	v_and_b32_e32 v52, 7, v0
	v_ffbh_u32_e32 v55, v52
	v_min_u32_e32 v55, 32, v55
	v_subrev_u32_e32 v64, 28, v55
	v_bfe_u32 v54, v0, 3, 4
	v_lshlrev_b32_e32 v0, v64, v0
	v_sub_u32_e32 v55, 29, v55
	v_and_b32_e32 v0, 7, v0
	v_cmp_eq_u32_e32 vcc, 0, v54
	v_cndmask_b32_e32 v54, v54, v55, vcc
	v_cndmask_b32_e32 v0, v52, v0, vcc
	v_lshlrev_b32_e32 v0, 20, v0
	v_and_b32_e32 v1, 0x80000000, v1
	v_lshl_add_u32 v52, v54, 23, v24
	v_or3_b32 v54, v1, v52, v0
.LBB169_3164:                           ;   in Loop: Header=BB169_17 Depth=1
	s_or_b64 exec, exec, s[68:69]
.LBB169_3165:                           ;   in Loop: Header=BB169_17 Depth=1
	s_or_b64 exec, exec, s[74:75]
	s_andn2_b64 s[86:87], s[86:87], exec
	s_andn2_b64 s[72:73], s[72:73], exec
	s_or_b64 s[78:79], s[78:79], exec
.LBB169_3166:                           ;   in Loop: Header=BB169_17 Depth=1
	s_or_b64 exec, exec, s[80:81]
	s_and_b64 s[86:87], s[86:87], exec
	s_and_b64 s[80:81], s[72:73], exec
	;; [unrolled: 1-line block ×3, first 2 shown]
                                        ; implicit-def: $vgpr0_vgpr1
.LBB169_3167:                           ;   in Loop: Header=BB169_17 Depth=1
	s_andn2_saveexec_b64 s[90:91], s[90:91]
	s_cbranch_execz .LBB169_3193
; %bb.3168:                             ;   in Loop: Header=BB169_17 Depth=1
	v_cmp_gt_i16_sdwa vcc, v7, v25 src0_sel:BYTE_0 src1_sel:DWORD
	s_mov_b64 s[74:75], s[78:79]
                                        ; implicit-def: $vgpr54
	s_and_saveexec_b64 s[60:61], vcc
	s_xor_b64 s[72:73], exec, s[60:61]
	s_cbranch_execz .LBB169_3182
; %bb.3169:                             ;   in Loop: Header=BB169_17 Depth=1
	v_cmp_gt_i16_sdwa vcc, v7, v26 src0_sel:BYTE_0 src1_sel:DWORD
                                        ; implicit-def: $vgpr54
	s_and_saveexec_b64 s[60:61], vcc
	s_xor_b64 s[92:93], exec, s[60:61]
	s_cbranch_execz .LBB169_3179
; %bb.3170:                             ;   in Loop: Header=BB169_17 Depth=1
	v_cmp_gt_i16_sdwa vcc, v7, v27 src0_sel:BYTE_0 src1_sel:DWORD
                                        ; implicit-def: $vgpr54
	s_and_saveexec_b64 s[60:61], vcc
	s_xor_b64 s[74:75], exec, s[60:61]
	s_cbranch_execz .LBB169_3176
; %bb.3171:                             ;   in Loop: Header=BB169_17 Depth=1
	flat_load_ubyte v0, v[0:1]
	s_movk_i32 vcc_lo, 0x7f
	s_mov_b64 s[66:67], 0
                                        ; implicit-def: $sgpr70
	s_waitcnt vmcnt(0) lgkmcnt(0)
	v_cmp_lt_i16_e32 vcc, vcc_lo, v0
	s_and_saveexec_b64 s[60:61], vcc
	s_xor_b64 s[68:69], exec, s[60:61]
	s_cbranch_execnz .LBB169_3622
; %bb.3172:                             ;   in Loop: Header=BB169_17 Depth=1
	s_or_saveexec_b64 s[68:69], s[68:69]
	v_mov_b32_e32 v54, s70
	s_xor_b64 exec, exec, s[68:69]
	s_cbranch_execnz .LBB169_3625
.LBB169_3173:                           ;   in Loop: Header=BB169_17 Depth=1
	s_or_b64 exec, exec, s[68:69]
	s_and_saveexec_b64 s[68:69], s[66:67]
	s_cbranch_execz .LBB169_3175
.LBB169_3174:                           ;   in Loop: Header=BB169_17 Depth=1
	v_lshlrev_b32_e32 v1, 24, v0
	v_and_b32_e32 v0, 0xffff, v0
	v_and_b32_e32 v52, 3, v0
	v_ffbh_u32_e32 v55, v52
	v_min_u32_e32 v55, 32, v55
	v_subrev_u32_e32 v64, 29, v55
	v_bfe_u32 v54, v0, 2, 5
	v_lshlrev_b32_e32 v0, v64, v0
	v_sub_u32_e32 v55, 30, v55
	v_and_b32_e32 v0, 3, v0
	v_cmp_eq_u32_e32 vcc, 0, v54
	v_cndmask_b32_e32 v54, v54, v55, vcc
	v_cndmask_b32_e32 v0, v52, v0, vcc
	v_lshlrev_b32_e32 v0, 21, v0
	v_and_b32_e32 v1, 0x80000000, v1
	v_lshl_add_u32 v52, v54, 23, v28
	v_or3_b32 v54, v1, v52, v0
.LBB169_3175:                           ;   in Loop: Header=BB169_17 Depth=1
	s_or_b64 exec, exec, s[68:69]
                                        ; implicit-def: $vgpr0_vgpr1
.LBB169_3176:                           ;   in Loop: Header=BB169_17 Depth=1
	s_andn2_saveexec_b64 s[66:67], s[74:75]
	s_cbranch_execz .LBB169_3178
; %bb.3177:                             ;   in Loop: Header=BB169_17 Depth=1
	flat_load_ubyte v0, v[0:1]
	s_mov_b32 vcc_lo, 0x7f800000
	s_waitcnt vmcnt(0) lgkmcnt(0)
	v_lshlrev_b32_e32 v0, 24, v0
	v_and_b32_e32 v1, 0x7f000000, v0
	v_ffbh_u32_e32 v52, v1
	v_min_u32_e32 v52, 32, v52
	v_sub_u32_e64 v52, v52, 4 clamp
	v_lshlrev_b32_e32 v55, v52, v1
	v_lshlrev_b32_e32 v52, 23, v52
	v_lshrrev_b32_e32 v55, 4, v55
	v_add_u32_e32 v54, 0x1000000, v1
	v_sub_u32_e32 v52, v55, v52
	v_ashrrev_i32_e32 v54, 8, v54
	v_add_u32_e32 v52, 0x3c000000, v52
	v_and_or_b32 v52, v54, vcc_lo, v52
	v_cmp_ne_u32_e32 vcc, 0, v1
	v_cndmask_b32_e32 v1, 0, v52, vcc
	s_brev_b32 vcc_lo, 1
	v_and_or_b32 v54, v0, vcc_lo, v1
.LBB169_3178:                           ;   in Loop: Header=BB169_17 Depth=1
	s_or_b64 exec, exec, s[66:67]
                                        ; implicit-def: $vgpr0_vgpr1
.LBB169_3179:                           ;   in Loop: Header=BB169_17 Depth=1
	s_andn2_saveexec_b64 s[66:67], s[92:93]
	s_cbranch_execz .LBB169_3181
; %bb.3180:                             ;   in Loop: Header=BB169_17 Depth=1
	flat_load_ubyte v0, v[0:1]
	s_movk_i32 vcc_lo, 0x7f00
	s_waitcnt vmcnt(0) lgkmcnt(0)
	v_lshlrev_b16_e32 v1, 8, v0
	v_lshlrev_b32_e32 v0, 25, v0
	v_lshrrev_b32_e32 v52, 4, v0
	v_and_or_b32 v54, v1, vcc_lo, 0.5
	v_or_b32_e32 v52, 0x70000000, v52
	s_brev_b32 vcc_lo, 16
	v_add_f32_e32 v54, -0.5, v54
	v_mul_f32_e32 v52, 0x7800000, v52
	v_cmp_gt_u32_e32 vcc, vcc_lo, v0
	v_cndmask_b32_e32 v0, v52, v54, vcc
	v_bfe_i32 v1, v1, 0, 16
	s_brev_b32 vcc_lo, 1
	v_and_or_b32 v54, v1, vcc_lo, v0
.LBB169_3181:                           ;   in Loop: Header=BB169_17 Depth=1
	s_or_b64 exec, exec, s[66:67]
	s_or_b64 s[74:75], s[78:79], exec
                                        ; implicit-def: $vgpr0_vgpr1
.LBB169_3182:                           ;   in Loop: Header=BB169_17 Depth=1
	s_or_saveexec_b64 s[72:73], s[72:73]
                                        ; implicit-def: $vcc
                                        ; implicit-def: $sgpr68_sgpr69
	s_xor_b64 exec, exec, s[72:73]
	s_cbranch_execz .LBB169_3192
; %bb.3183:                             ;   in Loop: Header=BB169_17 Depth=1
	v_cmp_gt_i16_sdwa vcc, v7, v29 src0_sel:BYTE_0 src1_sel:DWORD
	s_mov_b64 s[66:67], s[74:75]
                                        ; implicit-def: $sgpr68_sgpr69
                                        ; implicit-def: $sgpr76_sgpr77
                                        ; implicit-def: $vgpr54
	s_and_saveexec_b64 s[60:61], vcc
	s_xor_b64 vcc, exec, s[60:61]
	s_cbranch_execz .LBB169_3187
; %bb.3184:                             ;   in Loop: Header=BB169_17 Depth=1
	v_cmp_eq_u16_sdwa s[62:63], v7, v32 src0_sel:BYTE_0 src1_sel:DWORD
	s_mov_b64 s[66:67], s[74:75]
                                        ; implicit-def: $vgpr54
	s_and_saveexec_b64 s[60:61], s[62:63]
	s_cbranch_execz .LBB169_3186
; %bb.3185:                             ;   in Loop: Header=BB169_17 Depth=1
	flat_load_ushort v0, v[0:1]
	s_or_b64 s[66:67], s[74:75], exec
	s_waitcnt vmcnt(0) lgkmcnt(0)
	v_lshlrev_b32_e32 v54, 16, v0
.LBB169_3186:                           ;   in Loop: Header=BB169_17 Depth=1
	s_or_b64 exec, exec, s[60:61]
	s_andn2_b64 s[60:61], s[74:75], exec
	s_and_b64 s[62:63], s[66:67], exec
	s_mov_b64 s[76:77], -1
	s_mov_b64 s[68:69], 0
	s_or_b64 s[66:67], s[60:61], s[62:63]
                                        ; implicit-def: $vgpr0_vgpr1
.LBB169_3187:                           ;   in Loop: Header=BB169_17 Depth=1
	s_andn2_saveexec_b64 s[70:71], vcc
	s_cbranch_execz .LBB169_3191
; %bb.3188:                             ;   in Loop: Header=BB169_17 Depth=1
	v_cmp_eq_u16_sdwa s[62:63], v7, v33 src0_sel:BYTE_0 src1_sel:DWORD
	s_mov_b64 vcc, s[66:67]
                                        ; implicit-def: $vgpr54
	s_and_saveexec_b64 s[60:61], s[62:63]
	s_cbranch_execz .LBB169_3190
; %bb.3189:                             ;   in Loop: Header=BB169_17 Depth=1
	flat_load_ubyte v0, v[0:1]
	s_waitcnt vmcnt(0) lgkmcnt(0)
	v_cmp_ne_u16_e32 vcc, 0, v0
	v_cndmask_b32_e64 v54, 0, 1.0, vcc
	s_or_b64 vcc, s[66:67], exec
.LBB169_3190:                           ;   in Loop: Header=BB169_17 Depth=1
	s_or_b64 exec, exec, s[60:61]
	s_andn2_b64 s[60:61], s[66:67], exec
	s_and_b64 vcc, vcc, exec
	s_andn2_b64 s[68:69], s[68:69], exec
	s_or_b64 s[76:77], s[76:77], exec
	s_or_b64 s[66:67], s[60:61], vcc
.LBB169_3191:                           ;   in Loop: Header=BB169_17 Depth=1
	s_or_b64 exec, exec, s[70:71]
	s_andn2_b64 s[60:61], s[74:75], exec
	s_and_b64 s[62:63], s[66:67], exec
	s_and_b64 s[68:69], s[68:69], exec
	s_and_b64 vcc, s[76:77], exec
	s_or_b64 s[74:75], s[60:61], s[62:63]
.LBB169_3192:                           ;   in Loop: Header=BB169_17 Depth=1
	s_or_b64 exec, exec, s[72:73]
	s_andn2_b64 s[60:61], s[86:87], exec
	s_and_b64 s[62:63], s[68:69], exec
	s_or_b64 s[86:87], s[60:61], s[62:63]
	s_andn2_b64 s[60:61], s[80:81], exec
	s_and_b64 vcc, vcc, exec
	s_or_b64 s[80:81], s[60:61], vcc
	s_andn2_b64 vcc, s[78:79], exec
	s_and_b64 s[60:61], s[74:75], exec
	s_or_b64 s[78:79], vcc, s[60:61]
.LBB169_3193:                           ;   in Loop: Header=BB169_17 Depth=1
	s_or_b64 exec, exec, s[90:91]
	s_and_b64 s[90:91], s[86:87], exec
	s_and_b64 s[92:93], s[80:81], exec
	s_and_b64 vcc, s[78:79], exec
                                        ; implicit-def: $vgpr0_vgpr1
	s_andn2_saveexec_b64 s[78:79], s[84:85]
	s_cbranch_execz .LBB169_3118
.LBB169_3194:                           ;   in Loop: Header=BB169_17 Depth=1
	v_cmp_gt_i16_sdwa s[60:61], v7, v34 src0_sel:BYTE_0 src1_sel:DWORD
                                        ; implicit-def: $vgpr54
	s_and_saveexec_b64 s[62:63], s[60:61]
	s_xor_b64 s[72:73], exec, s[62:63]
	s_cbranch_execz .LBB169_3216
; %bb.3195:                             ;   in Loop: Header=BB169_17 Depth=1
	v_cmp_gt_i16_sdwa s[60:61], v7, v35 src0_sel:BYTE_0 src1_sel:DWORD
                                        ; implicit-def: $vgpr54
	s_and_saveexec_b64 s[62:63], s[60:61]
	s_xor_b64 s[66:67], exec, s[62:63]
	s_cbranch_execz .LBB169_3205
; %bb.3196:                             ;   in Loop: Header=BB169_17 Depth=1
	;; [unrolled: 6-line block ×4, first 2 shown]
	flat_load_dwordx2 v[0:1], v[0:1]
	s_waitcnt vmcnt(0) lgkmcnt(0)
	v_cvt_f32_f64_e32 v54, v[0:1]
                                        ; implicit-def: $vgpr0_vgpr1
.LBB169_3199:                           ;   in Loop: Header=BB169_17 Depth=1
	s_andn2_saveexec_b64 s[60:61], s[60:61]
	s_cbranch_execz .LBB169_3201
; %bb.3200:                             ;   in Loop: Header=BB169_17 Depth=1
	flat_load_dword v54, v[0:1]
.LBB169_3201:                           ;   in Loop: Header=BB169_17 Depth=1
	s_or_b64 exec, exec, s[60:61]
                                        ; implicit-def: $vgpr0_vgpr1
.LBB169_3202:                           ;   in Loop: Header=BB169_17 Depth=1
	s_andn2_saveexec_b64 s[60:61], s[68:69]
	s_cbranch_execz .LBB169_3204
; %bb.3203:                             ;   in Loop: Header=BB169_17 Depth=1
	flat_load_dword v0, v[0:1]
	s_waitcnt vmcnt(0) lgkmcnt(0)
	v_cvt_f32_f16_e32 v54, v0
.LBB169_3204:                           ;   in Loop: Header=BB169_17 Depth=1
	s_or_b64 exec, exec, s[60:61]
                                        ; implicit-def: $vgpr0_vgpr1
.LBB169_3205:                           ;   in Loop: Header=BB169_17 Depth=1
	s_andn2_saveexec_b64 s[66:67], s[66:67]
	s_cbranch_execz .LBB169_3215
; %bb.3206:                             ;   in Loop: Header=BB169_17 Depth=1
	v_cmp_gt_i16_sdwa s[60:61], v7, v38 src0_sel:BYTE_0 src1_sel:DWORD
                                        ; implicit-def: $vgpr54
	s_and_saveexec_b64 s[62:63], s[60:61]
	s_xor_b64 s[68:69], exec, s[62:63]
	s_cbranch_execz .LBB169_3212
; %bb.3207:                             ;   in Loop: Header=BB169_17 Depth=1
	v_cmp_gt_i16_sdwa s[60:61], v7, v39 src0_sel:BYTE_0 src1_sel:DWORD
                                        ; implicit-def: $vgpr54
	s_and_saveexec_b64 s[62:63], s[60:61]
	s_xor_b64 s[60:61], exec, s[62:63]
	s_cbranch_execz .LBB169_3209
; %bb.3208:                             ;   in Loop: Header=BB169_17 Depth=1
	flat_load_dwordx2 v[0:1], v[0:1]
	s_waitcnt vmcnt(0) lgkmcnt(0)
	v_cvt_f32_f64_e32 v54, v[0:1]
                                        ; implicit-def: $vgpr0_vgpr1
.LBB169_3209:                           ;   in Loop: Header=BB169_17 Depth=1
	s_andn2_saveexec_b64 s[60:61], s[60:61]
	s_cbranch_execz .LBB169_3211
; %bb.3210:                             ;   in Loop: Header=BB169_17 Depth=1
	s_waitcnt vmcnt(0) lgkmcnt(0)
	flat_load_dword v54, v[0:1]
.LBB169_3211:                           ;   in Loop: Header=BB169_17 Depth=1
	s_or_b64 exec, exec, s[60:61]
                                        ; implicit-def: $vgpr0_vgpr1
.LBB169_3212:                           ;   in Loop: Header=BB169_17 Depth=1
	s_andn2_saveexec_b64 s[60:61], s[68:69]
	s_cbranch_execz .LBB169_3214
; %bb.3213:                             ;   in Loop: Header=BB169_17 Depth=1
	flat_load_ushort v0, v[0:1]
	s_waitcnt vmcnt(0) lgkmcnt(0)
	v_cvt_f32_f16_e32 v54, v0
.LBB169_3214:                           ;   in Loop: Header=BB169_17 Depth=1
	s_or_b64 exec, exec, s[60:61]
.LBB169_3215:                           ;   in Loop: Header=BB169_17 Depth=1
	s_or_b64 exec, exec, s[66:67]
                                        ; implicit-def: $vgpr0_vgpr1
.LBB169_3216:                           ;   in Loop: Header=BB169_17 Depth=1
	s_andn2_saveexec_b64 s[72:73], s[72:73]
	s_cbranch_execz .LBB169_3234
; %bb.3217:                             ;   in Loop: Header=BB169_17 Depth=1
	v_cmp_gt_i16_sdwa s[60:61], v7, v48 src0_sel:BYTE_0 src1_sel:DWORD
                                        ; implicit-def: $vgpr54
	s_and_saveexec_b64 s[62:63], s[60:61]
	s_xor_b64 s[74:75], exec, s[62:63]
	s_cbranch_execz .LBB169_3227
; %bb.3218:                             ;   in Loop: Header=BB169_17 Depth=1
	v_cmp_gt_i16_sdwa s[60:61], v7, v49 src0_sel:BYTE_0 src1_sel:DWORD
                                        ; implicit-def: $vgpr54
	s_and_saveexec_b64 s[62:63], s[60:61]
	s_xor_b64 s[66:67], exec, s[62:63]
	;; [unrolled: 6-line block ×3, first 2 shown]
	s_cbranch_execz .LBB169_3221
; %bb.3220:                             ;   in Loop: Header=BB169_17 Depth=1
	flat_load_dwordx2 v[0:1], v[0:1]
	s_waitcnt vmcnt(0) lgkmcnt(0)
	v_xor_b32_e32 v54, v0, v1
	v_ffbh_i32_e32 v52, v1
	v_ashrrev_i32_e32 v54, 31, v54
	v_add_u32_e32 v52, -1, v52
	v_add_u32_e32 v54, 32, v54
	v_min_u32_e32 v52, v52, v54
	v_lshlrev_b64 v[0:1], v52, v[0:1]
	v_min_u32_e32 v0, 1, v0
	v_or_b32_e32 v0, v1, v0
	v_cvt_f32_i32_e32 v0, v0
	v_sub_u32_e32 v1, 32, v52
	v_ldexp_f32 v54, v0, v1
                                        ; implicit-def: $vgpr0_vgpr1
.LBB169_3221:                           ;   in Loop: Header=BB169_17 Depth=1
	s_andn2_saveexec_b64 s[60:61], s[68:69]
	s_cbranch_execz .LBB169_3223
; %bb.3222:                             ;   in Loop: Header=BB169_17 Depth=1
	flat_load_dword v0, v[0:1]
	s_waitcnt vmcnt(0) lgkmcnt(0)
	v_cvt_f32_i32_e32 v54, v0
.LBB169_3223:                           ;   in Loop: Header=BB169_17 Depth=1
	s_or_b64 exec, exec, s[60:61]
                                        ; implicit-def: $vgpr0_vgpr1
.LBB169_3224:                           ;   in Loop: Header=BB169_17 Depth=1
	s_andn2_saveexec_b64 s[60:61], s[66:67]
	s_cbranch_execz .LBB169_3226
; %bb.3225:                             ;   in Loop: Header=BB169_17 Depth=1
	flat_load_sshort v0, v[0:1]
	s_waitcnt vmcnt(0) lgkmcnt(0)
	v_cvt_f32_i32_e32 v54, v0
.LBB169_3226:                           ;   in Loop: Header=BB169_17 Depth=1
	s_or_b64 exec, exec, s[60:61]
                                        ; implicit-def: $vgpr0_vgpr1
.LBB169_3227:                           ;   in Loop: Header=BB169_17 Depth=1
	s_andn2_saveexec_b64 s[66:67], s[74:75]
	s_cbranch_execz .LBB169_3233
; %bb.3228:                             ;   in Loop: Header=BB169_17 Depth=1
	v_cmp_gt_i16_sdwa s[60:61], v7, v6 src0_sel:BYTE_0 src1_sel:DWORD
                                        ; implicit-def: $vgpr54
	s_and_saveexec_b64 s[62:63], s[60:61]
	s_xor_b64 s[60:61], exec, s[62:63]
	s_cbranch_execz .LBB169_3230
; %bb.3229:                             ;   in Loop: Header=BB169_17 Depth=1
	flat_load_sbyte v0, v[0:1]
	s_waitcnt vmcnt(0) lgkmcnt(0)
	v_cvt_f32_i32_e32 v54, v0
                                        ; implicit-def: $vgpr0_vgpr1
.LBB169_3230:                           ;   in Loop: Header=BB169_17 Depth=1
	s_andn2_saveexec_b64 s[60:61], s[60:61]
	s_cbranch_execz .LBB169_3232
; %bb.3231:                             ;   in Loop: Header=BB169_17 Depth=1
	flat_load_ubyte v0, v[0:1]
	s_waitcnt vmcnt(0) lgkmcnt(0)
	v_cvt_f32_ubyte0_e32 v54, v0
.LBB169_3232:                           ;   in Loop: Header=BB169_17 Depth=1
	s_or_b64 exec, exec, s[60:61]
.LBB169_3233:                           ;   in Loop: Header=BB169_17 Depth=1
	s_or_b64 exec, exec, s[66:67]
.LBB169_3234:                           ;   in Loop: Header=BB169_17 Depth=1
	s_or_b64 exec, exec, s[72:73]
	s_andn2_b64 s[90:91], s[90:91], exec
	s_andn2_b64 s[92:93], s[92:93], exec
	s_or_b64 vcc, vcc, exec
	s_or_b64 exec, exec, s[78:79]
	s_mov_b64 s[66:67], 0
	s_and_saveexec_b64 s[84:85], vcc
	s_cbranch_execz .LBB169_3340
.LBB169_3235:                           ;   in Loop: Header=BB169_17 Depth=1
	v_mul_lo_u32 v0, v53, v10
	v_readlane_b32 s60, v78, 0
	v_add_co_u32_e32 v0, vcc, v4, v0
	v_add_u32_e32 v52, s60, v11
	v_addc_co_u32_e32 v1, vcc, 0, v5, vcc
	v_cmp_gt_i16_sdwa s[60:61], v8, v12 src0_sel:BYTE_0 src1_sel:DWORD
	s_mov_b64 s[78:79], 0
	s_waitcnt vmcnt(0) lgkmcnt(0)
	buffer_store_dword v54, v52, s[0:3], 0 offen offset:116
                                        ; implicit-def: $vcc
                                        ; implicit-def: $sgpr86_sgpr87
                                        ; implicit-def: $vgpr53
	s_and_saveexec_b64 s[62:63], s[60:61]
	s_xor_b64 s[62:63], exec, s[62:63]
	v_writelane_b32 v78, s62, 40
	v_writelane_b32 v78, s63, 41
	s_cbranch_execz .LBB169_3295
; %bb.3236:                             ;   in Loop: Header=BB169_17 Depth=1
	v_cmp_gt_i16_sdwa vcc, v8, v13 src0_sel:BYTE_0 src1_sel:DWORD
                                        ; implicit-def: $sgpr62_sgpr63
                                        ; implicit-def: $sgpr86_sgpr87
                                        ; implicit-def: $vgpr53
	s_and_saveexec_b64 s[60:61], vcc
	s_xor_b64 s[76:77], exec, s[60:61]
	s_cbranch_execz .LBB169_3268
; %bb.3237:                             ;   in Loop: Header=BB169_17 Depth=1
	v_cmp_gt_i16_sdwa vcc, v8, v14 src0_sel:BYTE_0 src1_sel:DWORD
                                        ; implicit-def: $sgpr72_sgpr73
                                        ; implicit-def: $sgpr86_sgpr87
                                        ; implicit-def: $vgpr53
	s_and_saveexec_b64 s[60:61], vcc
	s_xor_b64 s[80:81], exec, s[60:61]
	s_cbranch_execz .LBB169_3253
; %bb.3238:                             ;   in Loop: Header=BB169_17 Depth=1
	v_cmp_gt_i16_sdwa s[60:61], v8, v15 src0_sel:BYTE_0 src1_sel:DWORD
	s_mov_b64 s[74:75], 0
                                        ; implicit-def: $vcc
                                        ; implicit-def: $sgpr86_sgpr87
                                        ; implicit-def: $vgpr53
	s_and_saveexec_b64 s[62:63], s[60:61]
	s_xor_b64 s[72:73], exec, s[62:63]
	s_cbranch_execz .LBB169_3248
; %bb.3239:                             ;   in Loop: Header=BB169_17 Depth=1
	v_cmp_gt_i16_sdwa vcc, v8, v16 src0_sel:BYTE_0 src1_sel:DWORD
                                        ; implicit-def: $sgpr86_sgpr87
                                        ; implicit-def: $sgpr74_sgpr75
                                        ; implicit-def: $vgpr53
	s_and_saveexec_b64 s[60:61], vcc
	s_xor_b64 vcc, exec, s[60:61]
	s_cbranch_execz .LBB169_3243
; %bb.3240:                             ;   in Loop: Header=BB169_17 Depth=1
	v_cmp_eq_u16_sdwa s[62:63], v8, v17 src0_sel:BYTE_0 src1_sel:DWORD
	s_mov_b64 s[74:75], 0
                                        ; implicit-def: $vgpr53
	s_and_saveexec_b64 s[60:61], s[62:63]
	s_cbranch_execz .LBB169_3242
; %bb.3241:                             ;   in Loop: Header=BB169_17 Depth=1
	flat_load_dword v0, v[0:1]
	s_mov_b64 s[66:67], exec
	s_waitcnt vmcnt(0) lgkmcnt(0)
	v_lshlrev_b32_e32 v53, 16, v0
.LBB169_3242:                           ;   in Loop: Header=BB169_17 Depth=1
	s_or_b64 exec, exec, s[60:61]
	s_mov_b64 s[86:87], -1
	s_and_b64 s[78:79], s[66:67], exec
                                        ; implicit-def: $vgpr0_vgpr1
.LBB169_3243:                           ;   in Loop: Header=BB169_17 Depth=1
	s_andn2_saveexec_b64 s[66:67], vcc
	s_cbranch_execz .LBB169_3247
; %bb.3244:                             ;   in Loop: Header=BB169_17 Depth=1
	v_cmp_eq_u16_sdwa s[60:61], v8, v18 src0_sel:BYTE_0 src1_sel:DWORD
	s_mov_b64 vcc, s[78:79]
                                        ; implicit-def: $vgpr53
	s_and_saveexec_b64 s[68:69], s[60:61]
	s_cbranch_execz .LBB169_3246
; %bb.3245:                             ;   in Loop: Header=BB169_17 Depth=1
	flat_load_ubyte v0, v[0:1]
	s_movk_i32 vcc_lo, 0xff
	s_waitcnt vmcnt(0) lgkmcnt(0)
	v_lshlrev_b32_e32 v1, 23, v0
	v_cmp_ne_u32_e32 vcc, vcc_lo, v0
	v_cndmask_b32_e32 v1, v19, v1, vcc
	v_cmp_ne_u32_e32 vcc, 0, v0
	v_cndmask_b32_e32 v53, v20, v1, vcc
	s_or_b64 vcc, s[78:79], exec
.LBB169_3246:                           ;   in Loop: Header=BB169_17 Depth=1
	s_or_b64 exec, exec, s[68:69]
	s_andn2_b64 s[60:61], s[78:79], exec
	s_and_b64 vcc, vcc, exec
	s_or_b64 s[86:87], s[86:87], exec
	s_andn2_b64 s[74:75], s[74:75], exec
	s_or_b64 s[78:79], s[60:61], vcc
.LBB169_3247:                           ;   in Loop: Header=BB169_17 Depth=1
	s_or_b64 exec, exec, s[66:67]
	s_and_b64 s[86:87], s[86:87], exec
	s_and_b64 vcc, s[74:75], exec
	s_and_b64 s[74:75], s[78:79], exec
                                        ; implicit-def: $vgpr0_vgpr1
.LBB169_3248:                           ;   in Loop: Header=BB169_17 Depth=1
	s_andn2_saveexec_b64 s[66:67], s[72:73]
	s_cbranch_execz .LBB169_3252
; %bb.3249:                             ;   in Loop: Header=BB169_17 Depth=1
	v_cmp_eq_u16_sdwa s[60:61], v8, v21 src0_sel:BYTE_0 src1_sel:DWORD
	s_mov_b64 s[70:71], s[74:75]
                                        ; implicit-def: $vgpr53
	s_and_saveexec_b64 s[68:69], s[60:61]
	s_cbranch_execz .LBB169_3251
; %bb.3250:                             ;   in Loop: Header=BB169_17 Depth=1
	flat_load_dwordx2 v[0:1], v[0:1]
	s_or_b64 s[70:71], s[74:75], exec
	s_waitcnt vmcnt(0) lgkmcnt(0)
	v_ffbh_u32_e32 v53, v1
	v_min_u32_e32 v53, 32, v53
	v_lshlrev_b64 v[0:1], v53, v[0:1]
	v_min_u32_e32 v0, 1, v0
	v_or_b32_e32 v0, v1, v0
	v_cvt_f32_u32_e32 v0, v0
	v_sub_u32_e32 v1, 32, v53
	v_ldexp_f32 v53, v0, v1
.LBB169_3251:                           ;   in Loop: Header=BB169_17 Depth=1
	s_or_b64 exec, exec, s[68:69]
	s_andn2_b64 s[60:61], s[74:75], exec
	s_and_b64 s[62:63], s[70:71], exec
	s_or_b64 s[86:87], s[86:87], exec
	s_andn2_b64 vcc, vcc, exec
	s_or_b64 s[74:75], s[60:61], s[62:63]
.LBB169_3252:                           ;   in Loop: Header=BB169_17 Depth=1
	s_or_b64 exec, exec, s[66:67]
	s_and_b64 s[86:87], s[86:87], exec
	s_and_b64 s[72:73], vcc, exec
	s_and_b64 s[78:79], s[74:75], exec
                                        ; implicit-def: $vgpr0_vgpr1
.LBB169_3253:                           ;   in Loop: Header=BB169_17 Depth=1
	s_andn2_saveexec_b64 s[80:81], s[80:81]
	s_cbranch_execz .LBB169_3267
; %bb.3254:                             ;   in Loop: Header=BB169_17 Depth=1
	v_cmp_gt_i16_sdwa vcc, v8, v22 src0_sel:BYTE_0 src1_sel:DWORD
                                        ; implicit-def: $vgpr53
	s_and_saveexec_b64 s[60:61], vcc
	s_xor_b64 vcc, exec, s[60:61]
	s_cbranch_execz .LBB169_3260
; %bb.3255:                             ;   in Loop: Header=BB169_17 Depth=1
	v_cmp_gt_i16_sdwa s[60:61], v8, v23 src0_sel:BYTE_0 src1_sel:DWORD
                                        ; implicit-def: $vgpr53
	s_and_saveexec_b64 s[62:63], s[60:61]
	s_xor_b64 s[60:61], exec, s[62:63]
	s_cbranch_execz .LBB169_3257
; %bb.3256:                             ;   in Loop: Header=BB169_17 Depth=1
	flat_load_dword v0, v[0:1]
	s_waitcnt vmcnt(0) lgkmcnt(0)
	v_cvt_f32_u32_e32 v53, v0
                                        ; implicit-def: $vgpr0_vgpr1
.LBB169_3257:                           ;   in Loop: Header=BB169_17 Depth=1
	s_andn2_saveexec_b64 s[60:61], s[60:61]
	s_cbranch_execz .LBB169_3259
; %bb.3258:                             ;   in Loop: Header=BB169_17 Depth=1
	flat_load_ushort v0, v[0:1]
	s_waitcnt vmcnt(0) lgkmcnt(0)
	v_cvt_f32_u32_e32 v53, v0
.LBB169_3259:                           ;   in Loop: Header=BB169_17 Depth=1
	s_or_b64 exec, exec, s[60:61]
                                        ; implicit-def: $vgpr0_vgpr1
.LBB169_3260:                           ;   in Loop: Header=BB169_17 Depth=1
	s_andn2_saveexec_b64 s[74:75], vcc
	s_cbranch_execz .LBB169_3266
; %bb.3261:                             ;   in Loop: Header=BB169_17 Depth=1
	flat_load_ubyte v0, v[0:1]
	s_movk_i32 vcc_lo, 0x7f
	s_mov_b64 s[66:67], 0
                                        ; implicit-def: $sgpr70
	s_waitcnt vmcnt(0) lgkmcnt(0)
	v_cmp_lt_i16_e32 vcc, vcc_lo, v0
	s_and_saveexec_b64 s[60:61], vcc
	s_xor_b64 s[68:69], exec, s[60:61]
	s_cbranch_execnz .LBB169_3626
; %bb.3262:                             ;   in Loop: Header=BB169_17 Depth=1
	s_or_saveexec_b64 s[68:69], s[68:69]
	v_mov_b32_e32 v53, s70
	s_xor_b64 exec, exec, s[68:69]
	s_cbranch_execnz .LBB169_3629
.LBB169_3263:                           ;   in Loop: Header=BB169_17 Depth=1
	s_or_b64 exec, exec, s[68:69]
	s_and_saveexec_b64 s[68:69], s[66:67]
	s_cbranch_execz .LBB169_3265
.LBB169_3264:                           ;   in Loop: Header=BB169_17 Depth=1
	v_lshlrev_b32_e32 v1, 24, v0
	v_and_b32_e32 v0, 0xffff, v0
	v_and_b32_e32 v53, 7, v0
	v_ffbh_u32_e32 v55, v53
	v_min_u32_e32 v55, 32, v55
	v_subrev_u32_e32 v64, 28, v55
	v_bfe_u32 v54, v0, 3, 4
	v_lshlrev_b32_e32 v0, v64, v0
	v_sub_u32_e32 v55, 29, v55
	v_and_b32_e32 v0, 7, v0
	v_cmp_eq_u32_e32 vcc, 0, v54
	v_cndmask_b32_e32 v54, v54, v55, vcc
	v_cndmask_b32_e32 v0, v53, v0, vcc
	v_lshlrev_b32_e32 v0, 20, v0
	v_and_b32_e32 v1, 0x80000000, v1
	v_lshl_add_u32 v53, v54, 23, v24
	v_or3_b32 v53, v1, v53, v0
.LBB169_3265:                           ;   in Loop: Header=BB169_17 Depth=1
	s_or_b64 exec, exec, s[68:69]
.LBB169_3266:                           ;   in Loop: Header=BB169_17 Depth=1
	s_or_b64 exec, exec, s[74:75]
	s_andn2_b64 s[86:87], s[86:87], exec
	s_andn2_b64 s[72:73], s[72:73], exec
	s_or_b64 s[78:79], s[78:79], exec
.LBB169_3267:                           ;   in Loop: Header=BB169_17 Depth=1
	s_or_b64 exec, exec, s[80:81]
	s_and_b64 s[86:87], s[86:87], exec
	s_and_b64 s[62:63], s[72:73], exec
	s_and_b64 s[78:79], s[78:79], exec
                                        ; implicit-def: $vgpr0_vgpr1
.LBB169_3268:                           ;   in Loop: Header=BB169_17 Depth=1
	s_andn2_saveexec_b64 s[80:81], s[76:77]
	s_cbranch_execz .LBB169_3294
; %bb.3269:                             ;   in Loop: Header=BB169_17 Depth=1
	v_writelane_b32 v78, s62, 42
	v_cmp_gt_i16_sdwa vcc, v8, v25 src0_sel:BYTE_0 src1_sel:DWORD
	s_mov_b64 s[74:75], s[78:79]
	v_writelane_b32 v78, s63, 43
                                        ; implicit-def: $vgpr53
	s_and_saveexec_b64 s[60:61], vcc
	s_xor_b64 s[72:73], exec, s[60:61]
	s_cbranch_execz .LBB169_3283
; %bb.3270:                             ;   in Loop: Header=BB169_17 Depth=1
	v_cmp_gt_i16_sdwa vcc, v8, v26 src0_sel:BYTE_0 src1_sel:DWORD
                                        ; implicit-def: $vgpr53
	s_and_saveexec_b64 s[60:61], vcc
	s_xor_b64 s[62:63], exec, s[60:61]
	s_cbranch_execz .LBB169_3280
; %bb.3271:                             ;   in Loop: Header=BB169_17 Depth=1
	v_cmp_gt_i16_sdwa vcc, v8, v27 src0_sel:BYTE_0 src1_sel:DWORD
                                        ; implicit-def: $vgpr53
	s_and_saveexec_b64 s[60:61], vcc
	s_xor_b64 s[74:75], exec, s[60:61]
	s_cbranch_execz .LBB169_3277
; %bb.3272:                             ;   in Loop: Header=BB169_17 Depth=1
	flat_load_ubyte v0, v[0:1]
	s_movk_i32 vcc_lo, 0x7f
	s_mov_b64 s[66:67], 0
                                        ; implicit-def: $sgpr70
	s_waitcnt vmcnt(0) lgkmcnt(0)
	v_cmp_lt_i16_e32 vcc, vcc_lo, v0
	s_and_saveexec_b64 s[60:61], vcc
	s_xor_b64 s[68:69], exec, s[60:61]
	s_cbranch_execnz .LBB169_3634
; %bb.3273:                             ;   in Loop: Header=BB169_17 Depth=1
	s_or_saveexec_b64 s[68:69], s[68:69]
	v_mov_b32_e32 v53, s70
	s_xor_b64 exec, exec, s[68:69]
	s_cbranch_execnz .LBB169_3637
.LBB169_3274:                           ;   in Loop: Header=BB169_17 Depth=1
	s_or_b64 exec, exec, s[68:69]
	s_and_saveexec_b64 s[68:69], s[66:67]
	s_cbranch_execz .LBB169_3276
.LBB169_3275:                           ;   in Loop: Header=BB169_17 Depth=1
	v_lshlrev_b32_e32 v1, 24, v0
	v_and_b32_e32 v0, 0xffff, v0
	v_and_b32_e32 v53, 3, v0
	v_ffbh_u32_e32 v55, v53
	v_min_u32_e32 v55, 32, v55
	v_subrev_u32_e32 v64, 29, v55
	v_bfe_u32 v54, v0, 2, 5
	v_lshlrev_b32_e32 v0, v64, v0
	v_sub_u32_e32 v55, 30, v55
	v_and_b32_e32 v0, 3, v0
	v_cmp_eq_u32_e32 vcc, 0, v54
	v_cndmask_b32_e32 v54, v54, v55, vcc
	v_cndmask_b32_e32 v0, v53, v0, vcc
	v_lshlrev_b32_e32 v0, 21, v0
	v_and_b32_e32 v1, 0x80000000, v1
	v_lshl_add_u32 v53, v54, 23, v28
	v_or3_b32 v53, v1, v53, v0
.LBB169_3276:                           ;   in Loop: Header=BB169_17 Depth=1
	s_or_b64 exec, exec, s[68:69]
                                        ; implicit-def: $vgpr0_vgpr1
.LBB169_3277:                           ;   in Loop: Header=BB169_17 Depth=1
	s_andn2_saveexec_b64 s[66:67], s[74:75]
	s_cbranch_execz .LBB169_3279
; %bb.3278:                             ;   in Loop: Header=BB169_17 Depth=1
	flat_load_ubyte v0, v[0:1]
	s_mov_b32 vcc_lo, 0x7f800000
	s_waitcnt vmcnt(0) lgkmcnt(0)
	v_lshlrev_b32_e32 v0, 24, v0
	v_and_b32_e32 v1, 0x7f000000, v0
	v_ffbh_u32_e32 v53, v1
	v_min_u32_e32 v53, 32, v53
	v_sub_u32_e64 v53, v53, 4 clamp
	v_lshlrev_b32_e32 v55, v53, v1
	v_lshlrev_b32_e32 v53, 23, v53
	v_lshrrev_b32_e32 v55, 4, v55
	v_add_u32_e32 v54, 0x1000000, v1
	v_sub_u32_e32 v53, v55, v53
	v_ashrrev_i32_e32 v54, 8, v54
	v_add_u32_e32 v53, 0x3c000000, v53
	v_and_or_b32 v53, v54, vcc_lo, v53
	v_cmp_ne_u32_e32 vcc, 0, v1
	v_cndmask_b32_e32 v1, 0, v53, vcc
	s_brev_b32 vcc_lo, 1
	v_and_or_b32 v53, v0, vcc_lo, v1
.LBB169_3279:                           ;   in Loop: Header=BB169_17 Depth=1
	s_or_b64 exec, exec, s[66:67]
                                        ; implicit-def: $vgpr0_vgpr1
.LBB169_3280:                           ;   in Loop: Header=BB169_17 Depth=1
	s_andn2_saveexec_b64 s[66:67], s[62:63]
	s_cbranch_execz .LBB169_3282
; %bb.3281:                             ;   in Loop: Header=BB169_17 Depth=1
	flat_load_ubyte v0, v[0:1]
	s_movk_i32 vcc_lo, 0x7f00
	s_waitcnt vmcnt(0) lgkmcnt(0)
	v_lshlrev_b16_e32 v1, 8, v0
	v_lshlrev_b32_e32 v0, 25, v0
	v_lshrrev_b32_e32 v53, 4, v0
	v_and_or_b32 v54, v1, vcc_lo, 0.5
	v_or_b32_e32 v53, 0x70000000, v53
	s_brev_b32 vcc_lo, 16
	v_add_f32_e32 v54, -0.5, v54
	v_mul_f32_e32 v53, 0x7800000, v53
	v_cmp_gt_u32_e32 vcc, vcc_lo, v0
	v_cndmask_b32_e32 v0, v53, v54, vcc
	v_bfe_i32 v1, v1, 0, 16
	s_brev_b32 vcc_lo, 1
	v_and_or_b32 v53, v1, vcc_lo, v0
.LBB169_3282:                           ;   in Loop: Header=BB169_17 Depth=1
	s_or_b64 exec, exec, s[66:67]
	s_or_b64 s[74:75], s[78:79], exec
                                        ; implicit-def: $vgpr0_vgpr1
.LBB169_3283:                           ;   in Loop: Header=BB169_17 Depth=1
	s_or_saveexec_b64 s[72:73], s[72:73]
                                        ; implicit-def: $vcc
                                        ; implicit-def: $sgpr68_sgpr69
	s_xor_b64 exec, exec, s[72:73]
	s_cbranch_execz .LBB169_3293
; %bb.3284:                             ;   in Loop: Header=BB169_17 Depth=1
	v_cmp_gt_i16_sdwa vcc, v8, v29 src0_sel:BYTE_0 src1_sel:DWORD
	s_mov_b64 s[66:67], s[74:75]
                                        ; implicit-def: $sgpr68_sgpr69
                                        ; implicit-def: $sgpr76_sgpr77
                                        ; implicit-def: $vgpr53
	s_and_saveexec_b64 s[60:61], vcc
	s_xor_b64 vcc, exec, s[60:61]
	s_cbranch_execz .LBB169_3288
; %bb.3285:                             ;   in Loop: Header=BB169_17 Depth=1
	v_cmp_eq_u16_sdwa s[62:63], v8, v32 src0_sel:BYTE_0 src1_sel:DWORD
	s_mov_b64 s[66:67], s[74:75]
                                        ; implicit-def: $vgpr53
	s_and_saveexec_b64 s[60:61], s[62:63]
	s_cbranch_execz .LBB169_3287
; %bb.3286:                             ;   in Loop: Header=BB169_17 Depth=1
	flat_load_ushort v0, v[0:1]
	s_or_b64 s[66:67], s[74:75], exec
	s_waitcnt vmcnt(0) lgkmcnt(0)
	v_lshlrev_b32_e32 v53, 16, v0
.LBB169_3287:                           ;   in Loop: Header=BB169_17 Depth=1
	s_or_b64 exec, exec, s[60:61]
	s_andn2_b64 s[60:61], s[74:75], exec
	s_and_b64 s[62:63], s[66:67], exec
	s_mov_b64 s[76:77], 0
	s_mov_b64 s[68:69], -1
	s_or_b64 s[66:67], s[60:61], s[62:63]
                                        ; implicit-def: $vgpr0_vgpr1
.LBB169_3288:                           ;   in Loop: Header=BB169_17 Depth=1
	s_andn2_saveexec_b64 s[70:71], vcc
	s_cbranch_execz .LBB169_3292
; %bb.3289:                             ;   in Loop: Header=BB169_17 Depth=1
	v_cmp_eq_u16_sdwa s[62:63], v8, v33 src0_sel:BYTE_0 src1_sel:DWORD
	s_mov_b64 vcc, s[66:67]
                                        ; implicit-def: $vgpr53
	s_and_saveexec_b64 s[60:61], s[62:63]
	s_cbranch_execz .LBB169_3291
; %bb.3290:                             ;   in Loop: Header=BB169_17 Depth=1
	flat_load_ubyte v0, v[0:1]
	s_waitcnt vmcnt(0) lgkmcnt(0)
	v_cmp_ne_u16_e32 vcc, 0, v0
	v_cndmask_b32_e64 v53, 0, 1.0, vcc
	s_or_b64 vcc, s[66:67], exec
.LBB169_3291:                           ;   in Loop: Header=BB169_17 Depth=1
	s_or_b64 exec, exec, s[60:61]
	s_andn2_b64 s[60:61], s[66:67], exec
	s_and_b64 vcc, vcc, exec
	s_or_b64 s[68:69], s[68:69], exec
	s_andn2_b64 s[76:77], s[76:77], exec
	s_or_b64 s[66:67], s[60:61], vcc
.LBB169_3292:                           ;   in Loop: Header=BB169_17 Depth=1
	s_or_b64 exec, exec, s[70:71]
	s_andn2_b64 s[60:61], s[74:75], exec
	s_and_b64 s[62:63], s[66:67], exec
	s_and_b64 s[68:69], s[68:69], exec
	s_and_b64 vcc, s[76:77], exec
	s_or_b64 s[74:75], s[60:61], s[62:63]
.LBB169_3293:                           ;   in Loop: Header=BB169_17 Depth=1
	s_or_b64 exec, exec, s[72:73]
	s_andn2_b64 s[60:61], s[86:87], exec
	s_and_b64 s[62:63], s[68:69], exec
	s_or_b64 s[86:87], s[60:61], s[62:63]
	v_readlane_b32 s60, v78, 42
	v_readlane_b32 s61, v78, 43
	s_andn2_b64 s[60:61], s[60:61], exec
	s_and_b64 vcc, vcc, exec
	s_or_b64 s[62:63], s[60:61], vcc
	s_andn2_b64 vcc, s[78:79], exec
	s_and_b64 s[60:61], s[74:75], exec
	s_or_b64 s[78:79], vcc, s[60:61]
.LBB169_3294:                           ;   in Loop: Header=BB169_17 Depth=1
	s_or_b64 exec, exec, s[80:81]
	s_and_b64 s[86:87], s[86:87], exec
	s_and_b64 vcc, s[62:63], exec
	s_and_b64 s[78:79], s[78:79], exec
                                        ; implicit-def: $vgpr0_vgpr1
.LBB169_3295:                           ;   in Loop: Header=BB169_17 Depth=1
	v_readlane_b32 s60, v78, 40
	v_readlane_b32 s61, v78, 41
	s_andn2_saveexec_b64 s[80:81], s[60:61]
	s_cbranch_execz .LBB169_3337
; %bb.3296:                             ;   in Loop: Header=BB169_17 Depth=1
	v_cmp_gt_i16_sdwa s[60:61], v8, v34 src0_sel:BYTE_0 src1_sel:DWORD
                                        ; implicit-def: $vgpr53
	s_and_saveexec_b64 s[62:63], s[60:61]
	s_xor_b64 s[72:73], exec, s[62:63]
	s_cbranch_execz .LBB169_3318
; %bb.3297:                             ;   in Loop: Header=BB169_17 Depth=1
	v_cmp_gt_i16_sdwa s[60:61], v8, v35 src0_sel:BYTE_0 src1_sel:DWORD
                                        ; implicit-def: $vgpr53
	s_and_saveexec_b64 s[62:63], s[60:61]
	s_xor_b64 s[66:67], exec, s[62:63]
	;; [unrolled: 6-line block ×4, first 2 shown]
	s_cbranch_execz .LBB169_3301
; %bb.3300:                             ;   in Loop: Header=BB169_17 Depth=1
	flat_load_dwordx2 v[0:1], v[0:1]
	s_waitcnt vmcnt(0) lgkmcnt(0)
	v_cvt_f32_f64_e32 v53, v[0:1]
                                        ; implicit-def: $vgpr0_vgpr1
.LBB169_3301:                           ;   in Loop: Header=BB169_17 Depth=1
	s_andn2_saveexec_b64 s[60:61], s[60:61]
	s_cbranch_execz .LBB169_3303
; %bb.3302:                             ;   in Loop: Header=BB169_17 Depth=1
	flat_load_dword v53, v[0:1]
.LBB169_3303:                           ;   in Loop: Header=BB169_17 Depth=1
	s_or_b64 exec, exec, s[60:61]
                                        ; implicit-def: $vgpr0_vgpr1
.LBB169_3304:                           ;   in Loop: Header=BB169_17 Depth=1
	s_andn2_saveexec_b64 s[60:61], s[68:69]
	s_cbranch_execz .LBB169_3306
; %bb.3305:                             ;   in Loop: Header=BB169_17 Depth=1
	flat_load_dword v0, v[0:1]
	s_waitcnt vmcnt(0) lgkmcnt(0)
	v_cvt_f32_f16_e32 v53, v0
.LBB169_3306:                           ;   in Loop: Header=BB169_17 Depth=1
	s_or_b64 exec, exec, s[60:61]
                                        ; implicit-def: $vgpr0_vgpr1
.LBB169_3307:                           ;   in Loop: Header=BB169_17 Depth=1
	s_andn2_saveexec_b64 s[66:67], s[66:67]
	s_cbranch_execz .LBB169_3317
; %bb.3308:                             ;   in Loop: Header=BB169_17 Depth=1
	v_cmp_gt_i16_sdwa s[60:61], v8, v38 src0_sel:BYTE_0 src1_sel:DWORD
                                        ; implicit-def: $vgpr53
	s_and_saveexec_b64 s[62:63], s[60:61]
	s_xor_b64 s[68:69], exec, s[62:63]
	s_cbranch_execz .LBB169_3314
; %bb.3309:                             ;   in Loop: Header=BB169_17 Depth=1
	v_cmp_gt_i16_sdwa s[60:61], v8, v39 src0_sel:BYTE_0 src1_sel:DWORD
                                        ; implicit-def: $vgpr53
	s_and_saveexec_b64 s[62:63], s[60:61]
	s_xor_b64 s[60:61], exec, s[62:63]
	s_cbranch_execz .LBB169_3311
; %bb.3310:                             ;   in Loop: Header=BB169_17 Depth=1
	flat_load_dwordx2 v[0:1], v[0:1]
	s_waitcnt vmcnt(0) lgkmcnt(0)
	v_cvt_f32_f64_e32 v53, v[0:1]
                                        ; implicit-def: $vgpr0_vgpr1
.LBB169_3311:                           ;   in Loop: Header=BB169_17 Depth=1
	s_andn2_saveexec_b64 s[60:61], s[60:61]
	s_cbranch_execz .LBB169_3313
; %bb.3312:                             ;   in Loop: Header=BB169_17 Depth=1
	s_waitcnt vmcnt(0) lgkmcnt(0)
	flat_load_dword v53, v[0:1]
.LBB169_3313:                           ;   in Loop: Header=BB169_17 Depth=1
	s_or_b64 exec, exec, s[60:61]
                                        ; implicit-def: $vgpr0_vgpr1
.LBB169_3314:                           ;   in Loop: Header=BB169_17 Depth=1
	s_andn2_saveexec_b64 s[60:61], s[68:69]
	s_cbranch_execz .LBB169_3316
; %bb.3315:                             ;   in Loop: Header=BB169_17 Depth=1
	flat_load_ushort v0, v[0:1]
	s_waitcnt vmcnt(0) lgkmcnt(0)
	v_cvt_f32_f16_e32 v53, v0
.LBB169_3316:                           ;   in Loop: Header=BB169_17 Depth=1
	s_or_b64 exec, exec, s[60:61]
.LBB169_3317:                           ;   in Loop: Header=BB169_17 Depth=1
	s_or_b64 exec, exec, s[66:67]
                                        ; implicit-def: $vgpr0_vgpr1
.LBB169_3318:                           ;   in Loop: Header=BB169_17 Depth=1
	s_andn2_saveexec_b64 s[72:73], s[72:73]
	s_cbranch_execz .LBB169_3336
; %bb.3319:                             ;   in Loop: Header=BB169_17 Depth=1
	v_cmp_gt_i16_sdwa s[60:61], v8, v48 src0_sel:BYTE_0 src1_sel:DWORD
                                        ; implicit-def: $vgpr53
	s_and_saveexec_b64 s[62:63], s[60:61]
	s_xor_b64 s[74:75], exec, s[62:63]
	s_cbranch_execz .LBB169_3329
; %bb.3320:                             ;   in Loop: Header=BB169_17 Depth=1
	v_cmp_gt_i16_sdwa s[60:61], v8, v49 src0_sel:BYTE_0 src1_sel:DWORD
                                        ; implicit-def: $vgpr53
	s_and_saveexec_b64 s[62:63], s[60:61]
	s_xor_b64 s[66:67], exec, s[62:63]
	;; [unrolled: 6-line block ×3, first 2 shown]
	s_cbranch_execz .LBB169_3323
; %bb.3322:                             ;   in Loop: Header=BB169_17 Depth=1
	flat_load_dwordx2 v[0:1], v[0:1]
	s_waitcnt vmcnt(0) lgkmcnt(0)
	v_xor_b32_e32 v54, v0, v1
	v_ffbh_i32_e32 v53, v1
	v_ashrrev_i32_e32 v54, 31, v54
	v_add_u32_e32 v53, -1, v53
	v_add_u32_e32 v54, 32, v54
	v_min_u32_e32 v53, v53, v54
	v_lshlrev_b64 v[0:1], v53, v[0:1]
	v_min_u32_e32 v0, 1, v0
	v_or_b32_e32 v0, v1, v0
	v_cvt_f32_i32_e32 v0, v0
	v_sub_u32_e32 v1, 32, v53
	v_ldexp_f32 v53, v0, v1
                                        ; implicit-def: $vgpr0_vgpr1
.LBB169_3323:                           ;   in Loop: Header=BB169_17 Depth=1
	s_andn2_saveexec_b64 s[60:61], s[68:69]
	s_cbranch_execz .LBB169_3325
; %bb.3324:                             ;   in Loop: Header=BB169_17 Depth=1
	flat_load_dword v0, v[0:1]
	s_waitcnt vmcnt(0) lgkmcnt(0)
	v_cvt_f32_i32_e32 v53, v0
.LBB169_3325:                           ;   in Loop: Header=BB169_17 Depth=1
	s_or_b64 exec, exec, s[60:61]
                                        ; implicit-def: $vgpr0_vgpr1
.LBB169_3326:                           ;   in Loop: Header=BB169_17 Depth=1
	s_andn2_saveexec_b64 s[60:61], s[66:67]
	s_cbranch_execz .LBB169_3328
; %bb.3327:                             ;   in Loop: Header=BB169_17 Depth=1
	flat_load_sshort v0, v[0:1]
	s_waitcnt vmcnt(0) lgkmcnt(0)
	v_cvt_f32_i32_e32 v53, v0
.LBB169_3328:                           ;   in Loop: Header=BB169_17 Depth=1
	s_or_b64 exec, exec, s[60:61]
                                        ; implicit-def: $vgpr0_vgpr1
.LBB169_3329:                           ;   in Loop: Header=BB169_17 Depth=1
	s_andn2_saveexec_b64 s[66:67], s[74:75]
	s_cbranch_execz .LBB169_3335
; %bb.3330:                             ;   in Loop: Header=BB169_17 Depth=1
	v_cmp_gt_i16_sdwa s[60:61], v8, v6 src0_sel:BYTE_0 src1_sel:DWORD
                                        ; implicit-def: $vgpr53
	s_and_saveexec_b64 s[62:63], s[60:61]
	s_xor_b64 s[60:61], exec, s[62:63]
	s_cbranch_execz .LBB169_3332
; %bb.3331:                             ;   in Loop: Header=BB169_17 Depth=1
	flat_load_sbyte v0, v[0:1]
	s_waitcnt vmcnt(0) lgkmcnt(0)
	v_cvt_f32_i32_e32 v53, v0
                                        ; implicit-def: $vgpr0_vgpr1
.LBB169_3332:                           ;   in Loop: Header=BB169_17 Depth=1
	s_andn2_saveexec_b64 s[60:61], s[60:61]
	s_cbranch_execz .LBB169_3334
; %bb.3333:                             ;   in Loop: Header=BB169_17 Depth=1
	flat_load_ubyte v0, v[0:1]
	s_waitcnt vmcnt(0) lgkmcnt(0)
	v_cvt_f32_ubyte0_e32 v53, v0
.LBB169_3334:                           ;   in Loop: Header=BB169_17 Depth=1
	s_or_b64 exec, exec, s[60:61]
.LBB169_3335:                           ;   in Loop: Header=BB169_17 Depth=1
	s_or_b64 exec, exec, s[66:67]
.LBB169_3336:                           ;   in Loop: Header=BB169_17 Depth=1
	s_or_b64 exec, exec, s[72:73]
	s_andn2_b64 s[86:87], s[86:87], exec
	s_andn2_b64 vcc, vcc, exec
	s_or_b64 s[78:79], s[78:79], exec
.LBB169_3337:                           ;   in Loop: Header=BB169_17 Depth=1
	s_or_b64 exec, exec, s[80:81]
	s_mov_b64 s[66:67], 0
	s_and_saveexec_b64 s[68:69], s[78:79]
	s_cbranch_execz .LBB169_3339
; %bb.3338:                             ;   in Loop: Header=BB169_17 Depth=1
	s_mov_b64 s[66:67], exec
	v_add_u32_e32 v51, 0x200, v51
	s_andn2_b64 s[86:87], s[86:87], exec
	s_andn2_b64 vcc, vcc, exec
	s_waitcnt vmcnt(0) lgkmcnt(0)
	buffer_store_dword v53, v52, s[0:3], 0 offen offset:112
.LBB169_3339:                           ;   in Loop: Header=BB169_17 Depth=1
	s_or_b64 exec, exec, s[68:69]
	s_andn2_b64 s[60:61], s[90:91], exec
	s_and_b64 s[62:63], s[86:87], exec
	s_or_b64 s[90:91], s[60:61], s[62:63]
	s_andn2_b64 s[60:61], s[92:93], exec
	s_and_b64 vcc, vcc, exec
	s_or_b64 s[92:93], s[60:61], vcc
	s_and_b64 s[66:67], s[66:67], exec
.LBB169_3340:                           ;   in Loop: Header=BB169_17 Depth=1
	s_or_b64 exec, exec, s[84:85]
	s_and_b64 vcc, s[90:91], exec
	v_writelane_b32 v78, vcc_lo, 38
	v_writelane_b32 v78, vcc_hi, 39
	s_and_b64 s[62:63], s[92:93], exec
	s_orn2_b64 s[66:67], s[66:67], exec
.LBB169_3341:                           ;   in Loop: Header=BB169_17 Depth=1
	s_or_b64 exec, exec, s[96:97]
	s_and_saveexec_b64 s[96:97], s[66:67]
	s_cbranch_execz .LBB169_2
; %bb.3342:                             ;   in Loop: Header=BB169_17 Depth=1
	v_writelane_b32 v78, s62, 44
	v_writelane_b32 v78, s63, 45
	s_mov_b64 s[60:61], -1
	v_cmp_lt_i32_e32 vcc, v51, v72
	v_writelane_b32 v78, s60, 46
	s_mov_b64 s[70:71], -1
	v_writelane_b32 v78, s61, 47
                                        ; implicit-def: $sgpr66_sgpr67
                                        ; implicit-def: $sgpr68_sgpr69
	s_and_saveexec_b64 s[90:91], vcc
	s_cbranch_execz .LBB169_3468
; %bb.3343:                             ;   in Loop: Header=BB169_17 Depth=1
	v_readlane_b32 vcc_lo, v78, 1
	s_waitcnt vmcnt(0) lgkmcnt(0)
	v_add_u32_e32 v53, vcc_lo, v51
	v_mul_lo_u32 v0, v53, v9
	v_add_co_u32_e32 v0, vcc, v2, v0
	v_addc_co_u32_e32 v1, vcc, 0, v3, vcc
	v_cmp_gt_i16_sdwa s[60:61], v7, v12 src0_sel:BYTE_0 src1_sel:DWORD
	s_mov_b64 vcc, 0
                                        ; implicit-def: $sgpr76_sgpr77
                                        ; implicit-def: $sgpr92_sgpr93
                                        ; implicit-def: $vgpr54
	s_and_saveexec_b64 s[62:63], s[60:61]
	s_xor_b64 s[84:85], exec, s[62:63]
	s_cbranch_execnz .LBB169_3362
; %bb.3344:                             ;   in Loop: Header=BB169_17 Depth=1
	s_andn2_saveexec_b64 s[78:79], s[84:85]
	s_cbranch_execnz .LBB169_3421
.LBB169_3345:                           ;   in Loop: Header=BB169_17 Depth=1
	s_or_b64 exec, exec, s[78:79]
	s_mov_b64 s[70:71], 0
	s_and_saveexec_b64 s[84:85], vcc
	s_cbranch_execnz .LBB169_3462
	s_branch .LBB169_3467
.LBB169_3346:                           ;   in Loop: Header=BB169_17 Depth=1
	s_movk_i32 vcc_lo, 0x80
	v_cmp_eq_u16_e32 vcc, vcc_lo, v0
	s_mov_b64 s[92:93], -1
                                        ; implicit-def: $sgpr96
	s_and_saveexec_b64 s[60:61], vcc
; %bb.3347:                             ;   in Loop: Header=BB169_17 Depth=1
	s_mov_b32 s96, 0x7f800001
	s_xor_b64 s[92:93], exec, -1
; %bb.3348:                             ;   in Loop: Header=BB169_17 Depth=1
	s_or_b64 exec, exec, s[60:61]
	s_and_b64 s[92:93], s[92:93], exec
	s_or_saveexec_b64 s[94:95], s[94:95]
	v_mov_b32_e32 v52, s96
	s_xor_b64 exec, exec, s[94:95]
	s_cbranch_execz .LBB169_2165
.LBB169_3349:                           ;   in Loop: Header=BB169_17 Depth=1
	v_cmp_ne_u16_e32 vcc, 0, v0
	s_andn2_b64 s[60:61], s[92:93], exec
	s_and_b64 vcc, vcc, exec
	v_mov_b32_e32 v52, 0
	s_or_b64 s[92:93], s[60:61], vcc
	s_or_b64 exec, exec, s[94:95]
	s_and_saveexec_b64 s[94:95], s[92:93]
	s_cbranch_execnz .LBB169_2166
	s_branch .LBB169_2167
.LBB169_3350:                           ;   in Loop: Header=BB169_17 Depth=1
	s_movk_i32 vcc_lo, 0x80
	v_cmp_eq_u16_e32 vcc, vcc_lo, v0
	s_mov_b64 s[66:67], -1
                                        ; implicit-def: $sgpr70
	s_and_saveexec_b64 s[60:61], vcc
; %bb.3351:                             ;   in Loop: Header=BB169_17 Depth=1
	s_mov_b32 s70, 0x7f800001
	s_xor_b64 s[66:67], exec, -1
; %bb.3352:                             ;   in Loop: Header=BB169_17 Depth=1
	s_or_b64 exec, exec, s[60:61]
	s_and_b64 s[66:67], s[66:67], exec
	s_or_saveexec_b64 s[68:69], s[68:69]
	v_mov_b32_e32 v54, s70
	s_xor_b64 exec, exec, s[68:69]
	s_cbranch_execz .LBB169_2265
.LBB169_3353:                           ;   in Loop: Header=BB169_17 Depth=1
	v_cmp_ne_u16_e32 vcc, 0, v0
	s_andn2_b64 s[60:61], s[66:67], exec
	s_and_b64 vcc, vcc, exec
	v_mov_b32_e32 v54, 0
	s_or_b64 s[66:67], s[60:61], vcc
	s_or_b64 exec, exec, s[68:69]
	s_and_saveexec_b64 s[68:69], s[66:67]
	s_cbranch_execnz .LBB169_2266
	s_branch .LBB169_2267
.LBB169_3354:                           ;   in Loop: Header=BB169_17 Depth=1
	s_movk_i32 vcc_lo, 0x80
	v_cmp_eq_u16_e32 vcc, vcc_lo, v0
	s_mov_b64 s[66:67], -1
                                        ; implicit-def: $sgpr70
	s_and_saveexec_b64 s[60:61], vcc
; %bb.3355:                             ;   in Loop: Header=BB169_17 Depth=1
	s_mov_b32 s70, 0x7f800001
	s_xor_b64 s[66:67], exec, -1
; %bb.3356:                             ;   in Loop: Header=BB169_17 Depth=1
	s_or_b64 exec, exec, s[60:61]
	s_and_b64 s[66:67], s[66:67], exec
	s_or_saveexec_b64 s[68:69], s[68:69]
	v_mov_b32_e32 v53, s70
	s_xor_b64 exec, exec, s[68:69]
	s_cbranch_execz .LBB169_2381
.LBB169_3357:                           ;   in Loop: Header=BB169_17 Depth=1
	v_cmp_ne_u16_e32 vcc, 0, v0
	s_andn2_b64 s[60:61], s[66:67], exec
	s_and_b64 vcc, vcc, exec
	v_mov_b32_e32 v53, 0
	s_or_b64 s[66:67], s[60:61], vcc
	s_or_b64 exec, exec, s[68:69]
	s_and_saveexec_b64 s[68:69], s[66:67]
	s_cbranch_execnz .LBB169_2382
	s_branch .LBB169_2383
.LBB169_3358:                           ;   in Loop: Header=BB169_17 Depth=1
	s_movk_i32 vcc_lo, 0x80
	v_cmp_eq_u16_e32 vcc, vcc_lo, v0
	s_mov_b64 s[66:67], -1
                                        ; implicit-def: $sgpr70
	s_and_saveexec_b64 s[60:61], vcc
; %bb.3359:                             ;   in Loop: Header=BB169_17 Depth=1
	s_mov_b32 s70, 0x7f800001
	s_xor_b64 s[66:67], exec, -1
; %bb.3360:                             ;   in Loop: Header=BB169_17 Depth=1
	s_or_b64 exec, exec, s[60:61]
	s_and_b64 s[66:67], s[66:67], exec
	s_or_saveexec_b64 s[68:69], s[68:69]
	v_mov_b32_e32 v54, s70
	s_xor_b64 exec, exec, s[68:69]
	s_cbranch_execz .LBB169_2481
.LBB169_3361:                           ;   in Loop: Header=BB169_17 Depth=1
	v_cmp_ne_u16_e32 vcc, 0, v0
	s_andn2_b64 s[60:61], s[66:67], exec
	s_and_b64 vcc, vcc, exec
	v_mov_b32_e32 v54, 0
	s_or_b64 s[66:67], s[60:61], vcc
	s_or_b64 exec, exec, s[68:69]
	s_and_saveexec_b64 s[68:69], s[66:67]
	s_cbranch_execnz .LBB169_2482
	s_branch .LBB169_2483
.LBB169_3362:                           ;   in Loop: Header=BB169_17 Depth=1
	v_cmp_gt_i16_sdwa vcc, v7, v13 src0_sel:BYTE_0 src1_sel:DWORD
	s_mov_b64 s[78:79], 0
                                        ; implicit-def: $sgpr80_sgpr81
                                        ; implicit-def: $sgpr86_sgpr87
                                        ; implicit-def: $vgpr54
	s_and_saveexec_b64 s[60:61], vcc
	s_xor_b64 s[92:93], exec, s[60:61]
	s_cbranch_execz .LBB169_3394
; %bb.3363:                             ;   in Loop: Header=BB169_17 Depth=1
	v_cmp_gt_i16_sdwa vcc, v7, v14 src0_sel:BYTE_0 src1_sel:DWORD
                                        ; implicit-def: $sgpr72_sgpr73
                                        ; implicit-def: $sgpr86_sgpr87
                                        ; implicit-def: $vgpr54
	s_and_saveexec_b64 s[60:61], vcc
	s_xor_b64 s[80:81], exec, s[60:61]
	s_cbranch_execz .LBB169_3379
; %bb.3364:                             ;   in Loop: Header=BB169_17 Depth=1
	v_cmp_gt_i16_sdwa s[60:61], v7, v15 src0_sel:BYTE_0 src1_sel:DWORD
	s_mov_b64 s[74:75], 0
                                        ; implicit-def: $vcc
                                        ; implicit-def: $sgpr86_sgpr87
                                        ; implicit-def: $vgpr54
	s_and_saveexec_b64 s[62:63], s[60:61]
	s_xor_b64 s[72:73], exec, s[62:63]
	s_cbranch_execz .LBB169_3374
; %bb.3365:                             ;   in Loop: Header=BB169_17 Depth=1
	v_cmp_gt_i16_sdwa vcc, v7, v16 src0_sel:BYTE_0 src1_sel:DWORD
                                        ; implicit-def: $sgpr86_sgpr87
                                        ; implicit-def: $sgpr74_sgpr75
                                        ; implicit-def: $vgpr54
	s_and_saveexec_b64 s[60:61], vcc
	s_xor_b64 vcc, exec, s[60:61]
	s_cbranch_execz .LBB169_3369
; %bb.3366:                             ;   in Loop: Header=BB169_17 Depth=1
	v_cmp_eq_u16_sdwa s[62:63], v7, v17 src0_sel:BYTE_0 src1_sel:DWORD
	s_mov_b64 s[86:87], 0
	s_mov_b64 s[66:67], 0
                                        ; implicit-def: $vgpr54
	s_and_saveexec_b64 s[60:61], s[62:63]
	s_cbranch_execz .LBB169_3368
; %bb.3367:                             ;   in Loop: Header=BB169_17 Depth=1
	flat_load_dword v0, v[0:1]
	s_mov_b64 s[66:67], exec
	s_waitcnt vmcnt(0) lgkmcnt(0)
	v_lshlrev_b32_e32 v54, 16, v0
.LBB169_3368:                           ;   in Loop: Header=BB169_17 Depth=1
	s_or_b64 exec, exec, s[60:61]
	s_mov_b64 s[74:75], -1
	s_and_b64 s[78:79], s[66:67], exec
                                        ; implicit-def: $vgpr0_vgpr1
.LBB169_3369:                           ;   in Loop: Header=BB169_17 Depth=1
	s_andn2_saveexec_b64 s[66:67], vcc
	s_cbranch_execz .LBB169_3373
; %bb.3370:                             ;   in Loop: Header=BB169_17 Depth=1
	v_cmp_eq_u16_sdwa s[60:61], v7, v18 src0_sel:BYTE_0 src1_sel:DWORD
	s_mov_b64 vcc, s[78:79]
                                        ; implicit-def: $vgpr54
	s_and_saveexec_b64 s[68:69], s[60:61]
	s_cbranch_execz .LBB169_3372
; %bb.3371:                             ;   in Loop: Header=BB169_17 Depth=1
	flat_load_ubyte v0, v[0:1]
	s_movk_i32 vcc_lo, 0xff
	s_waitcnt vmcnt(0) lgkmcnt(0)
	v_lshlrev_b32_e32 v1, 23, v0
	v_cmp_ne_u32_e32 vcc, vcc_lo, v0
	v_cndmask_b32_e32 v1, v19, v1, vcc
	v_cmp_ne_u32_e32 vcc, 0, v0
	v_cndmask_b32_e32 v54, v20, v1, vcc
	s_or_b64 vcc, s[78:79], exec
.LBB169_3372:                           ;   in Loop: Header=BB169_17 Depth=1
	s_or_b64 exec, exec, s[68:69]
	s_andn2_b64 s[60:61], s[78:79], exec
	s_and_b64 vcc, vcc, exec
	s_andn2_b64 s[86:87], s[86:87], exec
	s_or_b64 s[74:75], s[74:75], exec
	s_or_b64 s[78:79], s[60:61], vcc
.LBB169_3373:                           ;   in Loop: Header=BB169_17 Depth=1
	s_or_b64 exec, exec, s[66:67]
	s_and_b64 s[86:87], s[86:87], exec
	s_and_b64 vcc, s[74:75], exec
	s_and_b64 s[74:75], s[78:79], exec
                                        ; implicit-def: $vgpr0_vgpr1
.LBB169_3374:                           ;   in Loop: Header=BB169_17 Depth=1
	s_andn2_saveexec_b64 s[66:67], s[72:73]
	s_cbranch_execz .LBB169_3378
; %bb.3375:                             ;   in Loop: Header=BB169_17 Depth=1
	v_cmp_eq_u16_sdwa s[60:61], v7, v21 src0_sel:BYTE_0 src1_sel:DWORD
	s_mov_b64 s[70:71], s[74:75]
                                        ; implicit-def: $vgpr54
	s_and_saveexec_b64 s[68:69], s[60:61]
	s_cbranch_execz .LBB169_3377
; %bb.3376:                             ;   in Loop: Header=BB169_17 Depth=1
	flat_load_dwordx2 v[0:1], v[0:1]
	s_or_b64 s[70:71], s[74:75], exec
	s_waitcnt vmcnt(0) lgkmcnt(0)
	v_ffbh_u32_e32 v52, v1
	v_min_u32_e32 v52, 32, v52
	v_lshlrev_b64 v[0:1], v52, v[0:1]
	v_min_u32_e32 v0, 1, v0
	v_or_b32_e32 v0, v1, v0
	v_cvt_f32_u32_e32 v0, v0
	v_sub_u32_e32 v1, 32, v52
	v_ldexp_f32 v54, v0, v1
.LBB169_3377:                           ;   in Loop: Header=BB169_17 Depth=1
	s_or_b64 exec, exec, s[68:69]
	s_andn2_b64 s[60:61], s[74:75], exec
	s_and_b64 s[62:63], s[70:71], exec
	s_andn2_b64 s[86:87], s[86:87], exec
	s_or_b64 vcc, vcc, exec
	s_or_b64 s[74:75], s[60:61], s[62:63]
.LBB169_3378:                           ;   in Loop: Header=BB169_17 Depth=1
	s_or_b64 exec, exec, s[66:67]
	s_and_b64 s[86:87], s[86:87], exec
	s_and_b64 s[72:73], vcc, exec
	s_and_b64 s[78:79], s[74:75], exec
                                        ; implicit-def: $vgpr0_vgpr1
.LBB169_3379:                           ;   in Loop: Header=BB169_17 Depth=1
	s_andn2_saveexec_b64 s[80:81], s[80:81]
	s_cbranch_execz .LBB169_3393
; %bb.3380:                             ;   in Loop: Header=BB169_17 Depth=1
	v_cmp_gt_i16_sdwa vcc, v7, v22 src0_sel:BYTE_0 src1_sel:DWORD
                                        ; implicit-def: $vgpr54
	s_and_saveexec_b64 s[60:61], vcc
	s_xor_b64 vcc, exec, s[60:61]
	s_cbranch_execz .LBB169_3386
; %bb.3381:                             ;   in Loop: Header=BB169_17 Depth=1
	v_cmp_gt_i16_sdwa s[60:61], v7, v23 src0_sel:BYTE_0 src1_sel:DWORD
                                        ; implicit-def: $vgpr54
	s_and_saveexec_b64 s[62:63], s[60:61]
	s_xor_b64 s[60:61], exec, s[62:63]
	s_cbranch_execz .LBB169_3383
; %bb.3382:                             ;   in Loop: Header=BB169_17 Depth=1
	flat_load_dword v0, v[0:1]
	s_waitcnt vmcnt(0) lgkmcnt(0)
	v_cvt_f32_u32_e32 v54, v0
                                        ; implicit-def: $vgpr0_vgpr1
.LBB169_3383:                           ;   in Loop: Header=BB169_17 Depth=1
	s_andn2_saveexec_b64 s[60:61], s[60:61]
	s_cbranch_execz .LBB169_3385
; %bb.3384:                             ;   in Loop: Header=BB169_17 Depth=1
	flat_load_ushort v0, v[0:1]
	s_waitcnt vmcnt(0) lgkmcnt(0)
	v_cvt_f32_u32_e32 v54, v0
.LBB169_3385:                           ;   in Loop: Header=BB169_17 Depth=1
	s_or_b64 exec, exec, s[60:61]
                                        ; implicit-def: $vgpr0_vgpr1
.LBB169_3386:                           ;   in Loop: Header=BB169_17 Depth=1
	s_andn2_saveexec_b64 s[74:75], vcc
	s_cbranch_execz .LBB169_3392
; %bb.3387:                             ;   in Loop: Header=BB169_17 Depth=1
	flat_load_ubyte v0, v[0:1]
	s_movk_i32 vcc_lo, 0x7f
	s_mov_b64 s[66:67], 0
                                        ; implicit-def: $sgpr70
	s_waitcnt vmcnt(0) lgkmcnt(0)
	v_cmp_lt_i16_e32 vcc, vcc_lo, v0
	s_and_saveexec_b64 s[60:61], vcc
	s_xor_b64 s[68:69], exec, s[60:61]
	s_cbranch_execnz .LBB169_3630
; %bb.3388:                             ;   in Loop: Header=BB169_17 Depth=1
	s_or_saveexec_b64 s[68:69], s[68:69]
	v_mov_b32_e32 v54, s70
	s_xor_b64 exec, exec, s[68:69]
	s_cbranch_execnz .LBB169_3633
.LBB169_3389:                           ;   in Loop: Header=BB169_17 Depth=1
	s_or_b64 exec, exec, s[68:69]
	s_and_saveexec_b64 s[68:69], s[66:67]
	s_cbranch_execz .LBB169_3391
.LBB169_3390:                           ;   in Loop: Header=BB169_17 Depth=1
	v_lshlrev_b32_e32 v1, 24, v0
	v_and_b32_e32 v0, 0xffff, v0
	v_and_b32_e32 v52, 7, v0
	v_ffbh_u32_e32 v55, v52
	v_min_u32_e32 v55, 32, v55
	v_subrev_u32_e32 v64, 28, v55
	v_bfe_u32 v54, v0, 3, 4
	v_lshlrev_b32_e32 v0, v64, v0
	v_sub_u32_e32 v55, 29, v55
	v_and_b32_e32 v0, 7, v0
	v_cmp_eq_u32_e32 vcc, 0, v54
	v_cndmask_b32_e32 v54, v54, v55, vcc
	v_cndmask_b32_e32 v0, v52, v0, vcc
	v_lshlrev_b32_e32 v0, 20, v0
	v_and_b32_e32 v1, 0x80000000, v1
	v_lshl_add_u32 v52, v54, 23, v24
	v_or3_b32 v54, v1, v52, v0
.LBB169_3391:                           ;   in Loop: Header=BB169_17 Depth=1
	s_or_b64 exec, exec, s[68:69]
.LBB169_3392:                           ;   in Loop: Header=BB169_17 Depth=1
	s_or_b64 exec, exec, s[74:75]
	s_andn2_b64 s[86:87], s[86:87], exec
	s_andn2_b64 s[72:73], s[72:73], exec
	s_or_b64 s[78:79], s[78:79], exec
.LBB169_3393:                           ;   in Loop: Header=BB169_17 Depth=1
	s_or_b64 exec, exec, s[80:81]
	s_and_b64 s[86:87], s[86:87], exec
	s_and_b64 s[80:81], s[72:73], exec
	;; [unrolled: 1-line block ×3, first 2 shown]
                                        ; implicit-def: $vgpr0_vgpr1
.LBB169_3394:                           ;   in Loop: Header=BB169_17 Depth=1
	s_andn2_saveexec_b64 s[92:93], s[92:93]
	s_cbranch_execz .LBB169_3420
; %bb.3395:                             ;   in Loop: Header=BB169_17 Depth=1
	v_cmp_gt_i16_sdwa vcc, v7, v25 src0_sel:BYTE_0 src1_sel:DWORD
	s_mov_b64 s[74:75], s[78:79]
                                        ; implicit-def: $vgpr54
	s_and_saveexec_b64 s[60:61], vcc
	s_xor_b64 s[72:73], exec, s[60:61]
	s_cbranch_execz .LBB169_3409
; %bb.3396:                             ;   in Loop: Header=BB169_17 Depth=1
	v_cmp_gt_i16_sdwa vcc, v7, v26 src0_sel:BYTE_0 src1_sel:DWORD
                                        ; implicit-def: $vgpr54
	s_and_saveexec_b64 s[60:61], vcc
	s_xor_b64 s[62:63], exec, s[60:61]
	s_cbranch_execz .LBB169_3406
; %bb.3397:                             ;   in Loop: Header=BB169_17 Depth=1
	v_cmp_gt_i16_sdwa vcc, v7, v27 src0_sel:BYTE_0 src1_sel:DWORD
                                        ; implicit-def: $vgpr54
	s_and_saveexec_b64 s[60:61], vcc
	s_xor_b64 s[74:75], exec, s[60:61]
	s_cbranch_execz .LBB169_3403
; %bb.3398:                             ;   in Loop: Header=BB169_17 Depth=1
	flat_load_ubyte v0, v[0:1]
	s_movk_i32 vcc_lo, 0x7f
	s_mov_b64 s[66:67], 0
                                        ; implicit-def: $sgpr70
	s_waitcnt vmcnt(0) lgkmcnt(0)
	v_cmp_lt_i16_e32 vcc, vcc_lo, v0
	s_and_saveexec_b64 s[60:61], vcc
	s_xor_b64 s[68:69], exec, s[60:61]
	s_cbranch_execnz .LBB169_3638
; %bb.3399:                             ;   in Loop: Header=BB169_17 Depth=1
	s_or_saveexec_b64 s[68:69], s[68:69]
	v_mov_b32_e32 v54, s70
	s_xor_b64 exec, exec, s[68:69]
	s_cbranch_execnz .LBB169_3641
.LBB169_3400:                           ;   in Loop: Header=BB169_17 Depth=1
	s_or_b64 exec, exec, s[68:69]
	s_and_saveexec_b64 s[68:69], s[66:67]
	s_cbranch_execz .LBB169_3402
.LBB169_3401:                           ;   in Loop: Header=BB169_17 Depth=1
	v_lshlrev_b32_e32 v1, 24, v0
	v_and_b32_e32 v0, 0xffff, v0
	v_and_b32_e32 v52, 3, v0
	v_ffbh_u32_e32 v55, v52
	v_min_u32_e32 v55, 32, v55
	v_subrev_u32_e32 v64, 29, v55
	v_bfe_u32 v54, v0, 2, 5
	v_lshlrev_b32_e32 v0, v64, v0
	v_sub_u32_e32 v55, 30, v55
	v_and_b32_e32 v0, 3, v0
	v_cmp_eq_u32_e32 vcc, 0, v54
	v_cndmask_b32_e32 v54, v54, v55, vcc
	v_cndmask_b32_e32 v0, v52, v0, vcc
	v_lshlrev_b32_e32 v0, 21, v0
	v_and_b32_e32 v1, 0x80000000, v1
	v_lshl_add_u32 v52, v54, 23, v28
	v_or3_b32 v54, v1, v52, v0
.LBB169_3402:                           ;   in Loop: Header=BB169_17 Depth=1
	s_or_b64 exec, exec, s[68:69]
                                        ; implicit-def: $vgpr0_vgpr1
.LBB169_3403:                           ;   in Loop: Header=BB169_17 Depth=1
	s_andn2_saveexec_b64 s[66:67], s[74:75]
	s_cbranch_execz .LBB169_3405
; %bb.3404:                             ;   in Loop: Header=BB169_17 Depth=1
	flat_load_ubyte v0, v[0:1]
	s_mov_b32 vcc_lo, 0x7f800000
	s_waitcnt vmcnt(0) lgkmcnt(0)
	v_lshlrev_b32_e32 v0, 24, v0
	v_and_b32_e32 v1, 0x7f000000, v0
	v_ffbh_u32_e32 v52, v1
	v_min_u32_e32 v52, 32, v52
	v_sub_u32_e64 v52, v52, 4 clamp
	v_lshlrev_b32_e32 v55, v52, v1
	v_lshlrev_b32_e32 v52, 23, v52
	v_lshrrev_b32_e32 v55, 4, v55
	v_add_u32_e32 v54, 0x1000000, v1
	v_sub_u32_e32 v52, v55, v52
	v_ashrrev_i32_e32 v54, 8, v54
	v_add_u32_e32 v52, 0x3c000000, v52
	v_and_or_b32 v52, v54, vcc_lo, v52
	v_cmp_ne_u32_e32 vcc, 0, v1
	v_cndmask_b32_e32 v1, 0, v52, vcc
	s_brev_b32 vcc_lo, 1
	v_and_or_b32 v54, v0, vcc_lo, v1
.LBB169_3405:                           ;   in Loop: Header=BB169_17 Depth=1
	s_or_b64 exec, exec, s[66:67]
                                        ; implicit-def: $vgpr0_vgpr1
.LBB169_3406:                           ;   in Loop: Header=BB169_17 Depth=1
	s_andn2_saveexec_b64 s[66:67], s[62:63]
	s_cbranch_execz .LBB169_3408
; %bb.3407:                             ;   in Loop: Header=BB169_17 Depth=1
	flat_load_ubyte v0, v[0:1]
	s_movk_i32 vcc_lo, 0x7f00
	s_waitcnt vmcnt(0) lgkmcnt(0)
	v_lshlrev_b16_e32 v1, 8, v0
	v_lshlrev_b32_e32 v0, 25, v0
	v_lshrrev_b32_e32 v52, 4, v0
	v_and_or_b32 v54, v1, vcc_lo, 0.5
	v_or_b32_e32 v52, 0x70000000, v52
	s_brev_b32 vcc_lo, 16
	v_add_f32_e32 v54, -0.5, v54
	v_mul_f32_e32 v52, 0x7800000, v52
	v_cmp_gt_u32_e32 vcc, vcc_lo, v0
	v_cndmask_b32_e32 v0, v52, v54, vcc
	v_bfe_i32 v1, v1, 0, 16
	s_brev_b32 vcc_lo, 1
	v_and_or_b32 v54, v1, vcc_lo, v0
.LBB169_3408:                           ;   in Loop: Header=BB169_17 Depth=1
	s_or_b64 exec, exec, s[66:67]
	s_or_b64 s[74:75], s[78:79], exec
                                        ; implicit-def: $vgpr0_vgpr1
.LBB169_3409:                           ;   in Loop: Header=BB169_17 Depth=1
	s_or_saveexec_b64 s[72:73], s[72:73]
                                        ; implicit-def: $vcc
                                        ; implicit-def: $sgpr68_sgpr69
	s_xor_b64 exec, exec, s[72:73]
	s_cbranch_execz .LBB169_3419
; %bb.3410:                             ;   in Loop: Header=BB169_17 Depth=1
	v_cmp_gt_i16_sdwa vcc, v7, v29 src0_sel:BYTE_0 src1_sel:DWORD
	s_mov_b64 s[66:67], s[74:75]
                                        ; implicit-def: $sgpr68_sgpr69
                                        ; implicit-def: $sgpr76_sgpr77
                                        ; implicit-def: $vgpr54
	s_and_saveexec_b64 s[60:61], vcc
	s_xor_b64 vcc, exec, s[60:61]
	s_cbranch_execz .LBB169_3414
; %bb.3411:                             ;   in Loop: Header=BB169_17 Depth=1
	v_cmp_eq_u16_sdwa s[62:63], v7, v32 src0_sel:BYTE_0 src1_sel:DWORD
	s_mov_b64 s[66:67], s[74:75]
                                        ; implicit-def: $vgpr54
	s_and_saveexec_b64 s[60:61], s[62:63]
	s_cbranch_execz .LBB169_3413
; %bb.3412:                             ;   in Loop: Header=BB169_17 Depth=1
	flat_load_ushort v0, v[0:1]
	s_or_b64 s[66:67], s[74:75], exec
	s_waitcnt vmcnt(0) lgkmcnt(0)
	v_lshlrev_b32_e32 v54, 16, v0
.LBB169_3413:                           ;   in Loop: Header=BB169_17 Depth=1
	s_or_b64 exec, exec, s[60:61]
	s_andn2_b64 s[60:61], s[74:75], exec
	s_and_b64 s[62:63], s[66:67], exec
	s_mov_b64 s[76:77], -1
	s_mov_b64 s[68:69], 0
	s_or_b64 s[66:67], s[60:61], s[62:63]
                                        ; implicit-def: $vgpr0_vgpr1
.LBB169_3414:                           ;   in Loop: Header=BB169_17 Depth=1
	s_andn2_saveexec_b64 s[70:71], vcc
	s_cbranch_execz .LBB169_3418
; %bb.3415:                             ;   in Loop: Header=BB169_17 Depth=1
	v_cmp_eq_u16_sdwa s[62:63], v7, v33 src0_sel:BYTE_0 src1_sel:DWORD
	s_mov_b64 vcc, s[66:67]
                                        ; implicit-def: $vgpr54
	s_and_saveexec_b64 s[60:61], s[62:63]
	s_cbranch_execz .LBB169_3417
; %bb.3416:                             ;   in Loop: Header=BB169_17 Depth=1
	flat_load_ubyte v0, v[0:1]
	s_waitcnt vmcnt(0) lgkmcnt(0)
	v_cmp_ne_u16_e32 vcc, 0, v0
	v_cndmask_b32_e64 v54, 0, 1.0, vcc
	s_or_b64 vcc, s[66:67], exec
.LBB169_3417:                           ;   in Loop: Header=BB169_17 Depth=1
	s_or_b64 exec, exec, s[60:61]
	s_andn2_b64 s[60:61], s[66:67], exec
	s_and_b64 vcc, vcc, exec
	s_andn2_b64 s[68:69], s[68:69], exec
	s_or_b64 s[76:77], s[76:77], exec
	s_or_b64 s[66:67], s[60:61], vcc
.LBB169_3418:                           ;   in Loop: Header=BB169_17 Depth=1
	s_or_b64 exec, exec, s[70:71]
	s_andn2_b64 s[60:61], s[74:75], exec
	s_and_b64 s[62:63], s[66:67], exec
	s_and_b64 s[68:69], s[68:69], exec
	s_and_b64 vcc, s[76:77], exec
	s_or_b64 s[74:75], s[60:61], s[62:63]
.LBB169_3419:                           ;   in Loop: Header=BB169_17 Depth=1
	s_or_b64 exec, exec, s[72:73]
	s_andn2_b64 s[60:61], s[86:87], exec
	s_and_b64 s[62:63], s[68:69], exec
	s_or_b64 s[86:87], s[60:61], s[62:63]
	s_andn2_b64 s[60:61], s[80:81], exec
	s_and_b64 vcc, vcc, exec
	s_or_b64 s[80:81], s[60:61], vcc
	s_andn2_b64 vcc, s[78:79], exec
	s_and_b64 s[60:61], s[74:75], exec
	s_or_b64 s[78:79], vcc, s[60:61]
.LBB169_3420:                           ;   in Loop: Header=BB169_17 Depth=1
	s_or_b64 exec, exec, s[92:93]
	s_and_b64 s[92:93], s[86:87], exec
	s_and_b64 s[76:77], s[80:81], exec
	s_and_b64 vcc, s[78:79], exec
                                        ; implicit-def: $vgpr0_vgpr1
	s_andn2_saveexec_b64 s[78:79], s[84:85]
	s_cbranch_execz .LBB169_3345
.LBB169_3421:                           ;   in Loop: Header=BB169_17 Depth=1
	v_cmp_gt_i16_sdwa s[60:61], v7, v34 src0_sel:BYTE_0 src1_sel:DWORD
                                        ; implicit-def: $vgpr54
	s_and_saveexec_b64 s[62:63], s[60:61]
	s_xor_b64 s[72:73], exec, s[62:63]
	s_cbranch_execz .LBB169_3443
; %bb.3422:                             ;   in Loop: Header=BB169_17 Depth=1
	v_cmp_gt_i16_sdwa s[60:61], v7, v35 src0_sel:BYTE_0 src1_sel:DWORD
                                        ; implicit-def: $vgpr54
	s_and_saveexec_b64 s[62:63], s[60:61]
	s_xor_b64 s[66:67], exec, s[62:63]
	s_cbranch_execz .LBB169_3432
; %bb.3423:                             ;   in Loop: Header=BB169_17 Depth=1
	;; [unrolled: 6-line block ×4, first 2 shown]
	flat_load_dwordx2 v[0:1], v[0:1]
	s_waitcnt vmcnt(0) lgkmcnt(0)
	v_cvt_f32_f64_e32 v54, v[0:1]
                                        ; implicit-def: $vgpr0_vgpr1
.LBB169_3426:                           ;   in Loop: Header=BB169_17 Depth=1
	s_andn2_saveexec_b64 s[60:61], s[60:61]
	s_cbranch_execz .LBB169_3428
; %bb.3427:                             ;   in Loop: Header=BB169_17 Depth=1
	flat_load_dword v54, v[0:1]
.LBB169_3428:                           ;   in Loop: Header=BB169_17 Depth=1
	s_or_b64 exec, exec, s[60:61]
                                        ; implicit-def: $vgpr0_vgpr1
.LBB169_3429:                           ;   in Loop: Header=BB169_17 Depth=1
	s_andn2_saveexec_b64 s[60:61], s[68:69]
	s_cbranch_execz .LBB169_3431
; %bb.3430:                             ;   in Loop: Header=BB169_17 Depth=1
	flat_load_dword v0, v[0:1]
	s_waitcnt vmcnt(0) lgkmcnt(0)
	v_cvt_f32_f16_e32 v54, v0
.LBB169_3431:                           ;   in Loop: Header=BB169_17 Depth=1
	s_or_b64 exec, exec, s[60:61]
                                        ; implicit-def: $vgpr0_vgpr1
.LBB169_3432:                           ;   in Loop: Header=BB169_17 Depth=1
	s_andn2_saveexec_b64 s[66:67], s[66:67]
	s_cbranch_execz .LBB169_3442
; %bb.3433:                             ;   in Loop: Header=BB169_17 Depth=1
	v_cmp_gt_i16_sdwa s[60:61], v7, v38 src0_sel:BYTE_0 src1_sel:DWORD
                                        ; implicit-def: $vgpr54
	s_and_saveexec_b64 s[62:63], s[60:61]
	s_xor_b64 s[68:69], exec, s[62:63]
	s_cbranch_execz .LBB169_3439
; %bb.3434:                             ;   in Loop: Header=BB169_17 Depth=1
	v_cmp_gt_i16_sdwa s[60:61], v7, v39 src0_sel:BYTE_0 src1_sel:DWORD
                                        ; implicit-def: $vgpr54
	s_and_saveexec_b64 s[62:63], s[60:61]
	s_xor_b64 s[60:61], exec, s[62:63]
	s_cbranch_execz .LBB169_3436
; %bb.3435:                             ;   in Loop: Header=BB169_17 Depth=1
	flat_load_dwordx2 v[0:1], v[0:1]
	s_waitcnt vmcnt(0) lgkmcnt(0)
	v_cvt_f32_f64_e32 v54, v[0:1]
                                        ; implicit-def: $vgpr0_vgpr1
.LBB169_3436:                           ;   in Loop: Header=BB169_17 Depth=1
	s_andn2_saveexec_b64 s[60:61], s[60:61]
	s_cbranch_execz .LBB169_3438
; %bb.3437:                             ;   in Loop: Header=BB169_17 Depth=1
	s_waitcnt vmcnt(0) lgkmcnt(0)
	flat_load_dword v54, v[0:1]
.LBB169_3438:                           ;   in Loop: Header=BB169_17 Depth=1
	s_or_b64 exec, exec, s[60:61]
                                        ; implicit-def: $vgpr0_vgpr1
.LBB169_3439:                           ;   in Loop: Header=BB169_17 Depth=1
	s_andn2_saveexec_b64 s[60:61], s[68:69]
	s_cbranch_execz .LBB169_3441
; %bb.3440:                             ;   in Loop: Header=BB169_17 Depth=1
	flat_load_ushort v0, v[0:1]
	s_waitcnt vmcnt(0) lgkmcnt(0)
	v_cvt_f32_f16_e32 v54, v0
.LBB169_3441:                           ;   in Loop: Header=BB169_17 Depth=1
	s_or_b64 exec, exec, s[60:61]
.LBB169_3442:                           ;   in Loop: Header=BB169_17 Depth=1
	s_or_b64 exec, exec, s[66:67]
                                        ; implicit-def: $vgpr0_vgpr1
.LBB169_3443:                           ;   in Loop: Header=BB169_17 Depth=1
	s_andn2_saveexec_b64 s[72:73], s[72:73]
	s_cbranch_execz .LBB169_3461
; %bb.3444:                             ;   in Loop: Header=BB169_17 Depth=1
	v_cmp_gt_i16_sdwa s[60:61], v7, v48 src0_sel:BYTE_0 src1_sel:DWORD
                                        ; implicit-def: $vgpr54
	s_and_saveexec_b64 s[62:63], s[60:61]
	s_xor_b64 s[74:75], exec, s[62:63]
	s_cbranch_execz .LBB169_3454
; %bb.3445:                             ;   in Loop: Header=BB169_17 Depth=1
	v_cmp_gt_i16_sdwa s[60:61], v7, v49 src0_sel:BYTE_0 src1_sel:DWORD
                                        ; implicit-def: $vgpr54
	s_and_saveexec_b64 s[62:63], s[60:61]
	s_xor_b64 s[66:67], exec, s[62:63]
	;; [unrolled: 6-line block ×3, first 2 shown]
	s_cbranch_execz .LBB169_3448
; %bb.3447:                             ;   in Loop: Header=BB169_17 Depth=1
	flat_load_dwordx2 v[0:1], v[0:1]
	s_waitcnt vmcnt(0) lgkmcnt(0)
	v_xor_b32_e32 v54, v0, v1
	v_ffbh_i32_e32 v52, v1
	v_ashrrev_i32_e32 v54, 31, v54
	v_add_u32_e32 v52, -1, v52
	v_add_u32_e32 v54, 32, v54
	v_min_u32_e32 v52, v52, v54
	v_lshlrev_b64 v[0:1], v52, v[0:1]
	v_min_u32_e32 v0, 1, v0
	v_or_b32_e32 v0, v1, v0
	v_cvt_f32_i32_e32 v0, v0
	v_sub_u32_e32 v1, 32, v52
	v_ldexp_f32 v54, v0, v1
                                        ; implicit-def: $vgpr0_vgpr1
.LBB169_3448:                           ;   in Loop: Header=BB169_17 Depth=1
	s_andn2_saveexec_b64 s[60:61], s[68:69]
	s_cbranch_execz .LBB169_3450
; %bb.3449:                             ;   in Loop: Header=BB169_17 Depth=1
	flat_load_dword v0, v[0:1]
	s_waitcnt vmcnt(0) lgkmcnt(0)
	v_cvt_f32_i32_e32 v54, v0
.LBB169_3450:                           ;   in Loop: Header=BB169_17 Depth=1
	s_or_b64 exec, exec, s[60:61]
                                        ; implicit-def: $vgpr0_vgpr1
.LBB169_3451:                           ;   in Loop: Header=BB169_17 Depth=1
	s_andn2_saveexec_b64 s[60:61], s[66:67]
	s_cbranch_execz .LBB169_3453
; %bb.3452:                             ;   in Loop: Header=BB169_17 Depth=1
	flat_load_sshort v0, v[0:1]
	s_waitcnt vmcnt(0) lgkmcnt(0)
	v_cvt_f32_i32_e32 v54, v0
.LBB169_3453:                           ;   in Loop: Header=BB169_17 Depth=1
	s_or_b64 exec, exec, s[60:61]
                                        ; implicit-def: $vgpr0_vgpr1
.LBB169_3454:                           ;   in Loop: Header=BB169_17 Depth=1
	s_andn2_saveexec_b64 s[66:67], s[74:75]
	s_cbranch_execz .LBB169_3460
; %bb.3455:                             ;   in Loop: Header=BB169_17 Depth=1
	v_cmp_gt_i16_sdwa s[60:61], v7, v6 src0_sel:BYTE_0 src1_sel:DWORD
                                        ; implicit-def: $vgpr54
	s_and_saveexec_b64 s[62:63], s[60:61]
	s_xor_b64 s[60:61], exec, s[62:63]
	s_cbranch_execz .LBB169_3457
; %bb.3456:                             ;   in Loop: Header=BB169_17 Depth=1
	flat_load_sbyte v0, v[0:1]
	s_waitcnt vmcnt(0) lgkmcnt(0)
	v_cvt_f32_i32_e32 v54, v0
                                        ; implicit-def: $vgpr0_vgpr1
.LBB169_3457:                           ;   in Loop: Header=BB169_17 Depth=1
	s_andn2_saveexec_b64 s[60:61], s[60:61]
	s_cbranch_execz .LBB169_3459
; %bb.3458:                             ;   in Loop: Header=BB169_17 Depth=1
	flat_load_ubyte v0, v[0:1]
	s_waitcnt vmcnt(0) lgkmcnt(0)
	v_cvt_f32_ubyte0_e32 v54, v0
.LBB169_3459:                           ;   in Loop: Header=BB169_17 Depth=1
	s_or_b64 exec, exec, s[60:61]
.LBB169_3460:                           ;   in Loop: Header=BB169_17 Depth=1
	s_or_b64 exec, exec, s[66:67]
.LBB169_3461:                           ;   in Loop: Header=BB169_17 Depth=1
	s_or_b64 exec, exec, s[72:73]
	s_andn2_b64 s[92:93], s[92:93], exec
	s_andn2_b64 s[76:77], s[76:77], exec
	s_or_b64 vcc, vcc, exec
	s_or_b64 exec, exec, s[78:79]
	s_mov_b64 s[70:71], 0
	s_and_saveexec_b64 s[84:85], vcc
	s_cbranch_execz .LBB169_3467
.LBB169_3462:                           ;   in Loop: Header=BB169_17 Depth=1
	v_mul_lo_u32 v0, v53, v10
	v_readlane_b32 s60, v78, 0
	v_add_co_u32_e32 v0, vcc, v4, v0
	v_add_u32_e32 v52, s60, v11
	v_addc_co_u32_e32 v1, vcc, 0, v5, vcc
	v_cmp_gt_i16_sdwa s[60:61], v8, v12 src0_sel:BYTE_0 src1_sel:DWORD
	s_mov_b64 s[78:79], 0
	s_waitcnt vmcnt(0) lgkmcnt(0)
	buffer_store_dword v54, v52, s[0:3], 0 offen offset:124
                                        ; implicit-def: $vcc
                                        ; implicit-def: $sgpr86_sgpr87
                                        ; implicit-def: $vgpr53
	s_and_saveexec_b64 s[62:63], s[60:61]
	s_xor_b64 s[62:63], exec, s[62:63]
	s_cbranch_execnz .LBB169_3486
; %bb.3463:                             ;   in Loop: Header=BB169_17 Depth=1
	s_andn2_saveexec_b64 s[80:81], s[62:63]
	s_cbranch_execnz .LBB169_3545
.LBB169_3464:                           ;   in Loop: Header=BB169_17 Depth=1
	s_or_b64 exec, exec, s[80:81]
	s_mov_b64 s[66:67], 0
	s_and_saveexec_b64 s[68:69], s[78:79]
	s_cbranch_execz .LBB169_3466
.LBB169_3465:                           ;   in Loop: Header=BB169_17 Depth=1
	s_mov_b64 s[66:67], exec
	v_add_u32_e32 v51, 0x200, v51
	s_andn2_b64 s[86:87], s[86:87], exec
	s_andn2_b64 vcc, vcc, exec
	s_waitcnt vmcnt(0) lgkmcnt(0)
	buffer_store_dword v53, v52, s[0:3], 0 offen offset:120
.LBB169_3466:                           ;   in Loop: Header=BB169_17 Depth=1
	s_or_b64 exec, exec, s[68:69]
	s_andn2_b64 s[60:61], s[92:93], exec
	s_and_b64 s[62:63], s[86:87], exec
	s_or_b64 s[92:93], s[60:61], s[62:63]
	s_andn2_b64 s[60:61], s[76:77], exec
	s_and_b64 vcc, vcc, exec
	s_or_b64 s[76:77], s[60:61], vcc
	s_and_b64 s[70:71], s[66:67], exec
.LBB169_3467:                           ;   in Loop: Header=BB169_17 Depth=1
	s_or_b64 exec, exec, s[84:85]
	s_and_b64 s[68:69], s[92:93], exec
	s_and_b64 s[66:67], s[76:77], exec
	s_orn2_b64 s[70:71], s[70:71], exec
.LBB169_3468:                           ;   in Loop: Header=BB169_17 Depth=1
	s_or_b64 exec, exec, s[90:91]
	s_and_saveexec_b64 vcc, s[70:71]
	s_cbranch_execz .LBB169_1
; %bb.3469:                             ;   in Loop: Header=BB169_17 Depth=1
	v_readlane_b32 s60, v78, 0
	s_addk_i32 s60, 0x80
	s_cmpk_eq_i32 s60, 0x100
	v_writelane_b32 v78, s60, 0
	s_cselect_b64 s[60:61], -1, 0
	s_orn2_b64 s[60:61], s[60:61], exec
	s_andn2_b64 s[68:69], s[68:69], exec
	s_andn2_b64 s[66:67], s[66:67], exec
	v_writelane_b32 v78, s60, 46
	v_writelane_b32 v78, s61, 47
	s_branch .LBB169_1
.LBB169_3470:                           ;   in Loop: Header=BB169_17 Depth=1
	s_movk_i32 vcc_lo, 0x80
	v_cmp_eq_u16_e32 vcc, vcc_lo, v0
	s_mov_b64 s[66:67], -1
                                        ; implicit-def: $sgpr70
	s_and_saveexec_b64 s[60:61], vcc
; %bb.3471:                             ;   in Loop: Header=BB169_17 Depth=1
	s_mov_b32 s70, 0x7f800001
	s_xor_b64 s[66:67], exec, -1
; %bb.3472:                             ;   in Loop: Header=BB169_17 Depth=1
	s_or_b64 exec, exec, s[60:61]
	s_and_b64 s[66:67], s[66:67], exec
	s_or_saveexec_b64 s[68:69], s[68:69]
	v_mov_b32_e32 v53, s70
	s_xor_b64 exec, exec, s[68:69]
	s_cbranch_execz .LBB169_2392
.LBB169_3473:                           ;   in Loop: Header=BB169_17 Depth=1
	v_cmp_ne_u16_e32 vcc, 0, v0
	s_andn2_b64 s[60:61], s[66:67], exec
	s_and_b64 vcc, vcc, exec
	v_mov_b32_e32 v53, 0
	s_or_b64 s[66:67], s[60:61], vcc
	s_or_b64 exec, exec, s[68:69]
	s_and_saveexec_b64 s[68:69], s[66:67]
	s_cbranch_execnz .LBB169_2393
	s_branch .LBB169_2394
.LBB169_3474:                           ;   in Loop: Header=BB169_17 Depth=1
	s_movk_i32 vcc_lo, 0x80
	v_cmp_eq_u16_e32 vcc, vcc_lo, v0
	s_mov_b64 s[66:67], -1
                                        ; implicit-def: $sgpr70
	s_and_saveexec_b64 s[60:61], vcc
; %bb.3475:                             ;   in Loop: Header=BB169_17 Depth=1
	s_mov_b32 s70, 0x7f800001
	s_xor_b64 s[66:67], exec, -1
; %bb.3476:                             ;   in Loop: Header=BB169_17 Depth=1
	s_or_b64 exec, exec, s[60:61]
	s_and_b64 s[66:67], s[66:67], exec
	s_or_saveexec_b64 s[68:69], s[68:69]
	v_mov_b32_e32 v54, s70
	s_xor_b64 exec, exec, s[68:69]
	s_cbranch_execz .LBB169_2492
.LBB169_3477:                           ;   in Loop: Header=BB169_17 Depth=1
	v_cmp_ne_u16_e32 vcc, 0, v0
	s_andn2_b64 s[60:61], s[66:67], exec
	s_and_b64 vcc, vcc, exec
	v_mov_b32_e32 v54, 0
	s_or_b64 s[66:67], s[60:61], vcc
	s_or_b64 exec, exec, s[68:69]
	s_and_saveexec_b64 s[68:69], s[66:67]
	s_cbranch_execnz .LBB169_2493
	s_branch .LBB169_2494
.LBB169_3478:                           ;   in Loop: Header=BB169_17 Depth=1
	s_movk_i32 vcc_lo, 0x80
	v_cmp_eq_u16_e32 vcc, vcc_lo, v0
	s_mov_b64 s[66:67], -1
                                        ; implicit-def: $sgpr70
	s_and_saveexec_b64 s[60:61], vcc
; %bb.3479:                             ;   in Loop: Header=BB169_17 Depth=1
	s_mov_b32 s70, 0x7f800001
	s_xor_b64 s[66:67], exec, -1
; %bb.3480:                             ;   in Loop: Header=BB169_17 Depth=1
	s_or_b64 exec, exec, s[60:61]
	s_and_b64 s[66:67], s[66:67], exec
	s_or_saveexec_b64 s[68:69], s[68:69]
	v_mov_b32_e32 v53, s70
	s_xor_b64 exec, exec, s[68:69]
	s_cbranch_execz .LBB169_2608
.LBB169_3481:                           ;   in Loop: Header=BB169_17 Depth=1
	v_cmp_ne_u16_e32 vcc, 0, v0
	s_andn2_b64 s[60:61], s[66:67], exec
	s_and_b64 vcc, vcc, exec
	v_mov_b32_e32 v53, 0
	s_or_b64 s[66:67], s[60:61], vcc
	s_or_b64 exec, exec, s[68:69]
	s_and_saveexec_b64 s[68:69], s[66:67]
	s_cbranch_execnz .LBB169_2609
	s_branch .LBB169_2610
.LBB169_3482:                           ;   in Loop: Header=BB169_17 Depth=1
	s_movk_i32 vcc_lo, 0x80
	v_cmp_eq_u16_e32 vcc, vcc_lo, v0
	s_mov_b64 s[66:67], -1
                                        ; implicit-def: $sgpr70
	s_and_saveexec_b64 s[60:61], vcc
; %bb.3483:                             ;   in Loop: Header=BB169_17 Depth=1
	s_mov_b32 s70, 0x7f800001
	s_xor_b64 s[66:67], exec, -1
; %bb.3484:                             ;   in Loop: Header=BB169_17 Depth=1
	s_or_b64 exec, exec, s[60:61]
	s_and_b64 s[66:67], s[66:67], exec
	s_or_saveexec_b64 s[68:69], s[68:69]
	v_mov_b32_e32 v54, s70
	s_xor_b64 exec, exec, s[68:69]
	s_cbranch_execz .LBB169_2708
.LBB169_3485:                           ;   in Loop: Header=BB169_17 Depth=1
	v_cmp_ne_u16_e32 vcc, 0, v0
	s_andn2_b64 s[60:61], s[66:67], exec
	s_and_b64 vcc, vcc, exec
	v_mov_b32_e32 v54, 0
	s_or_b64 s[66:67], s[60:61], vcc
	s_or_b64 exec, exec, s[68:69]
	s_and_saveexec_b64 s[68:69], s[66:67]
	s_cbranch_execnz .LBB169_2709
	s_branch .LBB169_2710
.LBB169_3486:                           ;   in Loop: Header=BB169_17 Depth=1
	v_cmp_gt_i16_sdwa vcc, v8, v13 src0_sel:BYTE_0 src1_sel:DWORD
                                        ; implicit-def: $sgpr66_sgpr67
                                        ; implicit-def: $sgpr86_sgpr87
                                        ; implicit-def: $vgpr53
	s_and_saveexec_b64 s[60:61], vcc
	s_xor_b64 s[60:61], exec, s[60:61]
	v_writelane_b32 v78, s62, 48
	v_writelane_b32 v78, s63, 49
	s_cbranch_execz .LBB169_3518
; %bb.3487:                             ;   in Loop: Header=BB169_17 Depth=1
	v_writelane_b32 v78, s60, 50
	v_cmp_gt_i16_sdwa vcc, v8, v14 src0_sel:BYTE_0 src1_sel:DWORD
	v_writelane_b32 v78, s61, 51
                                        ; implicit-def: $sgpr72_sgpr73
                                        ; implicit-def: $sgpr86_sgpr87
                                        ; implicit-def: $vgpr53
	s_and_saveexec_b64 s[60:61], vcc
	s_xor_b64 s[80:81], exec, s[60:61]
	s_cbranch_execz .LBB169_3503
; %bb.3488:                             ;   in Loop: Header=BB169_17 Depth=1
	v_cmp_gt_i16_sdwa s[60:61], v8, v15 src0_sel:BYTE_0 src1_sel:DWORD
	s_mov_b64 s[74:75], 0
                                        ; implicit-def: $vcc
                                        ; implicit-def: $sgpr86_sgpr87
                                        ; implicit-def: $vgpr53
	s_and_saveexec_b64 s[62:63], s[60:61]
	s_xor_b64 s[72:73], exec, s[62:63]
	s_cbranch_execz .LBB169_3498
; %bb.3489:                             ;   in Loop: Header=BB169_17 Depth=1
	v_cmp_gt_i16_sdwa vcc, v8, v16 src0_sel:BYTE_0 src1_sel:DWORD
                                        ; implicit-def: $sgpr86_sgpr87
                                        ; implicit-def: $sgpr74_sgpr75
                                        ; implicit-def: $vgpr53
	s_and_saveexec_b64 s[60:61], vcc
	s_xor_b64 vcc, exec, s[60:61]
	s_cbranch_execz .LBB169_3493
; %bb.3490:                             ;   in Loop: Header=BB169_17 Depth=1
	v_cmp_eq_u16_sdwa s[62:63], v8, v17 src0_sel:BYTE_0 src1_sel:DWORD
	s_mov_b64 s[74:75], 0
	s_mov_b64 s[66:67], 0
                                        ; implicit-def: $vgpr53
	s_and_saveexec_b64 s[60:61], s[62:63]
	s_cbranch_execz .LBB169_3492
; %bb.3491:                             ;   in Loop: Header=BB169_17 Depth=1
	flat_load_dword v0, v[0:1]
	s_mov_b64 s[66:67], exec
	s_waitcnt vmcnt(0) lgkmcnt(0)
	v_lshlrev_b32_e32 v53, 16, v0
.LBB169_3492:                           ;   in Loop: Header=BB169_17 Depth=1
	s_or_b64 exec, exec, s[60:61]
	s_mov_b64 s[86:87], -1
	s_and_b64 s[78:79], s[66:67], exec
                                        ; implicit-def: $vgpr0_vgpr1
.LBB169_3493:                           ;   in Loop: Header=BB169_17 Depth=1
	s_andn2_saveexec_b64 s[66:67], vcc
	s_cbranch_execz .LBB169_3497
; %bb.3494:                             ;   in Loop: Header=BB169_17 Depth=1
	v_cmp_eq_u16_sdwa s[60:61], v8, v18 src0_sel:BYTE_0 src1_sel:DWORD
	s_mov_b64 vcc, s[78:79]
                                        ; implicit-def: $vgpr53
	s_and_saveexec_b64 s[68:69], s[60:61]
	s_cbranch_execz .LBB169_3496
; %bb.3495:                             ;   in Loop: Header=BB169_17 Depth=1
	flat_load_ubyte v0, v[0:1]
	s_movk_i32 vcc_lo, 0xff
	s_waitcnt vmcnt(0) lgkmcnt(0)
	v_lshlrev_b32_e32 v1, 23, v0
	v_cmp_ne_u32_e32 vcc, vcc_lo, v0
	v_cndmask_b32_e32 v1, v19, v1, vcc
	v_cmp_ne_u32_e32 vcc, 0, v0
	v_cndmask_b32_e32 v53, v20, v1, vcc
	s_or_b64 vcc, s[78:79], exec
.LBB169_3496:                           ;   in Loop: Header=BB169_17 Depth=1
	s_or_b64 exec, exec, s[68:69]
	s_andn2_b64 s[60:61], s[78:79], exec
	s_and_b64 vcc, vcc, exec
	s_or_b64 s[86:87], s[86:87], exec
	s_andn2_b64 s[74:75], s[74:75], exec
	s_or_b64 s[78:79], s[60:61], vcc
.LBB169_3497:                           ;   in Loop: Header=BB169_17 Depth=1
	s_or_b64 exec, exec, s[66:67]
	s_and_b64 s[86:87], s[86:87], exec
	s_and_b64 vcc, s[74:75], exec
	s_and_b64 s[74:75], s[78:79], exec
                                        ; implicit-def: $vgpr0_vgpr1
.LBB169_3498:                           ;   in Loop: Header=BB169_17 Depth=1
	s_andn2_saveexec_b64 s[66:67], s[72:73]
	s_cbranch_execz .LBB169_3502
; %bb.3499:                             ;   in Loop: Header=BB169_17 Depth=1
	v_cmp_eq_u16_sdwa s[60:61], v8, v21 src0_sel:BYTE_0 src1_sel:DWORD
	s_mov_b64 s[70:71], s[74:75]
                                        ; implicit-def: $vgpr53
	s_and_saveexec_b64 s[68:69], s[60:61]
	s_cbranch_execz .LBB169_3501
; %bb.3500:                             ;   in Loop: Header=BB169_17 Depth=1
	flat_load_dwordx2 v[0:1], v[0:1]
	s_or_b64 s[70:71], s[74:75], exec
	s_waitcnt vmcnt(0) lgkmcnt(0)
	v_ffbh_u32_e32 v53, v1
	v_min_u32_e32 v53, 32, v53
	v_lshlrev_b64 v[0:1], v53, v[0:1]
	v_min_u32_e32 v0, 1, v0
	v_or_b32_e32 v0, v1, v0
	v_cvt_f32_u32_e32 v0, v0
	v_sub_u32_e32 v1, 32, v53
	v_ldexp_f32 v53, v0, v1
.LBB169_3501:                           ;   in Loop: Header=BB169_17 Depth=1
	s_or_b64 exec, exec, s[68:69]
	s_andn2_b64 s[60:61], s[74:75], exec
	s_and_b64 s[62:63], s[70:71], exec
	s_or_b64 s[86:87], s[86:87], exec
	s_andn2_b64 vcc, vcc, exec
	s_or_b64 s[74:75], s[60:61], s[62:63]
.LBB169_3502:                           ;   in Loop: Header=BB169_17 Depth=1
	s_or_b64 exec, exec, s[66:67]
	s_and_b64 s[86:87], s[86:87], exec
	s_and_b64 s[72:73], vcc, exec
	s_and_b64 s[78:79], s[74:75], exec
                                        ; implicit-def: $vgpr0_vgpr1
.LBB169_3503:                           ;   in Loop: Header=BB169_17 Depth=1
	s_andn2_saveexec_b64 s[80:81], s[80:81]
	s_cbranch_execz .LBB169_3517
; %bb.3504:                             ;   in Loop: Header=BB169_17 Depth=1
	v_cmp_gt_i16_sdwa vcc, v8, v22 src0_sel:BYTE_0 src1_sel:DWORD
                                        ; implicit-def: $vgpr53
	s_and_saveexec_b64 s[60:61], vcc
	s_xor_b64 vcc, exec, s[60:61]
	s_cbranch_execz .LBB169_3510
; %bb.3505:                             ;   in Loop: Header=BB169_17 Depth=1
	v_cmp_gt_i16_sdwa s[60:61], v8, v23 src0_sel:BYTE_0 src1_sel:DWORD
                                        ; implicit-def: $vgpr53
	s_and_saveexec_b64 s[62:63], s[60:61]
	s_xor_b64 s[60:61], exec, s[62:63]
	s_cbranch_execz .LBB169_3507
; %bb.3506:                             ;   in Loop: Header=BB169_17 Depth=1
	flat_load_dword v0, v[0:1]
	s_waitcnt vmcnt(0) lgkmcnt(0)
	v_cvt_f32_u32_e32 v53, v0
                                        ; implicit-def: $vgpr0_vgpr1
.LBB169_3507:                           ;   in Loop: Header=BB169_17 Depth=1
	s_andn2_saveexec_b64 s[60:61], s[60:61]
	s_cbranch_execz .LBB169_3509
; %bb.3508:                             ;   in Loop: Header=BB169_17 Depth=1
	flat_load_ushort v0, v[0:1]
	s_waitcnt vmcnt(0) lgkmcnt(0)
	v_cvt_f32_u32_e32 v53, v0
.LBB169_3509:                           ;   in Loop: Header=BB169_17 Depth=1
	s_or_b64 exec, exec, s[60:61]
                                        ; implicit-def: $vgpr0_vgpr1
.LBB169_3510:                           ;   in Loop: Header=BB169_17 Depth=1
	s_andn2_saveexec_b64 s[74:75], vcc
	s_cbranch_execz .LBB169_3516
; %bb.3511:                             ;   in Loop: Header=BB169_17 Depth=1
	flat_load_ubyte v0, v[0:1]
	s_movk_i32 vcc_lo, 0x7f
	s_mov_b64 s[66:67], 0
                                        ; implicit-def: $sgpr70
	s_waitcnt vmcnt(0) lgkmcnt(0)
	v_cmp_lt_i16_e32 vcc, vcc_lo, v0
	s_and_saveexec_b64 s[60:61], vcc
	s_xor_b64 s[68:69], exec, s[60:61]
	s_cbranch_execnz .LBB169_3642
; %bb.3512:                             ;   in Loop: Header=BB169_17 Depth=1
	s_or_saveexec_b64 s[68:69], s[68:69]
	v_mov_b32_e32 v53, s70
	s_xor_b64 exec, exec, s[68:69]
	s_cbranch_execnz .LBB169_3645
.LBB169_3513:                           ;   in Loop: Header=BB169_17 Depth=1
	s_or_b64 exec, exec, s[68:69]
	s_and_saveexec_b64 s[68:69], s[66:67]
	s_cbranch_execz .LBB169_3515
.LBB169_3514:                           ;   in Loop: Header=BB169_17 Depth=1
	v_lshlrev_b32_e32 v1, 24, v0
	v_and_b32_e32 v0, 0xffff, v0
	v_and_b32_e32 v53, 7, v0
	v_ffbh_u32_e32 v55, v53
	v_min_u32_e32 v55, 32, v55
	v_subrev_u32_e32 v64, 28, v55
	v_bfe_u32 v54, v0, 3, 4
	v_lshlrev_b32_e32 v0, v64, v0
	v_sub_u32_e32 v55, 29, v55
	v_and_b32_e32 v0, 7, v0
	v_cmp_eq_u32_e32 vcc, 0, v54
	v_cndmask_b32_e32 v54, v54, v55, vcc
	v_cndmask_b32_e32 v0, v53, v0, vcc
	v_lshlrev_b32_e32 v0, 20, v0
	v_and_b32_e32 v1, 0x80000000, v1
	v_lshl_add_u32 v53, v54, 23, v24
	v_or3_b32 v53, v1, v53, v0
.LBB169_3515:                           ;   in Loop: Header=BB169_17 Depth=1
	s_or_b64 exec, exec, s[68:69]
.LBB169_3516:                           ;   in Loop: Header=BB169_17 Depth=1
	s_or_b64 exec, exec, s[74:75]
	s_andn2_b64 s[86:87], s[86:87], exec
	s_andn2_b64 s[72:73], s[72:73], exec
	s_or_b64 s[78:79], s[78:79], exec
.LBB169_3517:                           ;   in Loop: Header=BB169_17 Depth=1
	s_or_b64 exec, exec, s[80:81]
	v_readlane_b32 s62, v78, 48
	v_readlane_b32 s60, v78, 50
	s_and_b64 s[86:87], s[86:87], exec
	s_and_b64 s[66:67], s[72:73], exec
	s_and_b64 s[78:79], s[78:79], exec
	v_readlane_b32 s63, v78, 49
	v_readlane_b32 s61, v78, 51
                                        ; implicit-def: $vgpr0_vgpr1
.LBB169_3518:                           ;   in Loop: Header=BB169_17 Depth=1
	s_andn2_saveexec_b64 s[80:81], s[60:61]
	s_cbranch_execz .LBB169_3544
; %bb.3519:                             ;   in Loop: Header=BB169_17 Depth=1
	v_writelane_b32 v78, s66, 52
	v_writelane_b32 v78, s67, 53
	;; [unrolled: 1-line block ×3, first 2 shown]
	v_cmp_gt_i16_sdwa vcc, v8, v25 src0_sel:BYTE_0 src1_sel:DWORD
	s_mov_b64 s[74:75], s[78:79]
	v_writelane_b32 v78, s77, 55
                                        ; implicit-def: $vgpr53
	s_and_saveexec_b64 s[60:61], vcc
	s_xor_b64 s[72:73], exec, s[60:61]
	s_cbranch_execz .LBB169_3533
; %bb.3520:                             ;   in Loop: Header=BB169_17 Depth=1
	v_cmp_gt_i16_sdwa vcc, v8, v26 src0_sel:BYTE_0 src1_sel:DWORD
                                        ; implicit-def: $vgpr53
	s_and_saveexec_b64 s[60:61], vcc
	s_xor_b64 s[62:63], exec, s[60:61]
	s_cbranch_execz .LBB169_3530
; %bb.3521:                             ;   in Loop: Header=BB169_17 Depth=1
	v_cmp_gt_i16_sdwa vcc, v8, v27 src0_sel:BYTE_0 src1_sel:DWORD
                                        ; implicit-def: $vgpr53
	s_and_saveexec_b64 s[60:61], vcc
	s_xor_b64 s[74:75], exec, s[60:61]
	s_cbranch_execz .LBB169_3527
; %bb.3522:                             ;   in Loop: Header=BB169_17 Depth=1
	flat_load_ubyte v0, v[0:1]
	s_movk_i32 vcc_lo, 0x7f
	s_mov_b64 s[66:67], 0
                                        ; implicit-def: $sgpr70
	s_waitcnt vmcnt(0) lgkmcnt(0)
	v_cmp_lt_i16_e32 vcc, vcc_lo, v0
	s_and_saveexec_b64 s[60:61], vcc
	s_xor_b64 s[68:69], exec, s[60:61]
	s_cbranch_execnz .LBB169_3646
; %bb.3523:                             ;   in Loop: Header=BB169_17 Depth=1
	s_or_saveexec_b64 s[68:69], s[68:69]
	v_mov_b32_e32 v53, s70
	s_xor_b64 exec, exec, s[68:69]
	s_cbranch_execnz .LBB169_3649
.LBB169_3524:                           ;   in Loop: Header=BB169_17 Depth=1
	s_or_b64 exec, exec, s[68:69]
	s_and_saveexec_b64 s[68:69], s[66:67]
	s_cbranch_execz .LBB169_3526
.LBB169_3525:                           ;   in Loop: Header=BB169_17 Depth=1
	v_lshlrev_b32_e32 v1, 24, v0
	v_and_b32_e32 v0, 0xffff, v0
	v_and_b32_e32 v53, 3, v0
	v_ffbh_u32_e32 v55, v53
	v_min_u32_e32 v55, 32, v55
	v_subrev_u32_e32 v64, 29, v55
	v_bfe_u32 v54, v0, 2, 5
	v_lshlrev_b32_e32 v0, v64, v0
	v_sub_u32_e32 v55, 30, v55
	v_and_b32_e32 v0, 3, v0
	v_cmp_eq_u32_e32 vcc, 0, v54
	v_cndmask_b32_e32 v54, v54, v55, vcc
	v_cndmask_b32_e32 v0, v53, v0, vcc
	v_lshlrev_b32_e32 v0, 21, v0
	v_and_b32_e32 v1, 0x80000000, v1
	v_lshl_add_u32 v53, v54, 23, v28
	v_or3_b32 v53, v1, v53, v0
.LBB169_3526:                           ;   in Loop: Header=BB169_17 Depth=1
	s_or_b64 exec, exec, s[68:69]
                                        ; implicit-def: $vgpr0_vgpr1
.LBB169_3527:                           ;   in Loop: Header=BB169_17 Depth=1
	s_andn2_saveexec_b64 s[66:67], s[74:75]
	s_cbranch_execz .LBB169_3529
; %bb.3528:                             ;   in Loop: Header=BB169_17 Depth=1
	flat_load_ubyte v0, v[0:1]
	s_mov_b32 vcc_lo, 0x7f800000
	s_waitcnt vmcnt(0) lgkmcnt(0)
	v_lshlrev_b32_e32 v0, 24, v0
	v_and_b32_e32 v1, 0x7f000000, v0
	v_ffbh_u32_e32 v53, v1
	v_min_u32_e32 v53, 32, v53
	v_sub_u32_e64 v53, v53, 4 clamp
	v_lshlrev_b32_e32 v55, v53, v1
	v_lshlrev_b32_e32 v53, 23, v53
	v_lshrrev_b32_e32 v55, 4, v55
	v_add_u32_e32 v54, 0x1000000, v1
	v_sub_u32_e32 v53, v55, v53
	v_ashrrev_i32_e32 v54, 8, v54
	v_add_u32_e32 v53, 0x3c000000, v53
	v_and_or_b32 v53, v54, vcc_lo, v53
	v_cmp_ne_u32_e32 vcc, 0, v1
	v_cndmask_b32_e32 v1, 0, v53, vcc
	s_brev_b32 vcc_lo, 1
	v_and_or_b32 v53, v0, vcc_lo, v1
.LBB169_3529:                           ;   in Loop: Header=BB169_17 Depth=1
	s_or_b64 exec, exec, s[66:67]
                                        ; implicit-def: $vgpr0_vgpr1
.LBB169_3530:                           ;   in Loop: Header=BB169_17 Depth=1
	s_andn2_saveexec_b64 s[66:67], s[62:63]
	s_cbranch_execz .LBB169_3532
; %bb.3531:                             ;   in Loop: Header=BB169_17 Depth=1
	flat_load_ubyte v0, v[0:1]
	s_movk_i32 vcc_lo, 0x7f00
	s_waitcnt vmcnt(0) lgkmcnt(0)
	v_lshlrev_b16_e32 v1, 8, v0
	v_lshlrev_b32_e32 v0, 25, v0
	v_lshrrev_b32_e32 v53, 4, v0
	v_and_or_b32 v54, v1, vcc_lo, 0.5
	v_or_b32_e32 v53, 0x70000000, v53
	s_brev_b32 vcc_lo, 16
	v_add_f32_e32 v54, -0.5, v54
	v_mul_f32_e32 v53, 0x7800000, v53
	v_cmp_gt_u32_e32 vcc, vcc_lo, v0
	v_cndmask_b32_e32 v0, v53, v54, vcc
	v_bfe_i32 v1, v1, 0, 16
	s_brev_b32 vcc_lo, 1
	v_and_or_b32 v53, v1, vcc_lo, v0
.LBB169_3532:                           ;   in Loop: Header=BB169_17 Depth=1
	s_or_b64 exec, exec, s[66:67]
	s_or_b64 s[74:75], s[78:79], exec
                                        ; implicit-def: $vgpr0_vgpr1
.LBB169_3533:                           ;   in Loop: Header=BB169_17 Depth=1
	s_or_saveexec_b64 s[72:73], s[72:73]
                                        ; implicit-def: $vcc
                                        ; implicit-def: $sgpr68_sgpr69
	s_xor_b64 exec, exec, s[72:73]
	s_cbranch_execz .LBB169_3543
; %bb.3534:                             ;   in Loop: Header=BB169_17 Depth=1
	v_cmp_gt_i16_sdwa vcc, v8, v29 src0_sel:BYTE_0 src1_sel:DWORD
	s_mov_b64 s[66:67], s[74:75]
                                        ; implicit-def: $sgpr68_sgpr69
                                        ; implicit-def: $sgpr76_sgpr77
                                        ; implicit-def: $vgpr53
	s_and_saveexec_b64 s[60:61], vcc
	s_xor_b64 vcc, exec, s[60:61]
	s_cbranch_execz .LBB169_3538
; %bb.3535:                             ;   in Loop: Header=BB169_17 Depth=1
	v_cmp_eq_u16_sdwa s[62:63], v8, v32 src0_sel:BYTE_0 src1_sel:DWORD
	s_mov_b64 s[66:67], s[74:75]
                                        ; implicit-def: $vgpr53
	s_and_saveexec_b64 s[60:61], s[62:63]
	s_cbranch_execz .LBB169_3537
; %bb.3536:                             ;   in Loop: Header=BB169_17 Depth=1
	flat_load_ushort v0, v[0:1]
	s_or_b64 s[66:67], s[74:75], exec
	s_waitcnt vmcnt(0) lgkmcnt(0)
	v_lshlrev_b32_e32 v53, 16, v0
.LBB169_3537:                           ;   in Loop: Header=BB169_17 Depth=1
	s_or_b64 exec, exec, s[60:61]
	s_andn2_b64 s[60:61], s[74:75], exec
	s_and_b64 s[62:63], s[66:67], exec
	s_mov_b64 s[76:77], 0
	s_mov_b64 s[68:69], -1
	s_or_b64 s[66:67], s[60:61], s[62:63]
                                        ; implicit-def: $vgpr0_vgpr1
.LBB169_3538:                           ;   in Loop: Header=BB169_17 Depth=1
	s_andn2_saveexec_b64 s[70:71], vcc
	s_cbranch_execz .LBB169_3542
; %bb.3539:                             ;   in Loop: Header=BB169_17 Depth=1
	v_cmp_eq_u16_sdwa s[62:63], v8, v33 src0_sel:BYTE_0 src1_sel:DWORD
	s_mov_b64 vcc, s[66:67]
                                        ; implicit-def: $vgpr53
	s_and_saveexec_b64 s[60:61], s[62:63]
	s_cbranch_execz .LBB169_3541
; %bb.3540:                             ;   in Loop: Header=BB169_17 Depth=1
	flat_load_ubyte v0, v[0:1]
	s_waitcnt vmcnt(0) lgkmcnt(0)
	v_cmp_ne_u16_e32 vcc, 0, v0
	v_cndmask_b32_e64 v53, 0, 1.0, vcc
	s_or_b64 vcc, s[66:67], exec
.LBB169_3541:                           ;   in Loop: Header=BB169_17 Depth=1
	s_or_b64 exec, exec, s[60:61]
	s_andn2_b64 s[60:61], s[66:67], exec
	s_and_b64 vcc, vcc, exec
	s_or_b64 s[68:69], s[68:69], exec
	s_andn2_b64 s[76:77], s[76:77], exec
	s_or_b64 s[66:67], s[60:61], vcc
.LBB169_3542:                           ;   in Loop: Header=BB169_17 Depth=1
	s_or_b64 exec, exec, s[70:71]
	s_andn2_b64 s[60:61], s[74:75], exec
	s_and_b64 s[62:63], s[66:67], exec
	s_and_b64 s[68:69], s[68:69], exec
	s_and_b64 vcc, s[76:77], exec
	s_or_b64 s[74:75], s[60:61], s[62:63]
.LBB169_3543:                           ;   in Loop: Header=BB169_17 Depth=1
	s_or_b64 exec, exec, s[72:73]
	s_andn2_b64 s[60:61], s[86:87], exec
	s_and_b64 s[62:63], s[68:69], exec
	s_or_b64 s[86:87], s[60:61], s[62:63]
	v_readlane_b32 s60, v78, 52
	v_readlane_b32 s61, v78, 53
	s_andn2_b64 s[60:61], s[60:61], exec
	s_and_b64 vcc, vcc, exec
	s_or_b64 s[66:67], s[60:61], vcc
	s_andn2_b64 vcc, s[78:79], exec
	s_and_b64 s[60:61], s[74:75], exec
	v_readlane_b32 s76, v78, 54
	v_readlane_b32 s62, v78, 48
	s_or_b64 s[78:79], vcc, s[60:61]
	v_readlane_b32 s77, v78, 55
	v_readlane_b32 s63, v78, 49
.LBB169_3544:                           ;   in Loop: Header=BB169_17 Depth=1
	s_or_b64 exec, exec, s[80:81]
	s_and_b64 s[86:87], s[86:87], exec
	s_and_b64 vcc, s[66:67], exec
	s_and_b64 s[78:79], s[78:79], exec
                                        ; implicit-def: $vgpr0_vgpr1
	s_andn2_saveexec_b64 s[80:81], s[62:63]
	s_cbranch_execz .LBB169_3464
.LBB169_3545:                           ;   in Loop: Header=BB169_17 Depth=1
	v_cmp_gt_i16_sdwa s[60:61], v8, v34 src0_sel:BYTE_0 src1_sel:DWORD
                                        ; implicit-def: $vgpr53
	s_and_saveexec_b64 s[62:63], s[60:61]
	s_xor_b64 s[72:73], exec, s[62:63]
	s_cbranch_execz .LBB169_3567
; %bb.3546:                             ;   in Loop: Header=BB169_17 Depth=1
	v_cmp_gt_i16_sdwa s[60:61], v8, v35 src0_sel:BYTE_0 src1_sel:DWORD
                                        ; implicit-def: $vgpr53
	s_and_saveexec_b64 s[62:63], s[60:61]
	s_xor_b64 s[66:67], exec, s[62:63]
	s_cbranch_execz .LBB169_3556
; %bb.3547:                             ;   in Loop: Header=BB169_17 Depth=1
	;; [unrolled: 6-line block ×4, first 2 shown]
	flat_load_dwordx2 v[0:1], v[0:1]
	s_waitcnt vmcnt(0) lgkmcnt(0)
	v_cvt_f32_f64_e32 v53, v[0:1]
                                        ; implicit-def: $vgpr0_vgpr1
.LBB169_3550:                           ;   in Loop: Header=BB169_17 Depth=1
	s_andn2_saveexec_b64 s[60:61], s[60:61]
	s_cbranch_execz .LBB169_3552
; %bb.3551:                             ;   in Loop: Header=BB169_17 Depth=1
	flat_load_dword v53, v[0:1]
.LBB169_3552:                           ;   in Loop: Header=BB169_17 Depth=1
	s_or_b64 exec, exec, s[60:61]
                                        ; implicit-def: $vgpr0_vgpr1
.LBB169_3553:                           ;   in Loop: Header=BB169_17 Depth=1
	s_andn2_saveexec_b64 s[60:61], s[68:69]
	s_cbranch_execz .LBB169_3555
; %bb.3554:                             ;   in Loop: Header=BB169_17 Depth=1
	flat_load_dword v0, v[0:1]
	s_waitcnt vmcnt(0) lgkmcnt(0)
	v_cvt_f32_f16_e32 v53, v0
.LBB169_3555:                           ;   in Loop: Header=BB169_17 Depth=1
	s_or_b64 exec, exec, s[60:61]
                                        ; implicit-def: $vgpr0_vgpr1
.LBB169_3556:                           ;   in Loop: Header=BB169_17 Depth=1
	s_andn2_saveexec_b64 s[66:67], s[66:67]
	s_cbranch_execz .LBB169_3566
; %bb.3557:                             ;   in Loop: Header=BB169_17 Depth=1
	v_cmp_gt_i16_sdwa s[60:61], v8, v38 src0_sel:BYTE_0 src1_sel:DWORD
                                        ; implicit-def: $vgpr53
	s_and_saveexec_b64 s[62:63], s[60:61]
	s_xor_b64 s[68:69], exec, s[62:63]
	s_cbranch_execz .LBB169_3563
; %bb.3558:                             ;   in Loop: Header=BB169_17 Depth=1
	v_cmp_gt_i16_sdwa s[60:61], v8, v39 src0_sel:BYTE_0 src1_sel:DWORD
                                        ; implicit-def: $vgpr53
	s_and_saveexec_b64 s[62:63], s[60:61]
	s_xor_b64 s[60:61], exec, s[62:63]
	s_cbranch_execz .LBB169_3560
; %bb.3559:                             ;   in Loop: Header=BB169_17 Depth=1
	flat_load_dwordx2 v[0:1], v[0:1]
	s_waitcnt vmcnt(0) lgkmcnt(0)
	v_cvt_f32_f64_e32 v53, v[0:1]
                                        ; implicit-def: $vgpr0_vgpr1
.LBB169_3560:                           ;   in Loop: Header=BB169_17 Depth=1
	s_andn2_saveexec_b64 s[60:61], s[60:61]
	s_cbranch_execz .LBB169_3562
; %bb.3561:                             ;   in Loop: Header=BB169_17 Depth=1
	s_waitcnt vmcnt(0) lgkmcnt(0)
	flat_load_dword v53, v[0:1]
.LBB169_3562:                           ;   in Loop: Header=BB169_17 Depth=1
	s_or_b64 exec, exec, s[60:61]
                                        ; implicit-def: $vgpr0_vgpr1
.LBB169_3563:                           ;   in Loop: Header=BB169_17 Depth=1
	s_andn2_saveexec_b64 s[60:61], s[68:69]
	s_cbranch_execz .LBB169_3565
; %bb.3564:                             ;   in Loop: Header=BB169_17 Depth=1
	flat_load_ushort v0, v[0:1]
	s_waitcnt vmcnt(0) lgkmcnt(0)
	v_cvt_f32_f16_e32 v53, v0
.LBB169_3565:                           ;   in Loop: Header=BB169_17 Depth=1
	s_or_b64 exec, exec, s[60:61]
.LBB169_3566:                           ;   in Loop: Header=BB169_17 Depth=1
	s_or_b64 exec, exec, s[66:67]
                                        ; implicit-def: $vgpr0_vgpr1
.LBB169_3567:                           ;   in Loop: Header=BB169_17 Depth=1
	s_andn2_saveexec_b64 s[72:73], s[72:73]
	s_cbranch_execz .LBB169_3585
; %bb.3568:                             ;   in Loop: Header=BB169_17 Depth=1
	v_cmp_gt_i16_sdwa s[60:61], v8, v48 src0_sel:BYTE_0 src1_sel:DWORD
                                        ; implicit-def: $vgpr53
	s_and_saveexec_b64 s[62:63], s[60:61]
	s_xor_b64 s[74:75], exec, s[62:63]
	s_cbranch_execz .LBB169_3578
; %bb.3569:                             ;   in Loop: Header=BB169_17 Depth=1
	v_cmp_gt_i16_sdwa s[60:61], v8, v49 src0_sel:BYTE_0 src1_sel:DWORD
                                        ; implicit-def: $vgpr53
	s_and_saveexec_b64 s[62:63], s[60:61]
	s_xor_b64 s[66:67], exec, s[62:63]
	;; [unrolled: 6-line block ×3, first 2 shown]
	s_cbranch_execz .LBB169_3572
; %bb.3571:                             ;   in Loop: Header=BB169_17 Depth=1
	flat_load_dwordx2 v[0:1], v[0:1]
	s_waitcnt vmcnt(0) lgkmcnt(0)
	v_xor_b32_e32 v54, v0, v1
	v_ffbh_i32_e32 v53, v1
	v_ashrrev_i32_e32 v54, 31, v54
	v_add_u32_e32 v53, -1, v53
	v_add_u32_e32 v54, 32, v54
	v_min_u32_e32 v53, v53, v54
	v_lshlrev_b64 v[0:1], v53, v[0:1]
	v_min_u32_e32 v0, 1, v0
	v_or_b32_e32 v0, v1, v0
	v_cvt_f32_i32_e32 v0, v0
	v_sub_u32_e32 v1, 32, v53
	v_ldexp_f32 v53, v0, v1
                                        ; implicit-def: $vgpr0_vgpr1
.LBB169_3572:                           ;   in Loop: Header=BB169_17 Depth=1
	s_andn2_saveexec_b64 s[60:61], s[68:69]
	s_cbranch_execz .LBB169_3574
; %bb.3573:                             ;   in Loop: Header=BB169_17 Depth=1
	flat_load_dword v0, v[0:1]
	s_waitcnt vmcnt(0) lgkmcnt(0)
	v_cvt_f32_i32_e32 v53, v0
.LBB169_3574:                           ;   in Loop: Header=BB169_17 Depth=1
	s_or_b64 exec, exec, s[60:61]
                                        ; implicit-def: $vgpr0_vgpr1
.LBB169_3575:                           ;   in Loop: Header=BB169_17 Depth=1
	s_andn2_saveexec_b64 s[60:61], s[66:67]
	s_cbranch_execz .LBB169_3577
; %bb.3576:                             ;   in Loop: Header=BB169_17 Depth=1
	flat_load_sshort v0, v[0:1]
	s_waitcnt vmcnt(0) lgkmcnt(0)
	v_cvt_f32_i32_e32 v53, v0
.LBB169_3577:                           ;   in Loop: Header=BB169_17 Depth=1
	s_or_b64 exec, exec, s[60:61]
                                        ; implicit-def: $vgpr0_vgpr1
.LBB169_3578:                           ;   in Loop: Header=BB169_17 Depth=1
	s_andn2_saveexec_b64 s[66:67], s[74:75]
	s_cbranch_execz .LBB169_3584
; %bb.3579:                             ;   in Loop: Header=BB169_17 Depth=1
	v_cmp_gt_i16_sdwa s[60:61], v8, v6 src0_sel:BYTE_0 src1_sel:DWORD
                                        ; implicit-def: $vgpr53
	s_and_saveexec_b64 s[62:63], s[60:61]
	s_xor_b64 s[60:61], exec, s[62:63]
	s_cbranch_execz .LBB169_3581
; %bb.3580:                             ;   in Loop: Header=BB169_17 Depth=1
	flat_load_sbyte v0, v[0:1]
	s_waitcnt vmcnt(0) lgkmcnt(0)
	v_cvt_f32_i32_e32 v53, v0
                                        ; implicit-def: $vgpr0_vgpr1
.LBB169_3581:                           ;   in Loop: Header=BB169_17 Depth=1
	s_andn2_saveexec_b64 s[60:61], s[60:61]
	s_cbranch_execz .LBB169_3583
; %bb.3582:                             ;   in Loop: Header=BB169_17 Depth=1
	flat_load_ubyte v0, v[0:1]
	s_waitcnt vmcnt(0) lgkmcnt(0)
	v_cvt_f32_ubyte0_e32 v53, v0
.LBB169_3583:                           ;   in Loop: Header=BB169_17 Depth=1
	s_or_b64 exec, exec, s[60:61]
.LBB169_3584:                           ;   in Loop: Header=BB169_17 Depth=1
	s_or_b64 exec, exec, s[66:67]
.LBB169_3585:                           ;   in Loop: Header=BB169_17 Depth=1
	s_or_b64 exec, exec, s[72:73]
	s_andn2_b64 s[86:87], s[86:87], exec
	s_andn2_b64 vcc, vcc, exec
	s_or_b64 s[78:79], s[78:79], exec
	s_or_b64 exec, exec, s[80:81]
	s_mov_b64 s[66:67], 0
	s_and_saveexec_b64 s[68:69], s[78:79]
	s_cbranch_execnz .LBB169_3465
	s_branch .LBB169_3466
.LBB169_3586:                           ;   in Loop: Header=BB169_17 Depth=1
	s_movk_i32 vcc_lo, 0x80
	v_cmp_eq_u16_e32 vcc, vcc_lo, v0
	s_mov_b64 s[66:67], -1
                                        ; implicit-def: $sgpr70
	s_and_saveexec_b64 s[60:61], vcc
; %bb.3587:                             ;   in Loop: Header=BB169_17 Depth=1
	s_mov_b32 s70, 0x7f800001
	s_xor_b64 s[66:67], exec, -1
; %bb.3588:                             ;   in Loop: Header=BB169_17 Depth=1
	s_or_b64 exec, exec, s[60:61]
	s_and_b64 s[66:67], s[66:67], exec
	s_or_saveexec_b64 s[68:69], s[68:69]
	v_mov_b32_e32 v53, s70
	s_xor_b64 exec, exec, s[68:69]
	s_cbranch_execz .LBB169_2619
.LBB169_3589:                           ;   in Loop: Header=BB169_17 Depth=1
	v_cmp_ne_u16_e32 vcc, 0, v0
	s_andn2_b64 s[60:61], s[66:67], exec
	s_and_b64 vcc, vcc, exec
	v_mov_b32_e32 v53, 0
	s_or_b64 s[66:67], s[60:61], vcc
	s_or_b64 exec, exec, s[68:69]
	s_and_saveexec_b64 s[68:69], s[66:67]
	s_cbranch_execnz .LBB169_2620
	s_branch .LBB169_2621
.LBB169_3590:                           ;   in Loop: Header=BB169_17 Depth=1
	s_movk_i32 vcc_lo, 0x80
	v_cmp_eq_u16_e32 vcc, vcc_lo, v0
	s_mov_b64 s[66:67], -1
                                        ; implicit-def: $sgpr70
	s_and_saveexec_b64 s[60:61], vcc
; %bb.3591:                             ;   in Loop: Header=BB169_17 Depth=1
	s_mov_b32 s70, 0x7f800001
	s_xor_b64 s[66:67], exec, -1
; %bb.3592:                             ;   in Loop: Header=BB169_17 Depth=1
	s_or_b64 exec, exec, s[60:61]
	s_and_b64 s[66:67], s[66:67], exec
	s_or_saveexec_b64 s[68:69], s[68:69]
	v_mov_b32_e32 v54, s70
	s_xor_b64 exec, exec, s[68:69]
	s_cbranch_execz .LBB169_2719
.LBB169_3593:                           ;   in Loop: Header=BB169_17 Depth=1
	v_cmp_ne_u16_e32 vcc, 0, v0
	s_andn2_b64 s[60:61], s[66:67], exec
	s_and_b64 vcc, vcc, exec
	v_mov_b32_e32 v54, 0
	s_or_b64 s[66:67], s[60:61], vcc
	s_or_b64 exec, exec, s[68:69]
	s_and_saveexec_b64 s[68:69], s[66:67]
	s_cbranch_execnz .LBB169_2720
	s_branch .LBB169_2721
.LBB169_3594:                           ;   in Loop: Header=BB169_17 Depth=1
	s_movk_i32 vcc_lo, 0x80
	v_cmp_eq_u16_e32 vcc, vcc_lo, v0
	s_mov_b64 s[66:67], -1
                                        ; implicit-def: $sgpr70
	s_and_saveexec_b64 s[60:61], vcc
; %bb.3595:                             ;   in Loop: Header=BB169_17 Depth=1
	s_mov_b32 s70, 0x7f800001
	s_xor_b64 s[66:67], exec, -1
; %bb.3596:                             ;   in Loop: Header=BB169_17 Depth=1
	s_or_b64 exec, exec, s[60:61]
	s_and_b64 s[66:67], s[66:67], exec
	s_or_saveexec_b64 s[68:69], s[68:69]
	v_mov_b32_e32 v53, s70
	s_xor_b64 exec, exec, s[68:69]
	s_cbranch_execz .LBB169_2809
.LBB169_3597:                           ;   in Loop: Header=BB169_17 Depth=1
	v_cmp_ne_u16_e32 vcc, 0, v0
	s_andn2_b64 s[60:61], s[66:67], exec
	s_and_b64 vcc, vcc, exec
	v_mov_b32_e32 v53, 0
	s_or_b64 s[66:67], s[60:61], vcc
	s_or_b64 exec, exec, s[68:69]
	s_and_saveexec_b64 s[68:69], s[66:67]
	s_cbranch_execnz .LBB169_2810
	s_branch .LBB169_2811
.LBB169_3598:                           ;   in Loop: Header=BB169_17 Depth=1
	s_movk_i32 vcc_lo, 0x80
	v_cmp_eq_u16_e32 vcc, vcc_lo, v0
	s_mov_b64 s[66:67], -1
                                        ; implicit-def: $sgpr70
	s_and_saveexec_b64 s[60:61], vcc
; %bb.3599:                             ;   in Loop: Header=BB169_17 Depth=1
	s_mov_b32 s70, 0x7f800001
	s_xor_b64 s[66:67], exec, -1
; %bb.3600:                             ;   in Loop: Header=BB169_17 Depth=1
	s_or_b64 exec, exec, s[60:61]
	s_and_b64 s[66:67], s[66:67], exec
	s_or_saveexec_b64 s[68:69], s[68:69]
	v_mov_b32_e32 v54, s70
	s_xor_b64 exec, exec, s[68:69]
	s_cbranch_execz .LBB169_2935
.LBB169_3601:                           ;   in Loop: Header=BB169_17 Depth=1
	v_cmp_ne_u16_e32 vcc, 0, v0
	s_andn2_b64 s[60:61], s[66:67], exec
	s_and_b64 vcc, vcc, exec
	v_mov_b32_e32 v54, 0
	s_or_b64 s[66:67], s[60:61], vcc
	s_or_b64 exec, exec, s[68:69]
	s_and_saveexec_b64 s[68:69], s[66:67]
	s_cbranch_execnz .LBB169_2936
	s_branch .LBB169_2937
.LBB169_3602:                           ;   in Loop: Header=BB169_17 Depth=1
	s_movk_i32 vcc_lo, 0x80
	v_cmp_eq_u16_e32 vcc, vcc_lo, v0
	s_mov_b64 s[66:67], -1
                                        ; implicit-def: $sgpr70
	s_and_saveexec_b64 s[60:61], vcc
; %bb.3603:                             ;   in Loop: Header=BB169_17 Depth=1
	s_mov_b32 s70, 0x7f800001
	s_xor_b64 s[66:67], exec, -1
; %bb.3604:                             ;   in Loop: Header=BB169_17 Depth=1
	s_or_b64 exec, exec, s[60:61]
	s_and_b64 s[66:67], s[66:67], exec
	s_or_saveexec_b64 s[68:69], s[68:69]
	v_mov_b32_e32 v53, s70
	s_xor_b64 exec, exec, s[68:69]
	s_cbranch_execz .LBB169_2820
.LBB169_3605:                           ;   in Loop: Header=BB169_17 Depth=1
	v_cmp_ne_u16_e32 vcc, 0, v0
	s_andn2_b64 s[60:61], s[66:67], exec
	s_and_b64 vcc, vcc, exec
	v_mov_b32_e32 v53, 0
	s_or_b64 s[66:67], s[60:61], vcc
	s_or_b64 exec, exec, s[68:69]
	s_and_saveexec_b64 s[68:69], s[66:67]
	s_cbranch_execnz .LBB169_2821
	s_branch .LBB169_2822
.LBB169_3606:                           ;   in Loop: Header=BB169_17 Depth=1
	s_movk_i32 vcc_lo, 0x80
	v_cmp_eq_u16_e32 vcc, vcc_lo, v0
	s_mov_b64 s[66:67], -1
                                        ; implicit-def: $sgpr70
	s_and_saveexec_b64 s[60:61], vcc
; %bb.3607:                             ;   in Loop: Header=BB169_17 Depth=1
	s_mov_b32 s70, 0x7f800001
	s_xor_b64 s[66:67], exec, -1
; %bb.3608:                             ;   in Loop: Header=BB169_17 Depth=1
	s_or_b64 exec, exec, s[60:61]
	s_and_b64 s[66:67], s[66:67], exec
	s_or_saveexec_b64 s[68:69], s[68:69]
	v_mov_b32_e32 v54, s70
	s_xor_b64 exec, exec, s[68:69]
	s_cbranch_execz .LBB169_2946
.LBB169_3609:                           ;   in Loop: Header=BB169_17 Depth=1
	v_cmp_ne_u16_e32 vcc, 0, v0
	s_andn2_b64 s[60:61], s[66:67], exec
	s_and_b64 vcc, vcc, exec
	v_mov_b32_e32 v54, 0
	s_or_b64 s[66:67], s[60:61], vcc
	s_or_b64 exec, exec, s[68:69]
	s_and_saveexec_b64 s[68:69], s[66:67]
	s_cbranch_execnz .LBB169_2947
	s_branch .LBB169_2948
.LBB169_3610:                           ;   in Loop: Header=BB169_17 Depth=1
	s_movk_i32 vcc_lo, 0x80
	v_cmp_eq_u16_e32 vcc, vcc_lo, v0
	s_mov_b64 s[66:67], -1
                                        ; implicit-def: $sgpr70
	s_and_saveexec_b64 s[60:61], vcc
; %bb.3611:                             ;   in Loop: Header=BB169_17 Depth=1
	s_mov_b32 s70, 0x7f800001
	s_xor_b64 s[66:67], exec, -1
; %bb.3612:                             ;   in Loop: Header=BB169_17 Depth=1
	s_or_b64 exec, exec, s[60:61]
	s_and_b64 s[66:67], s[66:67], exec
	s_or_saveexec_b64 s[68:69], s[68:69]
	v_mov_b32_e32 v53, s70
	s_xor_b64 exec, exec, s[68:69]
	s_cbranch_execz .LBB169_3036
.LBB169_3613:                           ;   in Loop: Header=BB169_17 Depth=1
	v_cmp_ne_u16_e32 vcc, 0, v0
	s_andn2_b64 s[60:61], s[66:67], exec
	s_and_b64 vcc, vcc, exec
	v_mov_b32_e32 v53, 0
	s_or_b64 s[66:67], s[60:61], vcc
	s_or_b64 exec, exec, s[68:69]
	s_and_saveexec_b64 s[68:69], s[66:67]
	s_cbranch_execnz .LBB169_3037
	s_branch .LBB169_3038
.LBB169_3614:                           ;   in Loop: Header=BB169_17 Depth=1
	s_movk_i32 vcc_lo, 0x80
	v_cmp_eq_u16_e32 vcc, vcc_lo, v0
	s_mov_b64 s[66:67], -1
                                        ; implicit-def: $sgpr70
	s_and_saveexec_b64 s[60:61], vcc
; %bb.3615:                             ;   in Loop: Header=BB169_17 Depth=1
	s_mov_b32 s70, 0x7f800001
	s_xor_b64 s[66:67], exec, -1
; %bb.3616:                             ;   in Loop: Header=BB169_17 Depth=1
	s_or_b64 exec, exec, s[60:61]
	s_and_b64 s[66:67], s[66:67], exec
	s_or_saveexec_b64 s[68:69], s[68:69]
	v_mov_b32_e32 v54, s70
	s_xor_b64 exec, exec, s[68:69]
	s_cbranch_execz .LBB169_3162
.LBB169_3617:                           ;   in Loop: Header=BB169_17 Depth=1
	v_cmp_ne_u16_e32 vcc, 0, v0
	s_andn2_b64 s[60:61], s[66:67], exec
	s_and_b64 vcc, vcc, exec
	v_mov_b32_e32 v54, 0
	s_or_b64 s[66:67], s[60:61], vcc
	s_or_b64 exec, exec, s[68:69]
	s_and_saveexec_b64 s[68:69], s[66:67]
	s_cbranch_execnz .LBB169_3163
	s_branch .LBB169_3164
.LBB169_3618:                           ;   in Loop: Header=BB169_17 Depth=1
	s_movk_i32 vcc_lo, 0x80
	v_cmp_eq_u16_e32 vcc, vcc_lo, v0
	s_mov_b64 s[66:67], -1
                                        ; implicit-def: $sgpr70
	s_and_saveexec_b64 s[60:61], vcc
; %bb.3619:                             ;   in Loop: Header=BB169_17 Depth=1
	s_mov_b32 s70, 0x7f800001
	s_xor_b64 s[66:67], exec, -1
; %bb.3620:                             ;   in Loop: Header=BB169_17 Depth=1
	s_or_b64 exec, exec, s[60:61]
	s_and_b64 s[66:67], s[66:67], exec
	s_or_saveexec_b64 s[68:69], s[68:69]
	v_mov_b32_e32 v53, s70
	s_xor_b64 exec, exec, s[68:69]
	s_cbranch_execz .LBB169_3047
.LBB169_3621:                           ;   in Loop: Header=BB169_17 Depth=1
	v_cmp_ne_u16_e32 vcc, 0, v0
	s_andn2_b64 s[60:61], s[66:67], exec
	s_and_b64 vcc, vcc, exec
	v_mov_b32_e32 v53, 0
	s_or_b64 s[66:67], s[60:61], vcc
	s_or_b64 exec, exec, s[68:69]
	s_and_saveexec_b64 s[68:69], s[66:67]
	s_cbranch_execnz .LBB169_3048
	s_branch .LBB169_3049
.LBB169_3622:                           ;   in Loop: Header=BB169_17 Depth=1
	s_movk_i32 vcc_lo, 0x80
	v_cmp_eq_u16_e32 vcc, vcc_lo, v0
	s_mov_b64 s[66:67], -1
                                        ; implicit-def: $sgpr70
	s_and_saveexec_b64 s[60:61], vcc
; %bb.3623:                             ;   in Loop: Header=BB169_17 Depth=1
	s_mov_b32 s70, 0x7f800001
	s_xor_b64 s[66:67], exec, -1
; %bb.3624:                             ;   in Loop: Header=BB169_17 Depth=1
	s_or_b64 exec, exec, s[60:61]
	s_and_b64 s[66:67], s[66:67], exec
	s_or_saveexec_b64 s[68:69], s[68:69]
	v_mov_b32_e32 v54, s70
	s_xor_b64 exec, exec, s[68:69]
	s_cbranch_execz .LBB169_3173
.LBB169_3625:                           ;   in Loop: Header=BB169_17 Depth=1
	v_cmp_ne_u16_e32 vcc, 0, v0
	s_andn2_b64 s[60:61], s[66:67], exec
	s_and_b64 vcc, vcc, exec
	v_mov_b32_e32 v54, 0
	s_or_b64 s[66:67], s[60:61], vcc
	s_or_b64 exec, exec, s[68:69]
	s_and_saveexec_b64 s[68:69], s[66:67]
	s_cbranch_execnz .LBB169_3174
	s_branch .LBB169_3175
.LBB169_3626:                           ;   in Loop: Header=BB169_17 Depth=1
	s_movk_i32 vcc_lo, 0x80
	v_cmp_eq_u16_e32 vcc, vcc_lo, v0
	s_mov_b64 s[66:67], -1
                                        ; implicit-def: $sgpr70
	s_and_saveexec_b64 s[60:61], vcc
; %bb.3627:                             ;   in Loop: Header=BB169_17 Depth=1
	s_mov_b32 s70, 0x7f800001
	s_xor_b64 s[66:67], exec, -1
; %bb.3628:                             ;   in Loop: Header=BB169_17 Depth=1
	s_or_b64 exec, exec, s[60:61]
	s_and_b64 s[66:67], s[66:67], exec
	s_or_saveexec_b64 s[68:69], s[68:69]
	v_mov_b32_e32 v53, s70
	s_xor_b64 exec, exec, s[68:69]
	s_cbranch_execz .LBB169_3263
.LBB169_3629:                           ;   in Loop: Header=BB169_17 Depth=1
	v_cmp_ne_u16_e32 vcc, 0, v0
	s_andn2_b64 s[60:61], s[66:67], exec
	s_and_b64 vcc, vcc, exec
	v_mov_b32_e32 v53, 0
	s_or_b64 s[66:67], s[60:61], vcc
	s_or_b64 exec, exec, s[68:69]
	s_and_saveexec_b64 s[68:69], s[66:67]
	s_cbranch_execnz .LBB169_3264
	s_branch .LBB169_3265
.LBB169_3630:                           ;   in Loop: Header=BB169_17 Depth=1
	s_movk_i32 vcc_lo, 0x80
	v_cmp_eq_u16_e32 vcc, vcc_lo, v0
	s_mov_b64 s[66:67], -1
                                        ; implicit-def: $sgpr70
	s_and_saveexec_b64 s[60:61], vcc
; %bb.3631:                             ;   in Loop: Header=BB169_17 Depth=1
	s_mov_b32 s70, 0x7f800001
	s_xor_b64 s[66:67], exec, -1
; %bb.3632:                             ;   in Loop: Header=BB169_17 Depth=1
	s_or_b64 exec, exec, s[60:61]
	s_and_b64 s[66:67], s[66:67], exec
	s_or_saveexec_b64 s[68:69], s[68:69]
	v_mov_b32_e32 v54, s70
	s_xor_b64 exec, exec, s[68:69]
	s_cbranch_execz .LBB169_3389
.LBB169_3633:                           ;   in Loop: Header=BB169_17 Depth=1
	v_cmp_ne_u16_e32 vcc, 0, v0
	s_andn2_b64 s[60:61], s[66:67], exec
	s_and_b64 vcc, vcc, exec
	v_mov_b32_e32 v54, 0
	s_or_b64 s[66:67], s[60:61], vcc
	s_or_b64 exec, exec, s[68:69]
	s_and_saveexec_b64 s[68:69], s[66:67]
	s_cbranch_execnz .LBB169_3390
	s_branch .LBB169_3391
.LBB169_3634:                           ;   in Loop: Header=BB169_17 Depth=1
	s_movk_i32 vcc_lo, 0x80
	v_cmp_eq_u16_e32 vcc, vcc_lo, v0
	s_mov_b64 s[66:67], -1
                                        ; implicit-def: $sgpr70
	s_and_saveexec_b64 s[60:61], vcc
; %bb.3635:                             ;   in Loop: Header=BB169_17 Depth=1
	s_mov_b32 s70, 0x7f800001
	s_xor_b64 s[66:67], exec, -1
; %bb.3636:                             ;   in Loop: Header=BB169_17 Depth=1
	s_or_b64 exec, exec, s[60:61]
	s_and_b64 s[66:67], s[66:67], exec
	s_or_saveexec_b64 s[68:69], s[68:69]
	v_mov_b32_e32 v53, s70
	s_xor_b64 exec, exec, s[68:69]
	s_cbranch_execz .LBB169_3274
.LBB169_3637:                           ;   in Loop: Header=BB169_17 Depth=1
	v_cmp_ne_u16_e32 vcc, 0, v0
	s_andn2_b64 s[60:61], s[66:67], exec
	s_and_b64 vcc, vcc, exec
	v_mov_b32_e32 v53, 0
	s_or_b64 s[66:67], s[60:61], vcc
	s_or_b64 exec, exec, s[68:69]
	s_and_saveexec_b64 s[68:69], s[66:67]
	s_cbranch_execnz .LBB169_3275
	s_branch .LBB169_3276
.LBB169_3638:                           ;   in Loop: Header=BB169_17 Depth=1
	s_movk_i32 vcc_lo, 0x80
	v_cmp_eq_u16_e32 vcc, vcc_lo, v0
	s_mov_b64 s[66:67], -1
                                        ; implicit-def: $sgpr70
	s_and_saveexec_b64 s[60:61], vcc
; %bb.3639:                             ;   in Loop: Header=BB169_17 Depth=1
	s_mov_b32 s70, 0x7f800001
	s_xor_b64 s[66:67], exec, -1
; %bb.3640:                             ;   in Loop: Header=BB169_17 Depth=1
	s_or_b64 exec, exec, s[60:61]
	s_and_b64 s[66:67], s[66:67], exec
	s_or_saveexec_b64 s[68:69], s[68:69]
	v_mov_b32_e32 v54, s70
	s_xor_b64 exec, exec, s[68:69]
	s_cbranch_execz .LBB169_3400
.LBB169_3641:                           ;   in Loop: Header=BB169_17 Depth=1
	v_cmp_ne_u16_e32 vcc, 0, v0
	s_andn2_b64 s[60:61], s[66:67], exec
	s_and_b64 vcc, vcc, exec
	v_mov_b32_e32 v54, 0
	s_or_b64 s[66:67], s[60:61], vcc
	s_or_b64 exec, exec, s[68:69]
	s_and_saveexec_b64 s[68:69], s[66:67]
	s_cbranch_execnz .LBB169_3401
	s_branch .LBB169_3402
.LBB169_3642:                           ;   in Loop: Header=BB169_17 Depth=1
	s_movk_i32 vcc_lo, 0x80
	v_cmp_eq_u16_e32 vcc, vcc_lo, v0
	s_mov_b64 s[66:67], -1
                                        ; implicit-def: $sgpr70
	s_and_saveexec_b64 s[60:61], vcc
; %bb.3643:                             ;   in Loop: Header=BB169_17 Depth=1
	s_mov_b32 s70, 0x7f800001
	s_xor_b64 s[66:67], exec, -1
; %bb.3644:                             ;   in Loop: Header=BB169_17 Depth=1
	s_or_b64 exec, exec, s[60:61]
	s_and_b64 s[66:67], s[66:67], exec
	s_or_saveexec_b64 s[68:69], s[68:69]
	v_mov_b32_e32 v53, s70
	s_xor_b64 exec, exec, s[68:69]
	s_cbranch_execz .LBB169_3513
.LBB169_3645:                           ;   in Loop: Header=BB169_17 Depth=1
	v_cmp_ne_u16_e32 vcc, 0, v0
	s_andn2_b64 s[60:61], s[66:67], exec
	s_and_b64 vcc, vcc, exec
	v_mov_b32_e32 v53, 0
	s_or_b64 s[66:67], s[60:61], vcc
	s_or_b64 exec, exec, s[68:69]
	s_and_saveexec_b64 s[68:69], s[66:67]
	s_cbranch_execnz .LBB169_3514
	s_branch .LBB169_3515
.LBB169_3646:                           ;   in Loop: Header=BB169_17 Depth=1
	s_movk_i32 vcc_lo, 0x80
	v_cmp_eq_u16_e32 vcc, vcc_lo, v0
	s_mov_b64 s[66:67], -1
                                        ; implicit-def: $sgpr70
	s_and_saveexec_b64 s[60:61], vcc
; %bb.3647:                             ;   in Loop: Header=BB169_17 Depth=1
	s_mov_b32 s70, 0x7f800001
	s_xor_b64 s[66:67], exec, -1
; %bb.3648:                             ;   in Loop: Header=BB169_17 Depth=1
	s_or_b64 exec, exec, s[60:61]
	s_and_b64 s[66:67], s[66:67], exec
	s_or_saveexec_b64 s[68:69], s[68:69]
	v_mov_b32_e32 v53, s70
	s_xor_b64 exec, exec, s[68:69]
	s_cbranch_execz .LBB169_3524
.LBB169_3649:                           ;   in Loop: Header=BB169_17 Depth=1
	v_cmp_ne_u16_e32 vcc, 0, v0
	s_andn2_b64 s[60:61], s[66:67], exec
	s_and_b64 vcc, vcc, exec
	v_mov_b32_e32 v53, 0
	s_or_b64 s[66:67], s[60:61], vcc
	s_or_b64 exec, exec, s[68:69]
	s_and_saveexec_b64 s[68:69], s[66:67]
	s_cbranch_execnz .LBB169_3525
	s_branch .LBB169_3526
.LBB169_3650:
	s_or_b64 exec, exec, s[4:5]
	s_xor_b64 s[8:9], s[8:9], -1
	s_xor_b64 s[6:7], s[6:7], -1
	s_mov_b64 s[4:5], 0
	s_and_saveexec_b64 s[10:11], s[6:7]
	s_xor_b64 s[24:25], exec, s[10:11]
	s_cbranch_execnz .LBB169_3655
; %bb.3651:
	s_andn2_saveexec_b64 s[6:7], s[24:25]
	s_cbranch_execnz .LBB169_4829
.LBB169_3652:
	s_or_b64 exec, exec, s[6:7]
	s_and_saveexec_b64 s[6:7], s[4:5]
.LBB169_3653:
	; divergent unreachable
.LBB169_3654:
	s_or_b64 exec, exec, s[6:7]
	v_readlane_b32 s30, v75, 0
	v_readlane_b32 s31, v75, 1
	;; [unrolled: 1-line block ×66, first 2 shown]
	v_accvgpr_read_b32 v73, a17             ;  Reload Reuse
	v_accvgpr_read_b32 v72, a16             ;  Reload Reuse
	;; [unrolled: 1-line block ×8, first 2 shown]
	v_accvgpr_read_b32 v57, a9              ;  Reload Reuse
	v_accvgpr_read_b32 v56, a8              ;  Reload Reuse
	;; [unrolled: 1-line block ×10, first 2 shown]
	v_readlane_b32 s4, v75, 2
	s_or_saveexec_b64 s[6:7], -1
	buffer_load_dword v74, off, s[0:3], s33 offset:256 ; 4-byte Folded Reload
	buffer_load_dword v75, off, s[0:3], s33 offset:260 ; 4-byte Folded Reload
	;; [unrolled: 1-line block ×5, first 2 shown]
	s_mov_b64 exec, s[6:7]
	s_addk_i32 s32, 0xb800
	s_mov_b32 s33, s4
	s_waitcnt vmcnt(0) lgkmcnt(0)
	s_setpc_b64 s[30:31]
.LBB169_3655:
	s_and_saveexec_b64 s[6:7], s[8:9]
	s_xor_b64 s[26:27], exec, s[6:7]
	s_cbranch_execz .LBB169_4827
; %bb.3656:
	v_cmp_lt_i32_e64 s[22:23], v31, v72
                                        ; implicit-def: $vgpr60
	s_and_saveexec_b64 s[28:29], s[22:23]
	s_cbranch_execz .LBB169_3658
; %bb.3657:
	buffer_load_dword v0, off, s[0:3], s33 offset:4
	buffer_load_dword v1, off, s[0:3], s33
	s_getpc_b64 s[4:5]
	s_add_u32 s4, s4, _ZZZZN2at6native33launch_standard_gamma_grad_kernelERNS_18TensorIteratorBaseEENKUlvE_clEvENKUlvE0_clEvENKUlffE_clEff@rel32@lo+4
	s_addc_u32 s5, s5, _ZZZZN2at6native33launch_standard_gamma_grad_kernelERNS_18TensorIteratorBaseEENKUlvE_clEvENKUlvE0_clEvENKUlffE_clEff@rel32@hi+12
	s_swappc_b64 s[30:31], s[4:5]
	v_mov_b32_e32 v60, v0
.LBB169_3658:
	s_or_b64 exec, exec, s[28:29]
	v_add_u32_e32 v33, 0x200, v31
	v_cmp_lt_i32_e32 vcc, v33, v72
                                        ; implicit-def: $vgpr58
	s_and_saveexec_b64 s[28:29], vcc
	s_cbranch_execz .LBB169_3660
; %bb.3659:
	buffer_load_dword v0, off, s[0:3], s33 offset:12
	buffer_load_dword v1, off, s[0:3], s33 offset:8
	s_getpc_b64 s[4:5]
	s_add_u32 s4, s4, _ZZZZN2at6native33launch_standard_gamma_grad_kernelERNS_18TensorIteratorBaseEENKUlvE_clEvENKUlvE0_clEvENKUlffE_clEff@rel32@lo+4
	s_addc_u32 s5, s5, _ZZZZN2at6native33launch_standard_gamma_grad_kernelERNS_18TensorIteratorBaseEENKUlvE_clEvENKUlvE0_clEvENKUlffE_clEff@rel32@hi+12
	s_swappc_b64 s[30:31], s[4:5]
	v_mov_b32_e32 v58, v0
.LBB169_3660:
	s_or_b64 exec, exec, s[28:29]
	v_or_b32_e32 v0, 0x400, v31
	v_cmp_lt_i32_e32 vcc, v0, v72
                                        ; implicit-def: $vgpr56
	s_and_saveexec_b64 s[28:29], vcc
	s_cbranch_execz .LBB169_3662
; %bb.3661:
	buffer_load_dword v0, off, s[0:3], s33 offset:20
	buffer_load_dword v1, off, s[0:3], s33 offset:16
	s_getpc_b64 s[4:5]
	s_add_u32 s4, s4, _ZZZZN2at6native33launch_standard_gamma_grad_kernelERNS_18TensorIteratorBaseEENKUlvE_clEvENKUlvE0_clEvENKUlffE_clEff@rel32@lo+4
	s_addc_u32 s5, s5, _ZZZZN2at6native33launch_standard_gamma_grad_kernelERNS_18TensorIteratorBaseEENKUlvE_clEvENKUlvE0_clEvENKUlffE_clEff@rel32@hi+12
	s_swappc_b64 s[30:31], s[4:5]
	v_mov_b32_e32 v56, v0
.LBB169_3662:
	s_or_b64 exec, exec, s[28:29]
	v_add_u32_e32 v0, 0x600, v31
	v_cmp_lt_i32_e32 vcc, v0, v72
                                        ; implicit-def: $vgpr46
	s_and_saveexec_b64 s[28:29], vcc
	s_cbranch_execz .LBB169_3664
; %bb.3663:
	buffer_load_dword v0, off, s[0:3], s33 offset:28
	buffer_load_dword v1, off, s[0:3], s33 offset:24
	s_getpc_b64 s[4:5]
	s_add_u32 s4, s4, _ZZZZN2at6native33launch_standard_gamma_grad_kernelERNS_18TensorIteratorBaseEENKUlvE_clEvENKUlvE0_clEvENKUlffE_clEff@rel32@lo+4
	s_addc_u32 s5, s5, _ZZZZN2at6native33launch_standard_gamma_grad_kernelERNS_18TensorIteratorBaseEENKUlvE_clEvENKUlvE0_clEvENKUlffE_clEff@rel32@hi+12
	s_swappc_b64 s[30:31], s[4:5]
	v_mov_b32_e32 v46, v0
.LBB169_3664:
	s_or_b64 exec, exec, s[28:29]
	v_or_b32_e32 v0, 0x800, v31
	v_cmp_lt_i32_e32 vcc, v0, v72
                                        ; implicit-def: $vgpr44
	s_and_saveexec_b64 s[28:29], vcc
	s_cbranch_execz .LBB169_3666
; %bb.3665:
	buffer_load_dword v0, off, s[0:3], s33 offset:36
	buffer_load_dword v1, off, s[0:3], s33 offset:32
	s_getpc_b64 s[4:5]
	s_add_u32 s4, s4, _ZZZZN2at6native33launch_standard_gamma_grad_kernelERNS_18TensorIteratorBaseEENKUlvE_clEvENKUlvE0_clEvENKUlffE_clEff@rel32@lo+4
	s_addc_u32 s5, s5, _ZZZZN2at6native33launch_standard_gamma_grad_kernelERNS_18TensorIteratorBaseEENKUlvE_clEvENKUlvE0_clEvENKUlffE_clEff@rel32@hi+12
	s_swappc_b64 s[30:31], s[4:5]
	v_mov_b32_e32 v44, v0
.LBB169_3666:
	s_or_b64 exec, exec, s[28:29]
	v_add_u32_e32 v0, 0xa00, v31
	v_cmp_lt_i32_e32 vcc, v0, v72
                                        ; implicit-def: $vgpr42
	s_and_saveexec_b64 s[28:29], vcc
	s_cbranch_execz .LBB169_3668
; %bb.3667:
	buffer_load_dword v0, off, s[0:3], s33 offset:44
	buffer_load_dword v1, off, s[0:3], s33 offset:40
	s_getpc_b64 s[4:5]
	s_add_u32 s4, s4, _ZZZZN2at6native33launch_standard_gamma_grad_kernelERNS_18TensorIteratorBaseEENKUlvE_clEvENKUlvE0_clEvENKUlffE_clEff@rel32@lo+4
	s_addc_u32 s5, s5, _ZZZZN2at6native33launch_standard_gamma_grad_kernelERNS_18TensorIteratorBaseEENKUlvE_clEvENKUlvE0_clEvENKUlffE_clEff@rel32@hi+12
	s_swappc_b64 s[30:31], s[4:5]
	v_mov_b32_e32 v42, v0
.LBB169_3668:
	s_or_b64 exec, exec, s[28:29]
	v_or_b32_e32 v0, 0xc00, v31
	v_cmp_lt_i32_e32 vcc, v0, v72
                                        ; implicit-def: $vgpr40
	s_and_saveexec_b64 s[28:29], vcc
	s_cbranch_execz .LBB169_3670
; %bb.3669:
	buffer_load_dword v0, off, s[0:3], s33 offset:52
	buffer_load_dword v1, off, s[0:3], s33 offset:48
	s_getpc_b64 s[4:5]
	s_add_u32 s4, s4, _ZZZZN2at6native33launch_standard_gamma_grad_kernelERNS_18TensorIteratorBaseEENKUlvE_clEvENKUlvE0_clEvENKUlffE_clEff@rel32@lo+4
	s_addc_u32 s5, s5, _ZZZZN2at6native33launch_standard_gamma_grad_kernelERNS_18TensorIteratorBaseEENKUlvE_clEvENKUlvE0_clEvENKUlffE_clEff@rel32@hi+12
	s_swappc_b64 s[30:31], s[4:5]
	v_mov_b32_e32 v40, v0
.LBB169_3670:
	s_or_b64 exec, exec, s[28:29]
	v_add_u32_e32 v0, 0xe00, v31
	v_cmp_lt_i32_e32 vcc, v0, v72
                                        ; implicit-def: $vgpr118
	s_and_saveexec_b64 s[28:29], vcc
	s_cbranch_execz .LBB169_3672
; %bb.3671:
	buffer_load_dword v0, off, s[0:3], s33 offset:60
	buffer_load_dword v1, off, s[0:3], s33 offset:56
	s_getpc_b64 s[4:5]
	s_add_u32 s4, s4, _ZZZZN2at6native33launch_standard_gamma_grad_kernelERNS_18TensorIteratorBaseEENKUlvE_clEvENKUlvE0_clEvENKUlffE_clEff@rel32@lo+4
	s_addc_u32 s5, s5, _ZZZZN2at6native33launch_standard_gamma_grad_kernelERNS_18TensorIteratorBaseEENKUlvE_clEvENKUlvE0_clEvENKUlffE_clEff@rel32@hi+12
	s_swappc_b64 s[30:31], s[4:5]
	v_mov_b32_e32 v118, v0
.LBB169_3672:
	s_or_b64 exec, exec, s[28:29]
	v_or_b32_e32 v0, 0x1000, v31
	v_cmp_lt_i32_e32 vcc, v0, v72
                                        ; implicit-def: $vgpr116
	s_and_saveexec_b64 s[28:29], vcc
	s_cbranch_execz .LBB169_3674
; %bb.3673:
	buffer_load_dword v0, off, s[0:3], s33 offset:68
	buffer_load_dword v1, off, s[0:3], s33 offset:64
	s_getpc_b64 s[4:5]
	s_add_u32 s4, s4, _ZZZZN2at6native33launch_standard_gamma_grad_kernelERNS_18TensorIteratorBaseEENKUlvE_clEvENKUlvE0_clEvENKUlffE_clEff@rel32@lo+4
	s_addc_u32 s5, s5, _ZZZZN2at6native33launch_standard_gamma_grad_kernelERNS_18TensorIteratorBaseEENKUlvE_clEvENKUlvE0_clEvENKUlffE_clEff@rel32@hi+12
	s_swappc_b64 s[30:31], s[4:5]
	v_mov_b32_e32 v116, v0
.LBB169_3674:
	s_or_b64 exec, exec, s[28:29]
	v_add_u32_e32 v0, 0x1200, v31
	v_cmp_lt_i32_e32 vcc, v0, v72
                                        ; implicit-def: $vgpr114
	s_and_saveexec_b64 s[28:29], vcc
	s_cbranch_execz .LBB169_3676
; %bb.3675:
	buffer_load_dword v0, off, s[0:3], s33 offset:76
	buffer_load_dword v1, off, s[0:3], s33 offset:72
	s_getpc_b64 s[4:5]
	s_add_u32 s4, s4, _ZZZZN2at6native33launch_standard_gamma_grad_kernelERNS_18TensorIteratorBaseEENKUlvE_clEvENKUlvE0_clEvENKUlffE_clEff@rel32@lo+4
	s_addc_u32 s5, s5, _ZZZZN2at6native33launch_standard_gamma_grad_kernelERNS_18TensorIteratorBaseEENKUlvE_clEvENKUlvE0_clEvENKUlffE_clEff@rel32@hi+12
	s_swappc_b64 s[30:31], s[4:5]
	v_mov_b32_e32 v114, v0
.LBB169_3676:
	s_or_b64 exec, exec, s[28:29]
	v_or_b32_e32 v0, 0x1400, v31
	v_cmp_lt_i32_e32 vcc, v0, v72
                                        ; implicit-def: $vgpr112
	s_and_saveexec_b64 s[28:29], vcc
	s_cbranch_execz .LBB169_3678
; %bb.3677:
	buffer_load_dword v0, off, s[0:3], s33 offset:84
	buffer_load_dword v1, off, s[0:3], s33 offset:80
	s_getpc_b64 s[4:5]
	s_add_u32 s4, s4, _ZZZZN2at6native33launch_standard_gamma_grad_kernelERNS_18TensorIteratorBaseEENKUlvE_clEvENKUlvE0_clEvENKUlffE_clEff@rel32@lo+4
	s_addc_u32 s5, s5, _ZZZZN2at6native33launch_standard_gamma_grad_kernelERNS_18TensorIteratorBaseEENKUlvE_clEvENKUlvE0_clEvENKUlffE_clEff@rel32@hi+12
	s_swappc_b64 s[30:31], s[4:5]
	v_mov_b32_e32 v112, v0
.LBB169_3678:
	s_or_b64 exec, exec, s[28:29]
	v_add_u32_e32 v0, 0x1600, v31
	v_cmp_lt_i32_e32 vcc, v0, v72
                                        ; implicit-def: $vgpr102
	s_and_saveexec_b64 s[28:29], vcc
	s_cbranch_execz .LBB169_3680
; %bb.3679:
	buffer_load_dword v0, off, s[0:3], s33 offset:92
	buffer_load_dword v1, off, s[0:3], s33 offset:88
	s_getpc_b64 s[4:5]
	s_add_u32 s4, s4, _ZZZZN2at6native33launch_standard_gamma_grad_kernelERNS_18TensorIteratorBaseEENKUlvE_clEvENKUlvE0_clEvENKUlffE_clEff@rel32@lo+4
	s_addc_u32 s5, s5, _ZZZZN2at6native33launch_standard_gamma_grad_kernelERNS_18TensorIteratorBaseEENKUlvE_clEvENKUlvE0_clEvENKUlffE_clEff@rel32@hi+12
	s_swappc_b64 s[30:31], s[4:5]
	v_mov_b32_e32 v102, v0
.LBB169_3680:
	s_or_b64 exec, exec, s[28:29]
	v_or_b32_e32 v0, 0x1800, v31
	v_cmp_lt_i32_e32 vcc, v0, v72
                                        ; implicit-def: $vgpr100
	s_and_saveexec_b64 s[28:29], vcc
	s_cbranch_execz .LBB169_3682
; %bb.3681:
	buffer_load_dword v0, off, s[0:3], s33 offset:100
	buffer_load_dword v1, off, s[0:3], s33 offset:96
	s_getpc_b64 s[4:5]
	s_add_u32 s4, s4, _ZZZZN2at6native33launch_standard_gamma_grad_kernelERNS_18TensorIteratorBaseEENKUlvE_clEvENKUlvE0_clEvENKUlffE_clEff@rel32@lo+4
	s_addc_u32 s5, s5, _ZZZZN2at6native33launch_standard_gamma_grad_kernelERNS_18TensorIteratorBaseEENKUlvE_clEvENKUlvE0_clEvENKUlffE_clEff@rel32@hi+12
	s_swappc_b64 s[30:31], s[4:5]
	v_mov_b32_e32 v100, v0
.LBB169_3682:
	s_or_b64 exec, exec, s[28:29]
	v_add_u32_e32 v0, 0x1a00, v31
	v_cmp_lt_i32_e32 vcc, v0, v72
                                        ; implicit-def: $vgpr98
	s_and_saveexec_b64 s[28:29], vcc
	s_cbranch_execz .LBB169_3684
; %bb.3683:
	buffer_load_dword v0, off, s[0:3], s33 offset:108
	buffer_load_dword v1, off, s[0:3], s33 offset:104
	s_getpc_b64 s[4:5]
	s_add_u32 s4, s4, _ZZZZN2at6native33launch_standard_gamma_grad_kernelERNS_18TensorIteratorBaseEENKUlvE_clEvENKUlvE0_clEvENKUlffE_clEff@rel32@lo+4
	s_addc_u32 s5, s5, _ZZZZN2at6native33launch_standard_gamma_grad_kernelERNS_18TensorIteratorBaseEENKUlvE_clEvENKUlvE0_clEvENKUlffE_clEff@rel32@hi+12
	s_swappc_b64 s[30:31], s[4:5]
	v_mov_b32_e32 v98, v0
.LBB169_3684:
	s_or_b64 exec, exec, s[28:29]
	v_or_b32_e32 v0, 0x1c00, v31
	v_cmp_lt_i32_e32 vcc, v0, v72
                                        ; implicit-def: $vgpr96
	s_and_saveexec_b64 s[28:29], vcc
	s_cbranch_execz .LBB169_3686
; %bb.3685:
	buffer_load_dword v0, off, s[0:3], s33 offset:116
	buffer_load_dword v1, off, s[0:3], s33 offset:112
	s_getpc_b64 s[4:5]
	s_add_u32 s4, s4, _ZZZZN2at6native33launch_standard_gamma_grad_kernelERNS_18TensorIteratorBaseEENKUlvE_clEvENKUlvE0_clEvENKUlffE_clEff@rel32@lo+4
	s_addc_u32 s5, s5, _ZZZZN2at6native33launch_standard_gamma_grad_kernelERNS_18TensorIteratorBaseEENKUlvE_clEvENKUlvE0_clEvENKUlffE_clEff@rel32@hi+12
	s_swappc_b64 s[30:31], s[4:5]
	v_mov_b32_e32 v96, v0
.LBB169_3686:
	s_or_b64 exec, exec, s[28:29]
	v_add_u32_e32 v0, 0x1e00, v31
	v_cmp_lt_i32_e32 vcc, v0, v72
                                        ; implicit-def: $vgpr86
	s_and_saveexec_b64 s[28:29], vcc
	s_cbranch_execz .LBB169_3688
; %bb.3687:
	buffer_load_dword v0, off, s[0:3], s33 offset:124
	buffer_load_dword v1, off, s[0:3], s33 offset:120
	s_getpc_b64 s[4:5]
	s_add_u32 s4, s4, _ZZZZN2at6native33launch_standard_gamma_grad_kernelERNS_18TensorIteratorBaseEENKUlvE_clEvENKUlvE0_clEvENKUlffE_clEff@rel32@lo+4
	s_addc_u32 s5, s5, _ZZZZN2at6native33launch_standard_gamma_grad_kernelERNS_18TensorIteratorBaseEENKUlvE_clEvENKUlvE0_clEvENKUlffE_clEff@rel32@hi+12
	s_swappc_b64 s[30:31], s[4:5]
	v_mov_b32_e32 v86, v0
.LBB169_3688:
	s_or_b64 exec, exec, s[28:29]
	v_or_b32_e32 v0, 0x2000, v31
	v_cmp_lt_i32_e32 vcc, v0, v72
                                        ; implicit-def: $vgpr84
	s_and_saveexec_b64 s[28:29], vcc
	s_cbranch_execz .LBB169_3690
; %bb.3689:
	buffer_load_dword v0, off, s[0:3], s33 offset:132
	buffer_load_dword v1, off, s[0:3], s33 offset:128
	s_getpc_b64 s[4:5]
	s_add_u32 s4, s4, _ZZZZN2at6native33launch_standard_gamma_grad_kernelERNS_18TensorIteratorBaseEENKUlvE_clEvENKUlvE0_clEvENKUlffE_clEff@rel32@lo+4
	s_addc_u32 s5, s5, _ZZZZN2at6native33launch_standard_gamma_grad_kernelERNS_18TensorIteratorBaseEENKUlvE_clEvENKUlvE0_clEvENKUlffE_clEff@rel32@hi+12
	s_swappc_b64 s[30:31], s[4:5]
	v_mov_b32_e32 v84, v0
.LBB169_3690:
	s_or_b64 exec, exec, s[28:29]
	v_add_u32_e32 v0, 0x2200, v31
	v_cmp_lt_i32_e32 vcc, v0, v72
                                        ; implicit-def: $vgpr82
	s_and_saveexec_b64 s[28:29], vcc
	s_cbranch_execz .LBB169_3692
; %bb.3691:
	buffer_load_dword v0, off, s[0:3], s33 offset:140
	buffer_load_dword v1, off, s[0:3], s33 offset:136
	s_getpc_b64 s[4:5]
	s_add_u32 s4, s4, _ZZZZN2at6native33launch_standard_gamma_grad_kernelERNS_18TensorIteratorBaseEENKUlvE_clEvENKUlvE0_clEvENKUlffE_clEff@rel32@lo+4
	s_addc_u32 s5, s5, _ZZZZN2at6native33launch_standard_gamma_grad_kernelERNS_18TensorIteratorBaseEENKUlvE_clEvENKUlvE0_clEvENKUlffE_clEff@rel32@hi+12
	s_swappc_b64 s[30:31], s[4:5]
	v_mov_b32_e32 v82, v0
.LBB169_3692:
	s_or_b64 exec, exec, s[28:29]
	v_or_b32_e32 v0, 0x2400, v31
	v_cmp_lt_i32_e32 vcc, v0, v72
                                        ; implicit-def: $vgpr80
	s_and_saveexec_b64 s[28:29], vcc
	s_cbranch_execz .LBB169_3694
; %bb.3693:
	buffer_load_dword v0, off, s[0:3], s33 offset:148
	buffer_load_dword v1, off, s[0:3], s33 offset:144
	s_getpc_b64 s[4:5]
	s_add_u32 s4, s4, _ZZZZN2at6native33launch_standard_gamma_grad_kernelERNS_18TensorIteratorBaseEENKUlvE_clEvENKUlvE0_clEvENKUlffE_clEff@rel32@lo+4
	s_addc_u32 s5, s5, _ZZZZN2at6native33launch_standard_gamma_grad_kernelERNS_18TensorIteratorBaseEENKUlvE_clEvENKUlvE0_clEvENKUlffE_clEff@rel32@hi+12
	s_swappc_b64 s[30:31], s[4:5]
	v_mov_b32_e32 v80, v0
.LBB169_3694:
	s_or_b64 exec, exec, s[28:29]
	v_add_u32_e32 v0, 0x2600, v31
	v_cmp_lt_i32_e32 vcc, v0, v72
                                        ; implicit-def: $vgpr70
	s_and_saveexec_b64 s[28:29], vcc
	s_cbranch_execz .LBB169_3696
; %bb.3695:
	buffer_load_dword v0, off, s[0:3], s33 offset:156
	buffer_load_dword v1, off, s[0:3], s33 offset:152
	s_getpc_b64 s[4:5]
	s_add_u32 s4, s4, _ZZZZN2at6native33launch_standard_gamma_grad_kernelERNS_18TensorIteratorBaseEENKUlvE_clEvENKUlvE0_clEvENKUlffE_clEff@rel32@lo+4
	s_addc_u32 s5, s5, _ZZZZN2at6native33launch_standard_gamma_grad_kernelERNS_18TensorIteratorBaseEENKUlvE_clEvENKUlvE0_clEvENKUlffE_clEff@rel32@hi+12
	s_swappc_b64 s[30:31], s[4:5]
	v_mov_b32_e32 v70, v0
.LBB169_3696:
	s_or_b64 exec, exec, s[28:29]
	v_or_b32_e32 v0, 0x2800, v31
	v_cmp_lt_i32_e32 vcc, v0, v72
                                        ; implicit-def: $vgpr68
	s_and_saveexec_b64 s[28:29], vcc
	s_cbranch_execz .LBB169_3698
; %bb.3697:
	buffer_load_dword v0, off, s[0:3], s33 offset:164
	buffer_load_dword v1, off, s[0:3], s33 offset:160
	s_getpc_b64 s[4:5]
	s_add_u32 s4, s4, _ZZZZN2at6native33launch_standard_gamma_grad_kernelERNS_18TensorIteratorBaseEENKUlvE_clEvENKUlvE0_clEvENKUlffE_clEff@rel32@lo+4
	s_addc_u32 s5, s5, _ZZZZN2at6native33launch_standard_gamma_grad_kernelERNS_18TensorIteratorBaseEENKUlvE_clEvENKUlvE0_clEvENKUlffE_clEff@rel32@hi+12
	s_swappc_b64 s[30:31], s[4:5]
	v_mov_b32_e32 v68, v0
.LBB169_3698:
	s_or_b64 exec, exec, s[28:29]
	v_add_u32_e32 v0, 0x2a00, v31
	v_cmp_lt_i32_e32 vcc, v0, v72
                                        ; implicit-def: $vgpr66
	s_and_saveexec_b64 s[28:29], vcc
	s_cbranch_execz .LBB169_3700
; %bb.3699:
	buffer_load_dword v0, off, s[0:3], s33 offset:172
	buffer_load_dword v1, off, s[0:3], s33 offset:168
	s_getpc_b64 s[4:5]
	s_add_u32 s4, s4, _ZZZZN2at6native33launch_standard_gamma_grad_kernelERNS_18TensorIteratorBaseEENKUlvE_clEvENKUlvE0_clEvENKUlffE_clEff@rel32@lo+4
	s_addc_u32 s5, s5, _ZZZZN2at6native33launch_standard_gamma_grad_kernelERNS_18TensorIteratorBaseEENKUlvE_clEvENKUlvE0_clEvENKUlffE_clEff@rel32@hi+12
	s_swappc_b64 s[30:31], s[4:5]
	v_mov_b32_e32 v66, v0
.LBB169_3700:
	s_or_b64 exec, exec, s[28:29]
	v_or_b32_e32 v0, 0x2c00, v31
	v_cmp_lt_i32_e32 vcc, v0, v72
                                        ; implicit-def: $vgpr64
	s_and_saveexec_b64 s[28:29], vcc
	s_cbranch_execz .LBB169_3702
; %bb.3701:
	buffer_load_dword v0, off, s[0:3], s33 offset:180
	buffer_load_dword v1, off, s[0:3], s33 offset:176
	s_getpc_b64 s[4:5]
	s_add_u32 s4, s4, _ZZZZN2at6native33launch_standard_gamma_grad_kernelERNS_18TensorIteratorBaseEENKUlvE_clEvENKUlvE0_clEvENKUlffE_clEff@rel32@lo+4
	s_addc_u32 s5, s5, _ZZZZN2at6native33launch_standard_gamma_grad_kernelERNS_18TensorIteratorBaseEENKUlvE_clEvENKUlvE0_clEvENKUlffE_clEff@rel32@hi+12
	s_swappc_b64 s[30:31], s[4:5]
	v_mov_b32_e32 v64, v0
.LBB169_3702:
	s_or_b64 exec, exec, s[28:29]
	v_add_u32_e32 v0, 0x2e00, v31
	v_cmp_lt_i32_e32 vcc, v0, v72
                                        ; implicit-def: $vgpr54
	s_and_saveexec_b64 s[28:29], vcc
	s_cbranch_execz .LBB169_3704
; %bb.3703:
	buffer_load_dword v0, off, s[0:3], s33 offset:188
	buffer_load_dword v1, off, s[0:3], s33 offset:184
	s_getpc_b64 s[4:5]
	s_add_u32 s4, s4, _ZZZZN2at6native33launch_standard_gamma_grad_kernelERNS_18TensorIteratorBaseEENKUlvE_clEvENKUlvE0_clEvENKUlffE_clEff@rel32@lo+4
	s_addc_u32 s5, s5, _ZZZZN2at6native33launch_standard_gamma_grad_kernelERNS_18TensorIteratorBaseEENKUlvE_clEvENKUlvE0_clEvENKUlffE_clEff@rel32@hi+12
	s_swappc_b64 s[30:31], s[4:5]
	v_mov_b32_e32 v54, v0
.LBB169_3704:
	s_or_b64 exec, exec, s[28:29]
	v_or_b32_e32 v0, 0x3000, v31
	v_cmp_lt_i32_e32 vcc, v0, v72
                                        ; implicit-def: $vgpr52
	s_and_saveexec_b64 s[28:29], vcc
	s_cbranch_execz .LBB169_3706
; %bb.3705:
	buffer_load_dword v0, off, s[0:3], s33 offset:196
	buffer_load_dword v1, off, s[0:3], s33 offset:192
	s_getpc_b64 s[4:5]
	s_add_u32 s4, s4, _ZZZZN2at6native33launch_standard_gamma_grad_kernelERNS_18TensorIteratorBaseEENKUlvE_clEvENKUlvE0_clEvENKUlffE_clEff@rel32@lo+4
	s_addc_u32 s5, s5, _ZZZZN2at6native33launch_standard_gamma_grad_kernelERNS_18TensorIteratorBaseEENKUlvE_clEvENKUlvE0_clEvENKUlffE_clEff@rel32@hi+12
	s_swappc_b64 s[30:31], s[4:5]
	v_mov_b32_e32 v52, v0
.LBB169_3706:
	s_or_b64 exec, exec, s[28:29]
	v_add_u32_e32 v0, 0x3200, v31
	v_cmp_lt_i32_e32 vcc, v0, v72
                                        ; implicit-def: $vgpr50
	s_and_saveexec_b64 s[28:29], vcc
	s_cbranch_execz .LBB169_3708
; %bb.3707:
	buffer_load_dword v0, off, s[0:3], s33 offset:204
	buffer_load_dword v1, off, s[0:3], s33 offset:200
	s_getpc_b64 s[4:5]
	s_add_u32 s4, s4, _ZZZZN2at6native33launch_standard_gamma_grad_kernelERNS_18TensorIteratorBaseEENKUlvE_clEvENKUlvE0_clEvENKUlffE_clEff@rel32@lo+4
	s_addc_u32 s5, s5, _ZZZZN2at6native33launch_standard_gamma_grad_kernelERNS_18TensorIteratorBaseEENKUlvE_clEvENKUlvE0_clEvENKUlffE_clEff@rel32@hi+12
	s_swappc_b64 s[30:31], s[4:5]
	v_mov_b32_e32 v50, v0
.LBB169_3708:
	s_or_b64 exec, exec, s[28:29]
	v_or_b32_e32 v0, 0x3400, v31
	v_cmp_lt_i32_e32 vcc, v0, v72
                                        ; implicit-def: $vgpr48
	s_and_saveexec_b64 s[28:29], vcc
	s_cbranch_execz .LBB169_3710
; %bb.3709:
	buffer_load_dword v0, off, s[0:3], s33 offset:212
	buffer_load_dword v1, off, s[0:3], s33 offset:208
	s_getpc_b64 s[4:5]
	s_add_u32 s4, s4, _ZZZZN2at6native33launch_standard_gamma_grad_kernelERNS_18TensorIteratorBaseEENKUlvE_clEvENKUlvE0_clEvENKUlffE_clEff@rel32@lo+4
	s_addc_u32 s5, s5, _ZZZZN2at6native33launch_standard_gamma_grad_kernelERNS_18TensorIteratorBaseEENKUlvE_clEvENKUlvE0_clEvENKUlffE_clEff@rel32@hi+12
	s_swappc_b64 s[30:31], s[4:5]
	v_mov_b32_e32 v48, v0
.LBB169_3710:
	s_or_b64 exec, exec, s[28:29]
	v_add_u32_e32 v0, 0x3600, v31
	v_cmp_lt_i32_e32 vcc, v0, v72
                                        ; implicit-def: $vgpr38
	s_and_saveexec_b64 s[28:29], vcc
	s_cbranch_execz .LBB169_3712
; %bb.3711:
	buffer_load_dword v0, off, s[0:3], s33 offset:220
	buffer_load_dword v1, off, s[0:3], s33 offset:216
	s_getpc_b64 s[4:5]
	s_add_u32 s4, s4, _ZZZZN2at6native33launch_standard_gamma_grad_kernelERNS_18TensorIteratorBaseEENKUlvE_clEvENKUlvE0_clEvENKUlffE_clEff@rel32@lo+4
	s_addc_u32 s5, s5, _ZZZZN2at6native33launch_standard_gamma_grad_kernelERNS_18TensorIteratorBaseEENKUlvE_clEvENKUlvE0_clEvENKUlffE_clEff@rel32@hi+12
	s_swappc_b64 s[30:31], s[4:5]
	v_mov_b32_e32 v38, v0
.LBB169_3712:
	s_or_b64 exec, exec, s[28:29]
	v_or_b32_e32 v0, 0x3800, v31
	v_cmp_lt_i32_e32 vcc, v0, v72
                                        ; implicit-def: $vgpr36
	s_and_saveexec_b64 s[28:29], vcc
	s_cbranch_execz .LBB169_3714
; %bb.3713:
	buffer_load_dword v0, off, s[0:3], s33 offset:228
	buffer_load_dword v1, off, s[0:3], s33 offset:224
	s_getpc_b64 s[4:5]
	s_add_u32 s4, s4, _ZZZZN2at6native33launch_standard_gamma_grad_kernelERNS_18TensorIteratorBaseEENKUlvE_clEvENKUlvE0_clEvENKUlffE_clEff@rel32@lo+4
	s_addc_u32 s5, s5, _ZZZZN2at6native33launch_standard_gamma_grad_kernelERNS_18TensorIteratorBaseEENKUlvE_clEvENKUlvE0_clEvENKUlffE_clEff@rel32@hi+12
	s_swappc_b64 s[30:31], s[4:5]
	v_mov_b32_e32 v36, v0
.LBB169_3714:
	s_or_b64 exec, exec, s[28:29]
	v_add_u32_e32 v0, 0x3a00, v31
	v_cmp_lt_i32_e32 vcc, v0, v72
                                        ; implicit-def: $vgpr34
	s_and_saveexec_b64 s[28:29], vcc
	s_cbranch_execz .LBB169_3716
; %bb.3715:
	buffer_load_dword v0, off, s[0:3], s33 offset:236
	buffer_load_dword v1, off, s[0:3], s33 offset:232
	s_getpc_b64 s[4:5]
	s_add_u32 s4, s4, _ZZZZN2at6native33launch_standard_gamma_grad_kernelERNS_18TensorIteratorBaseEENKUlvE_clEvENKUlvE0_clEvENKUlffE_clEff@rel32@lo+4
	s_addc_u32 s5, s5, _ZZZZN2at6native33launch_standard_gamma_grad_kernelERNS_18TensorIteratorBaseEENKUlvE_clEvENKUlvE0_clEvENKUlffE_clEff@rel32@hi+12
	s_swappc_b64 s[30:31], s[4:5]
	v_mov_b32_e32 v34, v0
.LBB169_3716:
	s_or_b64 exec, exec, s[28:29]
	v_or_b32_e32 v0, 0x3c00, v31
	v_cmp_lt_i32_e32 vcc, v0, v72
                                        ; implicit-def: $vgpr32
	s_and_saveexec_b64 s[28:29], vcc
	s_cbranch_execz .LBB169_3718
; %bb.3717:
	buffer_load_dword v0, off, s[0:3], s33 offset:244
	buffer_load_dword v1, off, s[0:3], s33 offset:240
	s_getpc_b64 s[4:5]
	s_add_u32 s4, s4, _ZZZZN2at6native33launch_standard_gamma_grad_kernelERNS_18TensorIteratorBaseEENKUlvE_clEvENKUlvE0_clEvENKUlffE_clEff@rel32@lo+4
	s_addc_u32 s5, s5, _ZZZZN2at6native33launch_standard_gamma_grad_kernelERNS_18TensorIteratorBaseEENKUlvE_clEvENKUlvE0_clEvENKUlffE_clEff@rel32@hi+12
	s_swappc_b64 s[30:31], s[4:5]
	v_mov_b32_e32 v32, v0
.LBB169_3718:
	s_or_b64 exec, exec, s[28:29]
	v_add_u32_e32 v0, 0x3e00, v31
	v_cmp_lt_i32_e32 vcc, v0, v72
                                        ; implicit-def: $vgpr0
	s_and_saveexec_b64 s[28:29], vcc
	s_cbranch_execz .LBB169_3720
; %bb.3719:
	buffer_load_dword v0, off, s[0:3], s33 offset:252
	buffer_load_dword v1, off, s[0:3], s33 offset:248
	s_getpc_b64 s[4:5]
	s_add_u32 s4, s4, _ZZZZN2at6native33launch_standard_gamma_grad_kernelERNS_18TensorIteratorBaseEENKUlvE_clEvENKUlvE0_clEvENKUlffE_clEff@rel32@lo+4
	s_addc_u32 s5, s5, _ZZZZN2at6native33launch_standard_gamma_grad_kernelERNS_18TensorIteratorBaseEENKUlvE_clEvENKUlvE0_clEvENKUlffE_clEff@rel32@hi+12
	s_swappc_b64 s[30:31], s[4:5]
.LBB169_3720:
	s_or_b64 exec, exec, s[28:29]
	s_mov_b64 s[10:11], -1
	s_mov_b64 s[12:13], 0
	s_mov_b64 s[6:7], 0
	s_and_saveexec_b64 s[4:5], s[22:23]
	s_xor_b64 s[8:9], exec, s[4:5]
	s_cbranch_execz .LBB169_3846
; %bb.3721:
	v_readlane_b32 s4, v78, 1
	v_or_b32_e32 v1, s4, v31
	v_mul_lo_u32 v1, v1, v63
	v_add_co_u32_e32 v2, vcc, v30, v1
	v_mov_b32_e32 v1, 10
	v_addc_co_u32_e32 v3, vcc, 0, v73, vcc
	v_cmp_gt_i16_sdwa s[6:7], v62, v1 src0_sel:BYTE_0 src1_sel:DWORD
	s_mov_b64 s[4:5], 0
	s_mov_b64 s[10:11], 0
	s_and_saveexec_b64 s[14:15], s[6:7]
	s_xor_b64 s[6:7], exec, s[14:15]
	s_cbranch_execz .LBB169_3803
; %bb.3722:
	v_mov_b32_e32 v1, 25
	v_cmp_gt_i16_sdwa s[14:15], v62, v1 src0_sel:BYTE_0 src1_sel:DWORD
	s_and_saveexec_b64 s[16:17], s[14:15]
	s_xor_b64 s[14:15], exec, s[16:17]
	s_cbranch_execz .LBB169_3758
; %bb.3723:
	v_mov_b32_e32 v1, 28
	v_cmp_gt_i16_sdwa s[10:11], v62, v1 src0_sel:BYTE_0 src1_sel:DWORD
	s_mov_b64 s[16:17], 0
	s_and_saveexec_b64 s[18:19], s[10:11]
	s_xor_b64 s[10:11], exec, s[18:19]
	s_cbranch_execz .LBB169_3741
; %bb.3724:
	v_mov_b32_e32 v1, 43
	v_cmp_gt_i16_sdwa s[16:17], v62, v1 src0_sel:BYTE_0 src1_sel:DWORD
	s_mov_b64 s[20:21], 0
	;; [unrolled: 7-line block ×3, first 2 shown]
	s_and_saveexec_b64 s[22:23], s[4:5]
	s_xor_b64 s[4:5], exec, s[22:23]
	s_cbranch_execz .LBB169_3729
; %bb.3726:
	v_mov_b32_e32 v1, 46
	v_cmp_eq_u16_sdwa s[28:29], v62, v1 src0_sel:BYTE_0 src1_sel:DWORD
	s_mov_b64 s[22:23], -1
	s_and_saveexec_b64 s[20:21], s[28:29]
	s_cbranch_execz .LBB169_3728
; %bb.3727:
	v_bfe_u32 v1, v60, 16, 1
	s_movk_i32 s22, 0x7fff
	v_add3_u32 v1, v60, v1, s22
	v_lshrrev_b32_e32 v1, 16, v1
	v_mov_b32_e32 v4, 0x7fc0
	v_cmp_o_f32_e32 vcc, v60, v60
	v_cndmask_b32_e32 v1, v4, v1, vcc
	s_mov_b64 s[18:19], exec
	flat_store_dword v[2:3], v1
	s_xor_b64 s[22:23], exec, -1
.LBB169_3728:
	s_or_b64 exec, exec, s[20:21]
	s_and_b64 s[20:21], s[22:23], exec
	s_and_b64 s[18:19], s[18:19], exec
                                        ; implicit-def: $vgpr2_vgpr3
                                        ; implicit-def: $vgpr60
.LBB169_3729:
	s_andn2_saveexec_b64 s[22:23], s[4:5]
	s_cbranch_execz .LBB169_3735
; %bb.3730:
	v_mov_b32_e32 v1, 44
	v_cmp_eq_u16_sdwa s[30:31], v62, v1 src0_sel:BYTE_0 src1_sel:DWORD
	s_mov_b64 vcc, -1
	s_mov_b64 s[4:5], s[18:19]
	s_and_saveexec_b64 s[28:29], s[30:31]
	s_cbranch_execz .LBB169_3734
; %bb.3731:
	v_bfe_u32 v1, v60, 23, 8
	s_movk_i32 s4, 0xff
	v_cmp_ne_u32_e32 vcc, s4, v1
	v_mov_b32_e32 v4, 0xff
	s_and_saveexec_b64 s[30:31], vcc
; %bb.3732:
	s_mov_b32 s4, 0x3fffff
	v_and_b32_e32 v5, 0x400000, v60
	v_and_or_b32 v1, v60, s4, v1
	v_cmp_ne_u32_e32 vcc, 0, v5
	v_cmp_ne_u32_e64 s[4:5], 0, v1
	s_and_b64 s[4:5], vcc, s[4:5]
	v_lshrrev_b32_e32 v4, 23, v60
	v_cndmask_b32_e64 v1, 0, 1, s[4:5]
	v_add_u32_e32 v4, v4, v1
; %bb.3733:
	s_or_b64 exec, exec, s[30:31]
	s_xor_b64 vcc, exec, -1
	s_or_b64 s[4:5], s[18:19], exec
	flat_store_byte v[2:3], v4
.LBB169_3734:
	s_or_b64 exec, exec, s[28:29]
	s_andn2_b64 s[20:21], s[20:21], exec
	s_and_b64 s[28:29], vcc, exec
	s_andn2_b64 s[18:19], s[18:19], exec
	s_and_b64 s[4:5], s[4:5], exec
	s_or_b64 s[20:21], s[20:21], s[28:29]
	s_or_b64 s[18:19], s[18:19], s[4:5]
.LBB169_3735:
	s_or_b64 exec, exec, s[22:23]
	s_and_b64 s[20:21], s[20:21], exec
	s_and_b64 s[4:5], s[18:19], exec
                                        ; implicit-def: $vgpr60
                                        ; implicit-def: $vgpr2_vgpr3
.LBB169_3736:
	s_andn2_saveexec_b64 s[16:17], s[16:17]
	s_cbranch_execz .LBB169_3740
; %bb.3737:
	v_mov_b32_e32 v1, 29
	v_cmp_eq_u16_sdwa vcc, v62, v1 src0_sel:BYTE_0 src1_sel:DWORD
	s_mov_b64 s[28:29], -1
	s_mov_b64 s[22:23], s[4:5]
	s_and_saveexec_b64 s[18:19], vcc
	s_cbranch_execz .LBB169_3739
; %bb.3738:
	v_trunc_f32_e32 v1, v60
	v_mul_f32_e32 v4, 0x2f800000, v1
	v_floor_f32_e32 v4, v4
	v_fmac_f32_e32 v1, 0xcf800000, v4
	v_cvt_u32_f32_e32 v5, v4
	v_cvt_u32_f32_e32 v4, v1
	s_xor_b64 s[28:29], exec, -1
	s_or_b64 s[22:23], s[4:5], exec
	flat_store_dwordx2 v[2:3], v[4:5]
.LBB169_3739:
	s_or_b64 exec, exec, s[18:19]
	s_andn2_b64 s[18:19], s[20:21], exec
	s_and_b64 s[20:21], s[28:29], exec
	s_or_b64 s[20:21], s[18:19], s[20:21]
	s_andn2_b64 s[4:5], s[4:5], exec
	s_and_b64 s[18:19], s[22:23], exec
	s_or_b64 s[4:5], s[4:5], s[18:19]
.LBB169_3740:
	s_or_b64 exec, exec, s[16:17]
	s_and_b64 s[16:17], s[20:21], exec
	s_and_b64 s[4:5], s[4:5], exec
                                        ; implicit-def: $vgpr2_vgpr3
                                        ; implicit-def: $vgpr60
.LBB169_3741:
	s_andn2_saveexec_b64 s[10:11], s[10:11]
	s_cbranch_execz .LBB169_3757
; %bb.3742:
	v_mov_b32_e32 v1, 26
	v_cmp_gt_i16_sdwa s[18:19], v62, v1 src0_sel:BYTE_0 src1_sel:DWORD
	s_and_saveexec_b64 s[20:21], s[18:19]
	s_xor_b64 s[18:19], exec, s[20:21]
	s_cbranch_execz .LBB169_3748
; %bb.3743:
	v_cvt_u32_f32_e32 v1, v60
	v_mov_b32_e32 v4, 27
	v_cmp_gt_i16_sdwa s[20:21], v62, v4 src0_sel:BYTE_0 src1_sel:DWORD
	s_and_saveexec_b64 s[22:23], s[20:21]
	s_xor_b64 s[20:21], exec, s[22:23]
	s_cbranch_execz .LBB169_3745
; %bb.3744:
	flat_store_dword v[2:3], v1
                                        ; implicit-def: $vgpr2_vgpr3
                                        ; implicit-def: $vgpr1
.LBB169_3745:
	s_andn2_saveexec_b64 s[20:21], s[20:21]
	s_cbranch_execz .LBB169_3747
; %bb.3746:
	flat_store_short v[2:3], v1
.LBB169_3747:
	s_or_b64 exec, exec, s[20:21]
                                        ; implicit-def: $vgpr2_vgpr3
                                        ; implicit-def: $vgpr60
.LBB169_3748:
	s_andn2_saveexec_b64 s[18:19], s[18:19]
	s_cbranch_execz .LBB169_3756
; %bb.3749:
	v_and_b32_e32 v1, 0x7fffffff, v60
	s_mov_b32 s20, 0x43800000
	v_cmp_gt_u32_e32 vcc, s20, v1
	v_mov_b32_e32 v4, 0x80
	s_and_saveexec_b64 s[20:21], vcc
	s_cbranch_execz .LBB169_3755
; %bb.3750:
	s_mov_b32 s22, 0x3bffffff
	v_cmp_lt_u32_e32 vcc, s22, v1
	s_mov_b64 s[22:23], 0
                                        ; implicit-def: $vgpr1
	s_and_saveexec_b64 s[28:29], vcc
	s_xor_b64 s[28:29], exec, s[28:29]
	s_cbranch_execnz .LBB169_5319
; %bb.3751:
	s_or_saveexec_b64 s[28:29], s[28:29]
                                        ; implicit-def: $sgpr30
	s_xor_b64 exec, exec, s[28:29]
	s_cbranch_execnz .LBB169_5320
.LBB169_3752:
	s_or_b64 exec, exec, s[28:29]
	v_mov_b32_e32 v4, s30
	s_and_saveexec_b64 s[28:29], s[22:23]
.LBB169_3753:
	v_lshrrev_b32_e32 v4, 24, v60
	s_movk_i32 s22, 0x80
	v_and_or_b32 v4, v4, s22, v1
.LBB169_3754:
	s_or_b64 exec, exec, s[28:29]
.LBB169_3755:
	s_or_b64 exec, exec, s[20:21]
	flat_store_byte v[2:3], v4
.LBB169_3756:
	s_or_b64 exec, exec, s[18:19]
	s_or_b64 s[4:5], s[4:5], exec
.LBB169_3757:
	s_or_b64 exec, exec, s[10:11]
	s_and_b64 s[10:11], s[16:17], exec
	s_and_b64 s[4:5], s[4:5], exec
                                        ; implicit-def: $vgpr60
                                        ; implicit-def: $vgpr2_vgpr3
.LBB169_3758:
	s_andn2_saveexec_b64 s[14:15], s[14:15]
	s_cbranch_execz .LBB169_3802
; %bb.3759:
	v_mov_b32_e32 v1, 22
	v_cmp_gt_i16_sdwa s[16:17], v62, v1 src0_sel:BYTE_0 src1_sel:DWORD
	s_mov_b64 s[18:19], s[4:5]
	s_and_saveexec_b64 s[20:21], s[16:17]
	s_xor_b64 s[16:17], exec, s[20:21]
	s_cbranch_execz .LBB169_3791
; %bb.3760:
	v_mov_b32_e32 v1, 23
	v_cmp_gt_i16_sdwa s[18:19], v62, v1 src0_sel:BYTE_0 src1_sel:DWORD
	s_and_saveexec_b64 s[20:21], s[18:19]
	s_xor_b64 s[18:19], exec, s[20:21]
	s_cbranch_execz .LBB169_3780
; %bb.3761:
	v_mov_b32_e32 v1, 24
	v_cmp_gt_i16_sdwa s[20:21], v62, v1 src0_sel:BYTE_0 src1_sel:DWORD
	s_and_saveexec_b64 s[22:23], s[20:21]
	s_xor_b64 s[20:21], exec, s[22:23]
	s_cbranch_execz .LBB169_3769
; %bb.3762:
	v_and_b32_e32 v1, 0x7fffffff, v60
	s_mov_b32 s22, 0x47800000
	v_cmp_gt_u32_e32 vcc, s22, v1
	v_mov_b32_e32 v4, 0x80
	s_and_saveexec_b64 s[22:23], vcc
	s_cbranch_execz .LBB169_3768
; %bb.3763:
	s_mov_b32 s28, 0x37ffffff
	v_cmp_lt_u32_e32 vcc, s28, v1
	s_mov_b64 s[28:29], 0
                                        ; implicit-def: $vgpr1
	s_and_saveexec_b64 s[30:31], vcc
	s_xor_b64 vcc, exec, s[30:31]
	s_cbranch_execnz .LBB169_5443
; %bb.3764:
	s_or_saveexec_b64 s[30:31], vcc
                                        ; implicit-def: $sgpr34
	s_xor_b64 exec, exec, s[30:31]
	s_cbranch_execnz .LBB169_5444
.LBB169_3765:
	s_or_b64 exec, exec, s[30:31]
	v_mov_b32_e32 v4, s34
	s_and_saveexec_b64 vcc, s[28:29]
.LBB169_3766:
	v_lshrrev_b32_e32 v4, 24, v60
	s_movk_i32 s28, 0x80
	v_and_or_b32 v4, v4, s28, v1
.LBB169_3767:
	s_or_b64 exec, exec, vcc
.LBB169_3768:
	s_or_b64 exec, exec, s[22:23]
	flat_store_byte v[2:3], v4
                                        ; implicit-def: $vgpr60
                                        ; implicit-def: $vgpr2_vgpr3
.LBB169_3769:
	s_andn2_saveexec_b64 s[20:21], s[20:21]
	s_cbranch_execz .LBB169_3779
; %bb.3770:
	v_and_b32_e32 v4, 0x7fffffff, v60
	s_mov_b32 s22, 0x43f00000
	v_cmp_gt_u32_e32 vcc, s22, v4
                                        ; implicit-def: $vgpr1
	s_and_saveexec_b64 s[22:23], vcc
	s_xor_b64 s[22:23], exec, s[22:23]
	s_cbranch_execz .LBB169_3776
; %bb.3771:
	s_mov_b32 s28, 0x3c7fffff
	v_cmp_lt_u32_e32 vcc, s28, v4
                                        ; implicit-def: $vgpr1
	s_and_saveexec_b64 s[28:29], vcc
	s_xor_b64 s[28:29], exec, s[28:29]
; %bb.3772:
	v_bfe_u32 v1, v60, 20, 1
	s_mov_b32 vcc_lo, 0x407ffff
	v_add3_u32 v1, v60, v1, vcc_lo
	v_lshrrev_b32_e32 v4, 20, v1
	v_and_b32_e32 v1, 0xff00000, v1
	s_mov_b32 vcc_lo, 0x7f00000
	v_mov_b32_e32 v5, 0x7e
	v_cmp_ne_u32_e32 vcc, vcc_lo, v1
	v_cndmask_b32_e32 v1, v5, v4, vcc
; %bb.3773:
	s_andn2_saveexec_b64 s[28:29], s[28:29]
; %bb.3774:
	s_mov_b32 s30, 0x46800000
	v_add_f32_e64 v1, |v60|, s30
; %bb.3775:
	s_or_b64 exec, exec, s[28:29]
                                        ; implicit-def: $vgpr4
.LBB169_3776:
	s_andn2_saveexec_b64 s[22:23], s[22:23]
; %bb.3777:
	s_mov_b32 s28, 0x7f800000
	v_mov_b32_e32 v1, 0x7e
	v_mov_b32_e32 v5, 0x7f
	v_cmp_lt_u32_e32 vcc, s28, v4
	v_cndmask_b32_e32 v1, v1, v5, vcc
; %bb.3778:
	s_or_b64 exec, exec, s[22:23]
	v_lshrrev_b32_e32 v4, 24, v60
	s_movk_i32 s22, 0x80
	v_and_or_b32 v1, v4, s22, v1
	flat_store_byte v[2:3], v1
.LBB169_3779:
	s_or_b64 exec, exec, s[20:21]
                                        ; implicit-def: $vgpr60
                                        ; implicit-def: $vgpr2_vgpr3
.LBB169_3780:
	s_andn2_saveexec_b64 s[18:19], s[18:19]
	s_cbranch_execz .LBB169_3790
; %bb.3781:
	v_and_b32_e32 v4, 0x7fffffff, v60
	s_mov_b32 s20, 0x47800000
	v_cmp_gt_u32_e32 vcc, s20, v4
                                        ; implicit-def: $vgpr1
	s_and_saveexec_b64 s[20:21], vcc
	s_xor_b64 s[20:21], exec, s[20:21]
	s_cbranch_execz .LBB169_3787
; %bb.3782:
	s_mov_b32 s22, 0x387fffff
	v_cmp_lt_u32_e32 vcc, s22, v4
                                        ; implicit-def: $vgpr1
	s_and_saveexec_b64 s[22:23], vcc
	s_xor_b64 s[22:23], exec, s[22:23]
; %bb.3783:
	v_bfe_u32 v1, v60, 21, 1
	s_mov_b32 s28, 0x80fffff
	v_add3_u32 v1, v60, v1, s28
	v_lshrrev_b32_e32 v1, 21, v1
; %bb.3784:
	s_andn2_saveexec_b64 s[22:23], s[22:23]
; %bb.3785:
	s_mov_b32 s28, 0x43000000
	v_add_f32_e64 v1, |v60|, s28
; %bb.3786:
	s_or_b64 exec, exec, s[22:23]
                                        ; implicit-def: $vgpr4
.LBB169_3787:
	s_andn2_saveexec_b64 s[20:21], s[20:21]
; %bb.3788:
	s_mov_b32 s22, 0x7f800000
	v_mov_b32_e32 v1, 0x7c
	v_mov_b32_e32 v5, 0x7f
	v_cmp_lt_u32_e32 vcc, s22, v4
	v_cndmask_b32_e32 v1, v1, v5, vcc
; %bb.3789:
	s_or_b64 exec, exec, s[20:21]
	v_lshrrev_b32_e32 v4, 24, v60
	s_movk_i32 s20, 0x80
	v_and_or_b32 v1, v4, s20, v1
	flat_store_byte v[2:3], v1
.LBB169_3790:
	s_or_b64 exec, exec, s[18:19]
	s_or_b64 s[18:19], s[4:5], exec
                                        ; implicit-def: $vgpr60
                                        ; implicit-def: $vgpr2_vgpr3
.LBB169_3791:
	s_or_saveexec_b64 s[16:17], s[16:17]
	s_mov_b64 s[22:23], s[10:11]
	s_xor_b64 exec, exec, s[16:17]
	s_cbranch_execz .LBB169_3801
; %bb.3792:
	v_mov_b32_e32 v1, 14
	v_cmp_gt_i16_sdwa s[28:29], v62, v1 src0_sel:BYTE_0 src1_sel:DWORD
	s_mov_b64 s[20:21], s[18:19]
	s_mov_b64 s[22:23], s[10:11]
	s_and_saveexec_b64 vcc, s[28:29]
	s_xor_b64 s[28:29], exec, vcc
	s_cbranch_execz .LBB169_3796
; %bb.3793:
	v_mov_b32_e32 v1, 15
	v_cmp_eq_u16_sdwa s[30:31], v62, v1 src0_sel:BYTE_0 src1_sel:DWORD
	s_mov_b64 s[22:23], -1
	s_mov_b64 vcc, s[18:19]
	s_and_saveexec_b64 s[20:21], s[30:31]
	s_cbranch_execz .LBB169_3795
; %bb.3794:
	v_bfe_u32 v1, v60, 16, 1
	s_movk_i32 s22, 0x7fff
	v_add3_u32 v1, v60, v1, s22
	v_lshrrev_b32_e32 v1, 16, v1
	v_mov_b32_e32 v4, 0x7fc0
	v_cmp_o_f32_e32 vcc, v60, v60
	v_cndmask_b32_e32 v1, v4, v1, vcc
	flat_store_short v[2:3], v1
	s_xor_b64 s[22:23], exec, -1
	s_or_b64 vcc, s[18:19], exec
.LBB169_3795:
	s_or_b64 exec, exec, s[20:21]
	s_andn2_b64 s[20:21], s[10:11], exec
	s_and_b64 s[22:23], s[22:23], exec
	s_or_b64 s[22:23], s[20:21], s[22:23]
	s_andn2_b64 s[20:21], s[18:19], exec
	s_and_b64 vcc, vcc, exec
	s_or_b64 s[20:21], s[20:21], vcc
                                        ; implicit-def: $vgpr60
                                        ; implicit-def: $vgpr2_vgpr3
.LBB169_3796:
	s_andn2_saveexec_b64 s[28:29], s[28:29]
	s_cbranch_execz .LBB169_3800
; %bb.3797:
	v_mov_b32_e32 v1, 11
	v_cmp_eq_u16_sdwa s[36:37], v62, v1 src0_sel:BYTE_0 src1_sel:DWORD
	s_mov_b64 s[30:31], -1
	s_mov_b64 vcc, s[20:21]
	s_and_saveexec_b64 s[34:35], s[36:37]
	s_cbranch_execz .LBB169_3799
; %bb.3798:
	v_cmp_neq_f32_e32 vcc, 0, v60
	v_cndmask_b32_e64 v1, 0, 1, vcc
	flat_store_byte v[2:3], v1
	s_xor_b64 s[30:31], exec, -1
	s_or_b64 vcc, s[20:21], exec
.LBB169_3799:
	s_or_b64 exec, exec, s[34:35]
	s_andn2_b64 s[22:23], s[22:23], exec
	s_and_b64 s[30:31], s[30:31], exec
	s_andn2_b64 s[20:21], s[20:21], exec
	s_and_b64 vcc, vcc, exec
	s_or_b64 s[22:23], s[22:23], s[30:31]
	s_or_b64 s[20:21], s[20:21], vcc
.LBB169_3800:
	s_or_b64 exec, exec, s[28:29]
	s_andn2_b64 s[28:29], s[10:11], exec
	s_and_b64 s[22:23], s[22:23], exec
	s_andn2_b64 s[18:19], s[18:19], exec
	s_and_b64 s[20:21], s[20:21], exec
	s_or_b64 s[22:23], s[28:29], s[22:23]
	s_or_b64 s[18:19], s[18:19], s[20:21]
.LBB169_3801:
	s_or_b64 exec, exec, s[16:17]
	s_andn2_b64 s[10:11], s[10:11], exec
	s_and_b64 s[16:17], s[22:23], exec
	s_or_b64 s[10:11], s[10:11], s[16:17]
	s_andn2_b64 s[4:5], s[4:5], exec
	s_and_b64 s[16:17], s[18:19], exec
	s_or_b64 s[4:5], s[4:5], s[16:17]
.LBB169_3802:
	s_or_b64 exec, exec, s[14:15]
	s_and_b64 s[10:11], s[10:11], exec
	s_and_b64 s[4:5], s[4:5], exec
                                        ; implicit-def: $vgpr60
                                        ; implicit-def: $vgpr2_vgpr3
.LBB169_3803:
	s_andn2_saveexec_b64 s[6:7], s[6:7]
	s_cbranch_execz .LBB169_3845
; %bb.3804:
	v_mov_b32_e32 v1, 4
	v_cmp_gt_i16_sdwa s[14:15], v62, v1 src0_sel:BYTE_0 src1_sel:DWORD
	s_and_saveexec_b64 s[16:17], s[14:15]
	s_xor_b64 s[14:15], exec, s[16:17]
	s_cbranch_execz .LBB169_3826
; %bb.3805:
	v_mov_b32_e32 v1, 7
	v_cmp_gt_i16_sdwa s[16:17], v62, v1 src0_sel:BYTE_0 src1_sel:DWORD
	s_and_saveexec_b64 s[18:19], s[16:17]
	s_xor_b64 s[16:17], exec, s[18:19]
	;; [unrolled: 6-line block ×4, first 2 shown]
	s_cbranch_execz .LBB169_3809
; %bb.3808:
	v_mov_b32_e32 v6, 0
	v_cvt_f64_f32_e32 v[4:5], v60
	v_mov_b32_e32 v7, v6
	flat_store_dwordx4 v[2:3], v[4:7]
                                        ; implicit-def: $vgpr60
                                        ; implicit-def: $vgpr2_vgpr3
.LBB169_3809:
	s_andn2_saveexec_b64 s[20:21], s[20:21]
	s_cbranch_execz .LBB169_3811
; %bb.3810:
	v_mov_b32_e32 v61, 0
	flat_store_dwordx2 v[2:3], v[60:61]
.LBB169_3811:
	s_or_b64 exec, exec, s[20:21]
                                        ; implicit-def: $vgpr60
                                        ; implicit-def: $vgpr2_vgpr3
.LBB169_3812:
	s_andn2_saveexec_b64 s[18:19], s[18:19]
	s_cbranch_execz .LBB169_3814
; %bb.3813:
	v_cvt_f16_f32_e32 v1, v60
	flat_store_dword v[2:3], v1
.LBB169_3814:
	s_or_b64 exec, exec, s[18:19]
                                        ; implicit-def: $vgpr60
                                        ; implicit-def: $vgpr2_vgpr3
.LBB169_3815:
	s_andn2_saveexec_b64 s[16:17], s[16:17]
	s_cbranch_execz .LBB169_3825
; %bb.3816:
	v_mov_b32_e32 v1, 5
	v_cmp_gt_i16_sdwa s[18:19], v62, v1 src0_sel:BYTE_0 src1_sel:DWORD
	s_and_saveexec_b64 s[20:21], s[18:19]
	s_xor_b64 s[18:19], exec, s[20:21]
	s_cbranch_execz .LBB169_3822
; %bb.3817:
	v_mov_b32_e32 v1, 6
	v_cmp_gt_i16_sdwa s[20:21], v62, v1 src0_sel:BYTE_0 src1_sel:DWORD
	s_and_saveexec_b64 s[22:23], s[20:21]
	s_xor_b64 s[20:21], exec, s[22:23]
	s_cbranch_execz .LBB169_3819
; %bb.3818:
	v_cvt_f64_f32_e32 v[4:5], v60
	flat_store_dwordx2 v[2:3], v[4:5]
                                        ; implicit-def: $vgpr2_vgpr3
                                        ; implicit-def: $vgpr60
.LBB169_3819:
	s_andn2_saveexec_b64 s[20:21], s[20:21]
	s_cbranch_execz .LBB169_3821
; %bb.3820:
	flat_store_dword v[2:3], v60
.LBB169_3821:
	s_or_b64 exec, exec, s[20:21]
                                        ; implicit-def: $vgpr60
                                        ; implicit-def: $vgpr2_vgpr3
.LBB169_3822:
	s_andn2_saveexec_b64 s[18:19], s[18:19]
	s_cbranch_execz .LBB169_3824
; %bb.3823:
	v_cvt_f16_f32_e32 v1, v60
	flat_store_short v[2:3], v1
.LBB169_3824:
	s_or_b64 exec, exec, s[18:19]
.LBB169_3825:
	s_or_b64 exec, exec, s[16:17]
                                        ; implicit-def: $vgpr60
                                        ; implicit-def: $vgpr2_vgpr3
.LBB169_3826:
	s_andn2_saveexec_b64 s[14:15], s[14:15]
	s_cbranch_execz .LBB169_3844
; %bb.3827:
	v_mov_b32_e32 v1, 1
	v_cmp_gt_i16_sdwa s[16:17], v62, v1 src0_sel:BYTE_0 src1_sel:DWORD
	s_and_saveexec_b64 s[18:19], s[16:17]
	s_xor_b64 s[16:17], exec, s[18:19]
	s_cbranch_execz .LBB169_3837
; %bb.3828:
	v_mov_b32_e32 v1, 2
	v_cmp_gt_i16_sdwa s[18:19], v62, v1 src0_sel:BYTE_0 src1_sel:DWORD
	s_and_saveexec_b64 s[20:21], s[18:19]
	s_xor_b64 s[18:19], exec, s[20:21]
	;; [unrolled: 6-line block ×3, first 2 shown]
	s_cbranch_execz .LBB169_3831
; %bb.3830:
	v_trunc_f32_e32 v1, v60
	s_mov_b32 s22, 0x2f800000
	v_mul_f32_e64 v4, |v1|, s22
	v_floor_f32_e32 v4, v4
	s_mov_b32 s22, 0xcf800000
	v_cvt_u32_f32_e32 v5, v4
	v_fma_f32 v4, v4, s22, |v1|
	v_cvt_u32_f32_e32 v4, v4
	v_ashrrev_i32_e32 v1, 31, v1
	v_xor_b32_e32 v5, v5, v1
                                        ; implicit-def: $vgpr60
	v_xor_b32_e32 v4, v4, v1
	v_sub_co_u32_e32 v4, vcc, v4, v1
	v_subb_co_u32_e32 v5, vcc, v5, v1, vcc
	flat_store_dwordx2 v[2:3], v[4:5]
                                        ; implicit-def: $vgpr2_vgpr3
.LBB169_3831:
	s_andn2_saveexec_b64 s[20:21], s[20:21]
	s_cbranch_execz .LBB169_3833
; %bb.3832:
	v_cvt_i32_f32_e32 v1, v60
	flat_store_dword v[2:3], v1
.LBB169_3833:
	s_or_b64 exec, exec, s[20:21]
                                        ; implicit-def: $vgpr60
                                        ; implicit-def: $vgpr2_vgpr3
.LBB169_3834:
	s_andn2_saveexec_b64 s[18:19], s[18:19]
	s_cbranch_execz .LBB169_3836
; %bb.3835:
	v_cvt_i32_f32_e32 v1, v60
	flat_store_short v[2:3], v1
.LBB169_3836:
	s_or_b64 exec, exec, s[18:19]
                                        ; implicit-def: $vgpr60
                                        ; implicit-def: $vgpr2_vgpr3
.LBB169_3837:
	s_andn2_saveexec_b64 s[16:17], s[16:17]
	s_cbranch_execz .LBB169_3843
; %bb.3838:
	v_mov_b32_e32 v1, 0
	v_cmp_gt_i16_sdwa s[18:19], v62, v1 src0_sel:BYTE_0 src1_sel:DWORD
	s_and_saveexec_b64 s[20:21], s[18:19]
	s_xor_b64 s[18:19], exec, s[20:21]
	s_cbranch_execz .LBB169_3840
; %bb.3839:
	v_cvt_i32_f32_e32 v1, v60
                                        ; implicit-def: $vgpr60
	flat_store_byte v[2:3], v1
                                        ; implicit-def: $vgpr2_vgpr3
.LBB169_3840:
	s_andn2_saveexec_b64 s[18:19], s[18:19]
	s_cbranch_execz .LBB169_3842
; %bb.3841:
	v_trunc_f32_e32 v1, v60
	s_mov_b32 s20, 0x2f800000
	v_mul_f32_e64 v4, |v1|, s20
	v_floor_f32_e32 v4, v4
	s_mov_b32 s20, 0xcf800000
	v_fma_f32 v4, v4, s20, |v1|
	v_cvt_u32_f32_e32 v4, v4
	v_ashrrev_i32_e32 v1, 31, v1
	v_xor_b32_e32 v4, v4, v1
	v_sub_u32_e32 v1, v4, v1
	flat_store_byte v[2:3], v1
.LBB169_3842:
	s_or_b64 exec, exec, s[18:19]
.LBB169_3843:
	s_or_b64 exec, exec, s[16:17]
.LBB169_3844:
	s_or_b64 exec, exec, s[14:15]
	s_or_b64 s[4:5], s[4:5], exec
.LBB169_3845:
	s_or_b64 exec, exec, s[6:7]
	s_and_b64 s[6:7], s[10:11], exec
	s_orn2_b64 s[10:11], s[4:5], exec
	v_mov_b32_e32 v31, v33
.LBB169_3846:
	s_or_b64 exec, exec, s[8:9]
	s_mov_b64 s[14:15], 0
	s_mov_b64 s[4:5], 0
                                        ; implicit-def: $vgpr4
                                        ; implicit-def: $vgpr2_vgpr3
	s_and_saveexec_b64 s[8:9], s[10:11]
	s_cbranch_execnz .LBB169_3850
; %bb.3847:
	s_or_b64 exec, exec, s[8:9]
	s_mov_b64 s[8:9], 0
	s_and_saveexec_b64 s[10:11], s[6:7]
	s_cbranch_execnz .LBB169_4783
.LBB169_3848:
	s_or_b64 exec, exec, s[10:11]
	s_and_saveexec_b64 s[6:7], s[12:13]
	s_xor_b64 s[6:7], exec, s[6:7]
	s_cbranch_execnz .LBB169_4784
.LBB169_3849:
	s_or_b64 exec, exec, s[6:7]
	s_and_saveexec_b64 s[6:7], s[14:15]
	s_cbranch_execnz .LBB169_4785
	s_branch .LBB169_4826
.LBB169_3850:
	v_cmp_lt_i32_e32 vcc, v31, v72
	s_mov_b64 s[4:5], -1
	s_mov_b64 s[10:11], s[6:7]
	s_and_saveexec_b64 s[12:13], vcc
	s_cbranch_execz .LBB169_3856
; %bb.3851:
	v_readlane_b32 s4, v78, 1
	v_add_u32_e32 v1, s4, v31
	v_mul_lo_u32 v1, v1, v63
	v_add_co_u32_e32 v2, vcc, v30, v1
	v_mov_b32_e32 v1, 10
	v_addc_co_u32_e32 v3, vcc, 0, v73, vcc
	v_cmp_gt_i16_sdwa s[10:11], v62, v1 src0_sel:BYTE_0 src1_sel:DWORD
	s_mov_b64 s[4:5], 0
	s_mov_b64 s[14:15], s[6:7]
	s_and_saveexec_b64 s[16:17], s[10:11]
	s_xor_b64 s[10:11], exec, s[16:17]
	s_cbranch_execnz .LBB169_4830
; %bb.3852:
	s_andn2_saveexec_b64 s[10:11], s[10:11]
	s_cbranch_execnz .LBB169_4911
.LBB169_3853:
	s_or_b64 exec, exec, s[10:11]
	s_mov_b64 s[16:17], 0
	s_and_saveexec_b64 s[10:11], s[4:5]
.LBB169_3854:
	s_mov_b64 s[16:17], exec
	v_add_u32_e32 v31, 0x200, v31
.LBB169_3855:
	s_or_b64 exec, exec, s[10:11]
	s_andn2_b64 s[4:5], s[6:7], exec
	s_and_b64 s[10:11], s[14:15], exec
	s_or_b64 s[10:11], s[4:5], s[10:11]
	s_orn2_b64 s[4:5], s[16:17], exec
.LBB169_3856:
	s_or_b64 exec, exec, s[12:13]
	s_mov_b64 s[16:17], 0
	s_mov_b64 s[18:19], 0
	;; [unrolled: 1-line block ×3, first 2 shown]
                                        ; implicit-def: $vgpr4
                                        ; implicit-def: $vgpr2_vgpr3
	s_and_saveexec_b64 s[12:13], s[4:5]
	s_cbranch_execz .LBB169_4782
; %bb.3857:
	v_cmp_lt_i32_e32 vcc, v31, v72
	s_mov_b64 s[18:19], -1
	s_mov_b64 s[14:15], s[10:11]
	s_and_saveexec_b64 s[16:17], vcc
	s_cbranch_execz .LBB169_3863
; %bb.3858:
	v_readlane_b32 s4, v78, 1
	v_add_u32_e32 v1, s4, v31
	v_mul_lo_u32 v1, v1, v63
	v_add_co_u32_e32 v2, vcc, v30, v1
	v_mov_b32_e32 v1, 10
	v_addc_co_u32_e32 v3, vcc, 0, v73, vcc
	v_cmp_gt_i16_sdwa s[14:15], v62, v1 src0_sel:BYTE_0 src1_sel:DWORD
	s_mov_b64 s[4:5], 0
	s_mov_b64 s[18:19], s[10:11]
	s_and_saveexec_b64 s[20:21], s[14:15]
	s_xor_b64 s[14:15], exec, s[20:21]
	s_cbranch_execnz .LBB169_4953
; %bb.3859:
	s_andn2_saveexec_b64 s[14:15], s[14:15]
	s_cbranch_execnz .LBB169_5034
.LBB169_3860:
	s_or_b64 exec, exec, s[14:15]
	s_mov_b64 s[20:21], 0
	s_and_saveexec_b64 s[14:15], s[4:5]
.LBB169_3861:
	s_mov_b64 s[20:21], exec
	v_add_u32_e32 v31, 0x200, v31
.LBB169_3862:
	s_or_b64 exec, exec, s[14:15]
	s_andn2_b64 s[4:5], s[10:11], exec
	s_and_b64 s[14:15], s[18:19], exec
	s_or_b64 s[14:15], s[4:5], s[14:15]
	s_orn2_b64 s[18:19], s[20:21], exec
.LBB169_3863:
	s_or_b64 exec, exec, s[16:17]
	s_mov_b64 s[4:5], 0
	s_mov_b64 s[20:21], 0
	;; [unrolled: 1-line block ×3, first 2 shown]
                                        ; implicit-def: $vgpr4
                                        ; implicit-def: $vgpr2_vgpr3
	s_and_saveexec_b64 s[16:17], s[18:19]
	s_cbranch_execz .LBB169_4781
; %bb.3864:
	v_cmp_lt_i32_e32 vcc, v31, v72
	s_mov_b64 s[22:23], -1
	s_mov_b64 s[18:19], s[14:15]
	s_and_saveexec_b64 s[20:21], vcc
	s_cbranch_execz .LBB169_3870
; %bb.3865:
	v_readlane_b32 s4, v78, 1
	v_add_u32_e32 v1, s4, v31
	v_mul_lo_u32 v1, v1, v63
	v_add_co_u32_e32 v2, vcc, v30, v1
	v_mov_b32_e32 v1, 10
	v_addc_co_u32_e32 v3, vcc, 0, v73, vcc
	v_cmp_gt_i16_sdwa s[18:19], v62, v1 src0_sel:BYTE_0 src1_sel:DWORD
	s_mov_b64 s[4:5], 0
	s_mov_b64 s[22:23], s[14:15]
	s_and_saveexec_b64 s[28:29], s[18:19]
	s_xor_b64 s[18:19], exec, s[28:29]
	s_cbranch_execnz .LBB169_5075
; %bb.3866:
	s_andn2_saveexec_b64 s[18:19], s[18:19]
	s_cbranch_execnz .LBB169_5156
.LBB169_3867:
	s_or_b64 exec, exec, s[18:19]
	s_mov_b64 s[28:29], 0
	s_and_saveexec_b64 s[18:19], s[4:5]
.LBB169_3868:
	s_mov_b64 s[28:29], exec
	v_add_u32_e32 v31, 0x200, v31
.LBB169_3869:
	s_or_b64 exec, exec, s[18:19]
	s_andn2_b64 s[4:5], s[14:15], exec
	s_and_b64 s[18:19], s[22:23], exec
	s_or_b64 s[18:19], s[4:5], s[18:19]
	s_orn2_b64 s[22:23], s[28:29], exec
.LBB169_3870:
	s_or_b64 exec, exec, s[20:21]
	s_mov_b64 s[4:5], 0
	s_mov_b64 s[28:29], 0
	;; [unrolled: 1-line block ×3, first 2 shown]
                                        ; implicit-def: $vgpr4
                                        ; implicit-def: $vgpr2_vgpr3
	s_and_saveexec_b64 s[20:21], s[22:23]
	s_cbranch_execz .LBB169_4780
; %bb.3871:
	v_cmp_lt_i32_e32 vcc, v31, v72
	s_mov_b64 s[4:5], -1
	s_mov_b64 s[22:23], s[18:19]
	s_and_saveexec_b64 s[28:29], vcc
	s_cbranch_execz .LBB169_3877
; %bb.3872:
	v_readlane_b32 s4, v78, 1
	v_add_u32_e32 v1, s4, v31
	v_mul_lo_u32 v1, v1, v63
	v_add_co_u32_e32 v2, vcc, v30, v1
	v_mov_b32_e32 v1, 10
	v_addc_co_u32_e32 v3, vcc, 0, v73, vcc
	v_cmp_gt_i16_sdwa s[22:23], v62, v1 src0_sel:BYTE_0 src1_sel:DWORD
	s_mov_b64 s[4:5], 0
	s_mov_b64 s[30:31], s[18:19]
	s_and_saveexec_b64 vcc, s[22:23]
	s_xor_b64 s[22:23], exec, vcc
	s_cbranch_execnz .LBB169_5197
; %bb.3873:
	s_andn2_saveexec_b64 s[22:23], s[22:23]
	s_cbranch_execnz .LBB169_5278
.LBB169_3874:
	s_or_b64 exec, exec, s[22:23]
	s_mov_b64 vcc, 0
	s_and_saveexec_b64 s[22:23], s[4:5]
.LBB169_3875:
	s_mov_b64 vcc, exec
	v_add_u32_e32 v31, 0x200, v31
.LBB169_3876:
	s_or_b64 exec, exec, s[22:23]
	s_andn2_b64 s[4:5], s[18:19], exec
	s_and_b64 s[22:23], s[30:31], exec
	s_or_b64 s[22:23], s[4:5], s[22:23]
	s_orn2_b64 s[4:5], vcc, exec
.LBB169_3877:
	s_or_b64 exec, exec, s[28:29]
	s_mov_b64 vcc, 0
	s_mov_b64 s[30:31], 0
	s_mov_b64 s[34:35], 0
                                        ; implicit-def: $vgpr4
                                        ; implicit-def: $vgpr2_vgpr3
	s_and_saveexec_b64 s[28:29], s[4:5]
	s_cbranch_execz .LBB169_4779
; %bb.3878:
	v_cmp_lt_i32_e32 vcc, v31, v72
	s_mov_b64 s[34:35], -1
	s_mov_b64 s[4:5], s[22:23]
	s_and_saveexec_b64 s[30:31], vcc
	s_cbranch_execz .LBB169_3884
; %bb.3879:
	v_readlane_b32 s4, v78, 1
	v_add_u32_e32 v1, s4, v31
	v_mul_lo_u32 v1, v1, v63
	v_add_co_u32_e32 v2, vcc, v30, v1
	v_addc_co_u32_e32 v3, vcc, 0, v73, vcc
	v_mov_b32_e32 v1, 10
	v_cmp_gt_i16_sdwa vcc, v62, v1 src0_sel:BYTE_0 src1_sel:DWORD
	s_mov_b64 s[4:5], 0
	s_mov_b64 s[36:37], s[22:23]
	s_and_saveexec_b64 s[34:35], vcc
	s_xor_b64 s[34:35], exec, s[34:35]
	s_cbranch_execnz .LBB169_5321
; %bb.3880:
	s_andn2_saveexec_b64 s[34:35], s[34:35]
	s_cbranch_execnz .LBB169_5402
.LBB169_3881:
	s_or_b64 exec, exec, s[34:35]
	s_mov_b64 vcc, 0
	s_and_saveexec_b64 s[34:35], s[4:5]
.LBB169_3882:
	s_mov_b64 vcc, exec
	v_add_u32_e32 v31, 0x200, v31
.LBB169_3883:
	s_or_b64 exec, exec, s[34:35]
	s_andn2_b64 s[4:5], s[22:23], exec
	s_and_b64 s[34:35], s[36:37], exec
	s_or_b64 s[4:5], s[4:5], s[34:35]
	s_orn2_b64 s[34:35], vcc, exec
.LBB169_3884:
	s_or_b64 exec, exec, s[30:31]
	s_mov_b64 vcc, 0
	s_mov_b64 s[36:37], 0
	s_mov_b64 s[38:39], 0
                                        ; implicit-def: $vgpr4
                                        ; implicit-def: $vgpr2_vgpr3
	s_and_saveexec_b64 s[30:31], s[34:35]
	s_cbranch_execz .LBB169_4778
; %bb.3885:
	v_cmp_lt_i32_e32 vcc, v31, v72
	s_mov_b64 s[38:39], -1
	s_mov_b64 s[34:35], s[4:5]
	s_and_saveexec_b64 s[36:37], vcc
	s_cbranch_execz .LBB169_3891
; %bb.3886:
	v_readlane_b32 vcc_lo, v78, 1
	v_add_u32_e32 v1, vcc_lo, v31
	v_mul_lo_u32 v1, v1, v63
	v_add_co_u32_e32 v2, vcc, v30, v1
	v_addc_co_u32_e32 v3, vcc, 0, v73, vcc
	v_mov_b32_e32 v1, 10
	v_cmp_gt_i16_sdwa vcc, v62, v1 src0_sel:BYTE_0 src1_sel:DWORD
	s_mov_b64 s[38:39], 0
	s_mov_b64 s[40:41], s[4:5]
	s_and_saveexec_b64 s[34:35], vcc
	s_xor_b64 s[34:35], exec, s[34:35]
	s_cbranch_execnz .LBB169_5445
; %bb.3887:
	s_andn2_saveexec_b64 s[34:35], s[34:35]
	s_cbranch_execnz .LBB169_5526
.LBB169_3888:
	s_or_b64 exec, exec, s[34:35]
	s_mov_b64 vcc, 0
	s_and_saveexec_b64 s[34:35], s[38:39]
.LBB169_3889:
	s_mov_b64 vcc, exec
	v_add_u32_e32 v31, 0x200, v31
.LBB169_3890:
	s_or_b64 exec, exec, s[34:35]
	s_andn2_b64 s[34:35], s[4:5], exec
	s_and_b64 s[38:39], s[40:41], exec
	s_or_b64 s[34:35], s[34:35], s[38:39]
	s_orn2_b64 s[38:39], vcc, exec
.LBB169_3891:
	s_or_b64 exec, exec, s[36:37]
	s_mov_b64 vcc, 0
	s_mov_b64 s[42:43], 0
	s_mov_b64 s[46:47], 0
                                        ; implicit-def: $vgpr4
                                        ; implicit-def: $vgpr2_vgpr3
	s_and_saveexec_b64 s[36:37], s[38:39]
	s_cbranch_execz .LBB169_4777
; %bb.3892:
	v_cmp_lt_i32_e32 vcc, v31, v72
	s_mov_b64 s[42:43], -1
	s_mov_b64 s[38:39], s[34:35]
	s_and_saveexec_b64 s[40:41], vcc
	s_cbranch_execz .LBB169_3898
; %bb.3893:
	v_readlane_b32 vcc_lo, v78, 1
	v_add_u32_e32 v1, vcc_lo, v31
	v_mul_lo_u32 v1, v1, v63
	v_add_co_u32_e32 v2, vcc, v30, v1
	v_addc_co_u32_e32 v3, vcc, 0, v73, vcc
	v_mov_b32_e32 v1, 10
	v_cmp_gt_i16_sdwa vcc, v62, v1 src0_sel:BYTE_0 src1_sel:DWORD
	s_mov_b64 s[42:43], 0
	s_mov_b64 s[44:45], s[34:35]
	s_and_saveexec_b64 s[38:39], vcc
	s_xor_b64 s[38:39], exec, s[38:39]
	s_cbranch_execnz .LBB169_5569
; %bb.3894:
	s_andn2_saveexec_b64 s[38:39], s[38:39]
	s_cbranch_execnz .LBB169_5650
.LBB169_3895:
	s_or_b64 exec, exec, s[38:39]
	s_mov_b64 vcc, 0
	s_and_saveexec_b64 s[38:39], s[42:43]
.LBB169_3896:
	s_mov_b64 vcc, exec
	v_add_u32_e32 v31, 0x200, v31
.LBB169_3897:
	s_or_b64 exec, exec, s[38:39]
	s_andn2_b64 s[38:39], s[34:35], exec
	s_and_b64 s[42:43], s[44:45], exec
	s_or_b64 s[38:39], s[38:39], s[42:43]
	s_orn2_b64 s[42:43], vcc, exec
.LBB169_3898:
	s_or_b64 exec, exec, s[40:41]
	s_mov_b64 s[40:41], 0
	s_mov_b64 s[44:45], 0
	;; [unrolled: 1-line block ×3, first 2 shown]
                                        ; implicit-def: $vgpr4
                                        ; implicit-def: $vgpr2_vgpr3
	s_and_saveexec_b64 vcc, s[42:43]
	s_cbranch_execz .LBB169_4776
; %bb.3899:
	v_writelane_b32 v78, vcc_lo, 56
	v_writelane_b32 v78, vcc_hi, 57
	v_cmp_lt_i32_e32 vcc, v31, v72
	s_mov_b64 s[46:47], -1
	v_writelane_b32 v78, s38, 58
	v_writelane_b32 v78, s39, 59
	s_and_saveexec_b64 s[40:41], vcc
	s_cbranch_execz .LBB169_3905
; %bb.3900:
	v_readlane_b32 vcc_lo, v78, 1
	v_add_u32_e32 v1, vcc_lo, v31
	v_mul_lo_u32 v1, v1, v63
	v_add_co_u32_e32 v2, vcc, v30, v1
	v_addc_co_u32_e32 v3, vcc, 0, v73, vcc
	v_mov_b32_e32 v1, 10
	v_cmp_gt_i16_sdwa vcc, v62, v1 src0_sel:BYTE_0 src1_sel:DWORD
	s_mov_b64 s[46:47], s[38:39]
	s_and_saveexec_b64 s[42:43], vcc
	s_xor_b64 s[42:43], exec, s[42:43]
	s_cbranch_execnz .LBB169_5695
; %bb.3901:
	s_andn2_saveexec_b64 s[42:43], s[42:43]
	s_cbranch_execnz .LBB169_5776
.LBB169_3902:
	s_or_b64 exec, exec, s[42:43]
	s_mov_b64 vcc, 0
	s_and_saveexec_b64 s[42:43], s[44:45]
.LBB169_3903:
	s_mov_b64 vcc, exec
	v_add_u32_e32 v31, 0x200, v31
.LBB169_3904:
	s_or_b64 exec, exec, s[42:43]
	s_andn2_b64 s[42:43], s[38:39], exec
	s_and_b64 s[44:45], s[46:47], exec
	s_or_b64 s[42:43], s[42:43], s[44:45]
	v_writelane_b32 v78, s42, 58
	v_writelane_b32 v78, s43, 59
	s_orn2_b64 s[46:47], vcc, exec
.LBB169_3905:
	s_or_b64 exec, exec, s[40:41]
	s_mov_b64 s[42:43], 0
	s_mov_b64 s[44:45], 0
	;; [unrolled: 1-line block ×3, first 2 shown]
                                        ; implicit-def: $vgpr4
                                        ; implicit-def: $vgpr2_vgpr3
	s_and_saveexec_b64 s[40:41], s[46:47]
	v_readlane_b32 vcc_lo, v78, 56
	v_readlane_b32 vcc_hi, v78, 57
	s_cbranch_execz .LBB169_4775
; %bb.3906:
	v_writelane_b32 v78, s40, 60
	v_writelane_b32 v78, s41, 61
	v_readlane_b32 s40, v78, 58
	v_readlane_b32 s41, v78, 59
	v_cmp_lt_i32_e32 vcc, v31, v72
	s_mov_b64 s[50:51], -1
	v_writelane_b32 v78, s40, 62
	v_writelane_b32 v78, s41, 63
	s_and_saveexec_b64 s[40:41], vcc
	s_cbranch_execz .LBB169_3912
; %bb.3907:
	v_readlane_b32 vcc_lo, v78, 1
	v_add_u32_e32 v1, vcc_lo, v31
	v_mul_lo_u32 v1, v1, v63
	v_add_co_u32_e32 v2, vcc, v30, v1
	v_addc_co_u32_e32 v3, vcc, 0, v73, vcc
	v_readlane_b32 vcc_lo, v78, 58
	v_mov_b32_e32 v1, 10
	v_readlane_b32 vcc_hi, v78, 59
	v_cmp_gt_i16_sdwa s[42:43], v62, v1 src0_sel:BYTE_0 src1_sel:DWORD
	s_mov_b64 s[46:47], vcc
	s_and_saveexec_b64 s[48:49], s[42:43]
	s_xor_b64 s[42:43], exec, s[48:49]
	s_cbranch_execnz .LBB169_5821
; %bb.3908:
	s_andn2_saveexec_b64 s[42:43], s[42:43]
	s_cbranch_execnz .LBB169_5902
.LBB169_3909:
	s_or_b64 exec, exec, s[42:43]
	s_mov_b64 s[42:43], 0
	s_and_saveexec_b64 s[48:49], s[44:45]
.LBB169_3910:
	s_mov_b64 s[42:43], exec
	v_add_u32_e32 v31, 0x200, v31
.LBB169_3911:
	s_or_b64 exec, exec, s[48:49]
	s_andn2_b64 vcc, vcc, exec
	s_and_b64 s[44:45], s[46:47], exec
	s_or_b64 vcc, vcc, s[44:45]
	v_writelane_b32 v78, vcc_lo, 62
	v_writelane_b32 v78, vcc_hi, 63
	s_orn2_b64 s[50:51], s[42:43], exec
.LBB169_3912:
	s_or_b64 exec, exec, s[40:41]
	s_mov_b64 s[42:43], 0
	s_mov_b64 s[46:47], 0
	;; [unrolled: 1-line block ×3, first 2 shown]
                                        ; implicit-def: $vgpr4
                                        ; implicit-def: $vgpr2_vgpr3
	s_and_saveexec_b64 s[44:45], s[50:51]
	v_readlane_b32 vcc_lo, v78, 56
	v_readlane_b32 s40, v78, 60
	v_readlane_b32 vcc_hi, v78, 57
	v_readlane_b32 s41, v78, 61
	s_cbranch_execz .LBB169_4774
; %bb.3913:
                                        ; implicit-def: $vgpr77 : SGPR spill to VGPR lane
	v_readlane_b32 s40, v78, 62
	v_writelane_b32 v77, s44, 0
	v_writelane_b32 v77, s45, 1
	v_readlane_b32 s41, v78, 63
	v_cmp_lt_i32_e32 vcc, v31, v72
	s_mov_b64 s[44:45], -1
	v_writelane_b32 v77, s40, 2
	v_writelane_b32 v77, s41, 3
	s_and_saveexec_b64 s[40:41], vcc
	s_cbranch_execz .LBB169_3919
; %bb.3914:
	v_readlane_b32 vcc_lo, v78, 1
	v_add_u32_e32 v1, vcc_lo, v31
	v_mul_lo_u32 v1, v1, v63
	v_add_co_u32_e32 v2, vcc, v30, v1
	v_addc_co_u32_e32 v3, vcc, 0, v73, vcc
	v_readlane_b32 vcc_lo, v78, 62
	v_mov_b32_e32 v1, 10
	v_readlane_b32 vcc_hi, v78, 63
	v_cmp_gt_i16_sdwa s[42:43], v62, v1 src0_sel:BYTE_0 src1_sel:DWORD
	s_mov_b64 s[46:47], vcc
	s_and_saveexec_b64 s[44:45], s[42:43]
	s_xor_b64 s[42:43], exec, s[44:45]
	s_cbranch_execnz .LBB169_5947
; %bb.3915:
	s_andn2_saveexec_b64 s[42:43], s[42:43]
	s_cbranch_execnz .LBB169_6028
.LBB169_3916:
	s_or_b64 exec, exec, s[42:43]
	s_mov_b64 s[42:43], 0
	s_and_saveexec_b64 s[44:45], s[48:49]
.LBB169_3917:
	s_mov_b64 s[42:43], exec
	v_add_u32_e32 v31, 0x200, v31
.LBB169_3918:
	s_or_b64 exec, exec, s[44:45]
	s_andn2_b64 vcc, vcc, exec
	s_and_b64 s[44:45], s[46:47], exec
	s_or_b64 vcc, vcc, s[44:45]
	v_writelane_b32 v77, vcc_lo, 2
	v_writelane_b32 v77, vcc_hi, 3
	s_orn2_b64 s[44:45], s[42:43], exec
.LBB169_3919:
	s_or_b64 exec, exec, s[40:41]
	s_mov_b64 s[42:43], 0
	s_mov_b64 s[46:47], 0
	;; [unrolled: 1-line block ×3, first 2 shown]
                                        ; implicit-def: $vgpr4
                                        ; implicit-def: $vgpr2_vgpr3
	s_and_saveexec_b64 s[50:51], s[44:45]
	v_readlane_b32 vcc_lo, v78, 56
	v_readlane_b32 s40, v78, 60
	v_readlane_b32 s44, v77, 0
	v_readlane_b32 vcc_hi, v78, 57
	v_readlane_b32 s41, v78, 61
	v_readlane_b32 s45, v77, 1
	s_cbranch_execz .LBB169_4773
; %bb.3920:
	v_writelane_b32 v77, s50, 4
	v_writelane_b32 v77, s51, 5
	v_readlane_b32 s40, v77, 2
	v_cmp_lt_i32_e32 vcc, v31, v72
	s_mov_b64 s[48:49], -1
	v_readlane_b32 s41, v77, 3
	s_and_saveexec_b64 s[42:43], vcc
	s_cbranch_execz .LBB169_3926
; %bb.3921:
	s_mov_b64 s[44:45], s[4:5]
	v_readlane_b32 s4, v78, 1
	v_add_u32_e32 v1, s4, v31
	v_mul_lo_u32 v1, v1, v63
	v_add_co_u32_e32 v2, vcc, v30, v1
	v_addc_co_u32_e32 v3, vcc, 0, v73, vcc
	v_readlane_b32 vcc_lo, v77, 2
	v_mov_b32_e32 v1, 10
	v_readlane_b32 vcc_hi, v77, 3
	v_cmp_gt_i16_sdwa s[40:41], v62, v1 src0_sel:BYTE_0 src1_sel:DWORD
	s_mov_b64 s[4:5], 0
	s_mov_b64 s[46:47], vcc
	s_and_saveexec_b64 s[48:49], s[40:41]
	s_xor_b64 s[40:41], exec, s[48:49]
	s_cbranch_execnz .LBB169_6073
; %bb.3922:
	s_andn2_saveexec_b64 s[40:41], s[40:41]
	s_cbranch_execnz .LBB169_6154
.LBB169_3923:
	s_or_b64 exec, exec, s[40:41]
	s_mov_b64 vcc, 0
	s_and_saveexec_b64 s[40:41], s[4:5]
.LBB169_3924:
	s_mov_b64 vcc, exec
	v_add_u32_e32 v31, 0x200, v31
.LBB169_3925:
	s_or_b64 exec, exec, s[40:41]
	v_readlane_b32 s4, v77, 2
	v_readlane_b32 s5, v77, 3
	s_andn2_b64 s[4:5], s[4:5], exec
	s_and_b64 s[40:41], s[46:47], exec
	s_or_b64 s[40:41], s[4:5], s[40:41]
	s_orn2_b64 s[48:49], vcc, exec
	s_mov_b64 s[4:5], s[44:45]
.LBB169_3926:
	s_or_b64 exec, exec, s[42:43]
	s_mov_b64 vcc, 0
	s_mov_b64 s[44:45], 0
	s_mov_b64 s[46:47], 0
                                        ; implicit-def: $vgpr4
                                        ; implicit-def: $vgpr2_vgpr3
	s_and_saveexec_b64 s[42:43], s[48:49]
	s_cbranch_execz .LBB169_4772
; %bb.3927:
	v_writelane_b32 v77, s42, 6
	v_writelane_b32 v77, s43, 7
	v_writelane_b32 v77, s4, 8
	v_cmp_lt_i32_e32 vcc, v31, v72
	s_mov_b64 s[46:47], -1
	s_mov_b64 s[42:43], s[40:41]
	v_writelane_b32 v77, s5, 9
	s_and_saveexec_b64 s[44:45], vcc
	s_cbranch_execz .LBB169_3933
; %bb.3928:
	v_readlane_b32 s4, v78, 1
	v_add_u32_e32 v1, s4, v31
	v_mul_lo_u32 v1, v1, v63
	v_add_co_u32_e32 v2, vcc, v30, v1
	v_addc_co_u32_e32 v3, vcc, 0, v73, vcc
	v_mov_b32_e32 v1, 10
	v_cmp_gt_i16_sdwa vcc, v62, v1 src0_sel:BYTE_0 src1_sel:DWORD
	s_mov_b64 s[4:5], 0
	s_mov_b64 s[46:47], s[40:41]
	s_and_saveexec_b64 s[42:43], vcc
	s_xor_b64 s[42:43], exec, s[42:43]
	s_cbranch_execnz .LBB169_6199
; %bb.3929:
	s_andn2_saveexec_b64 s[42:43], s[42:43]
	s_cbranch_execnz .LBB169_6280
.LBB169_3930:
	s_or_b64 exec, exec, s[42:43]
	s_mov_b64 vcc, 0
	s_and_saveexec_b64 s[42:43], s[4:5]
.LBB169_3931:
	s_mov_b64 vcc, exec
	v_add_u32_e32 v31, 0x200, v31
.LBB169_3932:
	s_or_b64 exec, exec, s[42:43]
	s_andn2_b64 s[4:5], s[40:41], exec
	s_and_b64 s[42:43], s[46:47], exec
	s_or_b64 s[42:43], s[4:5], s[42:43]
	s_orn2_b64 s[46:47], vcc, exec
.LBB169_3933:
	s_or_b64 exec, exec, s[44:45]
	s_mov_b64 s[4:5], 0
	s_mov_b64 vcc, 0
	s_mov_b64 s[48:49], 0
                                        ; implicit-def: $vgpr4
                                        ; implicit-def: $vgpr2_vgpr3
	s_and_saveexec_b64 s[44:45], s[46:47]
	s_cbranch_execz .LBB169_4771
; %bb.3934:
	v_cmp_lt_i32_e32 vcc, v31, v72
	s_mov_b64 s[50:51], -1
	s_mov_b64 s[46:47], s[42:43]
	s_and_saveexec_b64 s[48:49], vcc
	s_cbranch_execz .LBB169_3940
; %bb.3935:
	v_readlane_b32 s4, v78, 1
	v_add_u32_e32 v1, s4, v31
	v_mul_lo_u32 v1, v1, v63
	v_add_co_u32_e32 v2, vcc, v30, v1
	v_addc_co_u32_e32 v3, vcc, 0, v73, vcc
	v_mov_b32_e32 v1, 10
	v_cmp_gt_i16_sdwa vcc, v62, v1 src0_sel:BYTE_0 src1_sel:DWORD
	s_mov_b64 s[4:5], 0
	s_mov_b64 s[50:51], s[42:43]
	s_and_saveexec_b64 s[46:47], vcc
	s_xor_b64 s[46:47], exec, s[46:47]
	s_cbranch_execnz .LBB169_6325
; %bb.3936:
	s_andn2_saveexec_b64 s[46:47], s[46:47]
	s_cbranch_execnz .LBB169_6406
.LBB169_3937:
	s_or_b64 exec, exec, s[46:47]
	s_mov_b64 vcc, 0
	s_and_saveexec_b64 s[46:47], s[4:5]
.LBB169_3938:
	s_mov_b64 vcc, exec
	v_add_u32_e32 v31, 0x200, v31
.LBB169_3939:
	s_or_b64 exec, exec, s[46:47]
	s_andn2_b64 s[4:5], s[42:43], exec
	s_and_b64 s[46:47], s[50:51], exec
	s_or_b64 s[46:47], s[4:5], s[46:47]
	s_orn2_b64 s[50:51], vcc, exec
.LBB169_3940:
	s_or_b64 exec, exec, s[48:49]
	s_mov_b64 s[4:5], 0
	s_mov_b64 vcc, 0
	s_mov_b64 s[52:53], 0
                                        ; implicit-def: $vgpr4
                                        ; implicit-def: $vgpr2_vgpr3
	s_and_saveexec_b64 s[48:49], s[50:51]
	s_cbranch_execz .LBB169_4770
; %bb.3941:
	v_cmp_lt_i32_e32 vcc, v31, v72
	s_mov_b64 s[54:55], -1
	s_mov_b64 s[50:51], s[46:47]
	s_and_saveexec_b64 s[52:53], vcc
	s_cbranch_execz .LBB169_3947
; %bb.3942:
	v_readlane_b32 s4, v78, 1
	v_add_u32_e32 v1, s4, v31
	v_mul_lo_u32 v1, v1, v63
	v_add_co_u32_e32 v2, vcc, v30, v1
	v_addc_co_u32_e32 v3, vcc, 0, v73, vcc
	v_mov_b32_e32 v1, 10
	v_cmp_gt_i16_sdwa vcc, v62, v1 src0_sel:BYTE_0 src1_sel:DWORD
	s_mov_b64 s[4:5], 0
	s_mov_b64 s[54:55], s[46:47]
	s_and_saveexec_b64 s[50:51], vcc
	s_xor_b64 s[50:51], exec, s[50:51]
	s_cbranch_execnz .LBB169_6451
; %bb.3943:
	s_andn2_saveexec_b64 s[50:51], s[50:51]
	s_cbranch_execnz .LBB169_6532
.LBB169_3944:
	s_or_b64 exec, exec, s[50:51]
	s_mov_b64 vcc, 0
	s_and_saveexec_b64 s[50:51], s[4:5]
.LBB169_3945:
	s_mov_b64 vcc, exec
	v_add_u32_e32 v31, 0x200, v31
.LBB169_3946:
	s_or_b64 exec, exec, s[50:51]
	s_andn2_b64 s[4:5], s[46:47], exec
	s_and_b64 s[50:51], s[54:55], exec
	s_or_b64 s[50:51], s[4:5], s[50:51]
	s_orn2_b64 s[54:55], vcc, exec
.LBB169_3947:
	s_or_b64 exec, exec, s[52:53]
	s_mov_b64 s[4:5], 0
	s_mov_b64 vcc, 0
	s_mov_b64 s[56:57], 0
                                        ; implicit-def: $vgpr4
                                        ; implicit-def: $vgpr2_vgpr3
	s_and_saveexec_b64 s[52:53], s[54:55]
	s_cbranch_execz .LBB169_4769
; %bb.3948:
	v_cmp_lt_i32_e32 vcc, v31, v72
	s_mov_b64 s[58:59], -1
	s_mov_b64 s[54:55], s[50:51]
	s_and_saveexec_b64 s[56:57], vcc
	s_cbranch_execz .LBB169_3954
; %bb.3949:
	v_readlane_b32 s4, v78, 1
	v_add_u32_e32 v1, s4, v31
	v_mul_lo_u32 v1, v1, v63
	v_add_co_u32_e32 v2, vcc, v30, v1
	v_addc_co_u32_e32 v3, vcc, 0, v73, vcc
	v_mov_b32_e32 v1, 10
	v_cmp_gt_i16_sdwa vcc, v62, v1 src0_sel:BYTE_0 src1_sel:DWORD
	s_mov_b64 s[4:5], 0
	s_mov_b64 s[58:59], s[50:51]
	s_and_saveexec_b64 s[54:55], vcc
	s_xor_b64 s[54:55], exec, s[54:55]
	s_cbranch_execnz .LBB169_6577
; %bb.3950:
	s_andn2_saveexec_b64 s[54:55], s[54:55]
	s_cbranch_execnz .LBB169_6658
.LBB169_3951:
	s_or_b64 exec, exec, s[54:55]
	s_mov_b64 vcc, 0
	s_and_saveexec_b64 s[54:55], s[4:5]
.LBB169_3952:
	s_mov_b64 vcc, exec
	v_add_u32_e32 v31, 0x200, v31
.LBB169_3953:
	s_or_b64 exec, exec, s[54:55]
	s_andn2_b64 s[4:5], s[50:51], exec
	s_and_b64 s[54:55], s[58:59], exec
	s_or_b64 s[54:55], s[4:5], s[54:55]
	s_orn2_b64 s[58:59], vcc, exec
.LBB169_3954:
	s_or_b64 exec, exec, s[56:57]
	s_mov_b64 s[4:5], 0
	s_mov_b64 vcc, 0
	s_mov_b64 s[60:61], 0
                                        ; implicit-def: $vgpr4
                                        ; implicit-def: $vgpr2_vgpr3
	s_and_saveexec_b64 s[56:57], s[58:59]
	s_cbranch_execz .LBB169_4768
; %bb.3955:
	v_cmp_lt_i32_e32 vcc, v31, v72
	s_mov_b64 s[62:63], -1
	s_mov_b64 s[58:59], s[54:55]
	s_and_saveexec_b64 s[60:61], vcc
	s_cbranch_execz .LBB169_3961
; %bb.3956:
	v_readlane_b32 s4, v78, 1
	v_add_u32_e32 v1, s4, v31
	v_mul_lo_u32 v1, v1, v63
	v_add_co_u32_e32 v2, vcc, v30, v1
	v_addc_co_u32_e32 v3, vcc, 0, v73, vcc
	v_mov_b32_e32 v1, 10
	v_cmp_gt_i16_sdwa vcc, v62, v1 src0_sel:BYTE_0 src1_sel:DWORD
	s_mov_b64 s[4:5], 0
	s_mov_b64 s[62:63], s[54:55]
	s_and_saveexec_b64 s[58:59], vcc
	s_xor_b64 s[58:59], exec, s[58:59]
	s_cbranch_execnz .LBB169_6703
; %bb.3957:
	s_andn2_saveexec_b64 s[58:59], s[58:59]
	s_cbranch_execnz .LBB169_6784
.LBB169_3958:
	s_or_b64 exec, exec, s[58:59]
	s_mov_b64 vcc, 0
	s_and_saveexec_b64 s[58:59], s[4:5]
.LBB169_3959:
	s_mov_b64 vcc, exec
	v_add_u32_e32 v31, 0x200, v31
.LBB169_3960:
	s_or_b64 exec, exec, s[58:59]
	s_andn2_b64 s[4:5], s[54:55], exec
	s_and_b64 s[58:59], s[62:63], exec
	s_or_b64 s[58:59], s[4:5], s[58:59]
	s_orn2_b64 s[62:63], vcc, exec
.LBB169_3961:
	s_or_b64 exec, exec, s[60:61]
	s_mov_b64 s[4:5], 0
	s_mov_b64 vcc, 0
	s_mov_b64 s[64:65], 0
                                        ; implicit-def: $vgpr4
                                        ; implicit-def: $vgpr2_vgpr3
	s_and_saveexec_b64 s[60:61], s[62:63]
	s_cbranch_execz .LBB169_4767
; %bb.3962:
	v_cmp_lt_i32_e32 vcc, v31, v72
	s_mov_b64 s[66:67], -1
	s_mov_b64 s[62:63], s[58:59]
	s_and_saveexec_b64 s[64:65], vcc
	s_cbranch_execz .LBB169_3968
; %bb.3963:
	v_readlane_b32 s4, v78, 1
	v_add_u32_e32 v1, s4, v31
	v_mul_lo_u32 v1, v1, v63
	v_add_co_u32_e32 v2, vcc, v30, v1
	v_addc_co_u32_e32 v3, vcc, 0, v73, vcc
	v_mov_b32_e32 v1, 10
	v_cmp_gt_i16_sdwa vcc, v62, v1 src0_sel:BYTE_0 src1_sel:DWORD
	s_mov_b64 s[4:5], 0
	s_mov_b64 s[66:67], s[58:59]
	s_and_saveexec_b64 s[62:63], vcc
	s_xor_b64 s[62:63], exec, s[62:63]
	s_cbranch_execnz .LBB169_6829
; %bb.3964:
	s_andn2_saveexec_b64 s[62:63], s[62:63]
	s_cbranch_execnz .LBB169_6910
.LBB169_3965:
	s_or_b64 exec, exec, s[62:63]
	s_mov_b64 vcc, 0
	s_and_saveexec_b64 s[62:63], s[4:5]
.LBB169_3966:
	s_mov_b64 vcc, exec
	v_add_u32_e32 v31, 0x200, v31
.LBB169_3967:
	s_or_b64 exec, exec, s[62:63]
	s_andn2_b64 s[4:5], s[58:59], exec
	s_and_b64 s[62:63], s[66:67], exec
	s_or_b64 s[62:63], s[4:5], s[62:63]
	s_orn2_b64 s[66:67], vcc, exec
.LBB169_3968:
	s_or_b64 exec, exec, s[64:65]
	s_mov_b64 s[4:5], 0
	s_mov_b64 vcc, 0
	s_mov_b64 s[68:69], 0
                                        ; implicit-def: $vgpr4
                                        ; implicit-def: $vgpr2_vgpr3
	s_and_saveexec_b64 s[64:65], s[66:67]
	s_cbranch_execz .LBB169_4766
; %bb.3969:
	v_cmp_lt_i32_e32 vcc, v31, v72
	s_mov_b64 s[70:71], -1
	s_mov_b64 s[66:67], s[62:63]
	s_and_saveexec_b64 s[68:69], vcc
	s_cbranch_execz .LBB169_3975
; %bb.3970:
	v_readlane_b32 s4, v78, 1
	v_add_u32_e32 v1, s4, v31
	v_mul_lo_u32 v1, v1, v63
	v_add_co_u32_e32 v2, vcc, v30, v1
	v_addc_co_u32_e32 v3, vcc, 0, v73, vcc
	v_mov_b32_e32 v1, 10
	v_cmp_gt_i16_sdwa vcc, v62, v1 src0_sel:BYTE_0 src1_sel:DWORD
	s_mov_b64 s[4:5], 0
	s_mov_b64 s[70:71], s[62:63]
	s_and_saveexec_b64 s[66:67], vcc
	s_xor_b64 s[66:67], exec, s[66:67]
	s_cbranch_execnz .LBB169_6955
; %bb.3971:
	s_andn2_saveexec_b64 s[66:67], s[66:67]
	s_cbranch_execnz .LBB169_7036
.LBB169_3972:
	s_or_b64 exec, exec, s[66:67]
	s_mov_b64 vcc, 0
	s_and_saveexec_b64 s[66:67], s[4:5]
.LBB169_3973:
	s_mov_b64 vcc, exec
	v_add_u32_e32 v31, 0x200, v31
.LBB169_3974:
	s_or_b64 exec, exec, s[66:67]
	s_andn2_b64 s[4:5], s[62:63], exec
	s_and_b64 s[66:67], s[70:71], exec
	s_or_b64 s[66:67], s[4:5], s[66:67]
	s_orn2_b64 s[70:71], vcc, exec
.LBB169_3975:
	s_or_b64 exec, exec, s[68:69]
	s_mov_b64 s[4:5], 0
	s_mov_b64 vcc, 0
	s_mov_b64 s[72:73], 0
                                        ; implicit-def: $vgpr4
                                        ; implicit-def: $vgpr2_vgpr3
	s_and_saveexec_b64 s[68:69], s[70:71]
	s_cbranch_execz .LBB169_4765
; %bb.3976:
	v_cmp_lt_i32_e32 vcc, v31, v72
	s_mov_b64 s[74:75], -1
	s_mov_b64 s[70:71], s[66:67]
	s_and_saveexec_b64 s[72:73], vcc
	s_cbranch_execz .LBB169_3982
; %bb.3977:
	v_readlane_b32 s4, v78, 1
	v_add_u32_e32 v1, s4, v31
	v_mul_lo_u32 v1, v1, v63
	v_add_co_u32_e32 v2, vcc, v30, v1
	v_addc_co_u32_e32 v3, vcc, 0, v73, vcc
	v_mov_b32_e32 v1, 10
	v_cmp_gt_i16_sdwa vcc, v62, v1 src0_sel:BYTE_0 src1_sel:DWORD
	s_mov_b64 s[4:5], 0
	s_mov_b64 s[74:75], s[66:67]
	s_and_saveexec_b64 s[70:71], vcc
	s_xor_b64 s[70:71], exec, s[70:71]
	s_cbranch_execnz .LBB169_7081
; %bb.3978:
	s_andn2_saveexec_b64 s[70:71], s[70:71]
	s_cbranch_execnz .LBB169_7162
.LBB169_3979:
	s_or_b64 exec, exec, s[70:71]
	s_mov_b64 vcc, 0
	s_and_saveexec_b64 s[70:71], s[4:5]
.LBB169_3980:
	s_mov_b64 vcc, exec
	v_add_u32_e32 v31, 0x200, v31
.LBB169_3981:
	s_or_b64 exec, exec, s[70:71]
	s_andn2_b64 s[4:5], s[66:67], exec
	s_and_b64 s[70:71], s[74:75], exec
	s_or_b64 s[70:71], s[4:5], s[70:71]
	s_orn2_b64 s[74:75], vcc, exec
.LBB169_3982:
	s_or_b64 exec, exec, s[72:73]
	s_mov_b64 s[4:5], 0
	s_mov_b64 vcc, 0
	s_mov_b64 s[76:77], 0
                                        ; implicit-def: $vgpr4
                                        ; implicit-def: $vgpr2_vgpr3
	s_and_saveexec_b64 s[72:73], s[74:75]
	s_cbranch_execz .LBB169_4764
; %bb.3983:
	v_cmp_lt_i32_e32 vcc, v31, v72
	s_mov_b64 s[78:79], -1
	v_writelane_b32 v77, s70, 10
	v_writelane_b32 v77, s71, 11
	s_and_saveexec_b64 s[76:77], vcc
	s_cbranch_execz .LBB169_3989
; %bb.3984:
	v_readlane_b32 s4, v78, 1
	v_add_u32_e32 v1, s4, v31
	v_mul_lo_u32 v1, v1, v63
	v_add_co_u32_e32 v2, vcc, v30, v1
	v_addc_co_u32_e32 v3, vcc, 0, v73, vcc
	v_mov_b32_e32 v1, 10
	v_cmp_gt_i16_sdwa vcc, v62, v1 src0_sel:BYTE_0 src1_sel:DWORD
	s_mov_b64 s[4:5], 0
	s_mov_b64 s[78:79], s[70:71]
	s_and_saveexec_b64 s[74:75], vcc
	s_xor_b64 s[74:75], exec, s[74:75]
	s_cbranch_execnz .LBB169_7207
; %bb.3985:
	s_andn2_saveexec_b64 s[74:75], s[74:75]
	s_cbranch_execnz .LBB169_7288
.LBB169_3986:
	s_or_b64 exec, exec, s[74:75]
	s_mov_b64 vcc, 0
	s_and_saveexec_b64 s[74:75], s[4:5]
.LBB169_3987:
	s_mov_b64 vcc, exec
	v_add_u32_e32 v31, 0x200, v31
.LBB169_3988:
	s_or_b64 exec, exec, s[74:75]
	s_andn2_b64 s[4:5], s[70:71], exec
	s_and_b64 s[74:75], s[78:79], exec
	s_or_b64 s[4:5], s[4:5], s[74:75]
	v_writelane_b32 v77, s4, 10
	v_writelane_b32 v77, s5, 11
	s_orn2_b64 s[78:79], vcc, exec
.LBB169_3989:
	s_or_b64 exec, exec, s[76:77]
	s_mov_b64 s[4:5], 0
	s_mov_b64 vcc, 0
	s_mov_b64 s[80:81], 0
                                        ; implicit-def: $vgpr4
                                        ; implicit-def: $vgpr2_vgpr3
	s_mov_b64 s[74:75], exec
	v_writelane_b32 v77, s74, 12
	s_and_b64 s[76:77], s[74:75], s[78:79]
	v_writelane_b32 v77, s75, 13
	s_mov_b64 exec, s[76:77]
	s_cbranch_execz .LBB169_4763
; %bb.3990:
	v_readlane_b32 s4, v77, 10
	v_readlane_b32 s5, v77, 11
	v_cmp_lt_i32_e32 vcc, v31, v72
	s_mov_b64 s[82:83], -1
	v_writelane_b32 v77, s4, 14
	v_writelane_b32 v77, s5, 15
	s_and_saveexec_b64 s[80:81], vcc
	s_cbranch_execz .LBB169_3996
; %bb.3991:
	v_readlane_b32 s4, v78, 1
	v_add_u32_e32 v1, s4, v31
	v_mul_lo_u32 v1, v1, v63
	v_add_co_u32_e32 v2, vcc, v30, v1
	v_addc_co_u32_e32 v3, vcc, 0, v73, vcc
	v_mov_b32_e32 v1, 10
	v_readlane_b32 s82, v77, 10
	v_cmp_gt_i16_sdwa vcc, v62, v1 src0_sel:BYTE_0 src1_sel:DWORD
	s_mov_b64 s[4:5], 0
	v_readlane_b32 s83, v77, 11
	s_and_saveexec_b64 s[76:77], vcc
	s_xor_b64 s[78:79], exec, s[76:77]
	s_cbranch_execnz .LBB169_7333
; %bb.3992:
	s_andn2_saveexec_b64 s[78:79], s[78:79]
	s_cbranch_execnz .LBB169_7414
.LBB169_3993:
	s_or_b64 exec, exec, s[78:79]
	s_mov_b64 vcc, 0
	s_and_saveexec_b64 s[76:77], s[4:5]
.LBB169_3994:
	s_mov_b64 vcc, exec
	v_add_u32_e32 v31, 0x200, v31
.LBB169_3995:
	s_or_b64 exec, exec, s[76:77]
	v_readlane_b32 s4, v77, 10
	v_readlane_b32 s5, v77, 11
	s_andn2_b64 s[4:5], s[4:5], exec
	s_and_b64 s[74:75], s[82:83], exec
	s_or_b64 s[4:5], s[4:5], s[74:75]
	v_writelane_b32 v77, s4, 14
	v_writelane_b32 v77, s5, 15
	s_orn2_b64 s[82:83], vcc, exec
.LBB169_3996:
	s_or_b64 exec, exec, s[80:81]
	s_mov_b64 s[4:5], 0
	s_mov_b64 vcc, 0
	s_mov_b64 s[80:81], 0
                                        ; implicit-def: $vgpr4
                                        ; implicit-def: $vgpr2_vgpr3
	s_mov_b64 s[74:75], exec
	v_writelane_b32 v77, s74, 16
	s_and_b64 s[76:77], s[74:75], s[82:83]
	v_writelane_b32 v77, s75, 17
	s_mov_b64 exec, s[76:77]
	s_cbranch_execz .LBB169_4762
; %bb.3997:
	v_readlane_b32 s4, v77, 14
	v_readlane_b32 s5, v77, 15
	v_cmp_lt_i32_e32 vcc, v31, v72
	s_mov_b64 s[82:83], -1
	v_writelane_b32 v77, s4, 18
	v_writelane_b32 v77, s5, 19
	s_and_saveexec_b64 s[84:85], vcc
	s_cbranch_execz .LBB169_4003
; %bb.3998:
	v_readlane_b32 s4, v78, 1
	v_add_u32_e32 v1, s4, v31
	v_mul_lo_u32 v1, v1, v63
	v_add_co_u32_e32 v2, vcc, v30, v1
	v_addc_co_u32_e32 v3, vcc, 0, v73, vcc
	v_mov_b32_e32 v1, 10
	v_readlane_b32 s86, v77, 14
	v_cmp_gt_i16_sdwa vcc, v62, v1 src0_sel:BYTE_0 src1_sel:DWORD
	s_mov_b64 s[4:5], 0
	v_readlane_b32 s87, v77, 15
	s_and_saveexec_b64 s[74:75], vcc
	s_xor_b64 s[82:83], exec, s[74:75]
	s_cbranch_execnz .LBB169_7459
; %bb.3999:
	s_andn2_saveexec_b64 s[82:83], s[82:83]
	s_cbranch_execnz .LBB169_7540
.LBB169_4000:
	s_or_b64 exec, exec, s[82:83]
	s_mov_b64 vcc, 0
	s_and_saveexec_b64 s[76:77], s[4:5]
.LBB169_4001:
	s_mov_b64 vcc, exec
	v_add_u32_e32 v31, 0x200, v31
.LBB169_4002:
	s_or_b64 exec, exec, s[76:77]
	v_readlane_b32 s4, v77, 14
	v_readlane_b32 s5, v77, 15
	s_andn2_b64 s[4:5], s[4:5], exec
	s_and_b64 s[74:75], s[86:87], exec
	s_or_b64 s[4:5], s[4:5], s[74:75]
	v_writelane_b32 v77, s4, 18
	v_writelane_b32 v77, s5, 19
	s_orn2_b64 s[82:83], vcc, exec
.LBB169_4003:
	s_or_b64 exec, exec, s[84:85]
	s_mov_b64 s[4:5], 0
	s_mov_b64 vcc, 0
	s_mov_b64 s[80:81], 0
                                        ; implicit-def: $vgpr4
                                        ; implicit-def: $vgpr2_vgpr3
	s_mov_b64 s[74:75], exec
	v_writelane_b32 v77, s74, 20
	v_writelane_b32 v77, s75, 21
	s_and_b64 s[74:75], s[74:75], s[82:83]
	s_mov_b64 exec, s[74:75]
	s_cbranch_execz .LBB169_4761
; %bb.4004:
	v_readlane_b32 s4, v77, 18
	v_readlane_b32 s5, v77, 19
	v_cmp_lt_i32_e32 vcc, v31, v72
	s_mov_b64 s[82:83], -1
	v_writelane_b32 v77, s4, 22
	v_writelane_b32 v77, s5, 23
	s_and_saveexec_b64 s[88:89], vcc
	s_cbranch_execz .LBB169_4010
; %bb.4005:
	v_readlane_b32 s4, v78, 1
	v_add_u32_e32 v1, s4, v31
	v_mul_lo_u32 v1, v1, v63
	v_add_co_u32_e32 v2, vcc, v30, v1
	v_addc_co_u32_e32 v3, vcc, 0, v73, vcc
	v_mov_b32_e32 v1, 10
	v_readlane_b32 s90, v77, 18
	v_cmp_gt_i16_sdwa vcc, v62, v1 src0_sel:BYTE_0 src1_sel:DWORD
	s_mov_b64 s[4:5], 0
	v_readlane_b32 s91, v77, 19
	s_and_saveexec_b64 s[74:75], vcc
	s_xor_b64 s[86:87], exec, s[74:75]
	s_cbranch_execnz .LBB169_7585
; %bb.4006:
	s_andn2_saveexec_b64 s[86:87], s[86:87]
	s_cbranch_execnz .LBB169_7666
.LBB169_4007:
	s_or_b64 exec, exec, s[86:87]
	s_mov_b64 vcc, 0
	s_and_saveexec_b64 s[76:77], s[4:5]
.LBB169_4008:
	s_mov_b64 vcc, exec
	v_add_u32_e32 v31, 0x200, v31
.LBB169_4009:
	s_or_b64 exec, exec, s[76:77]
	v_readlane_b32 s4, v77, 18
	v_readlane_b32 s5, v77, 19
	s_andn2_b64 s[4:5], s[4:5], exec
	s_and_b64 s[74:75], s[90:91], exec
	s_or_b64 s[4:5], s[4:5], s[74:75]
	v_writelane_b32 v77, s4, 22
	v_writelane_b32 v77, s5, 23
	s_orn2_b64 s[82:83], vcc, exec
.LBB169_4010:
	s_or_b64 exec, exec, s[88:89]
	s_mov_b64 s[4:5], 0
	s_mov_b64 vcc, 0
	s_mov_b64 s[80:81], 0
                                        ; implicit-def: $vgpr4
                                        ; implicit-def: $vgpr2_vgpr3
	s_mov_b64 s[74:75], exec
	v_writelane_b32 v77, s74, 24
	v_writelane_b32 v77, s75, 25
	s_and_b64 s[74:75], s[74:75], s[82:83]
	s_mov_b64 exec, s[74:75]
	s_cbranch_execz .LBB169_4760
; %bb.4011:
	v_readlane_b32 s94, v77, 22
	v_cmp_lt_i32_e32 vcc, v31, v72
	s_mov_b64 s[82:83], -1
	v_readlane_b32 s95, v77, 23
	s_and_saveexec_b64 s[92:93], vcc
	s_cbranch_execz .LBB169_4017
; %bb.4012:
	v_readlane_b32 s4, v78, 1
	v_add_u32_e32 v1, s4, v31
	v_mul_lo_u32 v1, v1, v63
	v_add_co_u32_e32 v2, vcc, v30, v1
	v_addc_co_u32_e32 v3, vcc, 0, v73, vcc
	v_mov_b32_e32 v1, 10
	v_readlane_b32 s94, v77, 22
	v_cmp_gt_i16_sdwa vcc, v62, v1 src0_sel:BYTE_0 src1_sel:DWORD
	s_mov_b64 s[4:5], 0
	v_readlane_b32 s95, v77, 23
	s_and_saveexec_b64 s[74:75], vcc
	s_xor_b64 s[90:91], exec, s[74:75]
	s_cbranch_execnz .LBB169_7711
; %bb.4013:
	s_andn2_saveexec_b64 s[90:91], s[90:91]
	s_cbranch_execnz .LBB169_7792
.LBB169_4014:
	s_or_b64 exec, exec, s[90:91]
	s_mov_b64 vcc, 0
	s_and_saveexec_b64 s[76:77], s[4:5]
.LBB169_4015:
	s_mov_b64 vcc, exec
	v_add_u32_e32 v31, 0x200, v31
.LBB169_4016:
	s_or_b64 exec, exec, s[76:77]
	v_readlane_b32 s4, v77, 22
	v_readlane_b32 s5, v77, 23
	s_andn2_b64 s[4:5], s[4:5], exec
	s_and_b64 s[74:75], s[94:95], exec
	s_or_b64 s[94:95], s[4:5], s[74:75]
	s_orn2_b64 s[82:83], vcc, exec
.LBB169_4017:
	s_or_b64 exec, exec, s[92:93]
	s_mov_b64 s[4:5], 0
	s_mov_b64 vcc, 0
	s_mov_b64 s[80:81], 0
                                        ; implicit-def: $vgpr4
                                        ; implicit-def: $vgpr2_vgpr3
	s_mov_b64 s[74:75], exec
	v_writelane_b32 v77, s74, 26
	v_writelane_b32 v77, s75, 27
	s_and_b64 s[74:75], s[74:75], s[82:83]
	s_mov_b64 exec, s[74:75]
	s_cbranch_execz .LBB169_4759
; %bb.4018:
	v_cmp_lt_i32_e32 vcc, v31, v72
	s_mov_b64 s[82:83], -1
	v_writelane_b32 v77, s94, 30
	v_writelane_b32 v77, s95, 31
	s_and_saveexec_b64 s[96:97], vcc
	s_cbranch_execz .LBB169_4146
; %bb.4019:
	v_readlane_b32 s4, v78, 1
	v_add_u32_e32 v1, s4, v31
	v_mul_lo_u32 v1, v1, v63
	v_add_co_u32_e32 v2, vcc, v30, v1
	v_addc_co_u32_e32 v3, vcc, 0, v73, vcc
	v_mov_b32_e32 v1, 10
	v_cmp_gt_i16_sdwa vcc, v62, v1 src0_sel:BYTE_0 src1_sel:DWORD
	s_mov_b64 s[4:5], 0
	s_mov_b64 s[90:91], s[94:95]
	s_and_saveexec_b64 s[74:75], vcc
	s_xor_b64 s[74:75], exec, s[74:75]
	v_writelane_b32 v77, s74, 34
	v_writelane_b32 v77, s75, 35
	s_cbranch_execz .LBB169_4101
; %bb.4020:
	v_mov_b32_e32 v1, 25
	v_cmp_gt_i16_sdwa s[4:5], v62, v1 src0_sel:BYTE_0 src1_sel:DWORD
	s_mov_b64 s[88:89], 0
	s_mov_b64 s[90:91], s[94:95]
	s_and_saveexec_b64 vcc, s[4:5]
	s_xor_b64 s[92:93], exec, vcc
	s_cbranch_execz .LBB169_4056
; %bb.4021:
	v_mov_b32_e32 v1, 28
	v_cmp_gt_i16_sdwa vcc, v62, v1 src0_sel:BYTE_0 src1_sel:DWORD
	s_mov_b64 s[4:5], 0
	s_mov_b64 s[90:91], s[94:95]
	s_and_saveexec_b64 s[74:75], vcc
	s_xor_b64 s[88:89], exec, s[74:75]
	s_cbranch_execz .LBB169_4039
; %bb.4022:
	v_mov_b32_e32 v1, 43
	v_cmp_gt_i16_sdwa s[74:75], v62, v1 src0_sel:BYTE_0 src1_sel:DWORD
	s_mov_b64 vcc, s[94:95]
	s_and_saveexec_b64 s[76:77], s[74:75]
	s_xor_b64 s[76:77], exec, s[76:77]
	s_cbranch_execz .LBB169_4034
; %bb.4023:
	v_mov_b32_e32 v1, 45
	v_cmp_gt_i16_sdwa s[4:5], v62, v1 src0_sel:BYTE_0 src1_sel:DWORD
	s_mov_b64 s[86:87], 0
	s_mov_b64 s[84:85], s[94:95]
	s_and_saveexec_b64 vcc, s[4:5]
	s_xor_b64 s[4:5], exec, vcc
	s_cbranch_execz .LBB169_4027
; %bb.4024:
	v_mov_b32_e32 v1, 46
	v_cmp_eq_u16_sdwa s[74:75], v62, v1 src0_sel:BYTE_0 src1_sel:DWORD
	s_mov_b64 vcc, -1
	s_and_saveexec_b64 s[82:83], s[74:75]
	s_cbranch_execz .LBB169_4026
; %bb.4025:
	v_bfe_u32 v1, v50, 16, 1
	s_movk_i32 vcc_lo, 0x7fff
	v_add3_u32 v1, v50, v1, vcc_lo
	v_lshrrev_b32_e32 v1, 16, v1
	v_mov_b32_e32 v4, 0x7fc0
	v_cmp_o_f32_e32 vcc, v50, v50
	v_cndmask_b32_e32 v1, v4, v1, vcc
	s_mov_b64 s[80:81], exec
	flat_store_dword v[2:3], v1
	s_xor_b64 vcc, exec, -1
.LBB169_4026:
	s_or_b64 exec, exec, s[82:83]
	s_andn2_b64 s[74:75], s[94:95], exec
	s_and_b64 vcc, vcc, exec
	s_or_b64 s[84:85], s[74:75], vcc
	s_and_b64 s[86:87], s[80:81], exec
                                        ; implicit-def: $vgpr2_vgpr3
                                        ; implicit-def: $vgpr50
.LBB169_4027:
	s_andn2_saveexec_b64 s[90:91], s[4:5]
	s_cbranch_execz .LBB169_4033
; %bb.4028:
	v_mov_b32_e32 v1, 44
	v_cmp_eq_u16_sdwa s[74:75], v62, v1 src0_sel:BYTE_0 src1_sel:DWORD
	s_mov_b64 vcc, -1
	s_mov_b64 s[4:5], s[86:87]
	s_and_saveexec_b64 s[80:81], s[74:75]
	s_cbranch_execz .LBB169_4032
; %bb.4029:
	v_bfe_u32 v1, v50, 23, 8
	s_movk_i32 s4, 0xff
	v_cmp_ne_u32_e32 vcc, s4, v1
	v_mov_b32_e32 v4, 0xff
	s_and_saveexec_b64 s[82:83], vcc
; %bb.4030:
	s_mov_b32 s4, 0x3fffff
	v_and_b32_e32 v5, 0x400000, v50
	v_and_or_b32 v1, v50, s4, v1
	v_cmp_ne_u32_e32 vcc, 0, v5
	v_cmp_ne_u32_e64 s[4:5], 0, v1
	s_and_b64 s[4:5], vcc, s[4:5]
	v_lshrrev_b32_e32 v4, 23, v50
	v_cndmask_b32_e64 v1, 0, 1, s[4:5]
	v_add_u32_e32 v4, v4, v1
; %bb.4031:
	s_or_b64 exec, exec, s[82:83]
	s_xor_b64 vcc, exec, -1
	s_or_b64 s[4:5], s[86:87], exec
	flat_store_byte v[2:3], v4
.LBB169_4032:
	s_or_b64 exec, exec, s[80:81]
	s_andn2_b64 s[74:75], s[84:85], exec
	s_and_b64 vcc, vcc, exec
	s_or_b64 s[84:85], s[74:75], vcc
	s_andn2_b64 vcc, s[86:87], exec
	s_and_b64 s[4:5], s[4:5], exec
	s_or_b64 s[86:87], vcc, s[4:5]
.LBB169_4033:
	s_or_b64 exec, exec, s[90:91]
	s_andn2_b64 s[4:5], s[94:95], exec
	s_and_b64 vcc, s[84:85], exec
	s_or_b64 vcc, s[4:5], vcc
	s_and_b64 s[4:5], s[86:87], exec
                                        ; implicit-def: $vgpr50
                                        ; implicit-def: $vgpr2_vgpr3
.LBB169_4034:
	s_andn2_saveexec_b64 s[82:83], s[76:77]
	s_cbranch_execz .LBB169_4038
; %bb.4035:
	v_mov_b32_e32 v1, 29
	v_cmp_eq_u16_sdwa s[74:75], v62, v1 src0_sel:BYTE_0 src1_sel:DWORD
	s_mov_b64 s[86:87], -1
	s_mov_b64 s[84:85], s[4:5]
	s_and_saveexec_b64 s[80:81], s[74:75]
	s_cbranch_execz .LBB169_4037
; %bb.4036:
	v_trunc_f32_e32 v1, v50
	v_mul_f32_e32 v4, 0x2f800000, v1
	v_floor_f32_e32 v4, v4
	v_fmac_f32_e32 v1, 0xcf800000, v4
	v_cvt_u32_f32_e32 v5, v4
	v_cvt_u32_f32_e32 v4, v1
	s_xor_b64 s[86:87], exec, -1
	s_or_b64 s[84:85], s[4:5], exec
	flat_store_dwordx2 v[2:3], v[4:5]
.LBB169_4037:
	s_or_b64 exec, exec, s[80:81]
	s_andn2_b64 vcc, vcc, exec
	s_and_b64 s[74:75], s[86:87], exec
	s_or_b64 vcc, vcc, s[74:75]
	s_andn2_b64 s[4:5], s[4:5], exec
	s_and_b64 s[74:75], s[84:85], exec
	s_or_b64 s[4:5], s[4:5], s[74:75]
.LBB169_4038:
	s_or_b64 exec, exec, s[82:83]
	s_andn2_b64 s[74:75], s[94:95], exec
	s_and_b64 vcc, vcc, exec
	s_or_b64 s[90:91], s[74:75], vcc
	s_and_b64 s[4:5], s[4:5], exec
                                        ; implicit-def: $vgpr2_vgpr3
                                        ; implicit-def: $vgpr50
.LBB169_4039:
	s_andn2_saveexec_b64 s[88:89], s[88:89]
	s_cbranch_execz .LBB169_4055
; %bb.4040:
	v_mov_b32_e32 v1, 26
	v_cmp_gt_i16_sdwa vcc, v62, v1 src0_sel:BYTE_0 src1_sel:DWORD
	s_and_saveexec_b64 s[74:75], vcc
	s_xor_b64 vcc, exec, s[74:75]
	s_cbranch_execz .LBB169_4046
; %bb.4041:
	v_cvt_u32_f32_e32 v1, v50
	v_mov_b32_e32 v4, 27
	v_cmp_gt_i16_sdwa s[74:75], v62, v4 src0_sel:BYTE_0 src1_sel:DWORD
	s_and_saveexec_b64 s[76:77], s[74:75]
	s_xor_b64 s[76:77], exec, s[76:77]
	s_cbranch_execz .LBB169_4043
; %bb.4042:
	flat_store_dword v[2:3], v1
                                        ; implicit-def: $vgpr2_vgpr3
                                        ; implicit-def: $vgpr1
.LBB169_4043:
	s_andn2_saveexec_b64 s[76:77], s[76:77]
	s_cbranch_execz .LBB169_4045
; %bb.4044:
	flat_store_short v[2:3], v1
.LBB169_4045:
	s_or_b64 exec, exec, s[76:77]
                                        ; implicit-def: $vgpr2_vgpr3
                                        ; implicit-def: $vgpr50
.LBB169_4046:
	s_andn2_saveexec_b64 s[86:87], vcc
	s_cbranch_execz .LBB169_4054
; %bb.4047:
	v_and_b32_e32 v1, 0x7fffffff, v50
	s_mov_b32 vcc_lo, 0x43800000
	v_cmp_gt_u32_e32 vcc, vcc_lo, v1
	v_mov_b32_e32 v4, 0x80
	s_and_saveexec_b64 s[84:85], vcc
	s_cbranch_execz .LBB169_4053
; %bb.4048:
	s_mov_b32 vcc_lo, 0x3bffffff
	v_cmp_lt_u32_e32 vcc, vcc_lo, v1
	s_mov_b64 s[82:83], 0
                                        ; implicit-def: $vgpr1
	s_and_saveexec_b64 s[74:75], vcc
	s_xor_b64 vcc, exec, s[74:75]
	s_cbranch_execnz .LBB169_7857
; %bb.4049:
	s_or_saveexec_b64 s[80:81], vcc
                                        ; implicit-def: $sgpr76
	s_xor_b64 exec, exec, s[80:81]
	s_cbranch_execnz .LBB169_7858
.LBB169_4050:
	s_or_b64 exec, exec, s[80:81]
	v_mov_b32_e32 v4, s76
	s_and_saveexec_b64 vcc, s[82:83]
.LBB169_4051:
	v_lshrrev_b32_e32 v4, 24, v50
	s_movk_i32 s74, 0x80
	v_and_or_b32 v4, v4, s74, v1
.LBB169_4052:
	s_or_b64 exec, exec, vcc
.LBB169_4053:
	s_or_b64 exec, exec, s[84:85]
	flat_store_byte v[2:3], v4
.LBB169_4054:
	s_or_b64 exec, exec, s[86:87]
	s_or_b64 s[4:5], s[4:5], exec
.LBB169_4055:
	s_or_b64 exec, exec, s[88:89]
	s_andn2_b64 vcc, s[94:95], exec
	s_and_b64 s[74:75], s[90:91], exec
	s_or_b64 s[90:91], vcc, s[74:75]
	s_and_b64 s[88:89], s[4:5], exec
                                        ; implicit-def: $vgpr50
                                        ; implicit-def: $vgpr2_vgpr3
.LBB169_4056:
	s_andn2_saveexec_b64 s[92:93], s[92:93]
	s_cbranch_execz .LBB169_4100
; %bb.4057:
	v_mov_b32_e32 v1, 22
	v_cmp_gt_i16_sdwa vcc, v62, v1 src0_sel:BYTE_0 src1_sel:DWORD
	s_mov_b64 s[4:5], s[88:89]
	s_and_saveexec_b64 s[74:75], vcc
	s_xor_b64 s[86:87], exec, s[74:75]
	s_cbranch_execz .LBB169_4089
; %bb.4058:
	v_mov_b32_e32 v1, 23
	v_cmp_gt_i16_sdwa s[4:5], v62, v1 src0_sel:BYTE_0 src1_sel:DWORD
	s_and_saveexec_b64 vcc, s[4:5]
	s_xor_b64 vcc, exec, vcc
	v_writelane_b32 v77, vcc_lo, 36
	v_writelane_b32 v77, vcc_hi, 37
	s_cbranch_execz .LBB169_4078
; %bb.4059:
	v_mov_b32_e32 v1, 24
	v_cmp_gt_i16_sdwa s[4:5], v62, v1 src0_sel:BYTE_0 src1_sel:DWORD
	s_and_saveexec_b64 vcc, s[4:5]
	s_xor_b64 s[4:5], exec, vcc
	s_cbranch_execz .LBB169_4067
; %bb.4060:
	v_and_b32_e32 v1, 0x7fffffff, v50
	s_mov_b32 vcc_lo, 0x47800000
	v_cmp_gt_u32_e32 vcc, vcc_lo, v1
	v_mov_b32_e32 v4, 0x80
	s_and_saveexec_b64 s[84:85], vcc
	s_cbranch_execz .LBB169_4066
; %bb.4061:
	s_mov_b32 vcc_lo, 0x37ffffff
	v_cmp_lt_u32_e32 vcc, vcc_lo, v1
	s_mov_b64 s[82:83], 0
                                        ; implicit-def: $vgpr1
	s_and_saveexec_b64 s[74:75], vcc
	s_xor_b64 vcc, exec, s[74:75]
	s_cbranch_execnz .LBB169_7983
; %bb.4062:
	s_or_saveexec_b64 s[80:81], vcc
                                        ; implicit-def: $sgpr76
	s_xor_b64 exec, exec, s[80:81]
	s_cbranch_execnz .LBB169_7984
.LBB169_4063:
	s_or_b64 exec, exec, s[80:81]
	v_mov_b32_e32 v4, s76
	s_and_saveexec_b64 vcc, s[82:83]
.LBB169_4064:
	v_lshrrev_b32_e32 v4, 24, v50
	s_movk_i32 s74, 0x80
	v_and_or_b32 v4, v4, s74, v1
.LBB169_4065:
	s_or_b64 exec, exec, vcc
.LBB169_4066:
	s_or_b64 exec, exec, s[84:85]
	flat_store_byte v[2:3], v4
                                        ; implicit-def: $vgpr50
                                        ; implicit-def: $vgpr2_vgpr3
.LBB169_4067:
	s_andn2_saveexec_b64 s[4:5], s[4:5]
	s_cbranch_execz .LBB169_4077
; %bb.4068:
	v_and_b32_e32 v4, 0x7fffffff, v50
	s_mov_b32 vcc_lo, 0x43f00000
	v_cmp_gt_u32_e32 vcc, vcc_lo, v4
                                        ; implicit-def: $vgpr1
	s_and_saveexec_b64 s[74:75], vcc
	s_xor_b64 s[80:81], exec, s[74:75]
	s_cbranch_execz .LBB169_4074
; %bb.4069:
	s_mov_b32 vcc_lo, 0x3c7fffff
	v_cmp_lt_u32_e32 vcc, vcc_lo, v4
                                        ; implicit-def: $vgpr1
	s_and_saveexec_b64 s[74:75], vcc
	s_xor_b64 s[78:79], exec, s[74:75]
; %bb.4070:
	v_bfe_u32 v1, v50, 20, 1
	s_mov_b32 vcc_lo, 0x407ffff
	v_add3_u32 v1, v50, v1, vcc_lo
	v_lshrrev_b32_e32 v4, 20, v1
	v_and_b32_e32 v1, 0xff00000, v1
	s_mov_b32 vcc_lo, 0x7f00000
	v_mov_b32_e32 v5, 0x7e
	v_cmp_ne_u32_e32 vcc, vcc_lo, v1
	v_cndmask_b32_e32 v1, v5, v4, vcc
; %bb.4071:
	s_andn2_saveexec_b64 vcc, s[78:79]
; %bb.4072:
	s_mov_b32 s74, 0x46800000
	v_add_f32_e64 v1, |v50|, s74
; %bb.4073:
	s_or_b64 exec, exec, vcc
                                        ; implicit-def: $vgpr4
.LBB169_4074:
	s_andn2_saveexec_b64 s[80:81], s[80:81]
; %bb.4075:
	s_mov_b32 vcc_lo, 0x7f800000
	v_mov_b32_e32 v1, 0x7e
	v_mov_b32_e32 v5, 0x7f
	v_cmp_lt_u32_e32 vcc, vcc_lo, v4
	v_cndmask_b32_e32 v1, v1, v5, vcc
; %bb.4076:
	s_or_b64 exec, exec, s[80:81]
	v_lshrrev_b32_e32 v4, 24, v50
	s_movk_i32 vcc_lo, 0x80
	v_and_or_b32 v1, v4, vcc_lo, v1
	flat_store_byte v[2:3], v1
.LBB169_4077:
	s_or_b64 exec, exec, s[4:5]
                                        ; implicit-def: $vgpr50
                                        ; implicit-def: $vgpr2_vgpr3
.LBB169_4078:
	v_readlane_b32 s4, v77, 36
	v_readlane_b32 s5, v77, 37
	s_andn2_saveexec_b64 s[4:5], s[4:5]
	s_cbranch_execz .LBB169_4088
; %bb.4079:
	v_and_b32_e32 v4, 0x7fffffff, v50
	s_mov_b32 vcc_lo, 0x47800000
	v_cmp_gt_u32_e32 vcc, vcc_lo, v4
                                        ; implicit-def: $vgpr1
	s_and_saveexec_b64 s[74:75], vcc
	s_xor_b64 s[80:81], exec, s[74:75]
	s_cbranch_execz .LBB169_4085
; %bb.4080:
	s_mov_b32 vcc_lo, 0x387fffff
	v_cmp_lt_u32_e32 vcc, vcc_lo, v4
                                        ; implicit-def: $vgpr1
	s_and_saveexec_b64 s[74:75], vcc
	s_xor_b64 vcc, exec, s[74:75]
; %bb.4081:
	v_bfe_u32 v1, v50, 21, 1
	s_mov_b32 s74, 0x80fffff
	v_add3_u32 v1, v50, v1, s74
	v_lshrrev_b32_e32 v1, 21, v1
; %bb.4082:
	s_andn2_saveexec_b64 vcc, vcc
; %bb.4083:
	s_mov_b32 s74, 0x43000000
	v_add_f32_e64 v1, |v50|, s74
; %bb.4084:
	s_or_b64 exec, exec, vcc
                                        ; implicit-def: $vgpr4
.LBB169_4085:
	s_andn2_saveexec_b64 s[80:81], s[80:81]
; %bb.4086:
	s_mov_b32 vcc_lo, 0x7f800000
	v_mov_b32_e32 v1, 0x7c
	v_mov_b32_e32 v5, 0x7f
	v_cmp_lt_u32_e32 vcc, vcc_lo, v4
	v_cndmask_b32_e32 v1, v1, v5, vcc
; %bb.4087:
	s_or_b64 exec, exec, s[80:81]
	v_lshrrev_b32_e32 v4, 24, v50
	s_movk_i32 vcc_lo, 0x80
	v_and_or_b32 v1, v4, vcc_lo, v1
	flat_store_byte v[2:3], v1
.LBB169_4088:
	s_or_b64 exec, exec, s[4:5]
	s_or_b64 s[4:5], s[88:89], exec
                                        ; implicit-def: $vgpr50
                                        ; implicit-def: $vgpr2_vgpr3
.LBB169_4089:
	s_or_saveexec_b64 s[86:87], s[86:87]
	s_mov_b64 vcc, s[90:91]
	s_xor_b64 exec, exec, s[86:87]
	s_cbranch_execz .LBB169_4099
; %bb.4090:
	v_mov_b32_e32 v1, 14
	v_cmp_gt_i16_sdwa vcc, v62, v1 src0_sel:BYTE_0 src1_sel:DWORD
	s_mov_b64 s[84:85], s[4:5]
	s_mov_b64 s[82:83], s[90:91]
	s_and_saveexec_b64 s[74:75], vcc
	s_xor_b64 s[80:81], exec, s[74:75]
	s_cbranch_execz .LBB169_4094
; %bb.4091:
	v_mov_b32_e32 v1, 15
	v_cmp_eq_u16_sdwa s[74:75], v62, v1 src0_sel:BYTE_0 src1_sel:DWORD
	s_mov_b64 s[78:79], -1
	s_mov_b64 vcc, s[4:5]
	s_and_saveexec_b64 s[82:83], s[74:75]
	s_cbranch_execz .LBB169_4093
; %bb.4092:
	v_bfe_u32 v1, v50, 16, 1
	s_movk_i32 vcc_lo, 0x7fff
	v_add3_u32 v1, v50, v1, vcc_lo
	v_lshrrev_b32_e32 v1, 16, v1
	v_mov_b32_e32 v4, 0x7fc0
	v_cmp_o_f32_e32 vcc, v50, v50
	v_cndmask_b32_e32 v1, v4, v1, vcc
	flat_store_short v[2:3], v1
	s_xor_b64 s[78:79], exec, -1
	s_or_b64 vcc, s[4:5], exec
.LBB169_4093:
	s_or_b64 exec, exec, s[82:83]
	s_andn2_b64 s[74:75], s[90:91], exec
	s_and_b64 s[76:77], s[78:79], exec
	s_or_b64 s[82:83], s[74:75], s[76:77]
	s_andn2_b64 s[74:75], s[4:5], exec
	s_and_b64 vcc, vcc, exec
	s_or_b64 s[84:85], s[74:75], vcc
                                        ; implicit-def: $vgpr50
                                        ; implicit-def: $vgpr2_vgpr3
.LBB169_4094:
	s_andn2_saveexec_b64 s[80:81], s[80:81]
	s_cbranch_execz .LBB169_4098
; %bb.4095:
	v_mov_b32_e32 v1, 11
	v_cmp_eq_u16_sdwa s[74:75], v62, v1 src0_sel:BYTE_0 src1_sel:DWORD
	s_mov_b64 s[78:79], -1
	s_mov_b64 vcc, s[84:85]
	s_and_saveexec_b64 s[76:77], s[74:75]
	s_cbranch_execz .LBB169_4097
; %bb.4096:
	v_cmp_neq_f32_e32 vcc, 0, v50
	v_cndmask_b32_e64 v1, 0, 1, vcc
	flat_store_byte v[2:3], v1
	s_xor_b64 s[78:79], exec, -1
	s_or_b64 vcc, s[84:85], exec
.LBB169_4097:
	s_or_b64 exec, exec, s[76:77]
	s_andn2_b64 s[74:75], s[82:83], exec
	s_and_b64 s[76:77], s[78:79], exec
	s_or_b64 s[82:83], s[74:75], s[76:77]
	s_andn2_b64 s[74:75], s[84:85], exec
	s_and_b64 vcc, vcc, exec
	s_or_b64 s[84:85], s[74:75], vcc
.LBB169_4098:
	s_or_b64 exec, exec, s[80:81]
	s_andn2_b64 vcc, s[90:91], exec
	s_and_b64 s[74:75], s[82:83], exec
	s_or_b64 vcc, vcc, s[74:75]
	s_andn2_b64 s[4:5], s[4:5], exec
	s_and_b64 s[74:75], s[84:85], exec
	s_or_b64 s[4:5], s[4:5], s[74:75]
.LBB169_4099:
	s_or_b64 exec, exec, s[86:87]
	s_andn2_b64 s[74:75], s[90:91], exec
	s_and_b64 vcc, vcc, exec
	s_or_b64 s[90:91], s[74:75], vcc
	s_andn2_b64 vcc, s[88:89], exec
	s_and_b64 s[4:5], s[4:5], exec
	s_or_b64 s[88:89], vcc, s[4:5]
.LBB169_4100:
	s_or_b64 exec, exec, s[92:93]
	s_andn2_b64 s[4:5], s[94:95], exec
	s_and_b64 vcc, s[90:91], exec
	s_or_b64 s[90:91], s[4:5], vcc
	s_and_b64 s[4:5], s[88:89], exec
                                        ; implicit-def: $vgpr50
                                        ; implicit-def: $vgpr2_vgpr3
.LBB169_4101:
	v_readlane_b32 vcc_lo, v77, 34
	v_readlane_b32 vcc_hi, v77, 35
	s_andn2_saveexec_b64 s[92:93], vcc
	s_cbranch_execz .LBB169_4143
; %bb.4102:
	v_mov_b32_e32 v1, 4
	v_cmp_gt_i16_sdwa vcc, v62, v1 src0_sel:BYTE_0 src1_sel:DWORD
	s_and_saveexec_b64 s[74:75], vcc
	s_xor_b64 vcc, exec, s[74:75]
	s_cbranch_execz .LBB169_4124
; %bb.4103:
	v_mov_b32_e32 v1, 7
	v_cmp_gt_i16_sdwa s[74:75], v62, v1 src0_sel:BYTE_0 src1_sel:DWORD
	s_and_saveexec_b64 s[76:77], s[74:75]
	s_xor_b64 s[84:85], exec, s[76:77]
	s_cbranch_execz .LBB169_4113
; %bb.4104:
	v_mov_b32_e32 v1, 8
	v_cmp_gt_i16_sdwa s[74:75], v62, v1 src0_sel:BYTE_0 src1_sel:DWORD
	s_and_saveexec_b64 s[76:77], s[74:75]
	s_xor_b64 s[82:83], exec, s[76:77]
	;; [unrolled: 6-line block ×3, first 2 shown]
	s_cbranch_execz .LBB169_4107
; %bb.4106:
	v_mov_b32_e32 v6, 0
	v_cvt_f64_f32_e32 v[4:5], v50
	v_mov_b32_e32 v7, v6
	flat_store_dwordx4 v[2:3], v[4:7]
                                        ; implicit-def: $vgpr50
                                        ; implicit-def: $vgpr2_vgpr3
.LBB169_4107:
	s_andn2_saveexec_b64 s[76:77], s[78:79]
	s_cbranch_execz .LBB169_4109
; %bb.4108:
	v_mov_b32_e32 v51, 0
	flat_store_dwordx2 v[2:3], v[50:51]
.LBB169_4109:
	s_or_b64 exec, exec, s[76:77]
                                        ; implicit-def: $vgpr50
                                        ; implicit-def: $vgpr2_vgpr3
.LBB169_4110:
	s_andn2_saveexec_b64 s[76:77], s[82:83]
	s_cbranch_execz .LBB169_4112
; %bb.4111:
	v_cvt_f16_f32_e32 v1, v50
	flat_store_dword v[2:3], v1
.LBB169_4112:
	s_or_b64 exec, exec, s[76:77]
                                        ; implicit-def: $vgpr50
                                        ; implicit-def: $vgpr2_vgpr3
.LBB169_4113:
	s_andn2_saveexec_b64 s[82:83], s[84:85]
	s_cbranch_execz .LBB169_4123
; %bb.4114:
	v_mov_b32_e32 v1, 5
	v_cmp_gt_i16_sdwa s[74:75], v62, v1 src0_sel:BYTE_0 src1_sel:DWORD
	s_and_saveexec_b64 s[76:77], s[74:75]
	s_xor_b64 s[80:81], exec, s[76:77]
	s_cbranch_execz .LBB169_4120
; %bb.4115:
	v_mov_b32_e32 v1, 6
	v_cmp_gt_i16_sdwa s[74:75], v62, v1 src0_sel:BYTE_0 src1_sel:DWORD
	s_and_saveexec_b64 s[76:77], s[74:75]
	s_xor_b64 s[76:77], exec, s[76:77]
	s_cbranch_execz .LBB169_4117
; %bb.4116:
	v_cvt_f64_f32_e32 v[4:5], v50
	flat_store_dwordx2 v[2:3], v[4:5]
                                        ; implicit-def: $vgpr2_vgpr3
                                        ; implicit-def: $vgpr50
.LBB169_4117:
	s_andn2_saveexec_b64 s[76:77], s[76:77]
	s_cbranch_execz .LBB169_4119
; %bb.4118:
	flat_store_dword v[2:3], v50
.LBB169_4119:
	s_or_b64 exec, exec, s[76:77]
                                        ; implicit-def: $vgpr50
                                        ; implicit-def: $vgpr2_vgpr3
.LBB169_4120:
	s_andn2_saveexec_b64 s[76:77], s[80:81]
	s_cbranch_execz .LBB169_4122
; %bb.4121:
	v_cvt_f16_f32_e32 v1, v50
	flat_store_short v[2:3], v1
.LBB169_4122:
	s_or_b64 exec, exec, s[76:77]
.LBB169_4123:
	s_or_b64 exec, exec, s[82:83]
                                        ; implicit-def: $vgpr50
                                        ; implicit-def: $vgpr2_vgpr3
.LBB169_4124:
	s_andn2_saveexec_b64 s[88:89], vcc
	s_cbranch_execz .LBB169_4142
; %bb.4125:
	v_mov_b32_e32 v1, 1
	v_cmp_gt_i16_sdwa vcc, v62, v1 src0_sel:BYTE_0 src1_sel:DWORD
	s_and_saveexec_b64 s[74:75], vcc
	s_xor_b64 s[84:85], exec, s[74:75]
	s_cbranch_execz .LBB169_4135
; %bb.4126:
	v_mov_b32_e32 v1, 2
	v_cmp_gt_i16_sdwa vcc, v62, v1 src0_sel:BYTE_0 src1_sel:DWORD
	s_and_saveexec_b64 s[74:75], vcc
	s_xor_b64 s[82:83], exec, s[74:75]
	;; [unrolled: 6-line block ×3, first 2 shown]
	s_cbranch_execz .LBB169_4129
; %bb.4128:
	v_trunc_f32_e32 v1, v50
	s_mov_b32 s74, 0x2f800000
	v_mul_f32_e64 v4, |v1|, s74
	v_floor_f32_e32 v4, v4
	s_mov_b32 s74, 0xcf800000
	v_cvt_u32_f32_e32 v5, v4
	v_fma_f32 v4, v4, s74, |v1|
	v_cvt_u32_f32_e32 v4, v4
	v_ashrrev_i32_e32 v1, 31, v1
	v_xor_b32_e32 v5, v5, v1
                                        ; implicit-def: $vgpr50
	v_xor_b32_e32 v4, v4, v1
	v_sub_co_u32_e32 v4, vcc, v4, v1
	v_subb_co_u32_e32 v5, vcc, v5, v1, vcc
	flat_store_dwordx2 v[2:3], v[4:5]
                                        ; implicit-def: $vgpr2_vgpr3
.LBB169_4129:
	s_andn2_saveexec_b64 vcc, s[80:81]
	s_cbranch_execz .LBB169_4131
; %bb.4130:
	v_cvt_i32_f32_e32 v1, v50
	flat_store_dword v[2:3], v1
.LBB169_4131:
	s_or_b64 exec, exec, vcc
                                        ; implicit-def: $vgpr50
                                        ; implicit-def: $vgpr2_vgpr3
.LBB169_4132:
	s_andn2_saveexec_b64 vcc, s[82:83]
	s_cbranch_execz .LBB169_4134
; %bb.4133:
	v_cvt_i32_f32_e32 v1, v50
	flat_store_short v[2:3], v1
.LBB169_4134:
	s_or_b64 exec, exec, vcc
                                        ; implicit-def: $vgpr50
                                        ; implicit-def: $vgpr2_vgpr3
.LBB169_4135:
	s_andn2_saveexec_b64 vcc, s[84:85]
	s_cbranch_execz .LBB169_4141
; %bb.4136:
	v_mov_b32_e32 v1, 0
	v_cmp_gt_i16_sdwa s[74:75], v62, v1 src0_sel:BYTE_0 src1_sel:DWORD
	s_and_saveexec_b64 s[76:77], s[74:75]
	s_xor_b64 s[76:77], exec, s[76:77]
	s_cbranch_execz .LBB169_4138
; %bb.4137:
	v_cvt_i32_f32_e32 v1, v50
                                        ; implicit-def: $vgpr50
	flat_store_byte v[2:3], v1
                                        ; implicit-def: $vgpr2_vgpr3
.LBB169_4138:
	s_andn2_saveexec_b64 s[80:81], s[76:77]
	s_cbranch_execz .LBB169_4140
; %bb.4139:
	v_trunc_f32_e32 v1, v50
	s_mov_b32 s74, 0x2f800000
	v_mul_f32_e64 v4, |v1|, s74
	v_floor_f32_e32 v4, v4
	s_mov_b32 s74, 0xcf800000
	v_fma_f32 v4, v4, s74, |v1|
	v_cvt_u32_f32_e32 v4, v4
	v_ashrrev_i32_e32 v1, 31, v1
	v_xor_b32_e32 v4, v4, v1
	v_sub_u32_e32 v1, v4, v1
	flat_store_byte v[2:3], v1
.LBB169_4140:
	s_or_b64 exec, exec, s[80:81]
.LBB169_4141:
	s_or_b64 exec, exec, vcc
.LBB169_4142:
	s_or_b64 exec, exec, s[88:89]
	s_or_b64 s[4:5], s[4:5], exec
.LBB169_4143:
	s_or_b64 exec, exec, s[92:93]
	s_mov_b64 vcc, 0
	s_and_saveexec_b64 s[76:77], s[4:5]
; %bb.4144:
	s_mov_b64 vcc, exec
	v_add_u32_e32 v31, 0x200, v31
; %bb.4145:
	s_or_b64 exec, exec, s[76:77]
	s_andn2_b64 s[4:5], s[94:95], exec
	s_and_b64 s[74:75], s[90:91], exec
	s_or_b64 s[4:5], s[4:5], s[74:75]
	v_writelane_b32 v77, s4, 30
	v_writelane_b32 v77, s5, 31
	s_orn2_b64 s[82:83], vcc, exec
.LBB169_4146:
	s_or_b64 exec, exec, s[96:97]
	s_mov_b64 s[4:5], 0
	s_mov_b64 vcc, 0
	s_mov_b64 s[80:81], 0
                                        ; implicit-def: $vgpr4
                                        ; implicit-def: $vgpr2_vgpr3
	s_mov_b64 s[74:75], exec
	v_writelane_b32 v77, s74, 32
	v_writelane_b32 v77, s75, 33
	s_and_b64 s[74:75], s[74:75], s[82:83]
	s_mov_b64 exec, s[74:75]
	s_cbranch_execz .LBB169_4758
; %bb.4147:
	v_readlane_b32 s4, v77, 30
	v_readlane_b32 s5, v77, 31
	v_cmp_lt_i32_e32 vcc, v31, v72
	s_mov_b64 s[82:83], -1
	v_writelane_b32 v77, s4, 38
	v_writelane_b32 v77, s5, 39
	s_and_saveexec_b64 s[96:97], vcc
	s_cbranch_execz .LBB169_4275
; %bb.4148:
	v_readlane_b32 s4, v78, 1
	v_add_u32_e32 v1, s4, v31
	v_mul_lo_u32 v1, v1, v63
	v_add_co_u32_e32 v2, vcc, v30, v1
	v_addc_co_u32_e32 v3, vcc, 0, v73, vcc
	v_mov_b32_e32 v1, 10
	v_readlane_b32 s90, v77, 30
	v_cmp_gt_i16_sdwa vcc, v62, v1 src0_sel:BYTE_0 src1_sel:DWORD
	s_mov_b64 s[4:5], 0
	v_readlane_b32 s91, v77, 31
	s_and_saveexec_b64 s[74:75], vcc
	s_xor_b64 s[74:75], exec, s[74:75]
	v_writelane_b32 v77, s74, 42
	v_writelane_b32 v77, s75, 43
	s_cbranch_execz .LBB169_4230
; %bb.4149:
	v_mov_b32_e32 v1, 25
	v_readlane_b32 s92, v77, 30
	v_cmp_gt_i16_sdwa s[4:5], v62, v1 src0_sel:BYTE_0 src1_sel:DWORD
	s_mov_b64 s[88:89], 0
	v_readlane_b32 s93, v77, 31
	s_and_saveexec_b64 vcc, s[4:5]
	s_xor_b64 s[90:91], exec, vcc
	s_cbranch_execz .LBB169_4185
; %bb.4150:
	v_mov_b32_e32 v1, 28
	v_readlane_b32 s92, v77, 30
	v_cmp_gt_i16_sdwa vcc, v62, v1 src0_sel:BYTE_0 src1_sel:DWORD
	s_mov_b64 s[4:5], 0
	v_readlane_b32 s93, v77, 31
	s_and_saveexec_b64 s[74:75], vcc
	s_xor_b64 s[88:89], exec, s[74:75]
	s_cbranch_execz .LBB169_4168
; %bb.4151:
	v_mov_b32_e32 v1, 43
	v_readlane_b32 vcc_lo, v77, 30
	v_cmp_gt_i16_sdwa s[74:75], v62, v1 src0_sel:BYTE_0 src1_sel:DWORD
	v_readlane_b32 vcc_hi, v77, 31
	s_and_saveexec_b64 s[76:77], s[74:75]
	s_xor_b64 s[76:77], exec, s[76:77]
	s_cbranch_execz .LBB169_4163
; %bb.4152:
	v_mov_b32_e32 v1, 45
	v_readlane_b32 s84, v77, 30
	v_cmp_gt_i16_sdwa s[4:5], v62, v1 src0_sel:BYTE_0 src1_sel:DWORD
	s_mov_b64 s[86:87], 0
	v_readlane_b32 s85, v77, 31
	s_and_saveexec_b64 vcc, s[4:5]
	s_xor_b64 s[4:5], exec, vcc
	s_cbranch_execz .LBB169_4156
; %bb.4153:
	v_mov_b32_e32 v1, 46
	v_cmp_eq_u16_sdwa s[74:75], v62, v1 src0_sel:BYTE_0 src1_sel:DWORD
	s_mov_b64 vcc, -1
	s_and_saveexec_b64 s[82:83], s[74:75]
	s_cbranch_execz .LBB169_4155
; %bb.4154:
	v_bfe_u32 v1, v48, 16, 1
	s_movk_i32 vcc_lo, 0x7fff
	v_add3_u32 v1, v48, v1, vcc_lo
	v_lshrrev_b32_e32 v1, 16, v1
	v_mov_b32_e32 v4, 0x7fc0
	v_cmp_o_f32_e32 vcc, v48, v48
	v_cndmask_b32_e32 v1, v4, v1, vcc
	s_mov_b64 s[80:81], exec
	flat_store_dword v[2:3], v1
	s_xor_b64 vcc, exec, -1
.LBB169_4155:
	s_or_b64 exec, exec, s[82:83]
	v_readlane_b32 s74, v77, 30
	v_readlane_b32 s75, v77, 31
	s_andn2_b64 s[74:75], s[74:75], exec
	s_and_b64 vcc, vcc, exec
	s_or_b64 s[84:85], s[74:75], vcc
	s_and_b64 s[86:87], s[80:81], exec
                                        ; implicit-def: $vgpr2_vgpr3
                                        ; implicit-def: $vgpr48
.LBB169_4156:
	s_andn2_saveexec_b64 s[92:93], s[4:5]
	s_cbranch_execz .LBB169_4162
; %bb.4157:
	v_mov_b32_e32 v1, 44
	v_cmp_eq_u16_sdwa s[74:75], v62, v1 src0_sel:BYTE_0 src1_sel:DWORD
	s_mov_b64 vcc, -1
	s_mov_b64 s[4:5], s[86:87]
	s_and_saveexec_b64 s[80:81], s[74:75]
	s_cbranch_execz .LBB169_4161
; %bb.4158:
	v_bfe_u32 v1, v48, 23, 8
	s_movk_i32 s4, 0xff
	v_cmp_ne_u32_e32 vcc, s4, v1
	v_mov_b32_e32 v4, 0xff
	s_and_saveexec_b64 s[82:83], vcc
; %bb.4159:
	s_mov_b32 s4, 0x3fffff
	v_and_b32_e32 v5, 0x400000, v48
	v_and_or_b32 v1, v48, s4, v1
	v_cmp_ne_u32_e32 vcc, 0, v5
	v_cmp_ne_u32_e64 s[4:5], 0, v1
	s_and_b64 s[4:5], vcc, s[4:5]
	v_lshrrev_b32_e32 v4, 23, v48
	v_cndmask_b32_e64 v1, 0, 1, s[4:5]
	v_add_u32_e32 v4, v4, v1
; %bb.4160:
	s_or_b64 exec, exec, s[82:83]
	s_xor_b64 vcc, exec, -1
	s_or_b64 s[4:5], s[86:87], exec
	flat_store_byte v[2:3], v4
.LBB169_4161:
	s_or_b64 exec, exec, s[80:81]
	s_andn2_b64 s[74:75], s[84:85], exec
	s_and_b64 vcc, vcc, exec
	s_or_b64 s[84:85], s[74:75], vcc
	s_andn2_b64 vcc, s[86:87], exec
	s_and_b64 s[4:5], s[4:5], exec
	s_or_b64 s[86:87], vcc, s[4:5]
.LBB169_4162:
	s_or_b64 exec, exec, s[92:93]
	v_readlane_b32 s4, v77, 30
	v_readlane_b32 s5, v77, 31
	s_andn2_b64 s[4:5], s[4:5], exec
	s_and_b64 vcc, s[84:85], exec
	s_or_b64 vcc, s[4:5], vcc
	s_and_b64 s[4:5], s[86:87], exec
                                        ; implicit-def: $vgpr48
                                        ; implicit-def: $vgpr2_vgpr3
.LBB169_4163:
	s_andn2_saveexec_b64 s[82:83], s[76:77]
	s_cbranch_execz .LBB169_4167
; %bb.4164:
	v_mov_b32_e32 v1, 29
	v_cmp_eq_u16_sdwa s[74:75], v62, v1 src0_sel:BYTE_0 src1_sel:DWORD
	s_mov_b64 s[86:87], -1
	s_mov_b64 s[84:85], s[4:5]
	s_and_saveexec_b64 s[80:81], s[74:75]
	s_cbranch_execz .LBB169_4166
; %bb.4165:
	v_trunc_f32_e32 v1, v48
	v_mul_f32_e32 v4, 0x2f800000, v1
	v_floor_f32_e32 v4, v4
	v_fmac_f32_e32 v1, 0xcf800000, v4
	v_cvt_u32_f32_e32 v5, v4
	v_cvt_u32_f32_e32 v4, v1
	s_xor_b64 s[86:87], exec, -1
	s_or_b64 s[84:85], s[4:5], exec
	flat_store_dwordx2 v[2:3], v[4:5]
.LBB169_4166:
	s_or_b64 exec, exec, s[80:81]
	s_andn2_b64 vcc, vcc, exec
	s_and_b64 s[74:75], s[86:87], exec
	s_or_b64 vcc, vcc, s[74:75]
	s_andn2_b64 s[4:5], s[4:5], exec
	s_and_b64 s[74:75], s[84:85], exec
	s_or_b64 s[4:5], s[4:5], s[74:75]
.LBB169_4167:
	s_or_b64 exec, exec, s[82:83]
	v_readlane_b32 s74, v77, 30
	v_readlane_b32 s75, v77, 31
	s_andn2_b64 s[74:75], s[74:75], exec
	s_and_b64 vcc, vcc, exec
	s_or_b64 s[92:93], s[74:75], vcc
	s_and_b64 s[4:5], s[4:5], exec
                                        ; implicit-def: $vgpr2_vgpr3
                                        ; implicit-def: $vgpr48
.LBB169_4168:
	s_andn2_saveexec_b64 s[88:89], s[88:89]
	s_cbranch_execz .LBB169_4184
; %bb.4169:
	v_mov_b32_e32 v1, 26
	v_cmp_gt_i16_sdwa vcc, v62, v1 src0_sel:BYTE_0 src1_sel:DWORD
	s_and_saveexec_b64 s[74:75], vcc
	s_xor_b64 vcc, exec, s[74:75]
	s_cbranch_execz .LBB169_4175
; %bb.4170:
	v_cvt_u32_f32_e32 v1, v48
	v_mov_b32_e32 v4, 27
	v_cmp_gt_i16_sdwa s[74:75], v62, v4 src0_sel:BYTE_0 src1_sel:DWORD
	s_and_saveexec_b64 s[76:77], s[74:75]
	s_xor_b64 s[76:77], exec, s[76:77]
	s_cbranch_execz .LBB169_4172
; %bb.4171:
	flat_store_dword v[2:3], v1
                                        ; implicit-def: $vgpr2_vgpr3
                                        ; implicit-def: $vgpr1
.LBB169_4172:
	s_andn2_saveexec_b64 s[76:77], s[76:77]
	s_cbranch_execz .LBB169_4174
; %bb.4173:
	flat_store_short v[2:3], v1
.LBB169_4174:
	s_or_b64 exec, exec, s[76:77]
                                        ; implicit-def: $vgpr2_vgpr3
                                        ; implicit-def: $vgpr48
.LBB169_4175:
	s_andn2_saveexec_b64 s[86:87], vcc
	s_cbranch_execz .LBB169_4183
; %bb.4176:
	v_and_b32_e32 v1, 0x7fffffff, v48
	s_mov_b32 vcc_lo, 0x43800000
	v_cmp_gt_u32_e32 vcc, vcc_lo, v1
	v_mov_b32_e32 v4, 0x80
	s_and_saveexec_b64 s[84:85], vcc
	s_cbranch_execz .LBB169_4182
; %bb.4177:
	s_mov_b32 vcc_lo, 0x3bffffff
	v_cmp_lt_u32_e32 vcc, vcc_lo, v1
	s_mov_b64 s[82:83], 0
                                        ; implicit-def: $vgpr1
	s_and_saveexec_b64 s[74:75], vcc
	s_xor_b64 vcc, exec, s[74:75]
	s_cbranch_execnz .LBB169_7985
; %bb.4178:
	s_or_saveexec_b64 s[80:81], vcc
                                        ; implicit-def: $sgpr76
	s_xor_b64 exec, exec, s[80:81]
	s_cbranch_execnz .LBB169_7986
.LBB169_4179:
	s_or_b64 exec, exec, s[80:81]
	v_mov_b32_e32 v4, s76
	s_and_saveexec_b64 vcc, s[82:83]
.LBB169_4180:
	v_lshrrev_b32_e32 v4, 24, v48
	s_movk_i32 s74, 0x80
	v_and_or_b32 v4, v4, s74, v1
.LBB169_4181:
	s_or_b64 exec, exec, vcc
.LBB169_4182:
	s_or_b64 exec, exec, s[84:85]
	flat_store_byte v[2:3], v4
.LBB169_4183:
	s_or_b64 exec, exec, s[86:87]
	s_or_b64 s[4:5], s[4:5], exec
.LBB169_4184:
	s_or_b64 exec, exec, s[88:89]
	v_readlane_b32 vcc_lo, v77, 30
	v_readlane_b32 vcc_hi, v77, 31
	s_andn2_b64 vcc, vcc, exec
	s_and_b64 s[74:75], s[92:93], exec
	s_or_b64 s[92:93], vcc, s[74:75]
	s_and_b64 s[88:89], s[4:5], exec
                                        ; implicit-def: $vgpr48
                                        ; implicit-def: $vgpr2_vgpr3
.LBB169_4185:
	s_andn2_saveexec_b64 s[90:91], s[90:91]
	s_cbranch_execz .LBB169_4229
; %bb.4186:
	v_mov_b32_e32 v1, 22
	v_cmp_gt_i16_sdwa vcc, v62, v1 src0_sel:BYTE_0 src1_sel:DWORD
	s_mov_b64 s[4:5], s[88:89]
	s_and_saveexec_b64 s[74:75], vcc
	s_xor_b64 s[86:87], exec, s[74:75]
	s_cbranch_execz .LBB169_4218
; %bb.4187:
	v_mov_b32_e32 v1, 23
	v_cmp_gt_i16_sdwa s[4:5], v62, v1 src0_sel:BYTE_0 src1_sel:DWORD
	s_and_saveexec_b64 vcc, s[4:5]
	s_xor_b64 vcc, exec, vcc
	v_writelane_b32 v77, vcc_lo, 44
	v_writelane_b32 v77, vcc_hi, 45
	s_cbranch_execz .LBB169_4207
; %bb.4188:
	v_mov_b32_e32 v1, 24
	v_cmp_gt_i16_sdwa s[4:5], v62, v1 src0_sel:BYTE_0 src1_sel:DWORD
	s_and_saveexec_b64 vcc, s[4:5]
	s_xor_b64 s[4:5], exec, vcc
	s_cbranch_execz .LBB169_4196
; %bb.4189:
	v_and_b32_e32 v1, 0x7fffffff, v48
	s_mov_b32 vcc_lo, 0x47800000
	v_cmp_gt_u32_e32 vcc, vcc_lo, v1
	v_mov_b32_e32 v4, 0x80
	s_and_saveexec_b64 s[84:85], vcc
	s_cbranch_execz .LBB169_4195
; %bb.4190:
	s_mov_b32 vcc_lo, 0x37ffffff
	v_cmp_lt_u32_e32 vcc, vcc_lo, v1
	s_mov_b64 s[82:83], 0
                                        ; implicit-def: $vgpr1
	s_and_saveexec_b64 s[74:75], vcc
	s_xor_b64 vcc, exec, s[74:75]
	s_cbranch_execnz .LBB169_7987
; %bb.4191:
	s_or_saveexec_b64 s[80:81], vcc
                                        ; implicit-def: $sgpr76
	s_xor_b64 exec, exec, s[80:81]
	s_cbranch_execnz .LBB169_7988
.LBB169_4192:
	s_or_b64 exec, exec, s[80:81]
	v_mov_b32_e32 v4, s76
	s_and_saveexec_b64 vcc, s[82:83]
.LBB169_4193:
	v_lshrrev_b32_e32 v4, 24, v48
	s_movk_i32 s74, 0x80
	v_and_or_b32 v4, v4, s74, v1
.LBB169_4194:
	s_or_b64 exec, exec, vcc
.LBB169_4195:
	s_or_b64 exec, exec, s[84:85]
	flat_store_byte v[2:3], v4
                                        ; implicit-def: $vgpr48
                                        ; implicit-def: $vgpr2_vgpr3
.LBB169_4196:
	s_andn2_saveexec_b64 s[4:5], s[4:5]
	s_cbranch_execz .LBB169_4206
; %bb.4197:
	v_and_b32_e32 v4, 0x7fffffff, v48
	s_mov_b32 vcc_lo, 0x43f00000
	v_cmp_gt_u32_e32 vcc, vcc_lo, v4
                                        ; implicit-def: $vgpr1
	s_and_saveexec_b64 s[74:75], vcc
	s_xor_b64 s[80:81], exec, s[74:75]
	s_cbranch_execz .LBB169_4203
; %bb.4198:
	s_mov_b32 vcc_lo, 0x3c7fffff
	v_cmp_lt_u32_e32 vcc, vcc_lo, v4
                                        ; implicit-def: $vgpr1
	s_and_saveexec_b64 s[74:75], vcc
	s_xor_b64 s[78:79], exec, s[74:75]
; %bb.4199:
	v_bfe_u32 v1, v48, 20, 1
	s_mov_b32 vcc_lo, 0x407ffff
	v_add3_u32 v1, v48, v1, vcc_lo
	v_lshrrev_b32_e32 v4, 20, v1
	v_and_b32_e32 v1, 0xff00000, v1
	s_mov_b32 vcc_lo, 0x7f00000
	v_mov_b32_e32 v5, 0x7e
	v_cmp_ne_u32_e32 vcc, vcc_lo, v1
	v_cndmask_b32_e32 v1, v5, v4, vcc
; %bb.4200:
	s_andn2_saveexec_b64 vcc, s[78:79]
; %bb.4201:
	s_mov_b32 s74, 0x46800000
	v_add_f32_e64 v1, |v48|, s74
; %bb.4202:
	s_or_b64 exec, exec, vcc
                                        ; implicit-def: $vgpr4
.LBB169_4203:
	s_andn2_saveexec_b64 s[80:81], s[80:81]
; %bb.4204:
	s_mov_b32 vcc_lo, 0x7f800000
	v_mov_b32_e32 v1, 0x7e
	v_mov_b32_e32 v5, 0x7f
	v_cmp_lt_u32_e32 vcc, vcc_lo, v4
	v_cndmask_b32_e32 v1, v1, v5, vcc
; %bb.4205:
	s_or_b64 exec, exec, s[80:81]
	v_lshrrev_b32_e32 v4, 24, v48
	s_movk_i32 vcc_lo, 0x80
	v_and_or_b32 v1, v4, vcc_lo, v1
	flat_store_byte v[2:3], v1
.LBB169_4206:
	s_or_b64 exec, exec, s[4:5]
                                        ; implicit-def: $vgpr48
                                        ; implicit-def: $vgpr2_vgpr3
.LBB169_4207:
	v_readlane_b32 s4, v77, 44
	v_readlane_b32 s5, v77, 45
	s_andn2_saveexec_b64 s[4:5], s[4:5]
	s_cbranch_execz .LBB169_4217
; %bb.4208:
	v_and_b32_e32 v4, 0x7fffffff, v48
	s_mov_b32 vcc_lo, 0x47800000
	v_cmp_gt_u32_e32 vcc, vcc_lo, v4
                                        ; implicit-def: $vgpr1
	s_and_saveexec_b64 s[74:75], vcc
	s_xor_b64 s[80:81], exec, s[74:75]
	s_cbranch_execz .LBB169_4214
; %bb.4209:
	s_mov_b32 vcc_lo, 0x387fffff
	v_cmp_lt_u32_e32 vcc, vcc_lo, v4
                                        ; implicit-def: $vgpr1
	s_and_saveexec_b64 s[74:75], vcc
	s_xor_b64 vcc, exec, s[74:75]
; %bb.4210:
	v_bfe_u32 v1, v48, 21, 1
	s_mov_b32 s74, 0x80fffff
	v_add3_u32 v1, v48, v1, s74
	v_lshrrev_b32_e32 v1, 21, v1
; %bb.4211:
	s_andn2_saveexec_b64 vcc, vcc
; %bb.4212:
	s_mov_b32 s74, 0x43000000
	v_add_f32_e64 v1, |v48|, s74
; %bb.4213:
	s_or_b64 exec, exec, vcc
                                        ; implicit-def: $vgpr4
.LBB169_4214:
	s_andn2_saveexec_b64 s[80:81], s[80:81]
; %bb.4215:
	s_mov_b32 vcc_lo, 0x7f800000
	v_mov_b32_e32 v1, 0x7c
	v_mov_b32_e32 v5, 0x7f
	v_cmp_lt_u32_e32 vcc, vcc_lo, v4
	v_cndmask_b32_e32 v1, v1, v5, vcc
; %bb.4216:
	s_or_b64 exec, exec, s[80:81]
	v_lshrrev_b32_e32 v4, 24, v48
	s_movk_i32 vcc_lo, 0x80
	v_and_or_b32 v1, v4, vcc_lo, v1
	flat_store_byte v[2:3], v1
.LBB169_4217:
	s_or_b64 exec, exec, s[4:5]
	s_or_b64 s[4:5], s[88:89], exec
                                        ; implicit-def: $vgpr48
                                        ; implicit-def: $vgpr2_vgpr3
.LBB169_4218:
	s_or_saveexec_b64 s[86:87], s[86:87]
	s_mov_b64 vcc, s[92:93]
	s_xor_b64 exec, exec, s[86:87]
	s_cbranch_execz .LBB169_4228
; %bb.4219:
	v_mov_b32_e32 v1, 14
	v_cmp_gt_i16_sdwa vcc, v62, v1 src0_sel:BYTE_0 src1_sel:DWORD
	s_mov_b64 s[84:85], s[4:5]
	s_mov_b64 s[82:83], s[92:93]
	s_and_saveexec_b64 s[74:75], vcc
	s_xor_b64 s[80:81], exec, s[74:75]
	s_cbranch_execz .LBB169_4223
; %bb.4220:
	v_mov_b32_e32 v1, 15
	v_cmp_eq_u16_sdwa s[74:75], v62, v1 src0_sel:BYTE_0 src1_sel:DWORD
	s_mov_b64 s[78:79], -1
	s_mov_b64 vcc, s[4:5]
	s_and_saveexec_b64 s[82:83], s[74:75]
	s_cbranch_execz .LBB169_4222
; %bb.4221:
	v_bfe_u32 v1, v48, 16, 1
	s_movk_i32 vcc_lo, 0x7fff
	v_add3_u32 v1, v48, v1, vcc_lo
	v_lshrrev_b32_e32 v1, 16, v1
	v_mov_b32_e32 v4, 0x7fc0
	v_cmp_o_f32_e32 vcc, v48, v48
	v_cndmask_b32_e32 v1, v4, v1, vcc
	flat_store_short v[2:3], v1
	s_xor_b64 s[78:79], exec, -1
	s_or_b64 vcc, s[4:5], exec
.LBB169_4222:
	s_or_b64 exec, exec, s[82:83]
	s_andn2_b64 s[74:75], s[92:93], exec
	s_and_b64 s[76:77], s[78:79], exec
	s_or_b64 s[82:83], s[74:75], s[76:77]
	s_andn2_b64 s[74:75], s[4:5], exec
	s_and_b64 vcc, vcc, exec
	s_or_b64 s[84:85], s[74:75], vcc
                                        ; implicit-def: $vgpr48
                                        ; implicit-def: $vgpr2_vgpr3
.LBB169_4223:
	s_andn2_saveexec_b64 s[80:81], s[80:81]
	s_cbranch_execz .LBB169_4227
; %bb.4224:
	v_mov_b32_e32 v1, 11
	v_cmp_eq_u16_sdwa s[74:75], v62, v1 src0_sel:BYTE_0 src1_sel:DWORD
	s_mov_b64 s[78:79], -1
	s_mov_b64 vcc, s[84:85]
	s_and_saveexec_b64 s[76:77], s[74:75]
	s_cbranch_execz .LBB169_4226
; %bb.4225:
	v_cmp_neq_f32_e32 vcc, 0, v48
	v_cndmask_b32_e64 v1, 0, 1, vcc
	flat_store_byte v[2:3], v1
	s_xor_b64 s[78:79], exec, -1
	s_or_b64 vcc, s[84:85], exec
.LBB169_4226:
	s_or_b64 exec, exec, s[76:77]
	s_andn2_b64 s[74:75], s[82:83], exec
	s_and_b64 s[76:77], s[78:79], exec
	s_or_b64 s[82:83], s[74:75], s[76:77]
	s_andn2_b64 s[74:75], s[84:85], exec
	s_and_b64 vcc, vcc, exec
	s_or_b64 s[84:85], s[74:75], vcc
.LBB169_4227:
	s_or_b64 exec, exec, s[80:81]
	s_andn2_b64 vcc, s[92:93], exec
	s_and_b64 s[74:75], s[82:83], exec
	s_or_b64 vcc, vcc, s[74:75]
	s_andn2_b64 s[4:5], s[4:5], exec
	s_and_b64 s[74:75], s[84:85], exec
	s_or_b64 s[4:5], s[4:5], s[74:75]
.LBB169_4228:
	s_or_b64 exec, exec, s[86:87]
	s_andn2_b64 s[74:75], s[92:93], exec
	s_and_b64 vcc, vcc, exec
	s_or_b64 s[92:93], s[74:75], vcc
	s_andn2_b64 vcc, s[88:89], exec
	s_and_b64 s[4:5], s[4:5], exec
	s_or_b64 s[88:89], vcc, s[4:5]
.LBB169_4229:
	s_or_b64 exec, exec, s[90:91]
	v_readlane_b32 s4, v77, 30
	v_readlane_b32 s5, v77, 31
	s_andn2_b64 s[4:5], s[4:5], exec
	s_and_b64 vcc, s[92:93], exec
	s_or_b64 s[90:91], s[4:5], vcc
	s_and_b64 s[4:5], s[88:89], exec
                                        ; implicit-def: $vgpr48
                                        ; implicit-def: $vgpr2_vgpr3
.LBB169_4230:
	v_readlane_b32 vcc_lo, v77, 42
	v_readlane_b32 vcc_hi, v77, 43
	s_andn2_saveexec_b64 s[92:93], vcc
	s_cbranch_execz .LBB169_4272
; %bb.4231:
	v_mov_b32_e32 v1, 4
	v_cmp_gt_i16_sdwa vcc, v62, v1 src0_sel:BYTE_0 src1_sel:DWORD
	s_and_saveexec_b64 s[74:75], vcc
	s_xor_b64 vcc, exec, s[74:75]
	s_cbranch_execz .LBB169_4253
; %bb.4232:
	v_mov_b32_e32 v1, 7
	v_cmp_gt_i16_sdwa s[74:75], v62, v1 src0_sel:BYTE_0 src1_sel:DWORD
	s_and_saveexec_b64 s[76:77], s[74:75]
	s_xor_b64 s[84:85], exec, s[76:77]
	s_cbranch_execz .LBB169_4242
; %bb.4233:
	v_mov_b32_e32 v1, 8
	v_cmp_gt_i16_sdwa s[74:75], v62, v1 src0_sel:BYTE_0 src1_sel:DWORD
	s_and_saveexec_b64 s[76:77], s[74:75]
	s_xor_b64 s[82:83], exec, s[76:77]
	;; [unrolled: 6-line block ×3, first 2 shown]
	s_cbranch_execz .LBB169_4236
; %bb.4235:
	v_mov_b32_e32 v6, 0
	v_cvt_f64_f32_e32 v[4:5], v48
	v_mov_b32_e32 v7, v6
	flat_store_dwordx4 v[2:3], v[4:7]
                                        ; implicit-def: $vgpr48
                                        ; implicit-def: $vgpr2_vgpr3
.LBB169_4236:
	s_andn2_saveexec_b64 s[76:77], s[78:79]
	s_cbranch_execz .LBB169_4238
; %bb.4237:
	v_mov_b32_e32 v49, 0
	flat_store_dwordx2 v[2:3], v[48:49]
.LBB169_4238:
	s_or_b64 exec, exec, s[76:77]
                                        ; implicit-def: $vgpr48
                                        ; implicit-def: $vgpr2_vgpr3
.LBB169_4239:
	s_andn2_saveexec_b64 s[76:77], s[82:83]
	s_cbranch_execz .LBB169_4241
; %bb.4240:
	v_cvt_f16_f32_e32 v1, v48
	flat_store_dword v[2:3], v1
.LBB169_4241:
	s_or_b64 exec, exec, s[76:77]
                                        ; implicit-def: $vgpr48
                                        ; implicit-def: $vgpr2_vgpr3
.LBB169_4242:
	s_andn2_saveexec_b64 s[82:83], s[84:85]
	s_cbranch_execz .LBB169_4252
; %bb.4243:
	v_mov_b32_e32 v1, 5
	v_cmp_gt_i16_sdwa s[74:75], v62, v1 src0_sel:BYTE_0 src1_sel:DWORD
	s_and_saveexec_b64 s[76:77], s[74:75]
	s_xor_b64 s[80:81], exec, s[76:77]
	s_cbranch_execz .LBB169_4249
; %bb.4244:
	v_mov_b32_e32 v1, 6
	v_cmp_gt_i16_sdwa s[74:75], v62, v1 src0_sel:BYTE_0 src1_sel:DWORD
	s_and_saveexec_b64 s[76:77], s[74:75]
	s_xor_b64 s[76:77], exec, s[76:77]
	s_cbranch_execz .LBB169_4246
; %bb.4245:
	v_cvt_f64_f32_e32 v[4:5], v48
	flat_store_dwordx2 v[2:3], v[4:5]
                                        ; implicit-def: $vgpr2_vgpr3
                                        ; implicit-def: $vgpr48
.LBB169_4246:
	s_andn2_saveexec_b64 s[76:77], s[76:77]
	s_cbranch_execz .LBB169_4248
; %bb.4247:
	flat_store_dword v[2:3], v48
.LBB169_4248:
	s_or_b64 exec, exec, s[76:77]
                                        ; implicit-def: $vgpr48
                                        ; implicit-def: $vgpr2_vgpr3
.LBB169_4249:
	s_andn2_saveexec_b64 s[76:77], s[80:81]
	s_cbranch_execz .LBB169_4251
; %bb.4250:
	v_cvt_f16_f32_e32 v1, v48
	flat_store_short v[2:3], v1
.LBB169_4251:
	s_or_b64 exec, exec, s[76:77]
.LBB169_4252:
	s_or_b64 exec, exec, s[82:83]
                                        ; implicit-def: $vgpr48
                                        ; implicit-def: $vgpr2_vgpr3
.LBB169_4253:
	s_andn2_saveexec_b64 s[88:89], vcc
	s_cbranch_execz .LBB169_4271
; %bb.4254:
	v_mov_b32_e32 v1, 1
	v_cmp_gt_i16_sdwa vcc, v62, v1 src0_sel:BYTE_0 src1_sel:DWORD
	s_and_saveexec_b64 s[74:75], vcc
	s_xor_b64 s[84:85], exec, s[74:75]
	s_cbranch_execz .LBB169_4264
; %bb.4255:
	v_mov_b32_e32 v1, 2
	v_cmp_gt_i16_sdwa vcc, v62, v1 src0_sel:BYTE_0 src1_sel:DWORD
	s_and_saveexec_b64 s[74:75], vcc
	s_xor_b64 s[82:83], exec, s[74:75]
	s_cbranch_execz .LBB169_4261
; %bb.4256:
	v_mov_b32_e32 v1, 3
	v_cmp_gt_i16_sdwa vcc, v62, v1 src0_sel:BYTE_0 src1_sel:DWORD
	s_and_saveexec_b64 s[74:75], vcc
	s_xor_b64 s[80:81], exec, s[74:75]
	s_cbranch_execz .LBB169_4258
; %bb.4257:
	v_trunc_f32_e32 v1, v48
	s_mov_b32 s74, 0x2f800000
	v_mul_f32_e64 v4, |v1|, s74
	v_floor_f32_e32 v4, v4
	s_mov_b32 s74, 0xcf800000
	v_cvt_u32_f32_e32 v5, v4
	v_fma_f32 v4, v4, s74, |v1|
	v_cvt_u32_f32_e32 v4, v4
	v_ashrrev_i32_e32 v1, 31, v1
	v_xor_b32_e32 v5, v5, v1
                                        ; implicit-def: $vgpr48
	v_xor_b32_e32 v4, v4, v1
	v_sub_co_u32_e32 v4, vcc, v4, v1
	v_subb_co_u32_e32 v5, vcc, v5, v1, vcc
	flat_store_dwordx2 v[2:3], v[4:5]
                                        ; implicit-def: $vgpr2_vgpr3
.LBB169_4258:
	s_andn2_saveexec_b64 vcc, s[80:81]
	s_cbranch_execz .LBB169_4260
; %bb.4259:
	v_cvt_i32_f32_e32 v1, v48
	flat_store_dword v[2:3], v1
.LBB169_4260:
	s_or_b64 exec, exec, vcc
                                        ; implicit-def: $vgpr48
                                        ; implicit-def: $vgpr2_vgpr3
.LBB169_4261:
	s_andn2_saveexec_b64 vcc, s[82:83]
	s_cbranch_execz .LBB169_4263
; %bb.4262:
	v_cvt_i32_f32_e32 v1, v48
	flat_store_short v[2:3], v1
.LBB169_4263:
	s_or_b64 exec, exec, vcc
                                        ; implicit-def: $vgpr48
                                        ; implicit-def: $vgpr2_vgpr3
.LBB169_4264:
	s_andn2_saveexec_b64 vcc, s[84:85]
	s_cbranch_execz .LBB169_4270
; %bb.4265:
	v_mov_b32_e32 v1, 0
	v_cmp_gt_i16_sdwa s[74:75], v62, v1 src0_sel:BYTE_0 src1_sel:DWORD
	s_and_saveexec_b64 s[76:77], s[74:75]
	s_xor_b64 s[76:77], exec, s[76:77]
	s_cbranch_execz .LBB169_4267
; %bb.4266:
	v_cvt_i32_f32_e32 v1, v48
                                        ; implicit-def: $vgpr48
	flat_store_byte v[2:3], v1
                                        ; implicit-def: $vgpr2_vgpr3
.LBB169_4267:
	s_andn2_saveexec_b64 s[80:81], s[76:77]
	s_cbranch_execz .LBB169_4269
; %bb.4268:
	v_trunc_f32_e32 v1, v48
	s_mov_b32 s74, 0x2f800000
	v_mul_f32_e64 v4, |v1|, s74
	v_floor_f32_e32 v4, v4
	s_mov_b32 s74, 0xcf800000
	v_fma_f32 v4, v4, s74, |v1|
	v_cvt_u32_f32_e32 v4, v4
	v_ashrrev_i32_e32 v1, 31, v1
	v_xor_b32_e32 v4, v4, v1
	v_sub_u32_e32 v1, v4, v1
	flat_store_byte v[2:3], v1
.LBB169_4269:
	s_or_b64 exec, exec, s[80:81]
.LBB169_4270:
	s_or_b64 exec, exec, vcc
.LBB169_4271:
	s_or_b64 exec, exec, s[88:89]
	s_or_b64 s[4:5], s[4:5], exec
.LBB169_4272:
	s_or_b64 exec, exec, s[92:93]
	s_mov_b64 vcc, 0
	s_and_saveexec_b64 s[76:77], s[4:5]
; %bb.4273:
	s_mov_b64 vcc, exec
	v_add_u32_e32 v31, 0x200, v31
; %bb.4274:
	s_or_b64 exec, exec, s[76:77]
	v_readlane_b32 s4, v77, 30
	v_readlane_b32 s5, v77, 31
	s_andn2_b64 s[4:5], s[4:5], exec
	s_and_b64 s[74:75], s[90:91], exec
	s_or_b64 s[4:5], s[4:5], s[74:75]
	v_writelane_b32 v77, s4, 38
	v_writelane_b32 v77, s5, 39
	s_orn2_b64 s[82:83], vcc, exec
.LBB169_4275:
	s_or_b64 exec, exec, s[96:97]
	s_mov_b64 s[4:5], 0
	s_mov_b64 vcc, 0
	s_mov_b64 s[80:81], 0
                                        ; implicit-def: $vgpr4
                                        ; implicit-def: $vgpr2_vgpr3
	s_mov_b64 s[74:75], exec
	v_writelane_b32 v77, s74, 40
	v_writelane_b32 v77, s75, 41
	s_and_b64 s[74:75], s[74:75], s[82:83]
	s_mov_b64 exec, s[74:75]
	s_cbranch_execz .LBB169_4757
; %bb.4276:
	v_readlane_b32 s4, v77, 38
	v_readlane_b32 s5, v77, 39
	v_cmp_lt_i32_e32 vcc, v31, v72
	s_mov_b64 s[82:83], -1
	v_writelane_b32 v77, s4, 46
	v_writelane_b32 v77, s5, 47
	s_and_saveexec_b64 s[96:97], vcc
	s_cbranch_execz .LBB169_4404
; %bb.4277:
	v_readlane_b32 s4, v78, 1
	v_add_u32_e32 v1, s4, v31
	v_mul_lo_u32 v1, v1, v63
	v_add_co_u32_e32 v2, vcc, v30, v1
	v_addc_co_u32_e32 v3, vcc, 0, v73, vcc
	v_mov_b32_e32 v1, 10
	v_readlane_b32 s90, v77, 38
	v_cmp_gt_i16_sdwa vcc, v62, v1 src0_sel:BYTE_0 src1_sel:DWORD
	s_mov_b64 s[4:5], 0
	v_readlane_b32 s91, v77, 39
	s_and_saveexec_b64 s[74:75], vcc
	s_xor_b64 s[74:75], exec, s[74:75]
	v_writelane_b32 v77, s74, 50
	v_writelane_b32 v77, s75, 51
	s_cbranch_execz .LBB169_4359
; %bb.4278:
	v_mov_b32_e32 v1, 25
	v_readlane_b32 s92, v77, 38
	v_cmp_gt_i16_sdwa s[4:5], v62, v1 src0_sel:BYTE_0 src1_sel:DWORD
	s_mov_b64 s[88:89], 0
	v_readlane_b32 s93, v77, 39
	s_and_saveexec_b64 vcc, s[4:5]
	s_xor_b64 s[90:91], exec, vcc
	s_cbranch_execz .LBB169_4314
; %bb.4279:
	v_mov_b32_e32 v1, 28
	v_readlane_b32 s92, v77, 38
	v_cmp_gt_i16_sdwa vcc, v62, v1 src0_sel:BYTE_0 src1_sel:DWORD
	s_mov_b64 s[4:5], 0
	v_readlane_b32 s93, v77, 39
	s_and_saveexec_b64 s[74:75], vcc
	s_xor_b64 s[88:89], exec, s[74:75]
	s_cbranch_execz .LBB169_4297
; %bb.4280:
	v_mov_b32_e32 v1, 43
	v_readlane_b32 vcc_lo, v77, 38
	v_cmp_gt_i16_sdwa s[74:75], v62, v1 src0_sel:BYTE_0 src1_sel:DWORD
	v_readlane_b32 vcc_hi, v77, 39
	s_and_saveexec_b64 s[76:77], s[74:75]
	s_xor_b64 s[76:77], exec, s[76:77]
	s_cbranch_execz .LBB169_4292
; %bb.4281:
	v_mov_b32_e32 v1, 45
	v_readlane_b32 s84, v77, 38
	v_cmp_gt_i16_sdwa s[4:5], v62, v1 src0_sel:BYTE_0 src1_sel:DWORD
	s_mov_b64 s[86:87], 0
	v_readlane_b32 s85, v77, 39
	s_and_saveexec_b64 vcc, s[4:5]
	s_xor_b64 s[4:5], exec, vcc
	s_cbranch_execz .LBB169_4285
; %bb.4282:
	v_mov_b32_e32 v1, 46
	v_cmp_eq_u16_sdwa s[74:75], v62, v1 src0_sel:BYTE_0 src1_sel:DWORD
	s_mov_b64 vcc, -1
	s_and_saveexec_b64 s[82:83], s[74:75]
	s_cbranch_execz .LBB169_4284
; %bb.4283:
	v_bfe_u32 v1, v38, 16, 1
	s_movk_i32 vcc_lo, 0x7fff
	v_add3_u32 v1, v38, v1, vcc_lo
	v_lshrrev_b32_e32 v1, 16, v1
	v_mov_b32_e32 v4, 0x7fc0
	v_cmp_o_f32_e32 vcc, v38, v38
	v_cndmask_b32_e32 v1, v4, v1, vcc
	s_mov_b64 s[80:81], exec
	flat_store_dword v[2:3], v1
	s_xor_b64 vcc, exec, -1
.LBB169_4284:
	s_or_b64 exec, exec, s[82:83]
	v_readlane_b32 s74, v77, 38
	v_readlane_b32 s75, v77, 39
	s_andn2_b64 s[74:75], s[74:75], exec
	s_and_b64 vcc, vcc, exec
	s_or_b64 s[84:85], s[74:75], vcc
	s_and_b64 s[86:87], s[80:81], exec
                                        ; implicit-def: $vgpr2_vgpr3
                                        ; implicit-def: $vgpr38
.LBB169_4285:
	s_andn2_saveexec_b64 s[92:93], s[4:5]
	s_cbranch_execz .LBB169_4291
; %bb.4286:
	v_mov_b32_e32 v1, 44
	v_cmp_eq_u16_sdwa s[74:75], v62, v1 src0_sel:BYTE_0 src1_sel:DWORD
	s_mov_b64 vcc, -1
	s_mov_b64 s[4:5], s[86:87]
	s_and_saveexec_b64 s[80:81], s[74:75]
	s_cbranch_execz .LBB169_4290
; %bb.4287:
	v_bfe_u32 v1, v38, 23, 8
	s_movk_i32 s4, 0xff
	v_cmp_ne_u32_e32 vcc, s4, v1
	v_mov_b32_e32 v4, 0xff
	s_and_saveexec_b64 s[82:83], vcc
; %bb.4288:
	s_mov_b32 s4, 0x3fffff
	v_and_b32_e32 v5, 0x400000, v38
	v_and_or_b32 v1, v38, s4, v1
	v_cmp_ne_u32_e32 vcc, 0, v5
	v_cmp_ne_u32_e64 s[4:5], 0, v1
	s_and_b64 s[4:5], vcc, s[4:5]
	v_lshrrev_b32_e32 v4, 23, v38
	v_cndmask_b32_e64 v1, 0, 1, s[4:5]
	v_add_u32_e32 v4, v4, v1
; %bb.4289:
	s_or_b64 exec, exec, s[82:83]
	s_xor_b64 vcc, exec, -1
	s_or_b64 s[4:5], s[86:87], exec
	flat_store_byte v[2:3], v4
.LBB169_4290:
	s_or_b64 exec, exec, s[80:81]
	s_andn2_b64 s[74:75], s[84:85], exec
	s_and_b64 vcc, vcc, exec
	s_or_b64 s[84:85], s[74:75], vcc
	s_andn2_b64 vcc, s[86:87], exec
	s_and_b64 s[4:5], s[4:5], exec
	s_or_b64 s[86:87], vcc, s[4:5]
.LBB169_4291:
	s_or_b64 exec, exec, s[92:93]
	v_readlane_b32 s4, v77, 38
	v_readlane_b32 s5, v77, 39
	s_andn2_b64 s[4:5], s[4:5], exec
	s_and_b64 vcc, s[84:85], exec
	s_or_b64 vcc, s[4:5], vcc
	s_and_b64 s[4:5], s[86:87], exec
                                        ; implicit-def: $vgpr38
                                        ; implicit-def: $vgpr2_vgpr3
.LBB169_4292:
	s_andn2_saveexec_b64 s[82:83], s[76:77]
	s_cbranch_execz .LBB169_4296
; %bb.4293:
	v_mov_b32_e32 v1, 29
	v_cmp_eq_u16_sdwa s[74:75], v62, v1 src0_sel:BYTE_0 src1_sel:DWORD
	s_mov_b64 s[86:87], -1
	s_mov_b64 s[84:85], s[4:5]
	s_and_saveexec_b64 s[80:81], s[74:75]
	s_cbranch_execz .LBB169_4295
; %bb.4294:
	v_trunc_f32_e32 v1, v38
	v_mul_f32_e32 v4, 0x2f800000, v1
	v_floor_f32_e32 v4, v4
	v_fmac_f32_e32 v1, 0xcf800000, v4
	v_cvt_u32_f32_e32 v5, v4
	v_cvt_u32_f32_e32 v4, v1
	s_xor_b64 s[86:87], exec, -1
	s_or_b64 s[84:85], s[4:5], exec
	flat_store_dwordx2 v[2:3], v[4:5]
.LBB169_4295:
	s_or_b64 exec, exec, s[80:81]
	s_andn2_b64 vcc, vcc, exec
	s_and_b64 s[74:75], s[86:87], exec
	s_or_b64 vcc, vcc, s[74:75]
	s_andn2_b64 s[4:5], s[4:5], exec
	s_and_b64 s[74:75], s[84:85], exec
	s_or_b64 s[4:5], s[4:5], s[74:75]
.LBB169_4296:
	s_or_b64 exec, exec, s[82:83]
	v_readlane_b32 s74, v77, 38
	v_readlane_b32 s75, v77, 39
	s_andn2_b64 s[74:75], s[74:75], exec
	s_and_b64 vcc, vcc, exec
	s_or_b64 s[92:93], s[74:75], vcc
	s_and_b64 s[4:5], s[4:5], exec
                                        ; implicit-def: $vgpr2_vgpr3
                                        ; implicit-def: $vgpr38
.LBB169_4297:
	s_andn2_saveexec_b64 s[88:89], s[88:89]
	s_cbranch_execz .LBB169_4313
; %bb.4298:
	v_mov_b32_e32 v1, 26
	v_cmp_gt_i16_sdwa vcc, v62, v1 src0_sel:BYTE_0 src1_sel:DWORD
	s_and_saveexec_b64 s[74:75], vcc
	s_xor_b64 vcc, exec, s[74:75]
	s_cbranch_execz .LBB169_4304
; %bb.4299:
	v_cvt_u32_f32_e32 v1, v38
	v_mov_b32_e32 v4, 27
	v_cmp_gt_i16_sdwa s[74:75], v62, v4 src0_sel:BYTE_0 src1_sel:DWORD
	s_and_saveexec_b64 s[76:77], s[74:75]
	s_xor_b64 s[76:77], exec, s[76:77]
	s_cbranch_execz .LBB169_4301
; %bb.4300:
	flat_store_dword v[2:3], v1
                                        ; implicit-def: $vgpr2_vgpr3
                                        ; implicit-def: $vgpr1
.LBB169_4301:
	s_andn2_saveexec_b64 s[76:77], s[76:77]
	s_cbranch_execz .LBB169_4303
; %bb.4302:
	flat_store_short v[2:3], v1
.LBB169_4303:
	s_or_b64 exec, exec, s[76:77]
                                        ; implicit-def: $vgpr2_vgpr3
                                        ; implicit-def: $vgpr38
.LBB169_4304:
	s_andn2_saveexec_b64 s[86:87], vcc
	s_cbranch_execz .LBB169_4312
; %bb.4305:
	v_and_b32_e32 v1, 0x7fffffff, v38
	s_mov_b32 vcc_lo, 0x43800000
	v_cmp_gt_u32_e32 vcc, vcc_lo, v1
	v_mov_b32_e32 v4, 0x80
	s_and_saveexec_b64 s[84:85], vcc
	s_cbranch_execz .LBB169_4311
; %bb.4306:
	s_mov_b32 vcc_lo, 0x3bffffff
	v_cmp_lt_u32_e32 vcc, vcc_lo, v1
	s_mov_b64 s[82:83], 0
                                        ; implicit-def: $vgpr1
	s_and_saveexec_b64 s[74:75], vcc
	s_xor_b64 vcc, exec, s[74:75]
	s_cbranch_execnz .LBB169_7989
; %bb.4307:
	s_or_saveexec_b64 s[80:81], vcc
                                        ; implicit-def: $sgpr76
	s_xor_b64 exec, exec, s[80:81]
	s_cbranch_execnz .LBB169_7990
.LBB169_4308:
	s_or_b64 exec, exec, s[80:81]
	v_mov_b32_e32 v4, s76
	s_and_saveexec_b64 vcc, s[82:83]
.LBB169_4309:
	v_lshrrev_b32_e32 v4, 24, v38
	s_movk_i32 s74, 0x80
	v_and_or_b32 v4, v4, s74, v1
.LBB169_4310:
	s_or_b64 exec, exec, vcc
.LBB169_4311:
	s_or_b64 exec, exec, s[84:85]
	flat_store_byte v[2:3], v4
.LBB169_4312:
	s_or_b64 exec, exec, s[86:87]
	s_or_b64 s[4:5], s[4:5], exec
.LBB169_4313:
	s_or_b64 exec, exec, s[88:89]
	v_readlane_b32 vcc_lo, v77, 38
	v_readlane_b32 vcc_hi, v77, 39
	s_andn2_b64 vcc, vcc, exec
	s_and_b64 s[74:75], s[92:93], exec
	s_or_b64 s[92:93], vcc, s[74:75]
	s_and_b64 s[88:89], s[4:5], exec
                                        ; implicit-def: $vgpr38
                                        ; implicit-def: $vgpr2_vgpr3
.LBB169_4314:
	s_andn2_saveexec_b64 s[90:91], s[90:91]
	s_cbranch_execz .LBB169_4358
; %bb.4315:
	v_mov_b32_e32 v1, 22
	v_cmp_gt_i16_sdwa vcc, v62, v1 src0_sel:BYTE_0 src1_sel:DWORD
	s_mov_b64 s[4:5], s[88:89]
	s_and_saveexec_b64 s[74:75], vcc
	s_xor_b64 s[86:87], exec, s[74:75]
	s_cbranch_execz .LBB169_4347
; %bb.4316:
	v_mov_b32_e32 v1, 23
	v_cmp_gt_i16_sdwa s[4:5], v62, v1 src0_sel:BYTE_0 src1_sel:DWORD
	s_and_saveexec_b64 vcc, s[4:5]
	s_xor_b64 vcc, exec, vcc
	v_writelane_b32 v77, vcc_lo, 52
	v_writelane_b32 v77, vcc_hi, 53
	s_cbranch_execz .LBB169_4336
; %bb.4317:
	v_mov_b32_e32 v1, 24
	v_cmp_gt_i16_sdwa s[4:5], v62, v1 src0_sel:BYTE_0 src1_sel:DWORD
	s_and_saveexec_b64 vcc, s[4:5]
	s_xor_b64 s[4:5], exec, vcc
	s_cbranch_execz .LBB169_4325
; %bb.4318:
	v_and_b32_e32 v1, 0x7fffffff, v38
	s_mov_b32 vcc_lo, 0x47800000
	v_cmp_gt_u32_e32 vcc, vcc_lo, v1
	v_mov_b32_e32 v4, 0x80
	s_and_saveexec_b64 s[84:85], vcc
	s_cbranch_execz .LBB169_4324
; %bb.4319:
	s_mov_b32 vcc_lo, 0x37ffffff
	v_cmp_lt_u32_e32 vcc, vcc_lo, v1
	s_mov_b64 s[82:83], 0
                                        ; implicit-def: $vgpr1
	s_and_saveexec_b64 s[74:75], vcc
	s_xor_b64 vcc, exec, s[74:75]
	s_cbranch_execnz .LBB169_7991
; %bb.4320:
	s_or_saveexec_b64 s[80:81], vcc
                                        ; implicit-def: $sgpr76
	s_xor_b64 exec, exec, s[80:81]
	s_cbranch_execnz .LBB169_7992
.LBB169_4321:
	s_or_b64 exec, exec, s[80:81]
	v_mov_b32_e32 v4, s76
	s_and_saveexec_b64 vcc, s[82:83]
.LBB169_4322:
	v_lshrrev_b32_e32 v4, 24, v38
	s_movk_i32 s74, 0x80
	v_and_or_b32 v4, v4, s74, v1
.LBB169_4323:
	s_or_b64 exec, exec, vcc
.LBB169_4324:
	s_or_b64 exec, exec, s[84:85]
	flat_store_byte v[2:3], v4
                                        ; implicit-def: $vgpr38
                                        ; implicit-def: $vgpr2_vgpr3
.LBB169_4325:
	s_andn2_saveexec_b64 s[4:5], s[4:5]
	s_cbranch_execz .LBB169_4335
; %bb.4326:
	v_and_b32_e32 v4, 0x7fffffff, v38
	s_mov_b32 vcc_lo, 0x43f00000
	v_cmp_gt_u32_e32 vcc, vcc_lo, v4
                                        ; implicit-def: $vgpr1
	s_and_saveexec_b64 s[74:75], vcc
	s_xor_b64 s[80:81], exec, s[74:75]
	s_cbranch_execz .LBB169_4332
; %bb.4327:
	s_mov_b32 vcc_lo, 0x3c7fffff
	v_cmp_lt_u32_e32 vcc, vcc_lo, v4
                                        ; implicit-def: $vgpr1
	s_and_saveexec_b64 s[74:75], vcc
	s_xor_b64 s[78:79], exec, s[74:75]
; %bb.4328:
	v_bfe_u32 v1, v38, 20, 1
	s_mov_b32 vcc_lo, 0x407ffff
	v_add3_u32 v1, v38, v1, vcc_lo
	v_lshrrev_b32_e32 v4, 20, v1
	v_and_b32_e32 v1, 0xff00000, v1
	s_mov_b32 vcc_lo, 0x7f00000
	v_mov_b32_e32 v5, 0x7e
	v_cmp_ne_u32_e32 vcc, vcc_lo, v1
	v_cndmask_b32_e32 v1, v5, v4, vcc
; %bb.4329:
	s_andn2_saveexec_b64 vcc, s[78:79]
; %bb.4330:
	s_mov_b32 s74, 0x46800000
	v_add_f32_e64 v1, |v38|, s74
; %bb.4331:
	s_or_b64 exec, exec, vcc
                                        ; implicit-def: $vgpr4
.LBB169_4332:
	s_andn2_saveexec_b64 s[80:81], s[80:81]
; %bb.4333:
	s_mov_b32 vcc_lo, 0x7f800000
	v_mov_b32_e32 v1, 0x7e
	v_mov_b32_e32 v5, 0x7f
	v_cmp_lt_u32_e32 vcc, vcc_lo, v4
	v_cndmask_b32_e32 v1, v1, v5, vcc
; %bb.4334:
	s_or_b64 exec, exec, s[80:81]
	v_lshrrev_b32_e32 v4, 24, v38
	s_movk_i32 vcc_lo, 0x80
	v_and_or_b32 v1, v4, vcc_lo, v1
	flat_store_byte v[2:3], v1
.LBB169_4335:
	s_or_b64 exec, exec, s[4:5]
                                        ; implicit-def: $vgpr38
                                        ; implicit-def: $vgpr2_vgpr3
.LBB169_4336:
	v_readlane_b32 s4, v77, 52
	v_readlane_b32 s5, v77, 53
	s_andn2_saveexec_b64 s[4:5], s[4:5]
	s_cbranch_execz .LBB169_4346
; %bb.4337:
	v_and_b32_e32 v4, 0x7fffffff, v38
	s_mov_b32 vcc_lo, 0x47800000
	v_cmp_gt_u32_e32 vcc, vcc_lo, v4
                                        ; implicit-def: $vgpr1
	s_and_saveexec_b64 s[74:75], vcc
	s_xor_b64 s[80:81], exec, s[74:75]
	s_cbranch_execz .LBB169_4343
; %bb.4338:
	s_mov_b32 vcc_lo, 0x387fffff
	v_cmp_lt_u32_e32 vcc, vcc_lo, v4
                                        ; implicit-def: $vgpr1
	s_and_saveexec_b64 s[74:75], vcc
	s_xor_b64 vcc, exec, s[74:75]
; %bb.4339:
	v_bfe_u32 v1, v38, 21, 1
	s_mov_b32 s74, 0x80fffff
	v_add3_u32 v1, v38, v1, s74
	v_lshrrev_b32_e32 v1, 21, v1
; %bb.4340:
	s_andn2_saveexec_b64 vcc, vcc
; %bb.4341:
	s_mov_b32 s74, 0x43000000
	v_add_f32_e64 v1, |v38|, s74
; %bb.4342:
	s_or_b64 exec, exec, vcc
                                        ; implicit-def: $vgpr4
.LBB169_4343:
	s_andn2_saveexec_b64 s[80:81], s[80:81]
; %bb.4344:
	s_mov_b32 vcc_lo, 0x7f800000
	v_mov_b32_e32 v1, 0x7c
	v_mov_b32_e32 v5, 0x7f
	v_cmp_lt_u32_e32 vcc, vcc_lo, v4
	v_cndmask_b32_e32 v1, v1, v5, vcc
; %bb.4345:
	s_or_b64 exec, exec, s[80:81]
	v_lshrrev_b32_e32 v4, 24, v38
	s_movk_i32 vcc_lo, 0x80
	v_and_or_b32 v1, v4, vcc_lo, v1
	flat_store_byte v[2:3], v1
.LBB169_4346:
	s_or_b64 exec, exec, s[4:5]
	s_or_b64 s[4:5], s[88:89], exec
                                        ; implicit-def: $vgpr38
                                        ; implicit-def: $vgpr2_vgpr3
.LBB169_4347:
	s_or_saveexec_b64 s[86:87], s[86:87]
	s_mov_b64 vcc, s[92:93]
	s_xor_b64 exec, exec, s[86:87]
	s_cbranch_execz .LBB169_4357
; %bb.4348:
	v_mov_b32_e32 v1, 14
	v_cmp_gt_i16_sdwa vcc, v62, v1 src0_sel:BYTE_0 src1_sel:DWORD
	s_mov_b64 s[84:85], s[4:5]
	s_mov_b64 s[82:83], s[92:93]
	s_and_saveexec_b64 s[74:75], vcc
	s_xor_b64 s[80:81], exec, s[74:75]
	s_cbranch_execz .LBB169_4352
; %bb.4349:
	v_mov_b32_e32 v1, 15
	v_cmp_eq_u16_sdwa s[74:75], v62, v1 src0_sel:BYTE_0 src1_sel:DWORD
	s_mov_b64 s[78:79], -1
	s_mov_b64 vcc, s[4:5]
	s_and_saveexec_b64 s[82:83], s[74:75]
	s_cbranch_execz .LBB169_4351
; %bb.4350:
	v_bfe_u32 v1, v38, 16, 1
	s_movk_i32 vcc_lo, 0x7fff
	v_add3_u32 v1, v38, v1, vcc_lo
	v_lshrrev_b32_e32 v1, 16, v1
	v_mov_b32_e32 v4, 0x7fc0
	v_cmp_o_f32_e32 vcc, v38, v38
	v_cndmask_b32_e32 v1, v4, v1, vcc
	flat_store_short v[2:3], v1
	s_xor_b64 s[78:79], exec, -1
	s_or_b64 vcc, s[4:5], exec
.LBB169_4351:
	s_or_b64 exec, exec, s[82:83]
	s_andn2_b64 s[74:75], s[92:93], exec
	s_and_b64 s[76:77], s[78:79], exec
	s_or_b64 s[82:83], s[74:75], s[76:77]
	s_andn2_b64 s[74:75], s[4:5], exec
	s_and_b64 vcc, vcc, exec
	s_or_b64 s[84:85], s[74:75], vcc
                                        ; implicit-def: $vgpr38
                                        ; implicit-def: $vgpr2_vgpr3
.LBB169_4352:
	s_andn2_saveexec_b64 s[80:81], s[80:81]
	s_cbranch_execz .LBB169_4356
; %bb.4353:
	v_mov_b32_e32 v1, 11
	v_cmp_eq_u16_sdwa s[74:75], v62, v1 src0_sel:BYTE_0 src1_sel:DWORD
	s_mov_b64 s[78:79], -1
	s_mov_b64 vcc, s[84:85]
	s_and_saveexec_b64 s[76:77], s[74:75]
	s_cbranch_execz .LBB169_4355
; %bb.4354:
	v_cmp_neq_f32_e32 vcc, 0, v38
	v_cndmask_b32_e64 v1, 0, 1, vcc
	flat_store_byte v[2:3], v1
	s_xor_b64 s[78:79], exec, -1
	s_or_b64 vcc, s[84:85], exec
.LBB169_4355:
	s_or_b64 exec, exec, s[76:77]
	s_andn2_b64 s[74:75], s[82:83], exec
	s_and_b64 s[76:77], s[78:79], exec
	s_or_b64 s[82:83], s[74:75], s[76:77]
	s_andn2_b64 s[74:75], s[84:85], exec
	s_and_b64 vcc, vcc, exec
	s_or_b64 s[84:85], s[74:75], vcc
.LBB169_4356:
	s_or_b64 exec, exec, s[80:81]
	s_andn2_b64 vcc, s[92:93], exec
	s_and_b64 s[74:75], s[82:83], exec
	s_or_b64 vcc, vcc, s[74:75]
	s_andn2_b64 s[4:5], s[4:5], exec
	s_and_b64 s[74:75], s[84:85], exec
	s_or_b64 s[4:5], s[4:5], s[74:75]
.LBB169_4357:
	s_or_b64 exec, exec, s[86:87]
	s_andn2_b64 s[74:75], s[92:93], exec
	s_and_b64 vcc, vcc, exec
	s_or_b64 s[92:93], s[74:75], vcc
	s_andn2_b64 vcc, s[88:89], exec
	s_and_b64 s[4:5], s[4:5], exec
	s_or_b64 s[88:89], vcc, s[4:5]
.LBB169_4358:
	s_or_b64 exec, exec, s[90:91]
	v_readlane_b32 s4, v77, 38
	v_readlane_b32 s5, v77, 39
	s_andn2_b64 s[4:5], s[4:5], exec
	s_and_b64 vcc, s[92:93], exec
	s_or_b64 s[90:91], s[4:5], vcc
	s_and_b64 s[4:5], s[88:89], exec
                                        ; implicit-def: $vgpr38
                                        ; implicit-def: $vgpr2_vgpr3
.LBB169_4359:
	v_readlane_b32 vcc_lo, v77, 50
	v_readlane_b32 vcc_hi, v77, 51
	s_andn2_saveexec_b64 s[92:93], vcc
	s_cbranch_execz .LBB169_4401
; %bb.4360:
	v_mov_b32_e32 v1, 4
	v_cmp_gt_i16_sdwa vcc, v62, v1 src0_sel:BYTE_0 src1_sel:DWORD
	s_and_saveexec_b64 s[74:75], vcc
	s_xor_b64 vcc, exec, s[74:75]
	s_cbranch_execz .LBB169_4382
; %bb.4361:
	v_mov_b32_e32 v1, 7
	v_cmp_gt_i16_sdwa s[74:75], v62, v1 src0_sel:BYTE_0 src1_sel:DWORD
	s_and_saveexec_b64 s[76:77], s[74:75]
	s_xor_b64 s[84:85], exec, s[76:77]
	s_cbranch_execz .LBB169_4371
; %bb.4362:
	v_mov_b32_e32 v1, 8
	v_cmp_gt_i16_sdwa s[74:75], v62, v1 src0_sel:BYTE_0 src1_sel:DWORD
	s_and_saveexec_b64 s[76:77], s[74:75]
	s_xor_b64 s[82:83], exec, s[76:77]
	;; [unrolled: 6-line block ×3, first 2 shown]
	s_cbranch_execz .LBB169_4365
; %bb.4364:
	v_mov_b32_e32 v6, 0
	v_cvt_f64_f32_e32 v[4:5], v38
	v_mov_b32_e32 v7, v6
	flat_store_dwordx4 v[2:3], v[4:7]
                                        ; implicit-def: $vgpr38
                                        ; implicit-def: $vgpr2_vgpr3
.LBB169_4365:
	s_andn2_saveexec_b64 s[76:77], s[78:79]
	s_cbranch_execz .LBB169_4367
; %bb.4366:
	v_mov_b32_e32 v39, 0
	flat_store_dwordx2 v[2:3], v[38:39]
.LBB169_4367:
	s_or_b64 exec, exec, s[76:77]
                                        ; implicit-def: $vgpr38
                                        ; implicit-def: $vgpr2_vgpr3
.LBB169_4368:
	s_andn2_saveexec_b64 s[76:77], s[82:83]
	s_cbranch_execz .LBB169_4370
; %bb.4369:
	v_cvt_f16_f32_e32 v1, v38
	flat_store_dword v[2:3], v1
.LBB169_4370:
	s_or_b64 exec, exec, s[76:77]
                                        ; implicit-def: $vgpr38
                                        ; implicit-def: $vgpr2_vgpr3
.LBB169_4371:
	s_andn2_saveexec_b64 s[82:83], s[84:85]
	s_cbranch_execz .LBB169_4381
; %bb.4372:
	v_mov_b32_e32 v1, 5
	v_cmp_gt_i16_sdwa s[74:75], v62, v1 src0_sel:BYTE_0 src1_sel:DWORD
	s_and_saveexec_b64 s[76:77], s[74:75]
	s_xor_b64 s[80:81], exec, s[76:77]
	s_cbranch_execz .LBB169_4378
; %bb.4373:
	v_mov_b32_e32 v1, 6
	v_cmp_gt_i16_sdwa s[74:75], v62, v1 src0_sel:BYTE_0 src1_sel:DWORD
	s_and_saveexec_b64 s[76:77], s[74:75]
	s_xor_b64 s[76:77], exec, s[76:77]
	s_cbranch_execz .LBB169_4375
; %bb.4374:
	v_cvt_f64_f32_e32 v[4:5], v38
	flat_store_dwordx2 v[2:3], v[4:5]
                                        ; implicit-def: $vgpr2_vgpr3
                                        ; implicit-def: $vgpr38
.LBB169_4375:
	s_andn2_saveexec_b64 s[76:77], s[76:77]
	s_cbranch_execz .LBB169_4377
; %bb.4376:
	flat_store_dword v[2:3], v38
.LBB169_4377:
	s_or_b64 exec, exec, s[76:77]
                                        ; implicit-def: $vgpr38
                                        ; implicit-def: $vgpr2_vgpr3
.LBB169_4378:
	s_andn2_saveexec_b64 s[76:77], s[80:81]
	s_cbranch_execz .LBB169_4380
; %bb.4379:
	v_cvt_f16_f32_e32 v1, v38
	flat_store_short v[2:3], v1
.LBB169_4380:
	s_or_b64 exec, exec, s[76:77]
.LBB169_4381:
	s_or_b64 exec, exec, s[82:83]
                                        ; implicit-def: $vgpr38
                                        ; implicit-def: $vgpr2_vgpr3
.LBB169_4382:
	s_andn2_saveexec_b64 s[88:89], vcc
	s_cbranch_execz .LBB169_4400
; %bb.4383:
	v_mov_b32_e32 v1, 1
	v_cmp_gt_i16_sdwa vcc, v62, v1 src0_sel:BYTE_0 src1_sel:DWORD
	s_and_saveexec_b64 s[74:75], vcc
	s_xor_b64 s[84:85], exec, s[74:75]
	s_cbranch_execz .LBB169_4393
; %bb.4384:
	v_mov_b32_e32 v1, 2
	v_cmp_gt_i16_sdwa vcc, v62, v1 src0_sel:BYTE_0 src1_sel:DWORD
	s_and_saveexec_b64 s[74:75], vcc
	s_xor_b64 s[82:83], exec, s[74:75]
	;; [unrolled: 6-line block ×3, first 2 shown]
	s_cbranch_execz .LBB169_4387
; %bb.4386:
	v_trunc_f32_e32 v1, v38
	s_mov_b32 s74, 0x2f800000
	v_mul_f32_e64 v4, |v1|, s74
	v_floor_f32_e32 v4, v4
	s_mov_b32 s74, 0xcf800000
	v_cvt_u32_f32_e32 v5, v4
	v_fma_f32 v4, v4, s74, |v1|
	v_cvt_u32_f32_e32 v4, v4
	v_ashrrev_i32_e32 v1, 31, v1
	v_xor_b32_e32 v5, v5, v1
                                        ; implicit-def: $vgpr38
	v_xor_b32_e32 v4, v4, v1
	v_sub_co_u32_e32 v4, vcc, v4, v1
	v_subb_co_u32_e32 v5, vcc, v5, v1, vcc
	flat_store_dwordx2 v[2:3], v[4:5]
                                        ; implicit-def: $vgpr2_vgpr3
.LBB169_4387:
	s_andn2_saveexec_b64 vcc, s[80:81]
	s_cbranch_execz .LBB169_4389
; %bb.4388:
	v_cvt_i32_f32_e32 v1, v38
	flat_store_dword v[2:3], v1
.LBB169_4389:
	s_or_b64 exec, exec, vcc
                                        ; implicit-def: $vgpr38
                                        ; implicit-def: $vgpr2_vgpr3
.LBB169_4390:
	s_andn2_saveexec_b64 vcc, s[82:83]
	s_cbranch_execz .LBB169_4392
; %bb.4391:
	v_cvt_i32_f32_e32 v1, v38
	flat_store_short v[2:3], v1
.LBB169_4392:
	s_or_b64 exec, exec, vcc
                                        ; implicit-def: $vgpr38
                                        ; implicit-def: $vgpr2_vgpr3
.LBB169_4393:
	s_andn2_saveexec_b64 vcc, s[84:85]
	s_cbranch_execz .LBB169_4399
; %bb.4394:
	v_mov_b32_e32 v1, 0
	v_cmp_gt_i16_sdwa s[74:75], v62, v1 src0_sel:BYTE_0 src1_sel:DWORD
	s_and_saveexec_b64 s[76:77], s[74:75]
	s_xor_b64 s[76:77], exec, s[76:77]
	s_cbranch_execz .LBB169_4396
; %bb.4395:
	v_cvt_i32_f32_e32 v1, v38
                                        ; implicit-def: $vgpr38
	flat_store_byte v[2:3], v1
                                        ; implicit-def: $vgpr2_vgpr3
.LBB169_4396:
	s_andn2_saveexec_b64 s[80:81], s[76:77]
	s_cbranch_execz .LBB169_4398
; %bb.4397:
	v_trunc_f32_e32 v1, v38
	s_mov_b32 s74, 0x2f800000
	v_mul_f32_e64 v4, |v1|, s74
	v_floor_f32_e32 v4, v4
	s_mov_b32 s74, 0xcf800000
	v_fma_f32 v4, v4, s74, |v1|
	v_cvt_u32_f32_e32 v4, v4
	v_ashrrev_i32_e32 v1, 31, v1
	v_xor_b32_e32 v4, v4, v1
	v_sub_u32_e32 v1, v4, v1
	flat_store_byte v[2:3], v1
.LBB169_4398:
	s_or_b64 exec, exec, s[80:81]
.LBB169_4399:
	s_or_b64 exec, exec, vcc
.LBB169_4400:
	s_or_b64 exec, exec, s[88:89]
	s_or_b64 s[4:5], s[4:5], exec
.LBB169_4401:
	s_or_b64 exec, exec, s[92:93]
	s_mov_b64 vcc, 0
	s_and_saveexec_b64 s[76:77], s[4:5]
; %bb.4402:
	s_mov_b64 vcc, exec
	v_add_u32_e32 v31, 0x200, v31
; %bb.4403:
	s_or_b64 exec, exec, s[76:77]
	v_readlane_b32 s4, v77, 38
	v_readlane_b32 s5, v77, 39
	s_andn2_b64 s[4:5], s[4:5], exec
	s_and_b64 s[74:75], s[90:91], exec
	s_or_b64 s[4:5], s[4:5], s[74:75]
	v_writelane_b32 v77, s4, 46
	v_writelane_b32 v77, s5, 47
	s_orn2_b64 s[82:83], vcc, exec
.LBB169_4404:
	s_or_b64 exec, exec, s[96:97]
	s_mov_b64 s[4:5], 0
	s_mov_b64 vcc, 0
	s_mov_b64 s[80:81], 0
                                        ; implicit-def: $vgpr4
                                        ; implicit-def: $vgpr2_vgpr3
	s_mov_b64 s[74:75], exec
	v_writelane_b32 v77, s74, 48
	v_writelane_b32 v77, s75, 49
	s_and_b64 s[74:75], s[74:75], s[82:83]
	s_mov_b64 exec, s[74:75]
	s_cbranch_execz .LBB169_4756
; %bb.4405:
	v_readlane_b32 s4, v77, 46
	v_readlane_b32 s5, v77, 47
	v_cmp_lt_i32_e32 vcc, v31, v72
	s_mov_b64 s[82:83], -1
	v_writelane_b32 v77, s4, 54
	v_writelane_b32 v77, s5, 55
	s_and_saveexec_b64 s[96:97], vcc
	s_cbranch_execz .LBB169_4533
; %bb.4406:
	v_readlane_b32 s4, v78, 1
	v_add_u32_e32 v1, s4, v31
	v_mul_lo_u32 v1, v1, v63
	v_add_co_u32_e32 v2, vcc, v30, v1
	v_addc_co_u32_e32 v3, vcc, 0, v73, vcc
	v_mov_b32_e32 v1, 10
	v_readlane_b32 s90, v77, 46
	v_cmp_gt_i16_sdwa vcc, v62, v1 src0_sel:BYTE_0 src1_sel:DWORD
	s_mov_b64 s[4:5], 0
	v_readlane_b32 s91, v77, 47
	s_and_saveexec_b64 s[74:75], vcc
	s_xor_b64 s[74:75], exec, s[74:75]
	v_writelane_b32 v77, s74, 58
	v_writelane_b32 v77, s75, 59
	s_cbranch_execz .LBB169_4488
; %bb.4407:
	v_mov_b32_e32 v1, 25
	v_readlane_b32 s92, v77, 46
	v_cmp_gt_i16_sdwa s[4:5], v62, v1 src0_sel:BYTE_0 src1_sel:DWORD
	s_mov_b64 s[88:89], 0
	v_readlane_b32 s93, v77, 47
	s_and_saveexec_b64 vcc, s[4:5]
	s_xor_b64 s[90:91], exec, vcc
	s_cbranch_execz .LBB169_4443
; %bb.4408:
	v_mov_b32_e32 v1, 28
	v_readlane_b32 s92, v77, 46
	v_cmp_gt_i16_sdwa vcc, v62, v1 src0_sel:BYTE_0 src1_sel:DWORD
	s_mov_b64 s[4:5], 0
	v_readlane_b32 s93, v77, 47
	s_and_saveexec_b64 s[74:75], vcc
	s_xor_b64 s[88:89], exec, s[74:75]
	s_cbranch_execz .LBB169_4426
; %bb.4409:
	v_mov_b32_e32 v1, 43
	v_readlane_b32 vcc_lo, v77, 46
	v_cmp_gt_i16_sdwa s[74:75], v62, v1 src0_sel:BYTE_0 src1_sel:DWORD
	v_readlane_b32 vcc_hi, v77, 47
	s_and_saveexec_b64 s[76:77], s[74:75]
	s_xor_b64 s[76:77], exec, s[76:77]
	s_cbranch_execz .LBB169_4421
; %bb.4410:
	v_mov_b32_e32 v1, 45
	v_readlane_b32 s84, v77, 46
	v_cmp_gt_i16_sdwa s[4:5], v62, v1 src0_sel:BYTE_0 src1_sel:DWORD
	s_mov_b64 s[86:87], 0
	v_readlane_b32 s85, v77, 47
	s_and_saveexec_b64 vcc, s[4:5]
	s_xor_b64 s[4:5], exec, vcc
	s_cbranch_execz .LBB169_4414
; %bb.4411:
	v_mov_b32_e32 v1, 46
	v_cmp_eq_u16_sdwa s[74:75], v62, v1 src0_sel:BYTE_0 src1_sel:DWORD
	s_mov_b64 vcc, -1
	s_and_saveexec_b64 s[82:83], s[74:75]
	s_cbranch_execz .LBB169_4413
; %bb.4412:
	v_bfe_u32 v1, v36, 16, 1
	s_movk_i32 vcc_lo, 0x7fff
	v_add3_u32 v1, v36, v1, vcc_lo
	v_lshrrev_b32_e32 v1, 16, v1
	v_mov_b32_e32 v4, 0x7fc0
	v_cmp_o_f32_e32 vcc, v36, v36
	v_cndmask_b32_e32 v1, v4, v1, vcc
	s_mov_b64 s[80:81], exec
	flat_store_dword v[2:3], v1
	s_xor_b64 vcc, exec, -1
.LBB169_4413:
	s_or_b64 exec, exec, s[82:83]
	v_readlane_b32 s74, v77, 46
	v_readlane_b32 s75, v77, 47
	s_andn2_b64 s[74:75], s[74:75], exec
	s_and_b64 vcc, vcc, exec
	s_or_b64 s[84:85], s[74:75], vcc
	s_and_b64 s[86:87], s[80:81], exec
                                        ; implicit-def: $vgpr2_vgpr3
                                        ; implicit-def: $vgpr36
.LBB169_4414:
	s_andn2_saveexec_b64 s[92:93], s[4:5]
	s_cbranch_execz .LBB169_4420
; %bb.4415:
	v_mov_b32_e32 v1, 44
	v_cmp_eq_u16_sdwa s[74:75], v62, v1 src0_sel:BYTE_0 src1_sel:DWORD
	s_mov_b64 vcc, -1
	s_mov_b64 s[4:5], s[86:87]
	s_and_saveexec_b64 s[80:81], s[74:75]
	s_cbranch_execz .LBB169_4419
; %bb.4416:
	v_bfe_u32 v1, v36, 23, 8
	s_movk_i32 s4, 0xff
	v_cmp_ne_u32_e32 vcc, s4, v1
	v_mov_b32_e32 v4, 0xff
	s_and_saveexec_b64 s[82:83], vcc
; %bb.4417:
	s_mov_b32 s4, 0x3fffff
	v_and_b32_e32 v5, 0x400000, v36
	v_and_or_b32 v1, v36, s4, v1
	v_cmp_ne_u32_e32 vcc, 0, v5
	v_cmp_ne_u32_e64 s[4:5], 0, v1
	s_and_b64 s[4:5], vcc, s[4:5]
	v_lshrrev_b32_e32 v4, 23, v36
	v_cndmask_b32_e64 v1, 0, 1, s[4:5]
	v_add_u32_e32 v4, v4, v1
; %bb.4418:
	s_or_b64 exec, exec, s[82:83]
	s_xor_b64 vcc, exec, -1
	s_or_b64 s[4:5], s[86:87], exec
	flat_store_byte v[2:3], v4
.LBB169_4419:
	s_or_b64 exec, exec, s[80:81]
	s_andn2_b64 s[74:75], s[84:85], exec
	s_and_b64 vcc, vcc, exec
	s_or_b64 s[84:85], s[74:75], vcc
	s_andn2_b64 vcc, s[86:87], exec
	s_and_b64 s[4:5], s[4:5], exec
	s_or_b64 s[86:87], vcc, s[4:5]
.LBB169_4420:
	s_or_b64 exec, exec, s[92:93]
	v_readlane_b32 s4, v77, 46
	v_readlane_b32 s5, v77, 47
	s_andn2_b64 s[4:5], s[4:5], exec
	s_and_b64 vcc, s[84:85], exec
	s_or_b64 vcc, s[4:5], vcc
	s_and_b64 s[4:5], s[86:87], exec
                                        ; implicit-def: $vgpr36
                                        ; implicit-def: $vgpr2_vgpr3
.LBB169_4421:
	s_andn2_saveexec_b64 s[82:83], s[76:77]
	s_cbranch_execz .LBB169_4425
; %bb.4422:
	v_mov_b32_e32 v1, 29
	v_cmp_eq_u16_sdwa s[74:75], v62, v1 src0_sel:BYTE_0 src1_sel:DWORD
	s_mov_b64 s[86:87], -1
	s_mov_b64 s[84:85], s[4:5]
	s_and_saveexec_b64 s[80:81], s[74:75]
	s_cbranch_execz .LBB169_4424
; %bb.4423:
	v_trunc_f32_e32 v1, v36
	v_mul_f32_e32 v4, 0x2f800000, v1
	v_floor_f32_e32 v4, v4
	v_fmac_f32_e32 v1, 0xcf800000, v4
	v_cvt_u32_f32_e32 v5, v4
	v_cvt_u32_f32_e32 v4, v1
	s_xor_b64 s[86:87], exec, -1
	s_or_b64 s[84:85], s[4:5], exec
	flat_store_dwordx2 v[2:3], v[4:5]
.LBB169_4424:
	s_or_b64 exec, exec, s[80:81]
	s_andn2_b64 vcc, vcc, exec
	s_and_b64 s[74:75], s[86:87], exec
	s_or_b64 vcc, vcc, s[74:75]
	s_andn2_b64 s[4:5], s[4:5], exec
	s_and_b64 s[74:75], s[84:85], exec
	s_or_b64 s[4:5], s[4:5], s[74:75]
.LBB169_4425:
	s_or_b64 exec, exec, s[82:83]
	v_readlane_b32 s74, v77, 46
	v_readlane_b32 s75, v77, 47
	s_andn2_b64 s[74:75], s[74:75], exec
	s_and_b64 vcc, vcc, exec
	s_or_b64 s[92:93], s[74:75], vcc
	s_and_b64 s[4:5], s[4:5], exec
                                        ; implicit-def: $vgpr2_vgpr3
                                        ; implicit-def: $vgpr36
.LBB169_4426:
	s_andn2_saveexec_b64 s[88:89], s[88:89]
	s_cbranch_execz .LBB169_4442
; %bb.4427:
	v_mov_b32_e32 v1, 26
	v_cmp_gt_i16_sdwa vcc, v62, v1 src0_sel:BYTE_0 src1_sel:DWORD
	s_and_saveexec_b64 s[74:75], vcc
	s_xor_b64 vcc, exec, s[74:75]
	s_cbranch_execz .LBB169_4433
; %bb.4428:
	v_cvt_u32_f32_e32 v1, v36
	v_mov_b32_e32 v4, 27
	v_cmp_gt_i16_sdwa s[74:75], v62, v4 src0_sel:BYTE_0 src1_sel:DWORD
	s_and_saveexec_b64 s[76:77], s[74:75]
	s_xor_b64 s[76:77], exec, s[76:77]
	s_cbranch_execz .LBB169_4430
; %bb.4429:
	flat_store_dword v[2:3], v1
                                        ; implicit-def: $vgpr2_vgpr3
                                        ; implicit-def: $vgpr1
.LBB169_4430:
	s_andn2_saveexec_b64 s[76:77], s[76:77]
	s_cbranch_execz .LBB169_4432
; %bb.4431:
	flat_store_short v[2:3], v1
.LBB169_4432:
	s_or_b64 exec, exec, s[76:77]
                                        ; implicit-def: $vgpr2_vgpr3
                                        ; implicit-def: $vgpr36
.LBB169_4433:
	s_andn2_saveexec_b64 s[86:87], vcc
	s_cbranch_execz .LBB169_4441
; %bb.4434:
	v_and_b32_e32 v1, 0x7fffffff, v36
	s_mov_b32 vcc_lo, 0x43800000
	v_cmp_gt_u32_e32 vcc, vcc_lo, v1
	v_mov_b32_e32 v4, 0x80
	s_and_saveexec_b64 s[84:85], vcc
	s_cbranch_execz .LBB169_4440
; %bb.4435:
	s_mov_b32 vcc_lo, 0x3bffffff
	v_cmp_lt_u32_e32 vcc, vcc_lo, v1
	s_mov_b64 s[82:83], 0
                                        ; implicit-def: $vgpr1
	s_and_saveexec_b64 s[74:75], vcc
	s_xor_b64 vcc, exec, s[74:75]
	s_cbranch_execnz .LBB169_7993
; %bb.4436:
	s_or_saveexec_b64 s[80:81], vcc
                                        ; implicit-def: $sgpr76
	s_xor_b64 exec, exec, s[80:81]
	s_cbranch_execnz .LBB169_7994
.LBB169_4437:
	s_or_b64 exec, exec, s[80:81]
	v_mov_b32_e32 v4, s76
	s_and_saveexec_b64 vcc, s[82:83]
.LBB169_4438:
	v_lshrrev_b32_e32 v4, 24, v36
	s_movk_i32 s74, 0x80
	v_and_or_b32 v4, v4, s74, v1
.LBB169_4439:
	s_or_b64 exec, exec, vcc
.LBB169_4440:
	s_or_b64 exec, exec, s[84:85]
	flat_store_byte v[2:3], v4
.LBB169_4441:
	s_or_b64 exec, exec, s[86:87]
	s_or_b64 s[4:5], s[4:5], exec
.LBB169_4442:
	s_or_b64 exec, exec, s[88:89]
	v_readlane_b32 vcc_lo, v77, 46
	v_readlane_b32 vcc_hi, v77, 47
	s_andn2_b64 vcc, vcc, exec
	s_and_b64 s[74:75], s[92:93], exec
	s_or_b64 s[92:93], vcc, s[74:75]
	s_and_b64 s[88:89], s[4:5], exec
                                        ; implicit-def: $vgpr36
                                        ; implicit-def: $vgpr2_vgpr3
.LBB169_4443:
	s_andn2_saveexec_b64 s[90:91], s[90:91]
	s_cbranch_execz .LBB169_4487
; %bb.4444:
	v_mov_b32_e32 v1, 22
	v_cmp_gt_i16_sdwa vcc, v62, v1 src0_sel:BYTE_0 src1_sel:DWORD
	s_mov_b64 s[4:5], s[88:89]
	s_and_saveexec_b64 s[74:75], vcc
	s_xor_b64 s[86:87], exec, s[74:75]
	s_cbranch_execz .LBB169_4476
; %bb.4445:
	v_mov_b32_e32 v1, 23
	v_cmp_gt_i16_sdwa s[4:5], v62, v1 src0_sel:BYTE_0 src1_sel:DWORD
	s_and_saveexec_b64 vcc, s[4:5]
	s_xor_b64 vcc, exec, vcc
	v_writelane_b32 v77, vcc_lo, 60
	v_writelane_b32 v77, vcc_hi, 61
	s_cbranch_execz .LBB169_4465
; %bb.4446:
	v_mov_b32_e32 v1, 24
	v_cmp_gt_i16_sdwa s[4:5], v62, v1 src0_sel:BYTE_0 src1_sel:DWORD
	s_and_saveexec_b64 vcc, s[4:5]
	s_xor_b64 s[4:5], exec, vcc
	s_cbranch_execz .LBB169_4454
; %bb.4447:
	v_and_b32_e32 v1, 0x7fffffff, v36
	s_mov_b32 vcc_lo, 0x47800000
	v_cmp_gt_u32_e32 vcc, vcc_lo, v1
	v_mov_b32_e32 v4, 0x80
	s_and_saveexec_b64 s[84:85], vcc
	s_cbranch_execz .LBB169_4453
; %bb.4448:
	s_mov_b32 vcc_lo, 0x37ffffff
	v_cmp_lt_u32_e32 vcc, vcc_lo, v1
	s_mov_b64 s[82:83], 0
                                        ; implicit-def: $vgpr1
	s_and_saveexec_b64 s[74:75], vcc
	s_xor_b64 vcc, exec, s[74:75]
	s_cbranch_execnz .LBB169_7995
; %bb.4449:
	s_or_saveexec_b64 s[80:81], vcc
                                        ; implicit-def: $sgpr76
	s_xor_b64 exec, exec, s[80:81]
	s_cbranch_execnz .LBB169_7996
.LBB169_4450:
	s_or_b64 exec, exec, s[80:81]
	v_mov_b32_e32 v4, s76
	s_and_saveexec_b64 vcc, s[82:83]
.LBB169_4451:
	v_lshrrev_b32_e32 v4, 24, v36
	s_movk_i32 s74, 0x80
	v_and_or_b32 v4, v4, s74, v1
.LBB169_4452:
	s_or_b64 exec, exec, vcc
.LBB169_4453:
	s_or_b64 exec, exec, s[84:85]
	flat_store_byte v[2:3], v4
                                        ; implicit-def: $vgpr36
                                        ; implicit-def: $vgpr2_vgpr3
.LBB169_4454:
	s_andn2_saveexec_b64 s[4:5], s[4:5]
	s_cbranch_execz .LBB169_4464
; %bb.4455:
	v_and_b32_e32 v4, 0x7fffffff, v36
	s_mov_b32 vcc_lo, 0x43f00000
	v_cmp_gt_u32_e32 vcc, vcc_lo, v4
                                        ; implicit-def: $vgpr1
	s_and_saveexec_b64 s[74:75], vcc
	s_xor_b64 s[80:81], exec, s[74:75]
	s_cbranch_execz .LBB169_4461
; %bb.4456:
	s_mov_b32 vcc_lo, 0x3c7fffff
	v_cmp_lt_u32_e32 vcc, vcc_lo, v4
                                        ; implicit-def: $vgpr1
	s_and_saveexec_b64 s[74:75], vcc
	s_xor_b64 s[78:79], exec, s[74:75]
; %bb.4457:
	v_bfe_u32 v1, v36, 20, 1
	s_mov_b32 vcc_lo, 0x407ffff
	v_add3_u32 v1, v36, v1, vcc_lo
	v_lshrrev_b32_e32 v4, 20, v1
	v_and_b32_e32 v1, 0xff00000, v1
	s_mov_b32 vcc_lo, 0x7f00000
	v_mov_b32_e32 v5, 0x7e
	v_cmp_ne_u32_e32 vcc, vcc_lo, v1
	v_cndmask_b32_e32 v1, v5, v4, vcc
; %bb.4458:
	s_andn2_saveexec_b64 vcc, s[78:79]
; %bb.4459:
	s_mov_b32 s74, 0x46800000
	v_add_f32_e64 v1, |v36|, s74
; %bb.4460:
	s_or_b64 exec, exec, vcc
                                        ; implicit-def: $vgpr4
.LBB169_4461:
	s_andn2_saveexec_b64 s[80:81], s[80:81]
; %bb.4462:
	s_mov_b32 vcc_lo, 0x7f800000
	v_mov_b32_e32 v1, 0x7e
	v_mov_b32_e32 v5, 0x7f
	v_cmp_lt_u32_e32 vcc, vcc_lo, v4
	v_cndmask_b32_e32 v1, v1, v5, vcc
; %bb.4463:
	s_or_b64 exec, exec, s[80:81]
	v_lshrrev_b32_e32 v4, 24, v36
	s_movk_i32 vcc_lo, 0x80
	v_and_or_b32 v1, v4, vcc_lo, v1
	flat_store_byte v[2:3], v1
.LBB169_4464:
	s_or_b64 exec, exec, s[4:5]
                                        ; implicit-def: $vgpr36
                                        ; implicit-def: $vgpr2_vgpr3
.LBB169_4465:
	v_readlane_b32 s4, v77, 60
	v_readlane_b32 s5, v77, 61
	s_andn2_saveexec_b64 s[4:5], s[4:5]
	s_cbranch_execz .LBB169_4475
; %bb.4466:
	v_and_b32_e32 v4, 0x7fffffff, v36
	s_mov_b32 vcc_lo, 0x47800000
	v_cmp_gt_u32_e32 vcc, vcc_lo, v4
                                        ; implicit-def: $vgpr1
	s_and_saveexec_b64 s[74:75], vcc
	s_xor_b64 s[80:81], exec, s[74:75]
	s_cbranch_execz .LBB169_4472
; %bb.4467:
	s_mov_b32 vcc_lo, 0x387fffff
	v_cmp_lt_u32_e32 vcc, vcc_lo, v4
                                        ; implicit-def: $vgpr1
	s_and_saveexec_b64 s[74:75], vcc
	s_xor_b64 vcc, exec, s[74:75]
; %bb.4468:
	v_bfe_u32 v1, v36, 21, 1
	s_mov_b32 s74, 0x80fffff
	v_add3_u32 v1, v36, v1, s74
	v_lshrrev_b32_e32 v1, 21, v1
; %bb.4469:
	s_andn2_saveexec_b64 vcc, vcc
; %bb.4470:
	s_mov_b32 s74, 0x43000000
	v_add_f32_e64 v1, |v36|, s74
; %bb.4471:
	s_or_b64 exec, exec, vcc
                                        ; implicit-def: $vgpr4
.LBB169_4472:
	s_andn2_saveexec_b64 s[80:81], s[80:81]
; %bb.4473:
	s_mov_b32 vcc_lo, 0x7f800000
	v_mov_b32_e32 v1, 0x7c
	v_mov_b32_e32 v5, 0x7f
	v_cmp_lt_u32_e32 vcc, vcc_lo, v4
	v_cndmask_b32_e32 v1, v1, v5, vcc
; %bb.4474:
	s_or_b64 exec, exec, s[80:81]
	v_lshrrev_b32_e32 v4, 24, v36
	s_movk_i32 vcc_lo, 0x80
	v_and_or_b32 v1, v4, vcc_lo, v1
	flat_store_byte v[2:3], v1
.LBB169_4475:
	s_or_b64 exec, exec, s[4:5]
	s_or_b64 s[4:5], s[88:89], exec
                                        ; implicit-def: $vgpr36
                                        ; implicit-def: $vgpr2_vgpr3
.LBB169_4476:
	s_or_saveexec_b64 s[86:87], s[86:87]
	s_mov_b64 vcc, s[92:93]
	s_xor_b64 exec, exec, s[86:87]
	s_cbranch_execz .LBB169_4486
; %bb.4477:
	v_mov_b32_e32 v1, 14
	v_cmp_gt_i16_sdwa vcc, v62, v1 src0_sel:BYTE_0 src1_sel:DWORD
	s_mov_b64 s[84:85], s[4:5]
	s_mov_b64 s[82:83], s[92:93]
	s_and_saveexec_b64 s[74:75], vcc
	s_xor_b64 s[80:81], exec, s[74:75]
	s_cbranch_execz .LBB169_4481
; %bb.4478:
	v_mov_b32_e32 v1, 15
	v_cmp_eq_u16_sdwa s[74:75], v62, v1 src0_sel:BYTE_0 src1_sel:DWORD
	s_mov_b64 s[78:79], -1
	s_mov_b64 vcc, s[4:5]
	s_and_saveexec_b64 s[82:83], s[74:75]
	s_cbranch_execz .LBB169_4480
; %bb.4479:
	v_bfe_u32 v1, v36, 16, 1
	s_movk_i32 vcc_lo, 0x7fff
	v_add3_u32 v1, v36, v1, vcc_lo
	v_lshrrev_b32_e32 v1, 16, v1
	v_mov_b32_e32 v4, 0x7fc0
	v_cmp_o_f32_e32 vcc, v36, v36
	v_cndmask_b32_e32 v1, v4, v1, vcc
	flat_store_short v[2:3], v1
	s_xor_b64 s[78:79], exec, -1
	s_or_b64 vcc, s[4:5], exec
.LBB169_4480:
	s_or_b64 exec, exec, s[82:83]
	s_andn2_b64 s[74:75], s[92:93], exec
	s_and_b64 s[76:77], s[78:79], exec
	s_or_b64 s[82:83], s[74:75], s[76:77]
	s_andn2_b64 s[74:75], s[4:5], exec
	s_and_b64 vcc, vcc, exec
	s_or_b64 s[84:85], s[74:75], vcc
                                        ; implicit-def: $vgpr36
                                        ; implicit-def: $vgpr2_vgpr3
.LBB169_4481:
	s_andn2_saveexec_b64 s[80:81], s[80:81]
	s_cbranch_execz .LBB169_4485
; %bb.4482:
	v_mov_b32_e32 v1, 11
	v_cmp_eq_u16_sdwa s[74:75], v62, v1 src0_sel:BYTE_0 src1_sel:DWORD
	s_mov_b64 s[78:79], -1
	s_mov_b64 vcc, s[84:85]
	s_and_saveexec_b64 s[76:77], s[74:75]
	s_cbranch_execz .LBB169_4484
; %bb.4483:
	v_cmp_neq_f32_e32 vcc, 0, v36
	v_cndmask_b32_e64 v1, 0, 1, vcc
	flat_store_byte v[2:3], v1
	s_xor_b64 s[78:79], exec, -1
	s_or_b64 vcc, s[84:85], exec
.LBB169_4484:
	s_or_b64 exec, exec, s[76:77]
	s_andn2_b64 s[74:75], s[82:83], exec
	s_and_b64 s[76:77], s[78:79], exec
	s_or_b64 s[82:83], s[74:75], s[76:77]
	s_andn2_b64 s[74:75], s[84:85], exec
	s_and_b64 vcc, vcc, exec
	s_or_b64 s[84:85], s[74:75], vcc
.LBB169_4485:
	s_or_b64 exec, exec, s[80:81]
	s_andn2_b64 vcc, s[92:93], exec
	s_and_b64 s[74:75], s[82:83], exec
	s_or_b64 vcc, vcc, s[74:75]
	s_andn2_b64 s[4:5], s[4:5], exec
	s_and_b64 s[74:75], s[84:85], exec
	s_or_b64 s[4:5], s[4:5], s[74:75]
.LBB169_4486:
	s_or_b64 exec, exec, s[86:87]
	s_andn2_b64 s[74:75], s[92:93], exec
	s_and_b64 vcc, vcc, exec
	s_or_b64 s[92:93], s[74:75], vcc
	s_andn2_b64 vcc, s[88:89], exec
	s_and_b64 s[4:5], s[4:5], exec
	s_or_b64 s[88:89], vcc, s[4:5]
.LBB169_4487:
	s_or_b64 exec, exec, s[90:91]
	v_readlane_b32 s4, v77, 46
	v_readlane_b32 s5, v77, 47
	s_andn2_b64 s[4:5], s[4:5], exec
	s_and_b64 vcc, s[92:93], exec
	s_or_b64 s[90:91], s[4:5], vcc
	s_and_b64 s[4:5], s[88:89], exec
                                        ; implicit-def: $vgpr36
                                        ; implicit-def: $vgpr2_vgpr3
.LBB169_4488:
	v_readlane_b32 vcc_lo, v77, 58
	v_readlane_b32 vcc_hi, v77, 59
	s_andn2_saveexec_b64 s[92:93], vcc
	s_cbranch_execz .LBB169_4530
; %bb.4489:
	v_mov_b32_e32 v1, 4
	v_cmp_gt_i16_sdwa vcc, v62, v1 src0_sel:BYTE_0 src1_sel:DWORD
	s_and_saveexec_b64 s[74:75], vcc
	s_xor_b64 vcc, exec, s[74:75]
	s_cbranch_execz .LBB169_4511
; %bb.4490:
	v_mov_b32_e32 v1, 7
	v_cmp_gt_i16_sdwa s[74:75], v62, v1 src0_sel:BYTE_0 src1_sel:DWORD
	s_and_saveexec_b64 s[76:77], s[74:75]
	s_xor_b64 s[84:85], exec, s[76:77]
	s_cbranch_execz .LBB169_4500
; %bb.4491:
	v_mov_b32_e32 v1, 8
	v_cmp_gt_i16_sdwa s[74:75], v62, v1 src0_sel:BYTE_0 src1_sel:DWORD
	s_and_saveexec_b64 s[76:77], s[74:75]
	s_xor_b64 s[82:83], exec, s[76:77]
	;; [unrolled: 6-line block ×3, first 2 shown]
	s_cbranch_execz .LBB169_4494
; %bb.4493:
	v_mov_b32_e32 v6, 0
	v_cvt_f64_f32_e32 v[4:5], v36
	v_mov_b32_e32 v7, v6
	flat_store_dwordx4 v[2:3], v[4:7]
                                        ; implicit-def: $vgpr36
                                        ; implicit-def: $vgpr2_vgpr3
.LBB169_4494:
	s_andn2_saveexec_b64 s[76:77], s[78:79]
	s_cbranch_execz .LBB169_4496
; %bb.4495:
	v_mov_b32_e32 v37, 0
	flat_store_dwordx2 v[2:3], v[36:37]
.LBB169_4496:
	s_or_b64 exec, exec, s[76:77]
                                        ; implicit-def: $vgpr36
                                        ; implicit-def: $vgpr2_vgpr3
.LBB169_4497:
	s_andn2_saveexec_b64 s[76:77], s[82:83]
	s_cbranch_execz .LBB169_4499
; %bb.4498:
	v_cvt_f16_f32_e32 v1, v36
	flat_store_dword v[2:3], v1
.LBB169_4499:
	s_or_b64 exec, exec, s[76:77]
                                        ; implicit-def: $vgpr36
                                        ; implicit-def: $vgpr2_vgpr3
.LBB169_4500:
	s_andn2_saveexec_b64 s[82:83], s[84:85]
	s_cbranch_execz .LBB169_4510
; %bb.4501:
	v_mov_b32_e32 v1, 5
	v_cmp_gt_i16_sdwa s[74:75], v62, v1 src0_sel:BYTE_0 src1_sel:DWORD
	s_and_saveexec_b64 s[76:77], s[74:75]
	s_xor_b64 s[80:81], exec, s[76:77]
	s_cbranch_execz .LBB169_4507
; %bb.4502:
	v_mov_b32_e32 v1, 6
	v_cmp_gt_i16_sdwa s[74:75], v62, v1 src0_sel:BYTE_0 src1_sel:DWORD
	s_and_saveexec_b64 s[76:77], s[74:75]
	s_xor_b64 s[76:77], exec, s[76:77]
	s_cbranch_execz .LBB169_4504
; %bb.4503:
	v_cvt_f64_f32_e32 v[4:5], v36
	flat_store_dwordx2 v[2:3], v[4:5]
                                        ; implicit-def: $vgpr2_vgpr3
                                        ; implicit-def: $vgpr36
.LBB169_4504:
	s_andn2_saveexec_b64 s[76:77], s[76:77]
	s_cbranch_execz .LBB169_4506
; %bb.4505:
	flat_store_dword v[2:3], v36
.LBB169_4506:
	s_or_b64 exec, exec, s[76:77]
                                        ; implicit-def: $vgpr36
                                        ; implicit-def: $vgpr2_vgpr3
.LBB169_4507:
	s_andn2_saveexec_b64 s[76:77], s[80:81]
	s_cbranch_execz .LBB169_4509
; %bb.4508:
	v_cvt_f16_f32_e32 v1, v36
	flat_store_short v[2:3], v1
.LBB169_4509:
	s_or_b64 exec, exec, s[76:77]
.LBB169_4510:
	s_or_b64 exec, exec, s[82:83]
                                        ; implicit-def: $vgpr36
                                        ; implicit-def: $vgpr2_vgpr3
.LBB169_4511:
	s_andn2_saveexec_b64 s[88:89], vcc
	s_cbranch_execz .LBB169_4529
; %bb.4512:
	v_mov_b32_e32 v1, 1
	v_cmp_gt_i16_sdwa vcc, v62, v1 src0_sel:BYTE_0 src1_sel:DWORD
	s_and_saveexec_b64 s[74:75], vcc
	s_xor_b64 s[84:85], exec, s[74:75]
	s_cbranch_execz .LBB169_4522
; %bb.4513:
	v_mov_b32_e32 v1, 2
	v_cmp_gt_i16_sdwa vcc, v62, v1 src0_sel:BYTE_0 src1_sel:DWORD
	s_and_saveexec_b64 s[74:75], vcc
	s_xor_b64 s[82:83], exec, s[74:75]
	s_cbranch_execz .LBB169_4519
; %bb.4514:
	v_mov_b32_e32 v1, 3
	v_cmp_gt_i16_sdwa vcc, v62, v1 src0_sel:BYTE_0 src1_sel:DWORD
	s_and_saveexec_b64 s[74:75], vcc
	s_xor_b64 s[80:81], exec, s[74:75]
	s_cbranch_execz .LBB169_4516
; %bb.4515:
	v_trunc_f32_e32 v1, v36
	s_mov_b32 s74, 0x2f800000
	v_mul_f32_e64 v4, |v1|, s74
	v_floor_f32_e32 v4, v4
	s_mov_b32 s74, 0xcf800000
	v_cvt_u32_f32_e32 v5, v4
	v_fma_f32 v4, v4, s74, |v1|
	v_cvt_u32_f32_e32 v4, v4
	v_ashrrev_i32_e32 v1, 31, v1
	v_xor_b32_e32 v5, v5, v1
                                        ; implicit-def: $vgpr36
	v_xor_b32_e32 v4, v4, v1
	v_sub_co_u32_e32 v4, vcc, v4, v1
	v_subb_co_u32_e32 v5, vcc, v5, v1, vcc
	flat_store_dwordx2 v[2:3], v[4:5]
                                        ; implicit-def: $vgpr2_vgpr3
.LBB169_4516:
	s_andn2_saveexec_b64 vcc, s[80:81]
	s_cbranch_execz .LBB169_4518
; %bb.4517:
	v_cvt_i32_f32_e32 v1, v36
	flat_store_dword v[2:3], v1
.LBB169_4518:
	s_or_b64 exec, exec, vcc
                                        ; implicit-def: $vgpr36
                                        ; implicit-def: $vgpr2_vgpr3
.LBB169_4519:
	s_andn2_saveexec_b64 vcc, s[82:83]
	s_cbranch_execz .LBB169_4521
; %bb.4520:
	v_cvt_i32_f32_e32 v1, v36
	flat_store_short v[2:3], v1
.LBB169_4521:
	s_or_b64 exec, exec, vcc
                                        ; implicit-def: $vgpr36
                                        ; implicit-def: $vgpr2_vgpr3
.LBB169_4522:
	s_andn2_saveexec_b64 vcc, s[84:85]
	s_cbranch_execz .LBB169_4528
; %bb.4523:
	v_mov_b32_e32 v1, 0
	v_cmp_gt_i16_sdwa s[74:75], v62, v1 src0_sel:BYTE_0 src1_sel:DWORD
	s_and_saveexec_b64 s[76:77], s[74:75]
	s_xor_b64 s[76:77], exec, s[76:77]
	s_cbranch_execz .LBB169_4525
; %bb.4524:
	v_cvt_i32_f32_e32 v1, v36
                                        ; implicit-def: $vgpr36
	flat_store_byte v[2:3], v1
                                        ; implicit-def: $vgpr2_vgpr3
.LBB169_4525:
	s_andn2_saveexec_b64 s[80:81], s[76:77]
	s_cbranch_execz .LBB169_4527
; %bb.4526:
	v_trunc_f32_e32 v1, v36
	s_mov_b32 s74, 0x2f800000
	v_mul_f32_e64 v4, |v1|, s74
	v_floor_f32_e32 v4, v4
	s_mov_b32 s74, 0xcf800000
	v_fma_f32 v4, v4, s74, |v1|
	v_cvt_u32_f32_e32 v4, v4
	v_ashrrev_i32_e32 v1, 31, v1
	v_xor_b32_e32 v4, v4, v1
	v_sub_u32_e32 v1, v4, v1
	flat_store_byte v[2:3], v1
.LBB169_4527:
	s_or_b64 exec, exec, s[80:81]
.LBB169_4528:
	s_or_b64 exec, exec, vcc
.LBB169_4529:
	s_or_b64 exec, exec, s[88:89]
	s_or_b64 s[4:5], s[4:5], exec
.LBB169_4530:
	s_or_b64 exec, exec, s[92:93]
	s_mov_b64 vcc, 0
	s_and_saveexec_b64 s[76:77], s[4:5]
; %bb.4531:
	s_mov_b64 vcc, exec
	v_add_u32_e32 v31, 0x200, v31
; %bb.4532:
	s_or_b64 exec, exec, s[76:77]
	v_readlane_b32 s4, v77, 46
	v_readlane_b32 s5, v77, 47
	s_andn2_b64 s[4:5], s[4:5], exec
	s_and_b64 s[74:75], s[90:91], exec
	s_or_b64 s[4:5], s[4:5], s[74:75]
	v_writelane_b32 v77, s4, 54
	v_writelane_b32 v77, s5, 55
	s_orn2_b64 s[82:83], vcc, exec
.LBB169_4533:
	s_or_b64 exec, exec, s[96:97]
	s_mov_b64 s[4:5], 0
	s_mov_b64 vcc, 0
	s_mov_b64 s[80:81], 0
                                        ; implicit-def: $vgpr4
                                        ; implicit-def: $vgpr2_vgpr3
	s_mov_b64 s[74:75], exec
	v_writelane_b32 v77, s74, 56
	v_writelane_b32 v77, s75, 57
	s_and_b64 s[74:75], s[74:75], s[82:83]
	s_mov_b64 exec, s[74:75]
	s_cbranch_execz .LBB169_4755
; %bb.4534:
	v_readlane_b32 s4, v77, 54
	v_readlane_b32 s5, v77, 55
	v_cmp_lt_i32_e32 vcc, v31, v72
	s_mov_b64 s[82:83], -1
	v_writelane_b32 v77, s4, 62
	v_writelane_b32 v77, s5, 63
	s_and_saveexec_b64 s[96:97], vcc
                                        ; implicit-def: $vgpr76 : SGPR spill to VGPR lane
	s_cbranch_execz .LBB169_4662
; %bb.4535:
	v_readlane_b32 s4, v78, 1
	v_add_u32_e32 v1, s4, v31
	v_mul_lo_u32 v1, v1, v63
	v_add_co_u32_e32 v2, vcc, v30, v1
	v_addc_co_u32_e32 v3, vcc, 0, v73, vcc
	v_mov_b32_e32 v1, 10
	v_readlane_b32 s90, v77, 54
	v_cmp_gt_i16_sdwa vcc, v62, v1 src0_sel:BYTE_0 src1_sel:DWORD
	s_mov_b64 s[4:5], 0
	v_readlane_b32 s91, v77, 55
	s_and_saveexec_b64 s[74:75], vcc
	s_xor_b64 s[74:75], exec, s[74:75]
	v_writelane_b32 v76, s74, 2
	v_writelane_b32 v76, s75, 3
	s_cbranch_execz .LBB169_4617
; %bb.4536:
	v_mov_b32_e32 v1, 25
	v_readlane_b32 s92, v77, 54
	v_cmp_gt_i16_sdwa s[4:5], v62, v1 src0_sel:BYTE_0 src1_sel:DWORD
	s_mov_b64 s[88:89], 0
	v_readlane_b32 s93, v77, 55
	s_and_saveexec_b64 vcc, s[4:5]
	s_xor_b64 s[90:91], exec, vcc
	s_cbranch_execz .LBB169_4572
; %bb.4537:
	v_mov_b32_e32 v1, 28
	v_readlane_b32 s92, v77, 54
	v_cmp_gt_i16_sdwa vcc, v62, v1 src0_sel:BYTE_0 src1_sel:DWORD
	s_mov_b64 s[4:5], 0
	v_readlane_b32 s93, v77, 55
	s_and_saveexec_b64 s[74:75], vcc
	s_xor_b64 s[88:89], exec, s[74:75]
	s_cbranch_execz .LBB169_4555
; %bb.4538:
	v_mov_b32_e32 v1, 43
	v_readlane_b32 vcc_lo, v77, 54
	v_cmp_gt_i16_sdwa s[74:75], v62, v1 src0_sel:BYTE_0 src1_sel:DWORD
	v_readlane_b32 vcc_hi, v77, 55
	s_and_saveexec_b64 s[76:77], s[74:75]
	s_xor_b64 s[76:77], exec, s[76:77]
	s_cbranch_execz .LBB169_4550
; %bb.4539:
	v_mov_b32_e32 v1, 45
	v_readlane_b32 s84, v77, 54
	v_cmp_gt_i16_sdwa s[4:5], v62, v1 src0_sel:BYTE_0 src1_sel:DWORD
	s_mov_b64 s[86:87], 0
	v_readlane_b32 s85, v77, 55
	s_and_saveexec_b64 vcc, s[4:5]
	s_xor_b64 s[4:5], exec, vcc
	s_cbranch_execz .LBB169_4543
; %bb.4540:
	v_mov_b32_e32 v1, 46
	v_cmp_eq_u16_sdwa s[74:75], v62, v1 src0_sel:BYTE_0 src1_sel:DWORD
	s_mov_b64 vcc, -1
	s_and_saveexec_b64 s[82:83], s[74:75]
	s_cbranch_execz .LBB169_4542
; %bb.4541:
	v_bfe_u32 v1, v34, 16, 1
	s_movk_i32 vcc_lo, 0x7fff
	v_add3_u32 v1, v34, v1, vcc_lo
	v_lshrrev_b32_e32 v1, 16, v1
	v_mov_b32_e32 v4, 0x7fc0
	v_cmp_o_f32_e32 vcc, v34, v34
	v_cndmask_b32_e32 v1, v4, v1, vcc
	s_mov_b64 s[80:81], exec
	flat_store_dword v[2:3], v1
	s_xor_b64 vcc, exec, -1
.LBB169_4542:
	s_or_b64 exec, exec, s[82:83]
	v_readlane_b32 s74, v77, 54
	v_readlane_b32 s75, v77, 55
	s_andn2_b64 s[74:75], s[74:75], exec
	s_and_b64 vcc, vcc, exec
	s_or_b64 s[84:85], s[74:75], vcc
	s_and_b64 s[86:87], s[80:81], exec
                                        ; implicit-def: $vgpr2_vgpr3
                                        ; implicit-def: $vgpr34
.LBB169_4543:
	s_andn2_saveexec_b64 s[92:93], s[4:5]
	s_cbranch_execz .LBB169_4549
; %bb.4544:
	v_mov_b32_e32 v1, 44
	v_cmp_eq_u16_sdwa s[74:75], v62, v1 src0_sel:BYTE_0 src1_sel:DWORD
	s_mov_b64 vcc, -1
	s_mov_b64 s[4:5], s[86:87]
	s_and_saveexec_b64 s[80:81], s[74:75]
	s_cbranch_execz .LBB169_4548
; %bb.4545:
	v_bfe_u32 v1, v34, 23, 8
	s_movk_i32 s4, 0xff
	v_cmp_ne_u32_e32 vcc, s4, v1
	v_mov_b32_e32 v4, 0xff
	s_and_saveexec_b64 s[82:83], vcc
; %bb.4546:
	s_mov_b32 s4, 0x3fffff
	v_and_b32_e32 v5, 0x400000, v34
	v_and_or_b32 v1, v34, s4, v1
	v_cmp_ne_u32_e32 vcc, 0, v5
	v_cmp_ne_u32_e64 s[4:5], 0, v1
	s_and_b64 s[4:5], vcc, s[4:5]
	v_lshrrev_b32_e32 v4, 23, v34
	v_cndmask_b32_e64 v1, 0, 1, s[4:5]
	v_add_u32_e32 v4, v4, v1
; %bb.4547:
	s_or_b64 exec, exec, s[82:83]
	s_xor_b64 vcc, exec, -1
	s_or_b64 s[4:5], s[86:87], exec
	flat_store_byte v[2:3], v4
.LBB169_4548:
	s_or_b64 exec, exec, s[80:81]
	s_andn2_b64 s[74:75], s[84:85], exec
	s_and_b64 vcc, vcc, exec
	s_or_b64 s[84:85], s[74:75], vcc
	s_andn2_b64 vcc, s[86:87], exec
	s_and_b64 s[4:5], s[4:5], exec
	s_or_b64 s[86:87], vcc, s[4:5]
.LBB169_4549:
	s_or_b64 exec, exec, s[92:93]
	v_readlane_b32 s4, v77, 54
	v_readlane_b32 s5, v77, 55
	s_andn2_b64 s[4:5], s[4:5], exec
	s_and_b64 vcc, s[84:85], exec
	s_or_b64 vcc, s[4:5], vcc
	s_and_b64 s[4:5], s[86:87], exec
                                        ; implicit-def: $vgpr34
                                        ; implicit-def: $vgpr2_vgpr3
.LBB169_4550:
	s_andn2_saveexec_b64 s[82:83], s[76:77]
	s_cbranch_execz .LBB169_4554
; %bb.4551:
	v_mov_b32_e32 v1, 29
	v_cmp_eq_u16_sdwa s[74:75], v62, v1 src0_sel:BYTE_0 src1_sel:DWORD
	s_mov_b64 s[86:87], -1
	s_mov_b64 s[84:85], s[4:5]
	s_and_saveexec_b64 s[80:81], s[74:75]
	s_cbranch_execz .LBB169_4553
; %bb.4552:
	v_trunc_f32_e32 v1, v34
	v_mul_f32_e32 v4, 0x2f800000, v1
	v_floor_f32_e32 v4, v4
	v_fmac_f32_e32 v1, 0xcf800000, v4
	v_cvt_u32_f32_e32 v5, v4
	v_cvt_u32_f32_e32 v4, v1
	s_xor_b64 s[86:87], exec, -1
	s_or_b64 s[84:85], s[4:5], exec
	flat_store_dwordx2 v[2:3], v[4:5]
.LBB169_4553:
	s_or_b64 exec, exec, s[80:81]
	s_andn2_b64 vcc, vcc, exec
	s_and_b64 s[74:75], s[86:87], exec
	s_or_b64 vcc, vcc, s[74:75]
	s_andn2_b64 s[4:5], s[4:5], exec
	s_and_b64 s[74:75], s[84:85], exec
	s_or_b64 s[4:5], s[4:5], s[74:75]
.LBB169_4554:
	s_or_b64 exec, exec, s[82:83]
	v_readlane_b32 s74, v77, 54
	v_readlane_b32 s75, v77, 55
	s_andn2_b64 s[74:75], s[74:75], exec
	s_and_b64 vcc, vcc, exec
	s_or_b64 s[92:93], s[74:75], vcc
	s_and_b64 s[4:5], s[4:5], exec
                                        ; implicit-def: $vgpr2_vgpr3
                                        ; implicit-def: $vgpr34
.LBB169_4555:
	s_andn2_saveexec_b64 s[88:89], s[88:89]
	s_cbranch_execz .LBB169_4571
; %bb.4556:
	v_mov_b32_e32 v1, 26
	v_cmp_gt_i16_sdwa vcc, v62, v1 src0_sel:BYTE_0 src1_sel:DWORD
	s_and_saveexec_b64 s[74:75], vcc
	s_xor_b64 vcc, exec, s[74:75]
	s_cbranch_execz .LBB169_4562
; %bb.4557:
	v_cvt_u32_f32_e32 v1, v34
	v_mov_b32_e32 v4, 27
	v_cmp_gt_i16_sdwa s[74:75], v62, v4 src0_sel:BYTE_0 src1_sel:DWORD
	s_and_saveexec_b64 s[76:77], s[74:75]
	s_xor_b64 s[76:77], exec, s[76:77]
	s_cbranch_execz .LBB169_4559
; %bb.4558:
	flat_store_dword v[2:3], v1
                                        ; implicit-def: $vgpr2_vgpr3
                                        ; implicit-def: $vgpr1
.LBB169_4559:
	s_andn2_saveexec_b64 s[76:77], s[76:77]
	s_cbranch_execz .LBB169_4561
; %bb.4560:
	flat_store_short v[2:3], v1
.LBB169_4561:
	s_or_b64 exec, exec, s[76:77]
                                        ; implicit-def: $vgpr2_vgpr3
                                        ; implicit-def: $vgpr34
.LBB169_4562:
	s_andn2_saveexec_b64 s[86:87], vcc
	s_cbranch_execz .LBB169_4570
; %bb.4563:
	v_and_b32_e32 v1, 0x7fffffff, v34
	s_mov_b32 vcc_lo, 0x43800000
	v_cmp_gt_u32_e32 vcc, vcc_lo, v1
	v_mov_b32_e32 v4, 0x80
	s_and_saveexec_b64 s[84:85], vcc
	s_cbranch_execz .LBB169_4569
; %bb.4564:
	s_mov_b32 vcc_lo, 0x3bffffff
	v_cmp_lt_u32_e32 vcc, vcc_lo, v1
	s_mov_b64 s[82:83], 0
                                        ; implicit-def: $vgpr1
	s_and_saveexec_b64 s[74:75], vcc
	s_xor_b64 vcc, exec, s[74:75]
	s_cbranch_execnz .LBB169_7997
; %bb.4565:
	s_or_saveexec_b64 s[80:81], vcc
                                        ; implicit-def: $sgpr76
	s_xor_b64 exec, exec, s[80:81]
	s_cbranch_execnz .LBB169_7998
.LBB169_4566:
	s_or_b64 exec, exec, s[80:81]
	v_mov_b32_e32 v4, s76
	s_and_saveexec_b64 vcc, s[82:83]
.LBB169_4567:
	v_lshrrev_b32_e32 v4, 24, v34
	s_movk_i32 s74, 0x80
	v_and_or_b32 v4, v4, s74, v1
.LBB169_4568:
	s_or_b64 exec, exec, vcc
.LBB169_4569:
	s_or_b64 exec, exec, s[84:85]
	flat_store_byte v[2:3], v4
.LBB169_4570:
	s_or_b64 exec, exec, s[86:87]
	s_or_b64 s[4:5], s[4:5], exec
.LBB169_4571:
	s_or_b64 exec, exec, s[88:89]
	v_readlane_b32 vcc_lo, v77, 54
	v_readlane_b32 vcc_hi, v77, 55
	s_andn2_b64 vcc, vcc, exec
	s_and_b64 s[74:75], s[92:93], exec
	s_or_b64 s[92:93], vcc, s[74:75]
	s_and_b64 s[88:89], s[4:5], exec
                                        ; implicit-def: $vgpr34
                                        ; implicit-def: $vgpr2_vgpr3
.LBB169_4572:
	s_andn2_saveexec_b64 s[90:91], s[90:91]
	s_cbranch_execz .LBB169_4616
; %bb.4573:
	v_mov_b32_e32 v1, 22
	v_cmp_gt_i16_sdwa vcc, v62, v1 src0_sel:BYTE_0 src1_sel:DWORD
	s_mov_b64 s[4:5], s[88:89]
	s_and_saveexec_b64 s[74:75], vcc
	s_xor_b64 s[86:87], exec, s[74:75]
	s_cbranch_execz .LBB169_4605
; %bb.4574:
	v_mov_b32_e32 v1, 23
	v_cmp_gt_i16_sdwa s[4:5], v62, v1 src0_sel:BYTE_0 src1_sel:DWORD
	s_and_saveexec_b64 vcc, s[4:5]
	s_xor_b64 vcc, exec, vcc
	v_writelane_b32 v76, vcc_lo, 4
	v_writelane_b32 v76, vcc_hi, 5
	s_cbranch_execz .LBB169_4594
; %bb.4575:
	v_mov_b32_e32 v1, 24
	v_cmp_gt_i16_sdwa s[4:5], v62, v1 src0_sel:BYTE_0 src1_sel:DWORD
	s_and_saveexec_b64 vcc, s[4:5]
	s_xor_b64 s[4:5], exec, vcc
	s_cbranch_execz .LBB169_4583
; %bb.4576:
	v_and_b32_e32 v1, 0x7fffffff, v34
	s_mov_b32 vcc_lo, 0x47800000
	v_cmp_gt_u32_e32 vcc, vcc_lo, v1
	v_mov_b32_e32 v4, 0x80
	s_and_saveexec_b64 s[84:85], vcc
	s_cbranch_execz .LBB169_4582
; %bb.4577:
	s_mov_b32 vcc_lo, 0x37ffffff
	v_cmp_lt_u32_e32 vcc, vcc_lo, v1
	s_mov_b64 s[82:83], 0
                                        ; implicit-def: $vgpr1
	s_and_saveexec_b64 s[74:75], vcc
	s_xor_b64 vcc, exec, s[74:75]
	s_cbranch_execnz .LBB169_7999
; %bb.4578:
	s_or_saveexec_b64 s[80:81], vcc
                                        ; implicit-def: $sgpr76
	s_xor_b64 exec, exec, s[80:81]
	s_cbranch_execnz .LBB169_8000
.LBB169_4579:
	s_or_b64 exec, exec, s[80:81]
	v_mov_b32_e32 v4, s76
	s_and_saveexec_b64 vcc, s[82:83]
.LBB169_4580:
	v_lshrrev_b32_e32 v4, 24, v34
	s_movk_i32 s74, 0x80
	v_and_or_b32 v4, v4, s74, v1
.LBB169_4581:
	s_or_b64 exec, exec, vcc
.LBB169_4582:
	s_or_b64 exec, exec, s[84:85]
	flat_store_byte v[2:3], v4
                                        ; implicit-def: $vgpr34
                                        ; implicit-def: $vgpr2_vgpr3
.LBB169_4583:
	s_andn2_saveexec_b64 s[4:5], s[4:5]
	s_cbranch_execz .LBB169_4593
; %bb.4584:
	v_and_b32_e32 v4, 0x7fffffff, v34
	s_mov_b32 vcc_lo, 0x43f00000
	v_cmp_gt_u32_e32 vcc, vcc_lo, v4
                                        ; implicit-def: $vgpr1
	s_and_saveexec_b64 s[74:75], vcc
	s_xor_b64 s[80:81], exec, s[74:75]
	s_cbranch_execz .LBB169_4590
; %bb.4585:
	s_mov_b32 vcc_lo, 0x3c7fffff
	v_cmp_lt_u32_e32 vcc, vcc_lo, v4
                                        ; implicit-def: $vgpr1
	s_and_saveexec_b64 s[74:75], vcc
	s_xor_b64 s[78:79], exec, s[74:75]
; %bb.4586:
	v_bfe_u32 v1, v34, 20, 1
	s_mov_b32 vcc_lo, 0x407ffff
	v_add3_u32 v1, v34, v1, vcc_lo
	v_lshrrev_b32_e32 v4, 20, v1
	v_and_b32_e32 v1, 0xff00000, v1
	s_mov_b32 vcc_lo, 0x7f00000
	v_mov_b32_e32 v5, 0x7e
	v_cmp_ne_u32_e32 vcc, vcc_lo, v1
	v_cndmask_b32_e32 v1, v5, v4, vcc
; %bb.4587:
	s_andn2_saveexec_b64 vcc, s[78:79]
; %bb.4588:
	s_mov_b32 s74, 0x46800000
	v_add_f32_e64 v1, |v34|, s74
; %bb.4589:
	s_or_b64 exec, exec, vcc
                                        ; implicit-def: $vgpr4
.LBB169_4590:
	s_andn2_saveexec_b64 s[80:81], s[80:81]
; %bb.4591:
	s_mov_b32 vcc_lo, 0x7f800000
	v_mov_b32_e32 v1, 0x7e
	v_mov_b32_e32 v5, 0x7f
	v_cmp_lt_u32_e32 vcc, vcc_lo, v4
	v_cndmask_b32_e32 v1, v1, v5, vcc
; %bb.4592:
	s_or_b64 exec, exec, s[80:81]
	v_lshrrev_b32_e32 v4, 24, v34
	s_movk_i32 vcc_lo, 0x80
	v_and_or_b32 v1, v4, vcc_lo, v1
	flat_store_byte v[2:3], v1
.LBB169_4593:
	s_or_b64 exec, exec, s[4:5]
                                        ; implicit-def: $vgpr34
                                        ; implicit-def: $vgpr2_vgpr3
.LBB169_4594:
	v_readlane_b32 s4, v76, 4
	v_readlane_b32 s5, v76, 5
	s_andn2_saveexec_b64 s[4:5], s[4:5]
	s_cbranch_execz .LBB169_4604
; %bb.4595:
	v_and_b32_e32 v4, 0x7fffffff, v34
	s_mov_b32 vcc_lo, 0x47800000
	v_cmp_gt_u32_e32 vcc, vcc_lo, v4
                                        ; implicit-def: $vgpr1
	s_and_saveexec_b64 s[74:75], vcc
	s_xor_b64 s[80:81], exec, s[74:75]
	s_cbranch_execz .LBB169_4601
; %bb.4596:
	s_mov_b32 vcc_lo, 0x387fffff
	v_cmp_lt_u32_e32 vcc, vcc_lo, v4
                                        ; implicit-def: $vgpr1
	s_and_saveexec_b64 s[74:75], vcc
	s_xor_b64 vcc, exec, s[74:75]
; %bb.4597:
	v_bfe_u32 v1, v34, 21, 1
	s_mov_b32 s74, 0x80fffff
	v_add3_u32 v1, v34, v1, s74
	v_lshrrev_b32_e32 v1, 21, v1
; %bb.4598:
	s_andn2_saveexec_b64 vcc, vcc
; %bb.4599:
	s_mov_b32 s74, 0x43000000
	v_add_f32_e64 v1, |v34|, s74
; %bb.4600:
	s_or_b64 exec, exec, vcc
                                        ; implicit-def: $vgpr4
.LBB169_4601:
	s_andn2_saveexec_b64 s[80:81], s[80:81]
; %bb.4602:
	s_mov_b32 vcc_lo, 0x7f800000
	v_mov_b32_e32 v1, 0x7c
	v_mov_b32_e32 v5, 0x7f
	v_cmp_lt_u32_e32 vcc, vcc_lo, v4
	v_cndmask_b32_e32 v1, v1, v5, vcc
; %bb.4603:
	s_or_b64 exec, exec, s[80:81]
	v_lshrrev_b32_e32 v4, 24, v34
	s_movk_i32 vcc_lo, 0x80
	v_and_or_b32 v1, v4, vcc_lo, v1
	flat_store_byte v[2:3], v1
.LBB169_4604:
	s_or_b64 exec, exec, s[4:5]
	s_or_b64 s[4:5], s[88:89], exec
                                        ; implicit-def: $vgpr34
                                        ; implicit-def: $vgpr2_vgpr3
.LBB169_4605:
	s_or_saveexec_b64 s[86:87], s[86:87]
	s_mov_b64 vcc, s[92:93]
	s_xor_b64 exec, exec, s[86:87]
	s_cbranch_execz .LBB169_4615
; %bb.4606:
	v_mov_b32_e32 v1, 14
	v_cmp_gt_i16_sdwa vcc, v62, v1 src0_sel:BYTE_0 src1_sel:DWORD
	s_mov_b64 s[84:85], s[4:5]
	s_mov_b64 s[82:83], s[92:93]
	s_and_saveexec_b64 s[74:75], vcc
	s_xor_b64 s[80:81], exec, s[74:75]
	s_cbranch_execz .LBB169_4610
; %bb.4607:
	v_mov_b32_e32 v1, 15
	v_cmp_eq_u16_sdwa s[74:75], v62, v1 src0_sel:BYTE_0 src1_sel:DWORD
	s_mov_b64 s[78:79], -1
	s_mov_b64 vcc, s[4:5]
	s_and_saveexec_b64 s[82:83], s[74:75]
	s_cbranch_execz .LBB169_4609
; %bb.4608:
	v_bfe_u32 v1, v34, 16, 1
	s_movk_i32 vcc_lo, 0x7fff
	v_add3_u32 v1, v34, v1, vcc_lo
	v_lshrrev_b32_e32 v1, 16, v1
	v_mov_b32_e32 v4, 0x7fc0
	v_cmp_o_f32_e32 vcc, v34, v34
	v_cndmask_b32_e32 v1, v4, v1, vcc
	flat_store_short v[2:3], v1
	s_xor_b64 s[78:79], exec, -1
	s_or_b64 vcc, s[4:5], exec
.LBB169_4609:
	s_or_b64 exec, exec, s[82:83]
	s_andn2_b64 s[74:75], s[92:93], exec
	s_and_b64 s[76:77], s[78:79], exec
	s_or_b64 s[82:83], s[74:75], s[76:77]
	s_andn2_b64 s[74:75], s[4:5], exec
	s_and_b64 vcc, vcc, exec
	s_or_b64 s[84:85], s[74:75], vcc
                                        ; implicit-def: $vgpr34
                                        ; implicit-def: $vgpr2_vgpr3
.LBB169_4610:
	s_andn2_saveexec_b64 s[80:81], s[80:81]
	s_cbranch_execz .LBB169_4614
; %bb.4611:
	v_mov_b32_e32 v1, 11
	v_cmp_eq_u16_sdwa s[74:75], v62, v1 src0_sel:BYTE_0 src1_sel:DWORD
	s_mov_b64 s[78:79], -1
	s_mov_b64 vcc, s[84:85]
	s_and_saveexec_b64 s[76:77], s[74:75]
	s_cbranch_execz .LBB169_4613
; %bb.4612:
	v_cmp_neq_f32_e32 vcc, 0, v34
	v_cndmask_b32_e64 v1, 0, 1, vcc
	flat_store_byte v[2:3], v1
	s_xor_b64 s[78:79], exec, -1
	s_or_b64 vcc, s[84:85], exec
.LBB169_4613:
	s_or_b64 exec, exec, s[76:77]
	s_andn2_b64 s[74:75], s[82:83], exec
	s_and_b64 s[76:77], s[78:79], exec
	s_or_b64 s[82:83], s[74:75], s[76:77]
	s_andn2_b64 s[74:75], s[84:85], exec
	s_and_b64 vcc, vcc, exec
	s_or_b64 s[84:85], s[74:75], vcc
.LBB169_4614:
	s_or_b64 exec, exec, s[80:81]
	s_andn2_b64 vcc, s[92:93], exec
	s_and_b64 s[74:75], s[82:83], exec
	s_or_b64 vcc, vcc, s[74:75]
	s_andn2_b64 s[4:5], s[4:5], exec
	s_and_b64 s[74:75], s[84:85], exec
	s_or_b64 s[4:5], s[4:5], s[74:75]
.LBB169_4615:
	s_or_b64 exec, exec, s[86:87]
	s_andn2_b64 s[74:75], s[92:93], exec
	s_and_b64 vcc, vcc, exec
	s_or_b64 s[92:93], s[74:75], vcc
	s_andn2_b64 vcc, s[88:89], exec
	s_and_b64 s[4:5], s[4:5], exec
	s_or_b64 s[88:89], vcc, s[4:5]
.LBB169_4616:
	s_or_b64 exec, exec, s[90:91]
	v_readlane_b32 s4, v77, 54
	v_readlane_b32 s5, v77, 55
	s_andn2_b64 s[4:5], s[4:5], exec
	s_and_b64 vcc, s[92:93], exec
	s_or_b64 s[90:91], s[4:5], vcc
	s_and_b64 s[4:5], s[88:89], exec
                                        ; implicit-def: $vgpr34
                                        ; implicit-def: $vgpr2_vgpr3
.LBB169_4617:
	v_readlane_b32 vcc_lo, v76, 2
	v_readlane_b32 vcc_hi, v76, 3
	s_andn2_saveexec_b64 s[92:93], vcc
	s_cbranch_execz .LBB169_4659
; %bb.4618:
	v_mov_b32_e32 v1, 4
	v_cmp_gt_i16_sdwa vcc, v62, v1 src0_sel:BYTE_0 src1_sel:DWORD
	s_and_saveexec_b64 s[74:75], vcc
	s_xor_b64 vcc, exec, s[74:75]
	s_cbranch_execz .LBB169_4640
; %bb.4619:
	v_mov_b32_e32 v1, 7
	v_cmp_gt_i16_sdwa s[74:75], v62, v1 src0_sel:BYTE_0 src1_sel:DWORD
	s_and_saveexec_b64 s[76:77], s[74:75]
	s_xor_b64 s[84:85], exec, s[76:77]
	s_cbranch_execz .LBB169_4629
; %bb.4620:
	v_mov_b32_e32 v1, 8
	v_cmp_gt_i16_sdwa s[74:75], v62, v1 src0_sel:BYTE_0 src1_sel:DWORD
	s_and_saveexec_b64 s[76:77], s[74:75]
	s_xor_b64 s[82:83], exec, s[76:77]
	;; [unrolled: 6-line block ×3, first 2 shown]
	s_cbranch_execz .LBB169_4623
; %bb.4622:
	v_mov_b32_e32 v6, 0
	v_cvt_f64_f32_e32 v[4:5], v34
	v_mov_b32_e32 v7, v6
	flat_store_dwordx4 v[2:3], v[4:7]
                                        ; implicit-def: $vgpr34
                                        ; implicit-def: $vgpr2_vgpr3
.LBB169_4623:
	s_andn2_saveexec_b64 s[76:77], s[78:79]
	s_cbranch_execz .LBB169_4625
; %bb.4624:
	v_mov_b32_e32 v35, 0
	flat_store_dwordx2 v[2:3], v[34:35]
.LBB169_4625:
	s_or_b64 exec, exec, s[76:77]
                                        ; implicit-def: $vgpr34
                                        ; implicit-def: $vgpr2_vgpr3
.LBB169_4626:
	s_andn2_saveexec_b64 s[76:77], s[82:83]
	s_cbranch_execz .LBB169_4628
; %bb.4627:
	v_cvt_f16_f32_e32 v1, v34
	flat_store_dword v[2:3], v1
.LBB169_4628:
	s_or_b64 exec, exec, s[76:77]
                                        ; implicit-def: $vgpr34
                                        ; implicit-def: $vgpr2_vgpr3
.LBB169_4629:
	s_andn2_saveexec_b64 s[82:83], s[84:85]
	s_cbranch_execz .LBB169_4639
; %bb.4630:
	v_mov_b32_e32 v1, 5
	v_cmp_gt_i16_sdwa s[74:75], v62, v1 src0_sel:BYTE_0 src1_sel:DWORD
	s_and_saveexec_b64 s[76:77], s[74:75]
	s_xor_b64 s[80:81], exec, s[76:77]
	s_cbranch_execz .LBB169_4636
; %bb.4631:
	v_mov_b32_e32 v1, 6
	v_cmp_gt_i16_sdwa s[74:75], v62, v1 src0_sel:BYTE_0 src1_sel:DWORD
	s_and_saveexec_b64 s[76:77], s[74:75]
	s_xor_b64 s[76:77], exec, s[76:77]
	s_cbranch_execz .LBB169_4633
; %bb.4632:
	v_cvt_f64_f32_e32 v[4:5], v34
	flat_store_dwordx2 v[2:3], v[4:5]
                                        ; implicit-def: $vgpr2_vgpr3
                                        ; implicit-def: $vgpr34
.LBB169_4633:
	s_andn2_saveexec_b64 s[76:77], s[76:77]
	s_cbranch_execz .LBB169_4635
; %bb.4634:
	flat_store_dword v[2:3], v34
.LBB169_4635:
	s_or_b64 exec, exec, s[76:77]
                                        ; implicit-def: $vgpr34
                                        ; implicit-def: $vgpr2_vgpr3
.LBB169_4636:
	s_andn2_saveexec_b64 s[76:77], s[80:81]
	s_cbranch_execz .LBB169_4638
; %bb.4637:
	v_cvt_f16_f32_e32 v1, v34
	flat_store_short v[2:3], v1
.LBB169_4638:
	s_or_b64 exec, exec, s[76:77]
.LBB169_4639:
	s_or_b64 exec, exec, s[82:83]
                                        ; implicit-def: $vgpr34
                                        ; implicit-def: $vgpr2_vgpr3
.LBB169_4640:
	s_andn2_saveexec_b64 s[88:89], vcc
	s_cbranch_execz .LBB169_4658
; %bb.4641:
	v_mov_b32_e32 v1, 1
	v_cmp_gt_i16_sdwa vcc, v62, v1 src0_sel:BYTE_0 src1_sel:DWORD
	s_and_saveexec_b64 s[74:75], vcc
	s_xor_b64 s[84:85], exec, s[74:75]
	s_cbranch_execz .LBB169_4651
; %bb.4642:
	v_mov_b32_e32 v1, 2
	v_cmp_gt_i16_sdwa vcc, v62, v1 src0_sel:BYTE_0 src1_sel:DWORD
	s_and_saveexec_b64 s[74:75], vcc
	s_xor_b64 s[82:83], exec, s[74:75]
	;; [unrolled: 6-line block ×3, first 2 shown]
	s_cbranch_execz .LBB169_4645
; %bb.4644:
	v_trunc_f32_e32 v1, v34
	s_mov_b32 s74, 0x2f800000
	v_mul_f32_e64 v4, |v1|, s74
	v_floor_f32_e32 v4, v4
	s_mov_b32 s74, 0xcf800000
	v_cvt_u32_f32_e32 v5, v4
	v_fma_f32 v4, v4, s74, |v1|
	v_cvt_u32_f32_e32 v4, v4
	v_ashrrev_i32_e32 v1, 31, v1
	v_xor_b32_e32 v5, v5, v1
                                        ; implicit-def: $vgpr34
	v_xor_b32_e32 v4, v4, v1
	v_sub_co_u32_e32 v4, vcc, v4, v1
	v_subb_co_u32_e32 v5, vcc, v5, v1, vcc
	flat_store_dwordx2 v[2:3], v[4:5]
                                        ; implicit-def: $vgpr2_vgpr3
.LBB169_4645:
	s_andn2_saveexec_b64 vcc, s[80:81]
	s_cbranch_execz .LBB169_4647
; %bb.4646:
	v_cvt_i32_f32_e32 v1, v34
	flat_store_dword v[2:3], v1
.LBB169_4647:
	s_or_b64 exec, exec, vcc
                                        ; implicit-def: $vgpr34
                                        ; implicit-def: $vgpr2_vgpr3
.LBB169_4648:
	s_andn2_saveexec_b64 vcc, s[82:83]
	s_cbranch_execz .LBB169_4650
; %bb.4649:
	v_cvt_i32_f32_e32 v1, v34
	flat_store_short v[2:3], v1
.LBB169_4650:
	s_or_b64 exec, exec, vcc
                                        ; implicit-def: $vgpr34
                                        ; implicit-def: $vgpr2_vgpr3
.LBB169_4651:
	s_andn2_saveexec_b64 vcc, s[84:85]
	s_cbranch_execz .LBB169_4657
; %bb.4652:
	v_mov_b32_e32 v1, 0
	v_cmp_gt_i16_sdwa s[74:75], v62, v1 src0_sel:BYTE_0 src1_sel:DWORD
	s_and_saveexec_b64 s[76:77], s[74:75]
	s_xor_b64 s[76:77], exec, s[76:77]
	s_cbranch_execz .LBB169_4654
; %bb.4653:
	v_cvt_i32_f32_e32 v1, v34
                                        ; implicit-def: $vgpr34
	flat_store_byte v[2:3], v1
                                        ; implicit-def: $vgpr2_vgpr3
.LBB169_4654:
	s_andn2_saveexec_b64 s[80:81], s[76:77]
	s_cbranch_execz .LBB169_4656
; %bb.4655:
	v_trunc_f32_e32 v1, v34
	s_mov_b32 s74, 0x2f800000
	v_mul_f32_e64 v4, |v1|, s74
	v_floor_f32_e32 v4, v4
	s_mov_b32 s74, 0xcf800000
	v_fma_f32 v4, v4, s74, |v1|
	v_cvt_u32_f32_e32 v4, v4
	v_ashrrev_i32_e32 v1, 31, v1
	v_xor_b32_e32 v4, v4, v1
	v_sub_u32_e32 v1, v4, v1
	flat_store_byte v[2:3], v1
.LBB169_4656:
	s_or_b64 exec, exec, s[80:81]
.LBB169_4657:
	s_or_b64 exec, exec, vcc
.LBB169_4658:
	s_or_b64 exec, exec, s[88:89]
	s_or_b64 s[4:5], s[4:5], exec
.LBB169_4659:
	s_or_b64 exec, exec, s[92:93]
	s_mov_b64 vcc, 0
	s_and_saveexec_b64 s[76:77], s[4:5]
; %bb.4660:
	s_mov_b64 vcc, exec
	v_add_u32_e32 v31, 0x200, v31
; %bb.4661:
	s_or_b64 exec, exec, s[76:77]
	v_readlane_b32 s4, v77, 54
	v_readlane_b32 s5, v77, 55
	s_andn2_b64 s[4:5], s[4:5], exec
	s_and_b64 s[74:75], s[90:91], exec
	s_or_b64 s[4:5], s[4:5], s[74:75]
	v_writelane_b32 v77, s4, 62
	v_writelane_b32 v77, s5, 63
	s_orn2_b64 s[82:83], vcc, exec
.LBB169_4662:
	s_or_b64 exec, exec, s[96:97]
	s_mov_b64 s[4:5], 0
	s_mov_b64 vcc, 0
	s_mov_b64 s[80:81], 0
                                        ; implicit-def: $vgpr4
                                        ; implicit-def: $vgpr2_vgpr3
	s_mov_b64 s[74:75], exec
	v_writelane_b32 v76, s74, 0
	v_writelane_b32 v76, s75, 1
	s_and_b64 s[74:75], s[74:75], s[82:83]
	s_mov_b64 exec, s[74:75]
	s_cbranch_execz .LBB169_4754
; %bb.4663:
	v_readlane_b32 s96, v77, 62
	s_mov_b64 s[82:83], -1
	v_readlane_b32 s97, v77, 63
	v_cmp_lt_i32_e32 vcc, v31, v72
	s_mov_b64 s[4:5], exec
	v_writelane_b32 v76, s4, 6
	v_writelane_b32 v76, s5, 7
	s_and_b64 s[4:5], s[4:5], vcc
	s_mov_b64 exec, s[4:5]
	s_cbranch_execz .LBB169_4669
; %bb.4664:
	v_readlane_b32 s4, v78, 1
	v_add_u32_e32 v1, s4, v31
	v_mul_lo_u32 v1, v1, v63
	v_add_co_u32_e32 v2, vcc, v30, v1
	v_addc_co_u32_e32 v3, vcc, 0, v73, vcc
	v_mov_b32_e32 v1, 10
	v_readlane_b32 s90, v77, 62
	v_cmp_gt_i16_sdwa vcc, v62, v1 src0_sel:BYTE_0 src1_sel:DWORD
	s_mov_b64 s[4:5], 0
	v_readlane_b32 s91, v77, 63
	s_and_saveexec_b64 s[74:75], vcc
	s_xor_b64 s[96:97], exec, s[74:75]
	s_cbranch_execnz .LBB169_7859
; %bb.4665:
	s_andn2_saveexec_b64 s[92:93], s[96:97]
	s_cbranch_execnz .LBB169_7940
.LBB169_4666:
	s_or_b64 exec, exec, s[92:93]
	s_mov_b64 vcc, 0
	s_and_saveexec_b64 s[76:77], s[4:5]
.LBB169_4667:
	s_mov_b64 vcc, exec
	v_add_u32_e32 v31, 0x200, v31
.LBB169_4668:
	s_or_b64 exec, exec, s[76:77]
	v_readlane_b32 s4, v77, 62
	v_readlane_b32 s5, v77, 63
	s_andn2_b64 s[4:5], s[4:5], exec
	s_and_b64 s[74:75], s[90:91], exec
	s_or_b64 s[96:97], s[4:5], s[74:75]
	s_orn2_b64 s[82:83], vcc, exec
.LBB169_4669:
	v_readlane_b32 s4, v76, 6
	v_readlane_b32 s5, v76, 7
	s_or_b64 exec, exec, s[4:5]
	s_mov_b64 s[4:5], 0
	s_mov_b64 vcc, 0
	s_mov_b64 s[80:81], 0
                                        ; implicit-def: $vgpr4
                                        ; implicit-def: $vgpr2_vgpr3
	s_mov_b64 s[74:75], exec
	s_mov_b64 s[90:91], s[74:75]
	s_and_b64 s[74:75], s[74:75], s[82:83]
	s_mov_b64 exec, s[74:75]
	s_cbranch_execz .LBB169_4753
; %bb.4670:
	s_mov_b64 s[80:81], -1
	s_mov_b64 s[82:83], s[96:97]
	s_mov_b64 s[84:85], 0
	v_cmp_lt_i32_e32 vcc, v31, v72
                                        ; implicit-def: $vgpr4
                                        ; implicit-def: $vgpr2_vgpr3
	s_mov_b64 s[74:75], exec
	v_writelane_b32 v76, s74, 10
	s_and_b64 vcc, s[74:75], vcc
	v_writelane_b32 v76, s75, 11
	s_mov_b64 exec, vcc
	s_cbranch_execz .LBB169_4752
; %bb.4671:
	v_readlane_b32 s4, v78, 1
	v_add_u32_e32 v1, s4, v31
	v_mul_lo_u32 v1, v1, v63
	v_add_co_u32_e32 v2, vcc, v30, v1
	v_addc_co_u32_e32 v3, vcc, 0, v73, vcc
	v_and_b32_e32 v4, 0xff, v62
	s_mov_b64 s[84:85], -1
	s_mov_b64 s[82:83], 0
	s_mov_b64 s[86:87], s[96:97]
	;; [unrolled: 1-line block ×3, first 2 shown]
	v_cmp_lt_i16_e32 vcc, 10, v4
	s_mov_b64 s[4:5], exec
	v_writelane_b32 v76, s4, 12
	v_writelane_b32 v76, s5, 13
	s_and_b64 s[4:5], s[4:5], vcc
	s_mov_b64 exec, s[4:5]
	s_cbranch_execz .LBB169_4751
; %bb.4672:
	s_mov_b64 s[4:5], 0
	v_writelane_b32 v76, s4, 14
	v_writelane_b32 v76, s5, 15
	s_mov_b64 s[74:75], 0
	v_cmp_lt_i16_e32 vcc, 25, v4
	s_mov_b64 s[4:5], s[96:97]
	v_writelane_b32 v76, s74, 16
	v_writelane_b32 v76, s75, 17
	s_and_saveexec_b64 s[74:75], vcc
	s_xor_b64 s[92:93], exec, s[74:75]
	s_cbranch_execz .LBB169_4708
; %bb.4673:
	v_cmp_lt_i16_e32 vcc, 28, v4
	s_mov_b64 s[4:5], 0
	s_mov_b64 s[88:89], s[96:97]
	s_and_saveexec_b64 s[74:75], vcc
	s_xor_b64 s[76:77], exec, s[74:75]
	s_cbranch_execz .LBB169_4691
; %bb.4674:
	v_cmp_lt_i16_e32 vcc, 43, v4
	s_mov_b64 s[84:85], s[96:97]
	s_and_saveexec_b64 s[74:75], vcc
	s_xor_b64 s[74:75], exec, s[74:75]
	v_writelane_b32 v76, s74, 20
	v_writelane_b32 v76, s75, 21
	s_cbranch_execz .LBB169_4686
; %bb.4675:
	v_cmp_lt_i16_e32 vcc, 45, v4
	s_mov_b64 s[84:85], 0
	s_mov_b64 s[86:87], s[96:97]
	s_and_saveexec_b64 s[4:5], vcc
	s_xor_b64 s[4:5], exec, s[4:5]
	s_cbranch_execz .LBB169_4679
; %bb.4676:
	v_cmp_eq_u16_e32 vcc, 46, v4
	s_mov_b64 s[86:87], -1
	s_and_saveexec_b64 s[82:83], vcc
	s_cbranch_execz .LBB169_4678
; %bb.4677:
	v_bfe_u32 v1, v0, 16, 1
	s_movk_i32 vcc_lo, 0x7fff
	v_add3_u32 v1, v0, v1, vcc_lo
	v_lshrrev_b32_e32 v1, 16, v1
	v_mov_b32_e32 v5, 0x7fc0
	v_cmp_o_f32_e32 vcc, v0, v0
	v_cndmask_b32_e32 v1, v5, v1, vcc
	s_mov_b64 s[80:81], exec
	flat_store_dword v[2:3], v1
	s_xor_b64 s[86:87], exec, -1
.LBB169_4678:
	s_or_b64 exec, exec, s[82:83]
	s_andn2_b64 vcc, s[96:97], exec
	s_and_b64 s[74:75], s[86:87], exec
	s_and_b64 s[84:85], s[80:81], exec
	s_or_b64 s[86:87], vcc, s[74:75]
.LBB169_4679:
	s_andn2_saveexec_b64 s[88:89], s[4:5]
	s_cbranch_execz .LBB169_4685
; %bb.4680:
	v_cmp_eq_u16_e32 vcc, 44, v4
	s_mov_b64 s[4:5], -1
	s_mov_b64 s[78:79], s[84:85]
	s_and_saveexec_b64 s[80:81], vcc
	s_cbranch_execz .LBB169_4684
; %bb.4681:
	v_bfe_u32 v1, v0, 23, 8
	s_movk_i32 s4, 0xff
	v_cmp_ne_u32_e32 vcc, s4, v1
	v_mov_b32_e32 v5, 0xff
	s_and_saveexec_b64 s[82:83], vcc
; %bb.4682:
	s_mov_b32 s4, 0x3fffff
	v_and_b32_e32 v6, 0x400000, v0
	v_and_or_b32 v1, v0, s4, v1
	v_cmp_ne_u32_e32 vcc, 0, v6
	v_cmp_ne_u32_e64 s[4:5], 0, v1
	s_and_b64 s[4:5], vcc, s[4:5]
	v_lshrrev_b32_e32 v5, 23, v0
	v_cndmask_b32_e64 v1, 0, 1, s[4:5]
	v_add_u32_e32 v5, v5, v1
; %bb.4683:
	s_or_b64 exec, exec, s[82:83]
	s_or_b64 s[78:79], s[84:85], exec
	s_xor_b64 s[4:5], exec, -1
	flat_store_byte v[2:3], v5
.LBB169_4684:
	s_or_b64 exec, exec, s[80:81]
	s_andn2_b64 vcc, s[84:85], exec
	s_and_b64 s[74:75], s[78:79], exec
	s_or_b64 s[84:85], vcc, s[74:75]
	s_andn2_b64 vcc, s[86:87], exec
	s_and_b64 s[4:5], s[4:5], exec
	s_or_b64 s[86:87], vcc, s[4:5]
.LBB169_4685:
	s_or_b64 exec, exec, s[88:89]
	s_andn2_b64 vcc, s[96:97], exec
	s_and_b64 s[74:75], s[86:87], exec
	s_and_b64 s[4:5], s[84:85], exec
	s_or_b64 s[84:85], vcc, s[74:75]
.LBB169_4686:
	v_readlane_b32 vcc_lo, v76, 20
	v_readlane_b32 vcc_hi, v76, 21
	s_andn2_saveexec_b64 s[82:83], vcc
	s_cbranch_execz .LBB169_4690
; %bb.4687:
	v_cmp_eq_u16_e32 vcc, 29, v4
	s_mov_b64 s[86:87], -1
	s_mov_b64 s[78:79], s[4:5]
	s_and_saveexec_b64 s[80:81], vcc
	s_cbranch_execz .LBB169_4689
; %bb.4688:
	v_trunc_f32_e32 v1, v0
	v_mul_f32_e32 v5, 0x2f800000, v1
	v_floor_f32_e32 v5, v5
	v_fmac_f32_e32 v1, 0xcf800000, v5
	v_cvt_u32_f32_e32 v7, v5
	v_cvt_u32_f32_e32 v6, v1
	s_or_b64 s[78:79], s[4:5], exec
	s_xor_b64 s[86:87], exec, -1
	flat_store_dwordx2 v[2:3], v[6:7]
.LBB169_4689:
	s_or_b64 exec, exec, s[80:81]
	s_andn2_b64 s[4:5], s[4:5], exec
	s_and_b64 vcc, s[78:79], exec
	s_or_b64 s[4:5], s[4:5], vcc
	s_andn2_b64 vcc, s[84:85], exec
	s_and_b64 s[74:75], s[86:87], exec
	s_or_b64 s[84:85], vcc, s[74:75]
.LBB169_4690:
	s_or_b64 exec, exec, s[82:83]
	s_andn2_b64 vcc, s[96:97], exec
	s_and_b64 s[74:75], s[84:85], exec
	s_and_b64 s[4:5], s[4:5], exec
	s_or_b64 s[88:89], vcc, s[74:75]
.LBB169_4691:
	s_andn2_saveexec_b64 s[78:79], s[76:77]
	s_cbranch_execz .LBB169_4707
; %bb.4692:
	v_cmp_lt_i16_e32 vcc, 26, v4
	s_and_saveexec_b64 s[74:75], vcc
	s_xor_b64 s[80:81], exec, s[74:75]
	s_cbranch_execz .LBB169_4698
; %bb.4693:
	v_cvt_u32_f32_e32 v1, v0
	v_cmp_lt_i16_e32 vcc, 27, v4
	s_and_saveexec_b64 s[74:75], vcc
	s_xor_b64 vcc, exec, s[74:75]
	s_cbranch_execz .LBB169_4695
; %bb.4694:
	flat_store_dword v[2:3], v1
                                        ; implicit-def: $vgpr1
.LBB169_4695:
	s_andn2_saveexec_b64 vcc, vcc
	s_cbranch_execz .LBB169_4697
; %bb.4696:
	flat_store_short v[2:3], v1
.LBB169_4697:
	s_or_b64 exec, exec, vcc
.LBB169_4698:
	s_andn2_saveexec_b64 s[84:85], s[80:81]
	s_cbranch_execz .LBB169_4706
; %bb.4699:
	v_and_b32_e32 v1, 0x7fffffff, v0
	s_mov_b32 vcc_lo, 0x43800000
	v_cmp_gt_u32_e32 vcc, vcc_lo, v1
	v_mov_b32_e32 v5, 0x80
	s_and_saveexec_b64 s[86:87], vcc
	s_cbranch_execz .LBB169_4705
; %bb.4700:
	s_mov_b32 vcc_lo, 0x3bffffff
	v_cmp_lt_u32_e32 vcc, vcc_lo, v1
	s_mov_b64 s[82:83], 0
                                        ; implicit-def: $vgpr1
	s_and_saveexec_b64 s[74:75], vcc
	s_xor_b64 vcc, exec, s[74:75]
	s_cbranch_execnz .LBB169_8003
; %bb.4701:
	s_or_saveexec_b64 s[80:81], vcc
                                        ; implicit-def: $sgpr76
	s_xor_b64 exec, exec, s[80:81]
	s_cbranch_execnz .LBB169_8004
.LBB169_4702:
	s_or_b64 exec, exec, s[80:81]
	v_mov_b32_e32 v5, s76
	s_and_saveexec_b64 vcc, s[82:83]
.LBB169_4703:
	v_lshrrev_b32_e32 v5, 24, v0
	s_movk_i32 s74, 0x80
	v_and_or_b32 v5, v5, s74, v1
.LBB169_4704:
	s_or_b64 exec, exec, vcc
.LBB169_4705:
	s_or_b64 exec, exec, s[86:87]
	flat_store_byte v[2:3], v5
.LBB169_4706:
	s_or_b64 exec, exec, s[84:85]
	s_or_b64 s[4:5], s[4:5], exec
.LBB169_4707:
	s_or_b64 exec, exec, s[78:79]
	s_and_b64 s[4:5], s[4:5], exec
	v_writelane_b32 v76, s4, 16
	v_writelane_b32 v76, s5, 17
	s_andn2_b64 s[4:5], s[96:97], exec
	s_and_b64 vcc, s[88:89], exec
	s_or_b64 s[4:5], s[4:5], vcc
.LBB169_4708:
	s_or_saveexec_b64 vcc, s[92:93]
	v_writelane_b32 v76, vcc_lo, 18
	v_writelane_b32 v76, vcc_hi, 19
	s_xor_b64 exec, exec, vcc
	s_cbranch_execz .LBB169_4750
; %bb.4709:
	v_readlane_b32 s86, v76, 16
	v_cmp_lt_i16_e32 vcc, 22, v4
	v_readlane_b32 s87, v76, 17
	s_and_saveexec_b64 s[74:75], vcc
	s_xor_b64 s[88:89], exec, s[74:75]
	s_cbranch_execz .LBB169_4741
; %bb.4710:
	v_cmp_lt_i16_e32 vcc, 23, v4
	s_and_saveexec_b64 s[74:75], vcc
	s_xor_b64 s[92:93], exec, s[74:75]
	s_cbranch_execz .LBB169_4730
; %bb.4711:
	v_cmp_lt_i16_e32 vcc, 24, v4
	s_and_saveexec_b64 s[74:75], vcc
	s_xor_b64 s[84:85], exec, s[74:75]
	s_cbranch_execz .LBB169_4719
; %bb.4712:
	v_and_b32_e32 v1, 0x7fffffff, v0
	s_mov_b32 vcc_lo, 0x47800000
	v_cmp_gt_u32_e32 vcc, vcc_lo, v1
	v_mov_b32_e32 v5, 0x80
	s_and_saveexec_b64 s[86:87], vcc
	s_cbranch_execz .LBB169_4718
; %bb.4713:
	s_mov_b32 vcc_lo, 0x37ffffff
	v_cmp_lt_u32_e32 vcc, vcc_lo, v1
	s_mov_b64 s[82:83], 0
                                        ; implicit-def: $vgpr1
	s_and_saveexec_b64 s[74:75], vcc
	s_xor_b64 vcc, exec, s[74:75]
	s_cbranch_execnz .LBB169_8007
; %bb.4714:
	s_or_saveexec_b64 s[80:81], vcc
                                        ; implicit-def: $sgpr76
	s_xor_b64 exec, exec, s[80:81]
	s_cbranch_execnz .LBB169_8008
.LBB169_4715:
	s_or_b64 exec, exec, s[80:81]
	v_mov_b32_e32 v5, s76
	s_and_saveexec_b64 vcc, s[82:83]
.LBB169_4716:
	v_lshrrev_b32_e32 v5, 24, v0
	s_movk_i32 s74, 0x80
	v_and_or_b32 v5, v5, s74, v1
.LBB169_4717:
	s_or_b64 exec, exec, vcc
.LBB169_4718:
	s_or_b64 exec, exec, s[86:87]
	flat_store_byte v[2:3], v5
.LBB169_4719:
	s_andn2_saveexec_b64 s[84:85], s[84:85]
	s_cbranch_execz .LBB169_4729
; %bb.4720:
	v_and_b32_e32 v5, 0x7fffffff, v0
	s_mov_b32 vcc_lo, 0x43f00000
	v_cmp_gt_u32_e32 vcc, vcc_lo, v5
                                        ; implicit-def: $vgpr1
	s_and_saveexec_b64 s[74:75], vcc
	s_xor_b64 s[80:81], exec, s[74:75]
	s_cbranch_execz .LBB169_4726
; %bb.4721:
	s_mov_b32 vcc_lo, 0x3c7fffff
	v_cmp_lt_u32_e32 vcc, vcc_lo, v5
                                        ; implicit-def: $vgpr1
	s_and_saveexec_b64 s[74:75], vcc
	s_xor_b64 s[78:79], exec, s[74:75]
; %bb.4722:
	v_bfe_u32 v1, v0, 20, 1
	s_mov_b32 vcc_lo, 0x407ffff
	v_add3_u32 v1, v0, v1, vcc_lo
	v_lshrrev_b32_e32 v5, 20, v1
	v_and_b32_e32 v1, 0xff00000, v1
	s_mov_b32 vcc_lo, 0x7f00000
	v_mov_b32_e32 v6, 0x7e
	v_cmp_ne_u32_e32 vcc, vcc_lo, v1
	v_cndmask_b32_e32 v1, v6, v5, vcc
; %bb.4723:
	s_andn2_saveexec_b64 vcc, s[78:79]
; %bb.4724:
	s_mov_b32 s74, 0x46800000
	v_add_f32_e64 v1, |v0|, s74
; %bb.4725:
	s_or_b64 exec, exec, vcc
                                        ; implicit-def: $vgpr5
.LBB169_4726:
	s_andn2_saveexec_b64 s[80:81], s[80:81]
; %bb.4727:
	s_mov_b32 vcc_lo, 0x7f800000
	v_mov_b32_e32 v1, 0x7e
	v_mov_b32_e32 v6, 0x7f
	v_cmp_lt_u32_e32 vcc, vcc_lo, v5
	v_cndmask_b32_e32 v1, v1, v6, vcc
; %bb.4728:
	s_or_b64 exec, exec, s[80:81]
	v_lshrrev_b32_e32 v5, 24, v0
	s_movk_i32 vcc_lo, 0x80
	v_and_or_b32 v1, v5, vcc_lo, v1
	flat_store_byte v[2:3], v1
.LBB169_4729:
	s_or_b64 exec, exec, s[84:85]
.LBB169_4730:
	s_andn2_saveexec_b64 s[84:85], s[92:93]
	s_cbranch_execz .LBB169_4740
; %bb.4731:
	v_and_b32_e32 v5, 0x7fffffff, v0
	s_mov_b32 vcc_lo, 0x47800000
	v_cmp_gt_u32_e32 vcc, vcc_lo, v5
                                        ; implicit-def: $vgpr1
	s_and_saveexec_b64 s[74:75], vcc
	s_xor_b64 s[80:81], exec, s[74:75]
	s_cbranch_execz .LBB169_4737
; %bb.4732:
	s_mov_b32 vcc_lo, 0x387fffff
	v_cmp_lt_u32_e32 vcc, vcc_lo, v5
                                        ; implicit-def: $vgpr1
	s_and_saveexec_b64 s[74:75], vcc
	s_xor_b64 vcc, exec, s[74:75]
; %bb.4733:
	v_bfe_u32 v1, v0, 21, 1
	s_mov_b32 s74, 0x80fffff
	v_add3_u32 v1, v0, v1, s74
	v_lshrrev_b32_e32 v1, 21, v1
; %bb.4734:
	s_andn2_saveexec_b64 vcc, vcc
; %bb.4735:
	s_mov_b32 s74, 0x43000000
	v_add_f32_e64 v1, |v0|, s74
; %bb.4736:
	s_or_b64 exec, exec, vcc
                                        ; implicit-def: $vgpr5
.LBB169_4737:
	s_andn2_saveexec_b64 s[80:81], s[80:81]
; %bb.4738:
	s_mov_b32 vcc_lo, 0x7f800000
	v_mov_b32_e32 v1, 0x7c
	v_mov_b32_e32 v6, 0x7f
	v_cmp_lt_u32_e32 vcc, vcc_lo, v5
	v_cndmask_b32_e32 v1, v1, v6, vcc
; %bb.4739:
	s_or_b64 exec, exec, s[80:81]
	v_lshrrev_b32_e32 v5, 24, v0
	s_movk_i32 vcc_lo, 0x80
	v_and_or_b32 v1, v5, vcc_lo, v1
	flat_store_byte v[2:3], v1
.LBB169_4740:
	s_or_b64 exec, exec, s[84:85]
	v_readlane_b32 vcc_lo, v76, 16
	v_readlane_b32 vcc_hi, v76, 17
	s_or_b64 s[86:87], vcc, exec
.LBB169_4741:
	s_or_saveexec_b64 s[88:89], s[88:89]
	s_mov_b64 vcc, 0
	s_mov_b64 s[80:81], s[4:5]
	s_xor_b64 exec, exec, s[88:89]
	s_cbranch_execz .LBB169_4749
; %bb.4742:
	v_cmp_lt_i16_e32 vcc, 14, v4
	s_mov_b64 s[82:83], s[4:5]
	s_mov_b64 s[84:85], s[86:87]
	s_and_saveexec_b64 s[74:75], vcc
	s_xor_b64 s[80:81], exec, s[74:75]
	s_cbranch_execz .LBB169_4746
; %bb.4743:
	v_cmp_eq_u16_e32 vcc, 15, v4
	s_mov_b64 s[92:93], -1
	s_mov_b64 s[78:79], s[86:87]
	s_and_saveexec_b64 s[82:83], vcc
	s_cbranch_execz .LBB169_4745
; %bb.4744:
	v_bfe_u32 v1, v0, 16, 1
	s_movk_i32 vcc_lo, 0x7fff
	v_add3_u32 v1, v0, v1, vcc_lo
	v_lshrrev_b32_e32 v1, 16, v1
	v_mov_b32_e32 v5, 0x7fc0
	v_cmp_o_f32_e32 vcc, v0, v0
	v_cndmask_b32_e32 v1, v5, v1, vcc
	flat_store_short v[2:3], v1
	s_or_b64 s[78:79], s[86:87], exec
	s_xor_b64 s[92:93], exec, -1
.LBB169_4745:
	s_or_b64 exec, exec, s[82:83]
	s_andn2_b64 vcc, s[86:87], exec
	s_and_b64 s[74:75], s[78:79], exec
	s_or_b64 s[84:85], vcc, s[74:75]
	s_andn2_b64 vcc, s[4:5], exec
	s_and_b64 s[74:75], s[92:93], exec
	s_or_b64 s[82:83], vcc, s[74:75]
.LBB169_4746:
	s_or_saveexec_b64 s[80:81], s[80:81]
	s_mov_b64 s[92:93], 0
	s_xor_b64 exec, exec, s[80:81]
; %bb.4747:
	v_cmp_ne_u16_e32 vcc, 11, v4
	s_andn2_b64 s[74:75], s[82:83], exec
	s_and_b64 vcc, vcc, exec
	s_mov_b64 s[92:93], exec
	s_or_b64 s[82:83], s[74:75], vcc
; %bb.4748:
	s_or_b64 exec, exec, s[80:81]
	s_andn2_b64 vcc, s[86:87], exec
	s_and_b64 s[76:77], s[84:85], exec
	s_or_b64 s[86:87], vcc, s[76:77]
	s_andn2_b64 s[76:77], s[4:5], exec
	s_and_b64 s[78:79], s[82:83], exec
	s_and_b64 vcc, s[92:93], exec
	s_or_b64 s[80:81], s[76:77], s[78:79]
.LBB169_4749:
	s_or_b64 exec, exec, s[88:89]
	v_readlane_b32 s74, v76, 16
	v_readlane_b32 s75, v76, 17
	s_andn2_b64 s[74:75], s[74:75], exec
	s_and_b64 s[76:77], s[86:87], exec
	s_or_b64 s[74:75], s[74:75], s[76:77]
	v_writelane_b32 v76, s74, 16
	v_writelane_b32 v76, s75, 17
	s_and_b64 vcc, vcc, exec
	v_writelane_b32 v76, vcc_lo, 14
	v_writelane_b32 v76, vcc_hi, 15
	s_andn2_b64 s[4:5], s[4:5], exec
	s_and_b64 vcc, s[80:81], exec
	s_or_b64 s[4:5], s[4:5], vcc
.LBB169_4750:
	v_readlane_b32 vcc_lo, v76, 18
	v_readlane_b32 vcc_hi, v76, 19
	s_or_b64 exec, exec, vcc
	v_readlane_b32 vcc_lo, v76, 16
	v_readlane_b32 vcc_hi, v76, 17
	s_and_b64 s[80:81], vcc, exec
	v_readlane_b32 vcc_lo, v76, 14
	v_readlane_b32 vcc_hi, v76, 15
	s_and_b64 s[82:83], vcc, exec
	s_andn2_b64 vcc, s[96:97], exec
	s_and_b64 s[4:5], s[4:5], exec
	s_xor_b64 s[84:85], exec, -1
	s_or_b64 s[86:87], vcc, s[4:5]
.LBB169_4751:
	v_readlane_b32 s4, v76, 12
	v_readlane_b32 s5, v76, 13
	s_or_b64 exec, exec, s[4:5]
	s_andn2_b64 vcc, s[96:97], exec
	s_and_b64 s[74:75], s[86:87], exec
	s_orn2_b64 s[80:81], s[80:81], exec
	s_and_b64 s[84:85], s[84:85], exec
	s_and_b64 s[4:5], s[82:83], exec
	s_or_b64 s[82:83], vcc, s[74:75]
.LBB169_4752:
	v_readlane_b32 vcc_lo, v76, 10
	v_readlane_b32 vcc_hi, v76, 11
	s_or_b64 exec, exec, vcc
	s_andn2_b64 s[74:75], s[96:97], exec
	s_and_b64 s[76:77], s[82:83], exec
	s_and_b64 s[80:81], s[80:81], exec
	s_and_b64 vcc, s[84:85], exec
	s_and_b64 s[4:5], s[4:5], exec
	s_or_b64 s[96:97], s[74:75], s[76:77]
.LBB169_4753:
	s_or_b64 exec, exec, s[90:91]
	v_readlane_b32 s74, v77, 62
	v_readlane_b32 s75, v77, 63
	s_andn2_b64 s[74:75], s[74:75], exec
	s_and_b64 s[76:77], s[96:97], exec
	s_or_b64 s[74:75], s[74:75], s[76:77]
	s_and_b64 s[80:81], s[80:81], exec
	s_and_b64 vcc, vcc, exec
	s_and_b64 s[4:5], s[4:5], exec
	v_writelane_b32 v77, s74, 62
	v_writelane_b32 v77, s75, 63
.LBB169_4754:
	v_readlane_b32 s74, v76, 0
	v_readlane_b32 s75, v76, 1
	s_or_b64 exec, exec, s[74:75]
	v_readlane_b32 s74, v77, 54
	v_readlane_b32 s76, v77, 62
	;; [unrolled: 1-line block ×4, first 2 shown]
	s_andn2_b64 s[74:75], s[74:75], exec
	s_and_b64 s[76:77], s[76:77], exec
	s_or_b64 s[74:75], s[74:75], s[76:77]
	s_and_b64 s[80:81], s[80:81], exec
	s_and_b64 vcc, vcc, exec
	s_and_b64 s[4:5], s[4:5], exec
	v_writelane_b32 v77, s74, 54
	v_writelane_b32 v77, s75, 55
.LBB169_4755:
	v_readlane_b32 s74, v77, 56
	v_readlane_b32 s75, v77, 57
	s_or_b64 exec, exec, s[74:75]
	v_readlane_b32 s74, v77, 46
	v_readlane_b32 s76, v77, 54
	;; [unrolled: 1-line block ×4, first 2 shown]
	s_andn2_b64 s[74:75], s[74:75], exec
	s_and_b64 s[76:77], s[76:77], exec
	s_or_b64 s[74:75], s[74:75], s[76:77]
	s_and_b64 s[80:81], s[80:81], exec
	s_and_b64 vcc, vcc, exec
	s_and_b64 s[4:5], s[4:5], exec
	v_writelane_b32 v77, s74, 46
	v_writelane_b32 v77, s75, 47
.LBB169_4756:
	v_readlane_b32 s74, v77, 48
	v_readlane_b32 s75, v77, 49
	s_or_b64 exec, exec, s[74:75]
	v_readlane_b32 s74, v77, 38
	v_readlane_b32 s76, v77, 46
	;; [unrolled: 1-line block ×4, first 2 shown]
	s_andn2_b64 s[74:75], s[74:75], exec
	s_and_b64 s[76:77], s[76:77], exec
	s_or_b64 s[74:75], s[74:75], s[76:77]
	s_and_b64 s[80:81], s[80:81], exec
	s_and_b64 vcc, vcc, exec
	s_and_b64 s[4:5], s[4:5], exec
	v_writelane_b32 v77, s74, 38
	v_writelane_b32 v77, s75, 39
.LBB169_4757:
	v_readlane_b32 s74, v77, 40
	v_readlane_b32 s75, v77, 41
	s_or_b64 exec, exec, s[74:75]
	v_readlane_b32 s74, v77, 30
	v_readlane_b32 s76, v77, 38
	;; [unrolled: 1-line block ×4, first 2 shown]
	s_andn2_b64 s[74:75], s[74:75], exec
	s_and_b64 s[76:77], s[76:77], exec
	s_or_b64 s[74:75], s[74:75], s[76:77]
	s_and_b64 s[80:81], s[80:81], exec
	s_and_b64 vcc, vcc, exec
	s_and_b64 s[4:5], s[4:5], exec
	v_writelane_b32 v77, s74, 30
	v_writelane_b32 v77, s75, 31
.LBB169_4758:
	v_readlane_b32 s74, v77, 32
	v_readlane_b32 s75, v77, 33
	s_or_b64 exec, exec, s[74:75]
	v_readlane_b32 s76, v77, 30
	v_readlane_b32 s77, v77, 31
	s_andn2_b64 s[74:75], s[94:95], exec
	s_and_b64 s[76:77], s[76:77], exec
	s_and_b64 s[80:81], s[80:81], exec
	s_and_b64 vcc, vcc, exec
	s_and_b64 s[4:5], s[4:5], exec
	s_or_b64 s[94:95], s[74:75], s[76:77]
.LBB169_4759:
	v_readlane_b32 s74, v77, 26
	v_readlane_b32 s75, v77, 27
	s_or_b64 exec, exec, s[74:75]
	v_readlane_b32 s74, v77, 22
	v_readlane_b32 s75, v77, 23
	s_andn2_b64 s[74:75], s[74:75], exec
	s_and_b64 s[76:77], s[94:95], exec
	s_or_b64 s[74:75], s[74:75], s[76:77]
	s_and_b64 s[80:81], s[80:81], exec
	s_and_b64 vcc, vcc, exec
	s_and_b64 s[4:5], s[4:5], exec
	v_writelane_b32 v77, s74, 22
	v_writelane_b32 v77, s75, 23
.LBB169_4760:
	v_readlane_b32 s74, v77, 24
	v_readlane_b32 s75, v77, 25
	s_or_b64 exec, exec, s[74:75]
	v_readlane_b32 s74, v77, 18
	v_readlane_b32 s76, v77, 22
	;; [unrolled: 1-line block ×4, first 2 shown]
	s_andn2_b64 s[74:75], s[74:75], exec
	s_and_b64 s[76:77], s[76:77], exec
	s_or_b64 s[74:75], s[74:75], s[76:77]
	s_and_b64 s[80:81], s[80:81], exec
	s_and_b64 vcc, vcc, exec
	s_and_b64 s[4:5], s[4:5], exec
	v_writelane_b32 v77, s74, 18
	v_writelane_b32 v77, s75, 19
.LBB169_4761:
	v_readlane_b32 s74, v77, 20
	v_readlane_b32 s75, v77, 21
	s_or_b64 exec, exec, s[74:75]
	v_readlane_b32 s74, v77, 14
	v_readlane_b32 s76, v77, 18
	v_readlane_b32 s75, v77, 15
	v_readlane_b32 s77, v77, 19
	s_andn2_b64 s[74:75], s[74:75], exec
	s_and_b64 s[76:77], s[76:77], exec
	s_or_b64 s[74:75], s[74:75], s[76:77]
	s_and_b64 s[80:81], s[80:81], exec
	s_and_b64 vcc, vcc, exec
	s_and_b64 s[4:5], s[4:5], exec
	v_writelane_b32 v77, s74, 14
	v_writelane_b32 v77, s75, 15
.LBB169_4762:
	v_readlane_b32 s74, v77, 16
	v_readlane_b32 s75, v77, 17
	s_or_b64 exec, exec, s[74:75]
	v_readlane_b32 s74, v77, 10
	v_readlane_b32 s76, v77, 14
	;; [unrolled: 1-line block ×4, first 2 shown]
	s_andn2_b64 s[74:75], s[74:75], exec
	s_and_b64 s[76:77], s[76:77], exec
	s_or_b64 s[74:75], s[74:75], s[76:77]
	s_and_b64 s[80:81], s[80:81], exec
	s_and_b64 vcc, vcc, exec
	s_and_b64 s[4:5], s[4:5], exec
	v_writelane_b32 v77, s74, 10
	v_writelane_b32 v77, s75, 11
.LBB169_4763:
	v_readlane_b32 s74, v77, 12
	v_readlane_b32 s75, v77, 13
	s_or_b64 exec, exec, s[74:75]
	v_readlane_b32 s74, v77, 10
	v_readlane_b32 s75, v77, 11
	s_andn2_b64 s[70:71], s[70:71], exec
	s_and_b64 s[74:75], s[74:75], exec
	s_and_b64 s[76:77], s[80:81], exec
	s_and_b64 vcc, vcc, exec
	s_and_b64 s[4:5], s[4:5], exec
	s_or_b64 s[70:71], s[70:71], s[74:75]
.LBB169_4764:
	s_or_b64 exec, exec, s[72:73]
	s_andn2_b64 s[66:67], s[66:67], exec
	s_and_b64 s[70:71], s[70:71], exec
	s_and_b64 s[72:73], s[76:77], exec
	s_and_b64 vcc, vcc, exec
	s_and_b64 s[4:5], s[4:5], exec
	s_or_b64 s[66:67], s[66:67], s[70:71]
.LBB169_4765:
	s_or_b64 exec, exec, s[68:69]
	s_andn2_b64 s[62:63], s[62:63], exec
	s_and_b64 s[66:67], s[66:67], exec
	s_and_b64 s[68:69], s[72:73], exec
	s_and_b64 vcc, vcc, exec
	s_and_b64 s[4:5], s[4:5], exec
	s_or_b64 s[62:63], s[62:63], s[66:67]
.LBB169_4766:
	s_or_b64 exec, exec, s[64:65]
	s_andn2_b64 s[58:59], s[58:59], exec
	s_and_b64 s[62:63], s[62:63], exec
	s_and_b64 s[64:65], s[68:69], exec
	s_and_b64 vcc, vcc, exec
	s_and_b64 s[4:5], s[4:5], exec
	s_or_b64 s[58:59], s[58:59], s[62:63]
.LBB169_4767:
	s_or_b64 exec, exec, s[60:61]
	s_andn2_b64 s[54:55], s[54:55], exec
	s_and_b64 s[58:59], s[58:59], exec
	s_and_b64 s[60:61], s[64:65], exec
	s_and_b64 vcc, vcc, exec
	s_and_b64 s[4:5], s[4:5], exec
	s_or_b64 s[54:55], s[54:55], s[58:59]
.LBB169_4768:
	s_or_b64 exec, exec, s[56:57]
	s_andn2_b64 s[50:51], s[50:51], exec
	s_and_b64 s[54:55], s[54:55], exec
	s_and_b64 s[56:57], s[60:61], exec
	s_and_b64 vcc, vcc, exec
	s_and_b64 s[4:5], s[4:5], exec
	s_or_b64 s[50:51], s[50:51], s[54:55]
.LBB169_4769:
	s_or_b64 exec, exec, s[52:53]
	s_andn2_b64 s[46:47], s[46:47], exec
	s_and_b64 s[50:51], s[50:51], exec
	s_and_b64 s[52:53], s[56:57], exec
	s_and_b64 vcc, vcc, exec
	s_and_b64 s[4:5], s[4:5], exec
	s_or_b64 s[46:47], s[46:47], s[50:51]
.LBB169_4770:
	s_or_b64 exec, exec, s[48:49]
	s_andn2_b64 s[42:43], s[42:43], exec
	s_and_b64 s[46:47], s[46:47], exec
	s_and_b64 s[48:49], s[52:53], exec
	s_and_b64 vcc, vcc, exec
	s_and_b64 s[4:5], s[4:5], exec
	s_or_b64 s[42:43], s[42:43], s[46:47]
.LBB169_4771:
	s_or_b64 exec, exec, s[44:45]
	s_and_b64 s[44:45], vcc, exec
	s_and_b64 vcc, s[4:5], exec
	s_andn2_b64 s[4:5], s[40:41], exec
	s_and_b64 s[40:41], s[42:43], exec
	s_or_b64 s[40:41], s[4:5], s[40:41]
	v_readlane_b32 s4, v77, 8
	v_readlane_b32 s42, v77, 6
	s_and_b64 s[46:47], s[48:49], exec
	v_readlane_b32 s5, v77, 9
	v_readlane_b32 s43, v77, 7
.LBB169_4772:
	s_or_b64 exec, exec, s[42:43]
	s_and_b64 s[42:43], vcc, exec
	v_readlane_b32 vcc_lo, v77, 2
	v_readlane_b32 vcc_hi, v77, 3
	s_andn2_b64 vcc, vcc, exec
	s_and_b64 s[40:41], s[40:41], exec
	s_or_b64 vcc, vcc, s[40:41]
	v_writelane_b32 v77, vcc_lo, 2
	v_writelane_b32 v77, vcc_hi, 3
	s_and_b64 s[48:49], s[46:47], exec
	s_and_b64 s[46:47], s[44:45], exec
	v_readlane_b32 vcc_lo, v78, 56
	v_readlane_b32 s40, v78, 60
	v_readlane_b32 s44, v77, 0
	;; [unrolled: 1-line block ×3, first 2 shown]
	v_readlane_b32 vcc_hi, v78, 57
	v_readlane_b32 s41, v78, 61
	v_readlane_b32 s45, v77, 1
	;; [unrolled: 1-line block ×3, first 2 shown]
.LBB169_4773:
	s_or_b64 exec, exec, s[50:51]
	v_readlane_b32 s50, v78, 62
	v_readlane_b32 s51, v78, 63
	s_andn2_b64 s[52:53], s[50:51], exec
	v_readlane_b32 s50, v77, 2
	v_readlane_b32 s51, v77, 3
	s_and_b64 s[50:51], s[50:51], exec
	s_or_b64 s[50:51], s[52:53], s[50:51]
	s_and_b64 s[48:49], s[48:49], exec
	s_and_b64 s[46:47], s[46:47], exec
	;; [unrolled: 1-line block ×3, first 2 shown]
	v_writelane_b32 v78, s50, 62
	v_writelane_b32 v78, s51, 63
.LBB169_4774:
	s_or_b64 exec, exec, s[44:45]
	s_and_b64 s[44:45], s[46:47], exec
	v_readlane_b32 s46, v78, 58
	v_readlane_b32 s47, v78, 59
	s_andn2_b64 s[50:51], s[46:47], exec
	v_readlane_b32 s46, v78, 62
	v_readlane_b32 s47, v78, 63
	s_and_b64 s[46:47], s[46:47], exec
	s_or_b64 s[46:47], s[50:51], s[46:47]
	s_and_b64 s[48:49], s[48:49], exec
	s_and_b64 s[42:43], s[42:43], exec
	v_writelane_b32 v78, s46, 58
	v_writelane_b32 v78, s47, 59
.LBB169_4775:
	s_or_b64 exec, exec, s[40:41]
	s_and_b64 s[40:41], s[42:43], exec
	s_andn2_b64 s[42:43], s[38:39], exec
	v_readlane_b32 s38, v78, 58
	v_readlane_b32 s39, v78, 59
	s_and_b64 s[38:39], s[38:39], exec
	s_and_b64 s[46:47], s[48:49], exec
	;; [unrolled: 1-line block ×3, first 2 shown]
	s_or_b64 s[38:39], s[42:43], s[38:39]
.LBB169_4776:
	s_or_b64 exec, exec, vcc
	s_andn2_b64 s[34:35], s[34:35], exec
	s_and_b64 s[38:39], s[38:39], exec
	s_and_b64 s[46:47], s[46:47], exec
	;; [unrolled: 1-line block ×3, first 2 shown]
	s_and_b64 vcc, s[40:41], exec
	s_or_b64 s[34:35], s[34:35], s[38:39]
.LBB169_4777:
	s_or_b64 exec, exec, s[36:37]
	s_andn2_b64 s[4:5], s[4:5], exec
	s_and_b64 s[34:35], s[34:35], exec
	s_and_b64 s[38:39], s[46:47], exec
	;; [unrolled: 1-line block ×3, first 2 shown]
	s_and_b64 vcc, vcc, exec
	s_or_b64 s[4:5], s[4:5], s[34:35]
.LBB169_4778:
	s_or_b64 exec, exec, s[30:31]
	s_andn2_b64 s[22:23], s[22:23], exec
	s_and_b64 s[4:5], s[4:5], exec
	s_and_b64 s[34:35], s[38:39], exec
	;; [unrolled: 1-line block ×3, first 2 shown]
	s_and_b64 vcc, vcc, exec
	s_or_b64 s[22:23], s[22:23], s[4:5]
.LBB169_4779:
	s_or_b64 exec, exec, s[28:29]
	s_andn2_b64 s[18:19], s[18:19], exec
	s_and_b64 s[22:23], s[22:23], exec
	s_and_b64 s[34:35], s[34:35], exec
	;; [unrolled: 1-line block ×3, first 2 shown]
	s_and_b64 s[4:5], vcc, exec
	s_or_b64 s[18:19], s[18:19], s[22:23]
.LBB169_4780:
	s_or_b64 exec, exec, s[20:21]
	s_andn2_b64 s[14:15], s[14:15], exec
	s_and_b64 s[18:19], s[18:19], exec
	s_and_b64 s[22:23], s[34:35], exec
	;; [unrolled: 1-line block ×4, first 2 shown]
	s_or_b64 s[14:15], s[14:15], s[18:19]
.LBB169_4781:
	s_or_b64 exec, exec, s[16:17]
	s_and_b64 s[16:17], s[4:5], exec
	s_andn2_b64 s[4:5], s[10:11], exec
	s_and_b64 s[10:11], s[14:15], exec
	s_and_b64 s[22:23], s[22:23], exec
	;; [unrolled: 1-line block ×3, first 2 shown]
	s_or_b64 s[10:11], s[4:5], s[10:11]
.LBB169_4782:
	s_or_b64 exec, exec, s[12:13]
	s_andn2_b64 s[6:7], s[6:7], exec
	s_and_b64 s[10:11], s[10:11], exec
	s_and_b64 s[4:5], s[22:23], exec
	;; [unrolled: 1-line block ×4, first 2 shown]
	s_or_b64 s[6:7], s[6:7], s[10:11]
	s_or_b64 exec, exec, s[8:9]
	s_mov_b64 s[8:9], 0
	s_and_saveexec_b64 s[10:11], s[6:7]
	s_cbranch_execz .LBB169_3848
.LBB169_4783:
	s_mov_b64 s[8:9], exec
	s_andn2_b64 s[12:13], s[12:13], exec
	s_trap 2
	s_or_b64 exec, exec, s[10:11]
	s_and_saveexec_b64 s[6:7], s[12:13]
	s_xor_b64 s[6:7], exec, s[6:7]
	s_cbranch_execz .LBB169_3849
.LBB169_4784:
	v_cmp_neq_f32_e32 vcc, 0, v0
	v_cndmask_b32_e64 v1, 0, 1, vcc
	s_or_b64 s[4:5], s[4:5], exec
	flat_store_byte v[2:3], v1
	s_or_b64 exec, exec, s[6:7]
	s_and_saveexec_b64 s[6:7], s[14:15]
	s_cbranch_execz .LBB169_4826
.LBB169_4785:
	v_cmp_lt_i16_e32 vcc, 4, v4
	s_and_saveexec_b64 s[10:11], vcc
	s_xor_b64 s[10:11], exec, s[10:11]
	s_cbranch_execz .LBB169_4807
; %bb.4786:
	v_cmp_lt_i16_e32 vcc, 7, v4
	s_and_saveexec_b64 s[12:13], vcc
	s_xor_b64 s[12:13], exec, s[12:13]
	s_cbranch_execz .LBB169_4796
; %bb.4787:
	;; [unrolled: 5-line block ×4, first 2 shown]
	v_mov_b32_e32 v8, 0
	v_cvt_f64_f32_e32 v[6:7], v0
	v_mov_b32_e32 v9, v8
	flat_store_dwordx4 v[2:3], v[6:9]
                                        ; implicit-def: $vgpr0
.LBB169_4790:
	s_andn2_saveexec_b64 s[16:17], s[16:17]
	s_cbranch_execz .LBB169_4792
; %bb.4791:
	v_mov_b32_e32 v1, 0
	flat_store_dwordx2 v[2:3], v[0:1]
.LBB169_4792:
	s_or_b64 exec, exec, s[16:17]
                                        ; implicit-def: $vgpr0
.LBB169_4793:
	s_andn2_saveexec_b64 s[14:15], s[14:15]
	s_cbranch_execz .LBB169_4795
; %bb.4794:
	v_cvt_f16_f32_e32 v0, v0
	flat_store_dword v[2:3], v0
.LBB169_4795:
	s_or_b64 exec, exec, s[14:15]
                                        ; implicit-def: $vgpr0
.LBB169_4796:
	s_andn2_saveexec_b64 s[12:13], s[12:13]
	s_cbranch_execz .LBB169_4806
; %bb.4797:
	v_cmp_lt_i16_e32 vcc, 5, v4
	s_and_saveexec_b64 s[14:15], vcc
	s_xor_b64 s[14:15], exec, s[14:15]
	s_cbranch_execz .LBB169_4803
; %bb.4798:
	v_cmp_lt_i16_e32 vcc, 6, v4
	s_and_saveexec_b64 s[16:17], vcc
	s_xor_b64 s[16:17], exec, s[16:17]
	s_cbranch_execz .LBB169_4800
; %bb.4799:
	v_cvt_f64_f32_e32 v[0:1], v0
	flat_store_dwordx2 v[2:3], v[0:1]
                                        ; implicit-def: $vgpr0
.LBB169_4800:
	s_andn2_saveexec_b64 s[16:17], s[16:17]
	s_cbranch_execz .LBB169_4802
; %bb.4801:
	flat_store_dword v[2:3], v0
.LBB169_4802:
	s_or_b64 exec, exec, s[16:17]
                                        ; implicit-def: $vgpr0
.LBB169_4803:
	s_andn2_saveexec_b64 s[14:15], s[14:15]
	s_cbranch_execz .LBB169_4805
; %bb.4804:
	v_cvt_f16_f32_e32 v0, v0
	flat_store_short v[2:3], v0
.LBB169_4805:
	s_or_b64 exec, exec, s[14:15]
.LBB169_4806:
	s_or_b64 exec, exec, s[12:13]
                                        ; implicit-def: $vgpr0
.LBB169_4807:
	s_andn2_saveexec_b64 s[10:11], s[10:11]
	s_cbranch_execz .LBB169_4825
; %bb.4808:
	v_cmp_lt_i16_e32 vcc, 1, v4
	s_and_saveexec_b64 s[12:13], vcc
	s_xor_b64 s[12:13], exec, s[12:13]
	s_cbranch_execz .LBB169_4818
; %bb.4809:
	v_cmp_lt_i16_e32 vcc, 2, v4
	s_and_saveexec_b64 s[14:15], vcc
	s_xor_b64 s[14:15], exec, s[14:15]
	;; [unrolled: 5-line block ×3, first 2 shown]
	s_cbranch_execz .LBB169_4812
; %bb.4811:
	v_trunc_f32_e32 v0, v0
	s_mov_b32 s18, 0x2f800000
	v_mul_f32_e64 v1, |v0|, s18
	v_floor_f32_e32 v1, v1
	s_mov_b32 s18, 0xcf800000
	v_cvt_u32_f32_e32 v5, v1
	v_fma_f32 v1, v1, s18, |v0|
	v_cvt_u32_f32_e32 v1, v1
	v_ashrrev_i32_e32 v6, 31, v0
	v_xor_b32_e32 v5, v5, v6
	v_xor_b32_e32 v0, v1, v6
	v_sub_co_u32_e32 v0, vcc, v0, v6
	v_subb_co_u32_e32 v1, vcc, v5, v6, vcc
	flat_store_dwordx2 v[2:3], v[0:1]
                                        ; implicit-def: $vgpr0
                                        ; implicit-def: $vgpr2_vgpr3
.LBB169_4812:
	s_andn2_saveexec_b64 s[16:17], s[16:17]
	s_cbranch_execz .LBB169_4814
; %bb.4813:
	v_cvt_i32_f32_e32 v0, v0
	flat_store_dword v[2:3], v0
.LBB169_4814:
	s_or_b64 exec, exec, s[16:17]
                                        ; implicit-def: $vgpr0
                                        ; implicit-def: $vgpr2_vgpr3
.LBB169_4815:
	s_andn2_saveexec_b64 s[14:15], s[14:15]
	s_cbranch_execz .LBB169_4817
; %bb.4816:
	v_cvt_i32_f32_e32 v0, v0
	flat_store_short v[2:3], v0
.LBB169_4817:
	s_or_b64 exec, exec, s[14:15]
                                        ; implicit-def: $vgpr0
                                        ; implicit-def: $vgpr2_vgpr3
.LBB169_4818:
	s_andn2_saveexec_b64 s[12:13], s[12:13]
	s_cbranch_execz .LBB169_4824
; %bb.4819:
	v_cmp_lt_i16_e32 vcc, 0, v4
	s_and_saveexec_b64 s[14:15], vcc
	s_xor_b64 s[14:15], exec, s[14:15]
	s_cbranch_execz .LBB169_4821
; %bb.4820:
	v_cvt_i32_f32_e32 v0, v0
	flat_store_byte v[2:3], v0
                                        ; implicit-def: $vgpr0
                                        ; implicit-def: $vgpr2_vgpr3
.LBB169_4821:
	s_andn2_saveexec_b64 s[14:15], s[14:15]
	s_cbranch_execz .LBB169_4823
; %bb.4822:
	v_trunc_f32_e32 v0, v0
	s_mov_b32 s16, 0x2f800000
	v_mul_f32_e64 v1, |v0|, s16
	v_floor_f32_e32 v1, v1
	s_mov_b32 s16, 0xcf800000
	v_fma_f32 v1, v1, s16, |v0|
	v_cvt_u32_f32_e32 v1, v1
	v_ashrrev_i32_e32 v0, 31, v0
	v_xor_b32_e32 v1, v1, v0
	v_sub_u32_e32 v0, v1, v0
	flat_store_byte v[2:3], v0
.LBB169_4823:
	s_or_b64 exec, exec, s[14:15]
.LBB169_4824:
	s_or_b64 exec, exec, s[12:13]
.LBB169_4825:
	s_or_b64 exec, exec, s[10:11]
	s_or_b64 s[4:5], s[4:5], exec
.LBB169_4826:
	s_or_b64 exec, exec, s[6:7]
	s_and_saveexec_b64 s[6:7], s[4:5]
	s_xor_b64 s[4:5], exec, s[6:7]
	s_or_b64 exec, exec, s[4:5]
	s_and_b64 s[4:5], s[8:9], exec
.LBB169_4827:
	s_andn2_saveexec_b64 s[6:7], s[26:27]
	s_cbranch_execnz .LBB169_4952
.LBB169_4828:
	s_or_b64 exec, exec, s[6:7]
	s_and_b64 s[4:5], s[4:5], exec
	s_andn2_saveexec_b64 s[6:7], s[24:25]
	s_cbranch_execz .LBB169_3652
.LBB169_4829:
	s_or_b64 s[4:5], s[4:5], exec
	s_trap 2
	s_or_b64 exec, exec, s[6:7]
	s_and_saveexec_b64 s[6:7], s[4:5]
	s_cbranch_execnz .LBB169_3653
	s_branch .LBB169_3654
.LBB169_4830:
	v_mov_b32_e32 v1, 25
	v_cmp_gt_i16_sdwa s[16:17], v62, v1 src0_sel:BYTE_0 src1_sel:DWORD
	s_mov_b64 s[14:15], s[6:7]
	s_and_saveexec_b64 s[18:19], s[16:17]
	s_xor_b64 s[16:17], exec, s[18:19]
	s_cbranch_execz .LBB169_4866
; %bb.4831:
	v_mov_b32_e32 v1, 28
	v_cmp_gt_i16_sdwa s[14:15], v62, v1 src0_sel:BYTE_0 src1_sel:DWORD
	s_mov_b64 s[18:19], s[6:7]
	s_and_saveexec_b64 s[20:21], s[14:15]
	s_xor_b64 s[14:15], exec, s[20:21]
	s_cbranch_execz .LBB169_4849
; %bb.4832:
	;; [unrolled: 7-line block ×3, first 2 shown]
	v_mov_b32_e32 v1, 45
	v_cmp_gt_i16_sdwa s[4:5], v62, v1 src0_sel:BYTE_0 src1_sel:DWORD
	s_mov_b64 s[20:21], 0
	s_mov_b64 s[22:23], s[6:7]
	s_and_saveexec_b64 s[28:29], s[4:5]
	s_xor_b64 s[4:5], exec, s[28:29]
	s_cbranch_execz .LBB169_4837
; %bb.4834:
	v_mov_b32_e32 v1, 46
	v_cmp_eq_u16_sdwa vcc, v62, v1 src0_sel:BYTE_0 src1_sel:DWORD
	s_mov_b64 s[28:29], -1
	s_and_saveexec_b64 s[22:23], vcc
	s_cbranch_execz .LBB169_4836
; %bb.4835:
	v_bfe_u32 v1, v58, 16, 1
	s_movk_i32 s28, 0x7fff
	v_add3_u32 v1, v58, v1, s28
	v_lshrrev_b32_e32 v1, 16, v1
	v_mov_b32_e32 v4, 0x7fc0
	v_cmp_o_f32_e32 vcc, v58, v58
	v_cndmask_b32_e32 v1, v4, v1, vcc
	s_mov_b64 s[20:21], exec
	flat_store_dword v[2:3], v1
	s_xor_b64 s[28:29], exec, -1
.LBB169_4836:
	s_or_b64 exec, exec, s[22:23]
	s_andn2_b64 s[22:23], s[6:7], exec
	s_and_b64 s[28:29], s[28:29], exec
	s_or_b64 s[22:23], s[22:23], s[28:29]
	s_and_b64 s[20:21], s[20:21], exec
                                        ; implicit-def: $vgpr2_vgpr3
                                        ; implicit-def: $vgpr58
.LBB169_4837:
	s_andn2_saveexec_b64 s[28:29], s[4:5]
	s_cbranch_execz .LBB169_4843
; %bb.4838:
	v_mov_b32_e32 v1, 44
	v_cmp_eq_u16_sdwa s[34:35], v62, v1 src0_sel:BYTE_0 src1_sel:DWORD
	s_mov_b64 vcc, -1
	s_mov_b64 s[4:5], s[20:21]
	s_and_saveexec_b64 s[30:31], s[34:35]
	s_cbranch_execz .LBB169_4842
; %bb.4839:
	v_bfe_u32 v1, v58, 23, 8
	s_movk_i32 s4, 0xff
	v_cmp_ne_u32_e32 vcc, s4, v1
	v_mov_b32_e32 v4, 0xff
	s_and_saveexec_b64 s[34:35], vcc
; %bb.4840:
	s_mov_b32 s4, 0x3fffff
	v_and_b32_e32 v5, 0x400000, v58
	v_and_or_b32 v1, v58, s4, v1
	v_cmp_ne_u32_e32 vcc, 0, v5
	v_cmp_ne_u32_e64 s[4:5], 0, v1
	s_and_b64 s[4:5], vcc, s[4:5]
	v_lshrrev_b32_e32 v4, 23, v58
	v_cndmask_b32_e64 v1, 0, 1, s[4:5]
	v_add_u32_e32 v4, v4, v1
; %bb.4841:
	s_or_b64 exec, exec, s[34:35]
	s_xor_b64 vcc, exec, -1
	s_or_b64 s[4:5], s[20:21], exec
	flat_store_byte v[2:3], v4
.LBB169_4842:
	s_or_b64 exec, exec, s[30:31]
	s_andn2_b64 s[22:23], s[22:23], exec
	s_and_b64 vcc, vcc, exec
	s_andn2_b64 s[20:21], s[20:21], exec
	s_and_b64 s[4:5], s[4:5], exec
	s_or_b64 s[22:23], s[22:23], vcc
	s_or_b64 s[20:21], s[20:21], s[4:5]
.LBB169_4843:
	s_or_b64 exec, exec, s[28:29]
	s_andn2_b64 s[4:5], s[6:7], exec
	s_and_b64 s[22:23], s[22:23], exec
	s_or_b64 s[22:23], s[4:5], s[22:23]
	s_and_b64 s[4:5], s[20:21], exec
                                        ; implicit-def: $vgpr58
                                        ; implicit-def: $vgpr2_vgpr3
.LBB169_4844:
	s_andn2_saveexec_b64 s[18:19], s[18:19]
	s_cbranch_execz .LBB169_4848
; %bb.4845:
	v_mov_b32_e32 v1, 29
	v_cmp_eq_u16_sdwa s[30:31], v62, v1 src0_sel:BYTE_0 src1_sel:DWORD
	s_mov_b64 vcc, -1
	s_mov_b64 s[28:29], s[4:5]
	s_and_saveexec_b64 s[20:21], s[30:31]
	s_cbranch_execz .LBB169_4847
; %bb.4846:
	v_trunc_f32_e32 v1, v58
	v_mul_f32_e32 v4, 0x2f800000, v1
	v_floor_f32_e32 v4, v4
	v_fmac_f32_e32 v1, 0xcf800000, v4
	v_cvt_u32_f32_e32 v5, v4
	v_cvt_u32_f32_e32 v4, v1
	s_xor_b64 vcc, exec, -1
	s_or_b64 s[28:29], s[4:5], exec
	flat_store_dwordx2 v[2:3], v[4:5]
.LBB169_4847:
	s_or_b64 exec, exec, s[20:21]
	s_andn2_b64 s[20:21], s[22:23], exec
	s_and_b64 s[22:23], vcc, exec
	s_or_b64 s[22:23], s[20:21], s[22:23]
	s_andn2_b64 s[4:5], s[4:5], exec
	s_and_b64 s[20:21], s[28:29], exec
	s_or_b64 s[4:5], s[4:5], s[20:21]
.LBB169_4848:
	s_or_b64 exec, exec, s[18:19]
	s_andn2_b64 s[18:19], s[6:7], exec
	s_and_b64 s[20:21], s[22:23], exec
	s_or_b64 s[18:19], s[18:19], s[20:21]
	s_and_b64 s[4:5], s[4:5], exec
                                        ; implicit-def: $vgpr2_vgpr3
                                        ; implicit-def: $vgpr58
.LBB169_4849:
	s_andn2_saveexec_b64 s[14:15], s[14:15]
	s_cbranch_execz .LBB169_4865
; %bb.4850:
	v_mov_b32_e32 v1, 26
	v_cmp_gt_i16_sdwa s[20:21], v62, v1 src0_sel:BYTE_0 src1_sel:DWORD
	s_and_saveexec_b64 s[22:23], s[20:21]
	s_xor_b64 s[20:21], exec, s[22:23]
	s_cbranch_execz .LBB169_4856
; %bb.4851:
	v_cvt_u32_f32_e32 v1, v58
	v_mov_b32_e32 v4, 27
	v_cmp_gt_i16_sdwa s[22:23], v62, v4 src0_sel:BYTE_0 src1_sel:DWORD
	s_and_saveexec_b64 s[28:29], s[22:23]
	s_xor_b64 s[22:23], exec, s[28:29]
	s_cbranch_execz .LBB169_4853
; %bb.4852:
	flat_store_dword v[2:3], v1
                                        ; implicit-def: $vgpr2_vgpr3
                                        ; implicit-def: $vgpr1
.LBB169_4853:
	s_andn2_saveexec_b64 s[22:23], s[22:23]
	s_cbranch_execz .LBB169_4855
; %bb.4854:
	flat_store_short v[2:3], v1
.LBB169_4855:
	s_or_b64 exec, exec, s[22:23]
                                        ; implicit-def: $vgpr2_vgpr3
                                        ; implicit-def: $vgpr58
.LBB169_4856:
	s_andn2_saveexec_b64 s[20:21], s[20:21]
	s_cbranch_execz .LBB169_4864
; %bb.4857:
	v_and_b32_e32 v1, 0x7fffffff, v58
	s_mov_b32 s22, 0x43800000
	v_cmp_gt_u32_e32 vcc, s22, v1
	v_mov_b32_e32 v4, 0x80
	s_and_saveexec_b64 s[22:23], vcc
	s_cbranch_execz .LBB169_4863
; %bb.4858:
	s_mov_b32 s28, 0x3bffffff
	v_cmp_lt_u32_e32 vcc, s28, v1
	s_mov_b64 s[28:29], 0
                                        ; implicit-def: $vgpr1
	s_and_saveexec_b64 s[30:31], vcc
	s_xor_b64 vcc, exec, s[30:31]
	s_cbranch_execnz .LBB169_5567
; %bb.4859:
	s_or_saveexec_b64 s[30:31], vcc
                                        ; implicit-def: $sgpr34
	s_xor_b64 exec, exec, s[30:31]
	s_cbranch_execnz .LBB169_5568
.LBB169_4860:
	s_or_b64 exec, exec, s[30:31]
	v_mov_b32_e32 v4, s34
	s_and_saveexec_b64 vcc, s[28:29]
.LBB169_4861:
	v_lshrrev_b32_e32 v4, 24, v58
	s_movk_i32 s28, 0x80
	v_and_or_b32 v4, v4, s28, v1
.LBB169_4862:
	s_or_b64 exec, exec, vcc
.LBB169_4863:
	s_or_b64 exec, exec, s[22:23]
	flat_store_byte v[2:3], v4
.LBB169_4864:
	s_or_b64 exec, exec, s[20:21]
	s_or_b64 s[4:5], s[4:5], exec
.LBB169_4865:
	s_or_b64 exec, exec, s[14:15]
	s_andn2_b64 s[14:15], s[6:7], exec
	s_and_b64 s[18:19], s[18:19], exec
	s_or_b64 s[14:15], s[14:15], s[18:19]
	s_and_b64 s[4:5], s[4:5], exec
                                        ; implicit-def: $vgpr58
                                        ; implicit-def: $vgpr2_vgpr3
.LBB169_4866:
	s_andn2_saveexec_b64 s[16:17], s[16:17]
	s_cbranch_execz .LBB169_4910
; %bb.4867:
	v_mov_b32_e32 v1, 22
	v_cmp_gt_i16_sdwa s[18:19], v62, v1 src0_sel:BYTE_0 src1_sel:DWORD
	s_mov_b64 s[20:21], s[4:5]
	s_and_saveexec_b64 s[22:23], s[18:19]
	s_xor_b64 s[18:19], exec, s[22:23]
	s_cbranch_execz .LBB169_4899
; %bb.4868:
	v_mov_b32_e32 v1, 23
	v_cmp_gt_i16_sdwa s[20:21], v62, v1 src0_sel:BYTE_0 src1_sel:DWORD
	s_and_saveexec_b64 s[22:23], s[20:21]
	s_xor_b64 s[20:21], exec, s[22:23]
	s_cbranch_execz .LBB169_4888
; %bb.4869:
	v_mov_b32_e32 v1, 24
	v_cmp_gt_i16_sdwa s[22:23], v62, v1 src0_sel:BYTE_0 src1_sel:DWORD
	s_and_saveexec_b64 s[28:29], s[22:23]
	s_xor_b64 s[22:23], exec, s[28:29]
	s_cbranch_execz .LBB169_4877
; %bb.4870:
	v_and_b32_e32 v1, 0x7fffffff, v58
	s_mov_b32 s28, 0x47800000
	v_cmp_gt_u32_e32 vcc, s28, v1
	v_mov_b32_e32 v4, 0x80
	s_and_saveexec_b64 s[28:29], vcc
	s_cbranch_execz .LBB169_4876
; %bb.4871:
	s_mov_b32 vcc_lo, 0x37ffffff
	v_cmp_lt_u32_e32 vcc, vcc_lo, v1
	s_mov_b64 s[30:31], 0
                                        ; implicit-def: $vgpr1
	s_and_saveexec_b64 s[34:35], vcc
	s_xor_b64 vcc, exec, s[34:35]
	s_cbranch_execnz .LBB169_5691
; %bb.4872:
	s_or_saveexec_b64 s[34:35], vcc
                                        ; implicit-def: $sgpr36
	s_xor_b64 exec, exec, s[34:35]
	s_cbranch_execnz .LBB169_5692
.LBB169_4873:
	s_or_b64 exec, exec, s[34:35]
	v_mov_b32_e32 v4, s36
	s_and_saveexec_b64 vcc, s[30:31]
.LBB169_4874:
	v_lshrrev_b32_e32 v4, 24, v58
	s_movk_i32 s30, 0x80
	v_and_or_b32 v4, v4, s30, v1
.LBB169_4875:
	s_or_b64 exec, exec, vcc
.LBB169_4876:
	s_or_b64 exec, exec, s[28:29]
	flat_store_byte v[2:3], v4
                                        ; implicit-def: $vgpr58
                                        ; implicit-def: $vgpr2_vgpr3
.LBB169_4877:
	s_andn2_saveexec_b64 s[22:23], s[22:23]
	s_cbranch_execz .LBB169_4887
; %bb.4878:
	v_and_b32_e32 v4, 0x7fffffff, v58
	s_mov_b32 s28, 0x43f00000
	v_cmp_gt_u32_e32 vcc, s28, v4
                                        ; implicit-def: $vgpr1
	s_and_saveexec_b64 s[28:29], vcc
	s_xor_b64 s[28:29], exec, s[28:29]
	s_cbranch_execz .LBB169_4884
; %bb.4879:
	s_mov_b32 vcc_lo, 0x3c7fffff
	v_cmp_lt_u32_e32 vcc, vcc_lo, v4
                                        ; implicit-def: $vgpr1
	s_and_saveexec_b64 s[30:31], vcc
	s_xor_b64 s[30:31], exec, s[30:31]
; %bb.4880:
	v_bfe_u32 v1, v58, 20, 1
	s_mov_b32 vcc_lo, 0x407ffff
	v_add3_u32 v1, v58, v1, vcc_lo
	v_lshrrev_b32_e32 v4, 20, v1
	v_and_b32_e32 v1, 0xff00000, v1
	s_mov_b32 vcc_lo, 0x7f00000
	v_mov_b32_e32 v5, 0x7e
	v_cmp_ne_u32_e32 vcc, vcc_lo, v1
	v_cndmask_b32_e32 v1, v5, v4, vcc
; %bb.4881:
	s_andn2_saveexec_b64 vcc, s[30:31]
; %bb.4882:
	s_mov_b32 s30, 0x46800000
	v_add_f32_e64 v1, |v58|, s30
; %bb.4883:
	s_or_b64 exec, exec, vcc
                                        ; implicit-def: $vgpr4
.LBB169_4884:
	s_andn2_saveexec_b64 s[28:29], s[28:29]
; %bb.4885:
	s_mov_b32 vcc_lo, 0x7f800000
	v_mov_b32_e32 v1, 0x7e
	v_mov_b32_e32 v5, 0x7f
	v_cmp_lt_u32_e32 vcc, vcc_lo, v4
	v_cndmask_b32_e32 v1, v1, v5, vcc
; %bb.4886:
	s_or_b64 exec, exec, s[28:29]
	v_lshrrev_b32_e32 v4, 24, v58
	s_movk_i32 s28, 0x80
	v_and_or_b32 v1, v4, s28, v1
	flat_store_byte v[2:3], v1
.LBB169_4887:
	s_or_b64 exec, exec, s[22:23]
                                        ; implicit-def: $vgpr58
                                        ; implicit-def: $vgpr2_vgpr3
.LBB169_4888:
	s_andn2_saveexec_b64 s[20:21], s[20:21]
	s_cbranch_execz .LBB169_4898
; %bb.4889:
	v_and_b32_e32 v4, 0x7fffffff, v58
	s_mov_b32 s22, 0x47800000
	v_cmp_gt_u32_e32 vcc, s22, v4
                                        ; implicit-def: $vgpr1
	s_and_saveexec_b64 s[22:23], vcc
	s_xor_b64 s[22:23], exec, s[22:23]
	s_cbranch_execz .LBB169_4895
; %bb.4890:
	s_mov_b32 s28, 0x387fffff
	v_cmp_lt_u32_e32 vcc, s28, v4
                                        ; implicit-def: $vgpr1
	s_and_saveexec_b64 s[28:29], vcc
	s_xor_b64 s[28:29], exec, s[28:29]
; %bb.4891:
	v_bfe_u32 v1, v58, 21, 1
	s_mov_b32 vcc_lo, 0x80fffff
	v_add3_u32 v1, v58, v1, vcc_lo
	v_lshrrev_b32_e32 v1, 21, v1
; %bb.4892:
	s_andn2_saveexec_b64 s[28:29], s[28:29]
; %bb.4893:
	s_mov_b32 s30, 0x43000000
	v_add_f32_e64 v1, |v58|, s30
; %bb.4894:
	s_or_b64 exec, exec, s[28:29]
                                        ; implicit-def: $vgpr4
.LBB169_4895:
	s_andn2_saveexec_b64 s[22:23], s[22:23]
; %bb.4896:
	s_mov_b32 s28, 0x7f800000
	v_mov_b32_e32 v1, 0x7c
	v_mov_b32_e32 v5, 0x7f
	v_cmp_lt_u32_e32 vcc, s28, v4
	v_cndmask_b32_e32 v1, v1, v5, vcc
; %bb.4897:
	s_or_b64 exec, exec, s[22:23]
	v_lshrrev_b32_e32 v4, 24, v58
	s_movk_i32 s22, 0x80
	v_and_or_b32 v1, v4, s22, v1
	flat_store_byte v[2:3], v1
.LBB169_4898:
	s_or_b64 exec, exec, s[20:21]
	s_or_b64 s[20:21], s[4:5], exec
                                        ; implicit-def: $vgpr58
                                        ; implicit-def: $vgpr2_vgpr3
.LBB169_4899:
	s_or_saveexec_b64 s[18:19], s[18:19]
	s_mov_b64 s[28:29], s[14:15]
	s_xor_b64 exec, exec, s[18:19]
	s_cbranch_execz .LBB169_4909
; %bb.4900:
	v_mov_b32_e32 v1, 14
	v_cmp_gt_i16_sdwa vcc, v62, v1 src0_sel:BYTE_0 src1_sel:DWORD
	s_mov_b64 s[22:23], s[20:21]
	s_mov_b64 s[28:29], s[14:15]
	s_and_saveexec_b64 s[30:31], vcc
	s_xor_b64 s[30:31], exec, s[30:31]
	s_cbranch_execz .LBB169_4904
; %bb.4901:
	v_mov_b32_e32 v1, 15
	v_cmp_eq_u16_sdwa s[34:35], v62, v1 src0_sel:BYTE_0 src1_sel:DWORD
	s_mov_b64 s[28:29], -1
	s_mov_b64 vcc, s[20:21]
	s_and_saveexec_b64 s[22:23], s[34:35]
	s_cbranch_execz .LBB169_4903
; %bb.4902:
	v_bfe_u32 v1, v58, 16, 1
	s_movk_i32 s28, 0x7fff
	v_add3_u32 v1, v58, v1, s28
	v_lshrrev_b32_e32 v1, 16, v1
	v_mov_b32_e32 v4, 0x7fc0
	v_cmp_o_f32_e32 vcc, v58, v58
	v_cndmask_b32_e32 v1, v4, v1, vcc
	flat_store_short v[2:3], v1
	s_xor_b64 s[28:29], exec, -1
	s_or_b64 vcc, s[20:21], exec
.LBB169_4903:
	s_or_b64 exec, exec, s[22:23]
	s_andn2_b64 s[22:23], s[14:15], exec
	s_and_b64 s[28:29], s[28:29], exec
	s_or_b64 s[28:29], s[22:23], s[28:29]
	s_andn2_b64 s[22:23], s[20:21], exec
	s_and_b64 vcc, vcc, exec
	s_or_b64 s[22:23], s[22:23], vcc
                                        ; implicit-def: $vgpr58
                                        ; implicit-def: $vgpr2_vgpr3
.LBB169_4904:
	s_andn2_saveexec_b64 s[30:31], s[30:31]
	s_cbranch_execz .LBB169_4908
; %bb.4905:
	v_mov_b32_e32 v1, 11
	v_cmp_eq_u16_sdwa s[38:39], v62, v1 src0_sel:BYTE_0 src1_sel:DWORD
	s_mov_b64 s[34:35], -1
	s_mov_b64 vcc, s[22:23]
	s_and_saveexec_b64 s[36:37], s[38:39]
	s_cbranch_execz .LBB169_4907
; %bb.4906:
	v_cmp_neq_f32_e32 vcc, 0, v58
	v_cndmask_b32_e64 v1, 0, 1, vcc
	flat_store_byte v[2:3], v1
	s_xor_b64 s[34:35], exec, -1
	s_or_b64 vcc, s[22:23], exec
.LBB169_4907:
	s_or_b64 exec, exec, s[36:37]
	s_andn2_b64 s[28:29], s[28:29], exec
	s_and_b64 s[34:35], s[34:35], exec
	s_andn2_b64 s[22:23], s[22:23], exec
	s_and_b64 vcc, vcc, exec
	s_or_b64 s[28:29], s[28:29], s[34:35]
	s_or_b64 s[22:23], s[22:23], vcc
.LBB169_4908:
	s_or_b64 exec, exec, s[30:31]
	s_andn2_b64 vcc, s[14:15], exec
	s_and_b64 s[28:29], s[28:29], exec
	s_andn2_b64 s[20:21], s[20:21], exec
	s_and_b64 s[22:23], s[22:23], exec
	s_or_b64 s[28:29], vcc, s[28:29]
	s_or_b64 s[20:21], s[20:21], s[22:23]
.LBB169_4909:
	s_or_b64 exec, exec, s[18:19]
	s_andn2_b64 s[14:15], s[14:15], exec
	s_and_b64 s[18:19], s[28:29], exec
	s_or_b64 s[14:15], s[14:15], s[18:19]
	s_andn2_b64 s[4:5], s[4:5], exec
	s_and_b64 s[18:19], s[20:21], exec
	s_or_b64 s[4:5], s[4:5], s[18:19]
.LBB169_4910:
	s_or_b64 exec, exec, s[16:17]
	s_andn2_b64 s[16:17], s[6:7], exec
	s_and_b64 s[14:15], s[14:15], exec
	s_or_b64 s[14:15], s[16:17], s[14:15]
	s_and_b64 s[4:5], s[4:5], exec
                                        ; implicit-def: $vgpr58
                                        ; implicit-def: $vgpr2_vgpr3
	s_andn2_saveexec_b64 s[10:11], s[10:11]
	s_cbranch_execz .LBB169_3853
.LBB169_4911:
	v_mov_b32_e32 v1, 4
	v_cmp_gt_i16_sdwa s[16:17], v62, v1 src0_sel:BYTE_0 src1_sel:DWORD
	s_and_saveexec_b64 s[18:19], s[16:17]
	s_xor_b64 s[16:17], exec, s[18:19]
	s_cbranch_execz .LBB169_4933
; %bb.4912:
	v_mov_b32_e32 v1, 7
	v_cmp_gt_i16_sdwa s[18:19], v62, v1 src0_sel:BYTE_0 src1_sel:DWORD
	s_and_saveexec_b64 s[20:21], s[18:19]
	s_xor_b64 s[18:19], exec, s[20:21]
	s_cbranch_execz .LBB169_4922
; %bb.4913:
	;; [unrolled: 6-line block ×4, first 2 shown]
	v_mov_b32_e32 v6, 0
	v_cvt_f64_f32_e32 v[4:5], v58
	v_mov_b32_e32 v7, v6
	flat_store_dwordx4 v[2:3], v[4:7]
                                        ; implicit-def: $vgpr58
                                        ; implicit-def: $vgpr2_vgpr3
.LBB169_4916:
	s_andn2_saveexec_b64 s[22:23], s[22:23]
	s_cbranch_execz .LBB169_4918
; %bb.4917:
	v_mov_b32_e32 v59, 0
	flat_store_dwordx2 v[2:3], v[58:59]
.LBB169_4918:
	s_or_b64 exec, exec, s[22:23]
                                        ; implicit-def: $vgpr58
                                        ; implicit-def: $vgpr2_vgpr3
.LBB169_4919:
	s_andn2_saveexec_b64 s[20:21], s[20:21]
	s_cbranch_execz .LBB169_4921
; %bb.4920:
	v_cvt_f16_f32_e32 v1, v58
	flat_store_dword v[2:3], v1
.LBB169_4921:
	s_or_b64 exec, exec, s[20:21]
                                        ; implicit-def: $vgpr58
                                        ; implicit-def: $vgpr2_vgpr3
.LBB169_4922:
	s_andn2_saveexec_b64 s[18:19], s[18:19]
	s_cbranch_execz .LBB169_4932
; %bb.4923:
	v_mov_b32_e32 v1, 5
	v_cmp_gt_i16_sdwa s[20:21], v62, v1 src0_sel:BYTE_0 src1_sel:DWORD
	s_and_saveexec_b64 s[22:23], s[20:21]
	s_xor_b64 s[20:21], exec, s[22:23]
	s_cbranch_execz .LBB169_4929
; %bb.4924:
	v_mov_b32_e32 v1, 6
	v_cmp_gt_i16_sdwa s[22:23], v62, v1 src0_sel:BYTE_0 src1_sel:DWORD
	s_and_saveexec_b64 s[28:29], s[22:23]
	s_xor_b64 s[22:23], exec, s[28:29]
	s_cbranch_execz .LBB169_4926
; %bb.4925:
	v_cvt_f64_f32_e32 v[4:5], v58
	flat_store_dwordx2 v[2:3], v[4:5]
                                        ; implicit-def: $vgpr2_vgpr3
                                        ; implicit-def: $vgpr58
.LBB169_4926:
	s_andn2_saveexec_b64 s[22:23], s[22:23]
	s_cbranch_execz .LBB169_4928
; %bb.4927:
	flat_store_dword v[2:3], v58
.LBB169_4928:
	s_or_b64 exec, exec, s[22:23]
                                        ; implicit-def: $vgpr58
                                        ; implicit-def: $vgpr2_vgpr3
.LBB169_4929:
	s_andn2_saveexec_b64 s[20:21], s[20:21]
	s_cbranch_execz .LBB169_4931
; %bb.4930:
	v_cvt_f16_f32_e32 v1, v58
	flat_store_short v[2:3], v1
.LBB169_4931:
	s_or_b64 exec, exec, s[20:21]
.LBB169_4932:
	s_or_b64 exec, exec, s[18:19]
                                        ; implicit-def: $vgpr58
                                        ; implicit-def: $vgpr2_vgpr3
.LBB169_4933:
	s_andn2_saveexec_b64 s[16:17], s[16:17]
	s_cbranch_execz .LBB169_4951
; %bb.4934:
	v_mov_b32_e32 v1, 1
	v_cmp_gt_i16_sdwa s[18:19], v62, v1 src0_sel:BYTE_0 src1_sel:DWORD
	s_and_saveexec_b64 s[20:21], s[18:19]
	s_xor_b64 s[18:19], exec, s[20:21]
	s_cbranch_execz .LBB169_4944
; %bb.4935:
	v_mov_b32_e32 v1, 2
	v_cmp_gt_i16_sdwa s[20:21], v62, v1 src0_sel:BYTE_0 src1_sel:DWORD
	s_and_saveexec_b64 s[22:23], s[20:21]
	s_xor_b64 s[20:21], exec, s[22:23]
	;; [unrolled: 6-line block ×3, first 2 shown]
	s_cbranch_execz .LBB169_4938
; %bb.4937:
	v_trunc_f32_e32 v1, v58
	s_mov_b32 s28, 0x2f800000
	v_mul_f32_e64 v4, |v1|, s28
	v_floor_f32_e32 v4, v4
	s_mov_b32 s28, 0xcf800000
	v_cvt_u32_f32_e32 v5, v4
	v_fma_f32 v4, v4, s28, |v1|
	v_cvt_u32_f32_e32 v4, v4
	v_ashrrev_i32_e32 v1, 31, v1
	v_xor_b32_e32 v5, v5, v1
                                        ; implicit-def: $vgpr58
	v_xor_b32_e32 v4, v4, v1
	v_sub_co_u32_e32 v4, vcc, v4, v1
	v_subb_co_u32_e32 v5, vcc, v5, v1, vcc
	flat_store_dwordx2 v[2:3], v[4:5]
                                        ; implicit-def: $vgpr2_vgpr3
.LBB169_4938:
	s_andn2_saveexec_b64 s[22:23], s[22:23]
	s_cbranch_execz .LBB169_4940
; %bb.4939:
	v_cvt_i32_f32_e32 v1, v58
	flat_store_dword v[2:3], v1
.LBB169_4940:
	s_or_b64 exec, exec, s[22:23]
                                        ; implicit-def: $vgpr58
                                        ; implicit-def: $vgpr2_vgpr3
.LBB169_4941:
	s_andn2_saveexec_b64 s[20:21], s[20:21]
	s_cbranch_execz .LBB169_4943
; %bb.4942:
	v_cvt_i32_f32_e32 v1, v58
	flat_store_short v[2:3], v1
.LBB169_4943:
	s_or_b64 exec, exec, s[20:21]
                                        ; implicit-def: $vgpr58
                                        ; implicit-def: $vgpr2_vgpr3
.LBB169_4944:
	s_andn2_saveexec_b64 s[18:19], s[18:19]
	s_cbranch_execz .LBB169_4950
; %bb.4945:
	v_mov_b32_e32 v1, 0
	v_cmp_gt_i16_sdwa s[20:21], v62, v1 src0_sel:BYTE_0 src1_sel:DWORD
	s_and_saveexec_b64 s[22:23], s[20:21]
	s_xor_b64 s[20:21], exec, s[22:23]
	s_cbranch_execz .LBB169_4947
; %bb.4946:
	v_cvt_i32_f32_e32 v1, v58
                                        ; implicit-def: $vgpr58
	flat_store_byte v[2:3], v1
                                        ; implicit-def: $vgpr2_vgpr3
.LBB169_4947:
	s_andn2_saveexec_b64 s[20:21], s[20:21]
	s_cbranch_execz .LBB169_4949
; %bb.4948:
	v_trunc_f32_e32 v1, v58
	s_mov_b32 s22, 0x2f800000
	v_mul_f32_e64 v4, |v1|, s22
	v_floor_f32_e32 v4, v4
	s_mov_b32 s22, 0xcf800000
	v_fma_f32 v4, v4, s22, |v1|
	v_cvt_u32_f32_e32 v4, v4
	v_ashrrev_i32_e32 v1, 31, v1
	v_xor_b32_e32 v4, v4, v1
	v_sub_u32_e32 v1, v4, v1
	flat_store_byte v[2:3], v1
.LBB169_4949:
	s_or_b64 exec, exec, s[20:21]
.LBB169_4950:
	s_or_b64 exec, exec, s[18:19]
.LBB169_4951:
	s_or_b64 exec, exec, s[16:17]
	s_or_b64 s[4:5], s[4:5], exec
	s_or_b64 exec, exec, s[10:11]
	s_mov_b64 s[16:17], 0
	s_and_saveexec_b64 s[10:11], s[4:5]
	s_cbranch_execnz .LBB169_3854
	s_branch .LBB169_3855
.LBB169_4952:
	s_or_b64 s[4:5], s[4:5], exec
	s_trap 2
	s_branch .LBB169_4828
.LBB169_4953:
	v_mov_b32_e32 v1, 25
	v_cmp_gt_i16_sdwa s[20:21], v62, v1 src0_sel:BYTE_0 src1_sel:DWORD
	s_mov_b64 s[18:19], s[10:11]
	s_and_saveexec_b64 s[22:23], s[20:21]
	s_xor_b64 s[20:21], exec, s[22:23]
	s_cbranch_execz .LBB169_4989
; %bb.4954:
	v_mov_b32_e32 v1, 28
	v_cmp_gt_i16_sdwa s[18:19], v62, v1 src0_sel:BYTE_0 src1_sel:DWORD
	s_mov_b64 s[22:23], s[10:11]
	s_and_saveexec_b64 s[28:29], s[18:19]
	s_xor_b64 s[18:19], exec, s[28:29]
	s_cbranch_execz .LBB169_4972
; %bb.4955:
	v_mov_b32_e32 v1, 43
	v_cmp_gt_i16_sdwa s[22:23], v62, v1 src0_sel:BYTE_0 src1_sel:DWORD
	s_mov_b64 vcc, s[10:11]
	s_and_saveexec_b64 s[28:29], s[22:23]
	s_xor_b64 s[22:23], exec, s[28:29]
	s_cbranch_execz .LBB169_4967
; %bb.4956:
	v_mov_b32_e32 v1, 45
	v_cmp_gt_i16_sdwa s[4:5], v62, v1 src0_sel:BYTE_0 src1_sel:DWORD
	s_mov_b64 s[28:29], 0
	s_mov_b64 s[30:31], s[10:11]
	s_and_saveexec_b64 vcc, s[4:5]
	s_xor_b64 s[4:5], exec, vcc
	s_cbranch_execz .LBB169_4960
; %bb.4957:
	v_mov_b32_e32 v1, 46
	v_cmp_eq_u16_sdwa s[34:35], v62, v1 src0_sel:BYTE_0 src1_sel:DWORD
	s_mov_b64 vcc, -1
	s_and_saveexec_b64 s[30:31], s[34:35]
	s_cbranch_execz .LBB169_4959
; %bb.4958:
	v_bfe_u32 v1, v56, 16, 1
	s_movk_i32 vcc_lo, 0x7fff
	v_add3_u32 v1, v56, v1, vcc_lo
	v_lshrrev_b32_e32 v1, 16, v1
	v_mov_b32_e32 v4, 0x7fc0
	v_cmp_o_f32_e32 vcc, v56, v56
	v_cndmask_b32_e32 v1, v4, v1, vcc
	s_mov_b64 s[28:29], exec
	flat_store_dword v[2:3], v1
	s_xor_b64 vcc, exec, -1
.LBB169_4959:
	s_or_b64 exec, exec, s[30:31]
	s_andn2_b64 s[30:31], s[10:11], exec
	s_and_b64 vcc, vcc, exec
	s_or_b64 s[30:31], s[30:31], vcc
	s_and_b64 s[28:29], s[28:29], exec
                                        ; implicit-def: $vgpr2_vgpr3
                                        ; implicit-def: $vgpr56
.LBB169_4960:
	s_andn2_saveexec_b64 s[34:35], s[4:5]
	s_cbranch_execz .LBB169_4966
; %bb.4961:
	v_mov_b32_e32 v1, 44
	v_cmp_eq_u16_sdwa s[38:39], v62, v1 src0_sel:BYTE_0 src1_sel:DWORD
	s_mov_b64 vcc, -1
	s_mov_b64 s[4:5], s[28:29]
	s_and_saveexec_b64 s[36:37], s[38:39]
	s_cbranch_execz .LBB169_4965
; %bb.4962:
	v_bfe_u32 v1, v56, 23, 8
	s_movk_i32 s4, 0xff
	v_cmp_ne_u32_e32 vcc, s4, v1
	v_mov_b32_e32 v4, 0xff
	s_and_saveexec_b64 s[38:39], vcc
; %bb.4963:
	s_mov_b32 s4, 0x3fffff
	v_and_b32_e32 v5, 0x400000, v56
	v_and_or_b32 v1, v56, s4, v1
	v_cmp_ne_u32_e32 vcc, 0, v5
	v_cmp_ne_u32_e64 s[4:5], 0, v1
	s_and_b64 s[4:5], vcc, s[4:5]
	v_lshrrev_b32_e32 v4, 23, v56
	v_cndmask_b32_e64 v1, 0, 1, s[4:5]
	v_add_u32_e32 v4, v4, v1
; %bb.4964:
	s_or_b64 exec, exec, s[38:39]
	s_xor_b64 vcc, exec, -1
	s_or_b64 s[4:5], s[28:29], exec
	flat_store_byte v[2:3], v4
.LBB169_4965:
	s_or_b64 exec, exec, s[36:37]
	s_andn2_b64 s[30:31], s[30:31], exec
	s_and_b64 vcc, vcc, exec
	s_andn2_b64 s[28:29], s[28:29], exec
	s_and_b64 s[4:5], s[4:5], exec
	s_or_b64 s[30:31], s[30:31], vcc
	s_or_b64 s[28:29], s[28:29], s[4:5]
.LBB169_4966:
	s_or_b64 exec, exec, s[34:35]
	s_andn2_b64 s[4:5], s[10:11], exec
	s_and_b64 vcc, s[30:31], exec
	s_or_b64 vcc, s[4:5], vcc
	s_and_b64 s[4:5], s[28:29], exec
                                        ; implicit-def: $vgpr56
                                        ; implicit-def: $vgpr2_vgpr3
.LBB169_4967:
	s_andn2_saveexec_b64 s[22:23], s[22:23]
	s_cbranch_execz .LBB169_4971
; %bb.4968:
	v_mov_b32_e32 v1, 29
	v_cmp_eq_u16_sdwa s[36:37], v62, v1 src0_sel:BYTE_0 src1_sel:DWORD
	s_mov_b64 s[34:35], -1
	s_mov_b64 s[30:31], s[4:5]
	s_and_saveexec_b64 s[28:29], s[36:37]
	s_cbranch_execz .LBB169_4970
; %bb.4969:
	v_trunc_f32_e32 v1, v56
	v_mul_f32_e32 v4, 0x2f800000, v1
	v_floor_f32_e32 v4, v4
	v_fmac_f32_e32 v1, 0xcf800000, v4
	v_cvt_u32_f32_e32 v5, v4
	v_cvt_u32_f32_e32 v4, v1
	s_xor_b64 s[34:35], exec, -1
	s_or_b64 s[30:31], s[4:5], exec
	flat_store_dwordx2 v[2:3], v[4:5]
.LBB169_4970:
	s_or_b64 exec, exec, s[28:29]
	s_andn2_b64 s[28:29], vcc, exec
	s_and_b64 vcc, s[34:35], exec
	s_or_b64 vcc, s[28:29], vcc
	s_andn2_b64 s[4:5], s[4:5], exec
	s_and_b64 s[28:29], s[30:31], exec
	s_or_b64 s[4:5], s[4:5], s[28:29]
.LBB169_4971:
	s_or_b64 exec, exec, s[22:23]
	s_andn2_b64 s[22:23], s[10:11], exec
	s_and_b64 s[28:29], vcc, exec
	s_or_b64 s[22:23], s[22:23], s[28:29]
	s_and_b64 s[4:5], s[4:5], exec
                                        ; implicit-def: $vgpr2_vgpr3
                                        ; implicit-def: $vgpr56
.LBB169_4972:
	s_andn2_saveexec_b64 s[18:19], s[18:19]
	s_cbranch_execz .LBB169_4988
; %bb.4973:
	v_mov_b32_e32 v1, 26
	v_cmp_gt_i16_sdwa s[28:29], v62, v1 src0_sel:BYTE_0 src1_sel:DWORD
	s_and_saveexec_b64 vcc, s[28:29]
	s_xor_b64 s[28:29], exec, vcc
	s_cbranch_execz .LBB169_4979
; %bb.4974:
	v_cvt_u32_f32_e32 v1, v56
	v_mov_b32_e32 v4, 27
	v_cmp_gt_i16_sdwa vcc, v62, v4 src0_sel:BYTE_0 src1_sel:DWORD
	s_and_saveexec_b64 s[30:31], vcc
	s_xor_b64 vcc, exec, s[30:31]
	s_cbranch_execz .LBB169_4976
; %bb.4975:
	flat_store_dword v[2:3], v1
                                        ; implicit-def: $vgpr2_vgpr3
                                        ; implicit-def: $vgpr1
.LBB169_4976:
	s_andn2_saveexec_b64 vcc, vcc
	s_cbranch_execz .LBB169_4978
; %bb.4977:
	flat_store_short v[2:3], v1
.LBB169_4978:
	s_or_b64 exec, exec, vcc
                                        ; implicit-def: $vgpr2_vgpr3
                                        ; implicit-def: $vgpr56
.LBB169_4979:
	s_andn2_saveexec_b64 s[28:29], s[28:29]
	s_cbranch_execz .LBB169_4987
; %bb.4980:
	v_and_b32_e32 v1, 0x7fffffff, v56
	s_mov_b32 vcc_lo, 0x43800000
	v_cmp_gt_u32_e32 vcc, vcc_lo, v1
	v_mov_b32_e32 v4, 0x80
	s_and_saveexec_b64 s[30:31], vcc
	s_cbranch_execz .LBB169_4986
; %bb.4981:
	s_mov_b32 vcc_lo, 0x3bffffff
	v_cmp_lt_u32_e32 vcc, vcc_lo, v1
	s_mov_b64 s[34:35], 0
                                        ; implicit-def: $vgpr1
	s_and_saveexec_b64 s[36:37], vcc
	s_xor_b64 vcc, exec, s[36:37]
	s_cbranch_execnz .LBB169_5693
; %bb.4982:
	s_or_saveexec_b64 s[36:37], vcc
                                        ; implicit-def: $sgpr38
	s_xor_b64 exec, exec, s[36:37]
	s_cbranch_execnz .LBB169_5694
.LBB169_4983:
	s_or_b64 exec, exec, s[36:37]
	v_mov_b32_e32 v4, s38
	s_and_saveexec_b64 vcc, s[34:35]
.LBB169_4984:
	v_lshrrev_b32_e32 v4, 24, v56
	s_movk_i32 s34, 0x80
	v_and_or_b32 v4, v4, s34, v1
.LBB169_4985:
	s_or_b64 exec, exec, vcc
.LBB169_4986:
	s_or_b64 exec, exec, s[30:31]
	flat_store_byte v[2:3], v4
.LBB169_4987:
	s_or_b64 exec, exec, s[28:29]
	s_or_b64 s[4:5], s[4:5], exec
.LBB169_4988:
	s_or_b64 exec, exec, s[18:19]
	s_andn2_b64 s[18:19], s[10:11], exec
	s_and_b64 s[22:23], s[22:23], exec
	s_or_b64 s[18:19], s[18:19], s[22:23]
	s_and_b64 s[4:5], s[4:5], exec
                                        ; implicit-def: $vgpr56
                                        ; implicit-def: $vgpr2_vgpr3
.LBB169_4989:
	s_andn2_saveexec_b64 s[20:21], s[20:21]
	s_cbranch_execz .LBB169_5033
; %bb.4990:
	v_mov_b32_e32 v1, 22
	v_cmp_gt_i16_sdwa s[22:23], v62, v1 src0_sel:BYTE_0 src1_sel:DWORD
	s_mov_b64 s[28:29], s[4:5]
	s_and_saveexec_b64 vcc, s[22:23]
	s_xor_b64 s[22:23], exec, vcc
	s_cbranch_execz .LBB169_5022
; %bb.4991:
	v_mov_b32_e32 v1, 23
	v_cmp_gt_i16_sdwa s[28:29], v62, v1 src0_sel:BYTE_0 src1_sel:DWORD
	s_and_saveexec_b64 vcc, s[28:29]
	s_xor_b64 s[28:29], exec, vcc
	s_cbranch_execz .LBB169_5011
; %bb.4992:
	v_mov_b32_e32 v1, 24
	v_cmp_gt_i16_sdwa vcc, v62, v1 src0_sel:BYTE_0 src1_sel:DWORD
	s_and_saveexec_b64 s[30:31], vcc
	s_xor_b64 s[30:31], exec, s[30:31]
	s_cbranch_execz .LBB169_5000
; %bb.4993:
	v_and_b32_e32 v1, 0x7fffffff, v56
	s_mov_b32 vcc_lo, 0x47800000
	v_cmp_gt_u32_e32 vcc, vcc_lo, v1
	v_mov_b32_e32 v4, 0x80
	s_and_saveexec_b64 s[34:35], vcc
	s_cbranch_execz .LBB169_4999
; %bb.4994:
	s_mov_b32 vcc_lo, 0x37ffffff
	v_cmp_lt_u32_e32 vcc, vcc_lo, v1
	s_mov_b64 s[36:37], 0
                                        ; implicit-def: $vgpr1
	s_and_saveexec_b64 s[38:39], vcc
	s_xor_b64 vcc, exec, s[38:39]
	s_cbranch_execnz .LBB169_5817
; %bb.4995:
	s_or_saveexec_b64 s[38:39], vcc
                                        ; implicit-def: $sgpr40
	s_xor_b64 exec, exec, s[38:39]
	s_cbranch_execnz .LBB169_5818
.LBB169_4996:
	s_or_b64 exec, exec, s[38:39]
	v_mov_b32_e32 v4, s40
	s_and_saveexec_b64 vcc, s[36:37]
.LBB169_4997:
	v_lshrrev_b32_e32 v4, 24, v56
	s_movk_i32 s36, 0x80
	v_and_or_b32 v4, v4, s36, v1
.LBB169_4998:
	s_or_b64 exec, exec, vcc
.LBB169_4999:
	s_or_b64 exec, exec, s[34:35]
	flat_store_byte v[2:3], v4
                                        ; implicit-def: $vgpr56
                                        ; implicit-def: $vgpr2_vgpr3
.LBB169_5000:
	s_andn2_saveexec_b64 s[30:31], s[30:31]
	s_cbranch_execz .LBB169_5010
; %bb.5001:
	v_and_b32_e32 v4, 0x7fffffff, v56
	s_mov_b32 vcc_lo, 0x43f00000
	v_cmp_gt_u32_e32 vcc, vcc_lo, v4
                                        ; implicit-def: $vgpr1
	s_and_saveexec_b64 s[34:35], vcc
	s_xor_b64 s[34:35], exec, s[34:35]
	s_cbranch_execz .LBB169_5007
; %bb.5002:
	s_mov_b32 vcc_lo, 0x3c7fffff
	v_cmp_lt_u32_e32 vcc, vcc_lo, v4
                                        ; implicit-def: $vgpr1
	s_and_saveexec_b64 s[36:37], vcc
	s_xor_b64 s[36:37], exec, s[36:37]
; %bb.5003:
	v_bfe_u32 v1, v56, 20, 1
	s_mov_b32 vcc_lo, 0x407ffff
	v_add3_u32 v1, v56, v1, vcc_lo
	v_lshrrev_b32_e32 v4, 20, v1
	v_and_b32_e32 v1, 0xff00000, v1
	s_mov_b32 vcc_lo, 0x7f00000
	v_mov_b32_e32 v5, 0x7e
	v_cmp_ne_u32_e32 vcc, vcc_lo, v1
	v_cndmask_b32_e32 v1, v5, v4, vcc
; %bb.5004:
	s_andn2_saveexec_b64 vcc, s[36:37]
; %bb.5005:
	s_mov_b32 s36, 0x46800000
	v_add_f32_e64 v1, |v56|, s36
; %bb.5006:
	s_or_b64 exec, exec, vcc
                                        ; implicit-def: $vgpr4
.LBB169_5007:
	s_andn2_saveexec_b64 s[34:35], s[34:35]
; %bb.5008:
	s_mov_b32 vcc_lo, 0x7f800000
	v_mov_b32_e32 v1, 0x7e
	v_mov_b32_e32 v5, 0x7f
	v_cmp_lt_u32_e32 vcc, vcc_lo, v4
	v_cndmask_b32_e32 v1, v1, v5, vcc
; %bb.5009:
	s_or_b64 exec, exec, s[34:35]
	v_lshrrev_b32_e32 v4, 24, v56
	s_movk_i32 vcc_lo, 0x80
	v_and_or_b32 v1, v4, vcc_lo, v1
	flat_store_byte v[2:3], v1
.LBB169_5010:
	s_or_b64 exec, exec, s[30:31]
                                        ; implicit-def: $vgpr56
                                        ; implicit-def: $vgpr2_vgpr3
.LBB169_5011:
	s_andn2_saveexec_b64 s[28:29], s[28:29]
	s_cbranch_execz .LBB169_5021
; %bb.5012:
	v_and_b32_e32 v4, 0x7fffffff, v56
	s_mov_b32 vcc_lo, 0x47800000
	v_cmp_gt_u32_e32 vcc, vcc_lo, v4
                                        ; implicit-def: $vgpr1
	s_and_saveexec_b64 s[30:31], vcc
	s_xor_b64 s[30:31], exec, s[30:31]
	s_cbranch_execz .LBB169_5018
; %bb.5013:
	s_mov_b32 vcc_lo, 0x387fffff
	v_cmp_lt_u32_e32 vcc, vcc_lo, v4
                                        ; implicit-def: $vgpr1
	s_and_saveexec_b64 s[34:35], vcc
	s_xor_b64 vcc, exec, s[34:35]
; %bb.5014:
	v_bfe_u32 v1, v56, 21, 1
	s_mov_b32 s34, 0x80fffff
	v_add3_u32 v1, v56, v1, s34
	v_lshrrev_b32_e32 v1, 21, v1
; %bb.5015:
	s_andn2_saveexec_b64 vcc, vcc
; %bb.5016:
	s_mov_b32 s34, 0x43000000
	v_add_f32_e64 v1, |v56|, s34
; %bb.5017:
	s_or_b64 exec, exec, vcc
                                        ; implicit-def: $vgpr4
.LBB169_5018:
	s_andn2_saveexec_b64 s[30:31], s[30:31]
; %bb.5019:
	s_mov_b32 vcc_lo, 0x7f800000
	v_mov_b32_e32 v1, 0x7c
	v_mov_b32_e32 v5, 0x7f
	v_cmp_lt_u32_e32 vcc, vcc_lo, v4
	v_cndmask_b32_e32 v1, v1, v5, vcc
; %bb.5020:
	s_or_b64 exec, exec, s[30:31]
	v_lshrrev_b32_e32 v4, 24, v56
	s_movk_i32 vcc_lo, 0x80
	v_and_or_b32 v1, v4, vcc_lo, v1
	flat_store_byte v[2:3], v1
.LBB169_5021:
	s_or_b64 exec, exec, s[28:29]
	s_or_b64 s[28:29], s[4:5], exec
                                        ; implicit-def: $vgpr56
                                        ; implicit-def: $vgpr2_vgpr3
.LBB169_5022:
	s_or_saveexec_b64 s[22:23], s[22:23]
	s_mov_b64 vcc, s[18:19]
	s_xor_b64 exec, exec, s[22:23]
	s_cbranch_execz .LBB169_5032
; %bb.5023:
	v_mov_b32_e32 v1, 14
	v_cmp_gt_i16_sdwa vcc, v62, v1 src0_sel:BYTE_0 src1_sel:DWORD
	s_mov_b64 s[30:31], s[28:29]
	s_mov_b64 s[34:35], s[18:19]
	s_and_saveexec_b64 s[36:37], vcc
	s_xor_b64 s[36:37], exec, s[36:37]
	s_cbranch_execz .LBB169_5027
; %bb.5024:
	v_mov_b32_e32 v1, 15
	v_cmp_eq_u16_sdwa s[38:39], v62, v1 src0_sel:BYTE_0 src1_sel:DWORD
	s_mov_b64 s[34:35], -1
	s_mov_b64 vcc, s[28:29]
	s_and_saveexec_b64 s[30:31], s[38:39]
	s_cbranch_execz .LBB169_5026
; %bb.5025:
	v_bfe_u32 v1, v56, 16, 1
	s_movk_i32 vcc_lo, 0x7fff
	v_add3_u32 v1, v56, v1, vcc_lo
	v_lshrrev_b32_e32 v1, 16, v1
	v_mov_b32_e32 v4, 0x7fc0
	v_cmp_o_f32_e32 vcc, v56, v56
	v_cndmask_b32_e32 v1, v4, v1, vcc
	flat_store_short v[2:3], v1
	s_xor_b64 s[34:35], exec, -1
	s_or_b64 vcc, s[28:29], exec
.LBB169_5026:
	s_or_b64 exec, exec, s[30:31]
	s_andn2_b64 s[30:31], s[18:19], exec
	s_and_b64 s[34:35], s[34:35], exec
	s_or_b64 s[34:35], s[30:31], s[34:35]
	s_andn2_b64 s[30:31], s[28:29], exec
	s_and_b64 vcc, vcc, exec
	s_or_b64 s[30:31], s[30:31], vcc
                                        ; implicit-def: $vgpr56
                                        ; implicit-def: $vgpr2_vgpr3
.LBB169_5027:
	s_andn2_saveexec_b64 s[36:37], s[36:37]
	s_cbranch_execz .LBB169_5031
; %bb.5028:
	v_mov_b32_e32 v1, 11
	v_cmp_eq_u16_sdwa s[42:43], v62, v1 src0_sel:BYTE_0 src1_sel:DWORD
	s_mov_b64 s[38:39], -1
	s_mov_b64 vcc, s[30:31]
	s_and_saveexec_b64 s[40:41], s[42:43]
	s_cbranch_execz .LBB169_5030
; %bb.5029:
	v_cmp_neq_f32_e32 vcc, 0, v56
	v_cndmask_b32_e64 v1, 0, 1, vcc
	flat_store_byte v[2:3], v1
	s_xor_b64 s[38:39], exec, -1
	s_or_b64 vcc, s[30:31], exec
.LBB169_5030:
	s_or_b64 exec, exec, s[40:41]
	s_andn2_b64 s[34:35], s[34:35], exec
	s_and_b64 s[38:39], s[38:39], exec
	s_andn2_b64 s[30:31], s[30:31], exec
	s_and_b64 vcc, vcc, exec
	s_or_b64 s[34:35], s[34:35], s[38:39]
	s_or_b64 s[30:31], s[30:31], vcc
.LBB169_5031:
	s_or_b64 exec, exec, s[36:37]
	s_andn2_b64 vcc, s[18:19], exec
	s_and_b64 s[34:35], s[34:35], exec
	s_andn2_b64 s[28:29], s[28:29], exec
	s_and_b64 s[30:31], s[30:31], exec
	s_or_b64 vcc, vcc, s[34:35]
	s_or_b64 s[28:29], s[28:29], s[30:31]
.LBB169_5032:
	s_or_b64 exec, exec, s[22:23]
	s_andn2_b64 s[18:19], s[18:19], exec
	s_and_b64 s[22:23], vcc, exec
	s_or_b64 s[18:19], s[18:19], s[22:23]
	s_andn2_b64 s[4:5], s[4:5], exec
	s_and_b64 s[22:23], s[28:29], exec
	s_or_b64 s[4:5], s[4:5], s[22:23]
.LBB169_5033:
	s_or_b64 exec, exec, s[20:21]
	s_andn2_b64 s[20:21], s[10:11], exec
	s_and_b64 s[18:19], s[18:19], exec
	s_or_b64 s[18:19], s[20:21], s[18:19]
	s_and_b64 s[4:5], s[4:5], exec
                                        ; implicit-def: $vgpr56
                                        ; implicit-def: $vgpr2_vgpr3
	s_andn2_saveexec_b64 s[14:15], s[14:15]
	s_cbranch_execz .LBB169_3860
.LBB169_5034:
	v_mov_b32_e32 v1, 4
	v_cmp_gt_i16_sdwa s[20:21], v62, v1 src0_sel:BYTE_0 src1_sel:DWORD
	s_and_saveexec_b64 s[22:23], s[20:21]
	s_xor_b64 s[20:21], exec, s[22:23]
	s_cbranch_execz .LBB169_5056
; %bb.5035:
	v_mov_b32_e32 v1, 7
	v_cmp_gt_i16_sdwa s[22:23], v62, v1 src0_sel:BYTE_0 src1_sel:DWORD
	s_and_saveexec_b64 s[28:29], s[22:23]
	s_xor_b64 s[22:23], exec, s[28:29]
	s_cbranch_execz .LBB169_5045
; %bb.5036:
	v_mov_b32_e32 v1, 8
	v_cmp_gt_i16_sdwa s[28:29], v62, v1 src0_sel:BYTE_0 src1_sel:DWORD
	s_and_saveexec_b64 vcc, s[28:29]
	s_xor_b64 s[28:29], exec, vcc
	s_cbranch_execz .LBB169_5042
; %bb.5037:
	v_mov_b32_e32 v1, 9
	v_cmp_gt_i16_sdwa vcc, v62, v1 src0_sel:BYTE_0 src1_sel:DWORD
	s_and_saveexec_b64 s[30:31], vcc
	s_xor_b64 vcc, exec, s[30:31]
	s_cbranch_execz .LBB169_5039
; %bb.5038:
	v_mov_b32_e32 v6, 0
	v_cvt_f64_f32_e32 v[4:5], v56
	v_mov_b32_e32 v7, v6
	flat_store_dwordx4 v[2:3], v[4:7]
                                        ; implicit-def: $vgpr56
                                        ; implicit-def: $vgpr2_vgpr3
.LBB169_5039:
	s_andn2_saveexec_b64 vcc, vcc
	s_cbranch_execz .LBB169_5041
; %bb.5040:
	v_mov_b32_e32 v57, 0
	flat_store_dwordx2 v[2:3], v[56:57]
.LBB169_5041:
	s_or_b64 exec, exec, vcc
                                        ; implicit-def: $vgpr56
                                        ; implicit-def: $vgpr2_vgpr3
.LBB169_5042:
	s_andn2_saveexec_b64 s[28:29], s[28:29]
	s_cbranch_execz .LBB169_5044
; %bb.5043:
	v_cvt_f16_f32_e32 v1, v56
	flat_store_dword v[2:3], v1
.LBB169_5044:
	s_or_b64 exec, exec, s[28:29]
                                        ; implicit-def: $vgpr56
                                        ; implicit-def: $vgpr2_vgpr3
.LBB169_5045:
	s_andn2_saveexec_b64 s[22:23], s[22:23]
	s_cbranch_execz .LBB169_5055
; %bb.5046:
	v_mov_b32_e32 v1, 5
	v_cmp_gt_i16_sdwa s[28:29], v62, v1 src0_sel:BYTE_0 src1_sel:DWORD
	s_and_saveexec_b64 vcc, s[28:29]
	s_xor_b64 s[28:29], exec, vcc
	s_cbranch_execz .LBB169_5052
; %bb.5047:
	v_mov_b32_e32 v1, 6
	v_cmp_gt_i16_sdwa vcc, v62, v1 src0_sel:BYTE_0 src1_sel:DWORD
	s_and_saveexec_b64 s[30:31], vcc
	s_xor_b64 vcc, exec, s[30:31]
	s_cbranch_execz .LBB169_5049
; %bb.5048:
	v_cvt_f64_f32_e32 v[4:5], v56
	flat_store_dwordx2 v[2:3], v[4:5]
                                        ; implicit-def: $vgpr2_vgpr3
                                        ; implicit-def: $vgpr56
.LBB169_5049:
	s_andn2_saveexec_b64 vcc, vcc
	s_cbranch_execz .LBB169_5051
; %bb.5050:
	flat_store_dword v[2:3], v56
.LBB169_5051:
	s_or_b64 exec, exec, vcc
                                        ; implicit-def: $vgpr56
                                        ; implicit-def: $vgpr2_vgpr3
.LBB169_5052:
	s_andn2_saveexec_b64 s[28:29], s[28:29]
	s_cbranch_execz .LBB169_5054
; %bb.5053:
	v_cvt_f16_f32_e32 v1, v56
	flat_store_short v[2:3], v1
.LBB169_5054:
	s_or_b64 exec, exec, s[28:29]
.LBB169_5055:
	s_or_b64 exec, exec, s[22:23]
                                        ; implicit-def: $vgpr56
                                        ; implicit-def: $vgpr2_vgpr3
.LBB169_5056:
	s_andn2_saveexec_b64 s[20:21], s[20:21]
	s_cbranch_execz .LBB169_5074
; %bb.5057:
	v_mov_b32_e32 v1, 1
	v_cmp_gt_i16_sdwa s[22:23], v62, v1 src0_sel:BYTE_0 src1_sel:DWORD
	s_and_saveexec_b64 s[28:29], s[22:23]
	s_xor_b64 s[22:23], exec, s[28:29]
	s_cbranch_execz .LBB169_5067
; %bb.5058:
	v_mov_b32_e32 v1, 2
	v_cmp_gt_i16_sdwa s[28:29], v62, v1 src0_sel:BYTE_0 src1_sel:DWORD
	s_and_saveexec_b64 vcc, s[28:29]
	s_xor_b64 s[28:29], exec, vcc
	s_cbranch_execz .LBB169_5064
; %bb.5059:
	v_mov_b32_e32 v1, 3
	v_cmp_gt_i16_sdwa vcc, v62, v1 src0_sel:BYTE_0 src1_sel:DWORD
	s_and_saveexec_b64 s[30:31], vcc
	s_xor_b64 s[30:31], exec, s[30:31]
	s_cbranch_execz .LBB169_5061
; %bb.5060:
	v_trunc_f32_e32 v1, v56
	s_mov_b32 s34, 0x2f800000
	v_mul_f32_e64 v4, |v1|, s34
	v_floor_f32_e32 v4, v4
	s_mov_b32 s34, 0xcf800000
	v_cvt_u32_f32_e32 v5, v4
	v_fma_f32 v4, v4, s34, |v1|
	v_cvt_u32_f32_e32 v4, v4
	v_ashrrev_i32_e32 v1, 31, v1
	v_xor_b32_e32 v5, v5, v1
                                        ; implicit-def: $vgpr56
	v_xor_b32_e32 v4, v4, v1
	v_sub_co_u32_e32 v4, vcc, v4, v1
	v_subb_co_u32_e32 v5, vcc, v5, v1, vcc
	flat_store_dwordx2 v[2:3], v[4:5]
                                        ; implicit-def: $vgpr2_vgpr3
.LBB169_5061:
	s_andn2_saveexec_b64 vcc, s[30:31]
	s_cbranch_execz .LBB169_5063
; %bb.5062:
	v_cvt_i32_f32_e32 v1, v56
	flat_store_dword v[2:3], v1
.LBB169_5063:
	s_or_b64 exec, exec, vcc
                                        ; implicit-def: $vgpr56
                                        ; implicit-def: $vgpr2_vgpr3
.LBB169_5064:
	s_andn2_saveexec_b64 s[28:29], s[28:29]
	s_cbranch_execz .LBB169_5066
; %bb.5065:
	v_cvt_i32_f32_e32 v1, v56
	flat_store_short v[2:3], v1
.LBB169_5066:
	s_or_b64 exec, exec, s[28:29]
                                        ; implicit-def: $vgpr56
                                        ; implicit-def: $vgpr2_vgpr3
.LBB169_5067:
	s_andn2_saveexec_b64 s[22:23], s[22:23]
	s_cbranch_execz .LBB169_5073
; %bb.5068:
	v_mov_b32_e32 v1, 0
	v_cmp_gt_i16_sdwa s[28:29], v62, v1 src0_sel:BYTE_0 src1_sel:DWORD
	s_and_saveexec_b64 vcc, s[28:29]
	s_xor_b64 s[28:29], exec, vcc
	s_cbranch_execz .LBB169_5070
; %bb.5069:
	v_cvt_i32_f32_e32 v1, v56
                                        ; implicit-def: $vgpr56
	flat_store_byte v[2:3], v1
                                        ; implicit-def: $vgpr2_vgpr3
.LBB169_5070:
	s_andn2_saveexec_b64 s[28:29], s[28:29]
	s_cbranch_execz .LBB169_5072
; %bb.5071:
	v_trunc_f32_e32 v1, v56
	s_mov_b32 s30, 0x2f800000
	v_mul_f32_e64 v4, |v1|, s30
	v_floor_f32_e32 v4, v4
	s_mov_b32 s30, 0xcf800000
	v_fma_f32 v4, v4, s30, |v1|
	v_cvt_u32_f32_e32 v4, v4
	v_ashrrev_i32_e32 v1, 31, v1
	v_xor_b32_e32 v4, v4, v1
	v_sub_u32_e32 v1, v4, v1
	flat_store_byte v[2:3], v1
.LBB169_5072:
	s_or_b64 exec, exec, s[28:29]
.LBB169_5073:
	s_or_b64 exec, exec, s[22:23]
.LBB169_5074:
	s_or_b64 exec, exec, s[20:21]
	s_or_b64 s[4:5], s[4:5], exec
	s_or_b64 exec, exec, s[14:15]
	s_mov_b64 s[20:21], 0
	s_and_saveexec_b64 s[14:15], s[4:5]
	s_cbranch_execnz .LBB169_3861
	s_branch .LBB169_3862
.LBB169_5075:
	v_mov_b32_e32 v1, 25
	v_cmp_gt_i16_sdwa s[28:29], v62, v1 src0_sel:BYTE_0 src1_sel:DWORD
	s_mov_b64 s[22:23], s[14:15]
	s_and_saveexec_b64 vcc, s[28:29]
	s_xor_b64 s[28:29], exec, vcc
	s_cbranch_execz .LBB169_5111
; %bb.5076:
	v_mov_b32_e32 v1, 28
	v_cmp_gt_i16_sdwa s[22:23], v62, v1 src0_sel:BYTE_0 src1_sel:DWORD
	s_mov_b64 s[30:31], s[14:15]
	s_and_saveexec_b64 vcc, s[22:23]
	s_xor_b64 s[22:23], exec, vcc
	s_cbranch_execz .LBB169_5094
; %bb.5077:
	v_mov_b32_e32 v1, 43
	v_cmp_gt_i16_sdwa s[30:31], v62, v1 src0_sel:BYTE_0 src1_sel:DWORD
	s_mov_b64 vcc, s[14:15]
	s_and_saveexec_b64 s[34:35], s[30:31]
	s_xor_b64 s[30:31], exec, s[34:35]
	s_cbranch_execz .LBB169_5089
; %bb.5078:
	v_mov_b32_e32 v1, 45
	v_cmp_gt_i16_sdwa s[4:5], v62, v1 src0_sel:BYTE_0 src1_sel:DWORD
	s_mov_b64 s[34:35], 0
	s_mov_b64 s[36:37], s[14:15]
	s_and_saveexec_b64 vcc, s[4:5]
	s_xor_b64 s[4:5], exec, vcc
	s_cbranch_execz .LBB169_5082
; %bb.5079:
	v_mov_b32_e32 v1, 46
	v_cmp_eq_u16_sdwa s[38:39], v62, v1 src0_sel:BYTE_0 src1_sel:DWORD
	s_mov_b64 vcc, -1
	s_and_saveexec_b64 s[36:37], s[38:39]
	s_cbranch_execz .LBB169_5081
; %bb.5080:
	v_bfe_u32 v1, v46, 16, 1
	s_movk_i32 vcc_lo, 0x7fff
	v_add3_u32 v1, v46, v1, vcc_lo
	v_lshrrev_b32_e32 v1, 16, v1
	v_mov_b32_e32 v4, 0x7fc0
	v_cmp_o_f32_e32 vcc, v46, v46
	v_cndmask_b32_e32 v1, v4, v1, vcc
	s_mov_b64 s[34:35], exec
	flat_store_dword v[2:3], v1
	s_xor_b64 vcc, exec, -1
.LBB169_5081:
	s_or_b64 exec, exec, s[36:37]
	s_andn2_b64 s[36:37], s[14:15], exec
	s_and_b64 vcc, vcc, exec
	s_or_b64 s[36:37], s[36:37], vcc
	s_and_b64 s[34:35], s[34:35], exec
                                        ; implicit-def: $vgpr2_vgpr3
                                        ; implicit-def: $vgpr46
.LBB169_5082:
	s_andn2_saveexec_b64 s[38:39], s[4:5]
	s_cbranch_execz .LBB169_5088
; %bb.5083:
	v_mov_b32_e32 v1, 44
	v_cmp_eq_u16_sdwa s[42:43], v62, v1 src0_sel:BYTE_0 src1_sel:DWORD
	s_mov_b64 vcc, -1
	s_mov_b64 s[4:5], s[34:35]
	s_and_saveexec_b64 s[40:41], s[42:43]
	s_cbranch_execz .LBB169_5087
; %bb.5084:
	v_bfe_u32 v1, v46, 23, 8
	s_movk_i32 s4, 0xff
	v_cmp_ne_u32_e32 vcc, s4, v1
	v_mov_b32_e32 v4, 0xff
	s_and_saveexec_b64 s[42:43], vcc
; %bb.5085:
	s_mov_b32 s4, 0x3fffff
	v_and_b32_e32 v5, 0x400000, v46
	v_and_or_b32 v1, v46, s4, v1
	v_cmp_ne_u32_e32 vcc, 0, v5
	v_cmp_ne_u32_e64 s[4:5], 0, v1
	s_and_b64 s[4:5], vcc, s[4:5]
	v_lshrrev_b32_e32 v4, 23, v46
	v_cndmask_b32_e64 v1, 0, 1, s[4:5]
	v_add_u32_e32 v4, v4, v1
; %bb.5086:
	s_or_b64 exec, exec, s[42:43]
	s_xor_b64 vcc, exec, -1
	s_or_b64 s[4:5], s[34:35], exec
	flat_store_byte v[2:3], v4
.LBB169_5087:
	s_or_b64 exec, exec, s[40:41]
	s_andn2_b64 s[36:37], s[36:37], exec
	s_and_b64 vcc, vcc, exec
	s_or_b64 s[36:37], s[36:37], vcc
	s_andn2_b64 vcc, s[34:35], exec
	s_and_b64 s[4:5], s[4:5], exec
	s_or_b64 s[34:35], vcc, s[4:5]
.LBB169_5088:
	s_or_b64 exec, exec, s[38:39]
	s_andn2_b64 s[4:5], s[14:15], exec
	s_and_b64 vcc, s[36:37], exec
	s_or_b64 vcc, s[4:5], vcc
	s_and_b64 s[4:5], s[34:35], exec
                                        ; implicit-def: $vgpr46
                                        ; implicit-def: $vgpr2_vgpr3
.LBB169_5089:
	s_andn2_saveexec_b64 s[30:31], s[30:31]
	s_cbranch_execz .LBB169_5093
; %bb.5090:
	v_mov_b32_e32 v1, 29
	v_cmp_eq_u16_sdwa s[40:41], v62, v1 src0_sel:BYTE_0 src1_sel:DWORD
	s_mov_b64 s[38:39], -1
	s_mov_b64 s[36:37], s[4:5]
	s_and_saveexec_b64 s[34:35], s[40:41]
	s_cbranch_execz .LBB169_5092
; %bb.5091:
	v_trunc_f32_e32 v1, v46
	v_mul_f32_e32 v4, 0x2f800000, v1
	v_floor_f32_e32 v4, v4
	v_fmac_f32_e32 v1, 0xcf800000, v4
	v_cvt_u32_f32_e32 v5, v4
	v_cvt_u32_f32_e32 v4, v1
	s_xor_b64 s[38:39], exec, -1
	s_or_b64 s[36:37], s[4:5], exec
	flat_store_dwordx2 v[2:3], v[4:5]
.LBB169_5092:
	s_or_b64 exec, exec, s[34:35]
	s_andn2_b64 vcc, vcc, exec
	s_and_b64 s[34:35], s[38:39], exec
	s_or_b64 vcc, vcc, s[34:35]
	s_andn2_b64 s[4:5], s[4:5], exec
	s_and_b64 s[34:35], s[36:37], exec
	s_or_b64 s[4:5], s[4:5], s[34:35]
.LBB169_5093:
	s_or_b64 exec, exec, s[30:31]
	s_andn2_b64 s[30:31], s[14:15], exec
	s_and_b64 vcc, vcc, exec
	s_or_b64 s[30:31], s[30:31], vcc
	s_and_b64 s[4:5], s[4:5], exec
                                        ; implicit-def: $vgpr2_vgpr3
                                        ; implicit-def: $vgpr46
.LBB169_5094:
	s_andn2_saveexec_b64 s[22:23], s[22:23]
	s_cbranch_execz .LBB169_5110
; %bb.5095:
	v_mov_b32_e32 v1, 26
	v_cmp_gt_i16_sdwa vcc, v62, v1 src0_sel:BYTE_0 src1_sel:DWORD
	s_and_saveexec_b64 s[34:35], vcc
	s_xor_b64 vcc, exec, s[34:35]
	s_cbranch_execz .LBB169_5101
; %bb.5096:
	v_cvt_u32_f32_e32 v1, v46
	v_mov_b32_e32 v4, 27
	v_cmp_gt_i16_sdwa s[34:35], v62, v4 src0_sel:BYTE_0 src1_sel:DWORD
	s_and_saveexec_b64 s[36:37], s[34:35]
	s_xor_b64 s[34:35], exec, s[36:37]
	s_cbranch_execz .LBB169_5098
; %bb.5097:
	flat_store_dword v[2:3], v1
                                        ; implicit-def: $vgpr2_vgpr3
                                        ; implicit-def: $vgpr1
.LBB169_5098:
	s_andn2_saveexec_b64 s[34:35], s[34:35]
	s_cbranch_execz .LBB169_5100
; %bb.5099:
	flat_store_short v[2:3], v1
.LBB169_5100:
	s_or_b64 exec, exec, s[34:35]
                                        ; implicit-def: $vgpr2_vgpr3
                                        ; implicit-def: $vgpr46
.LBB169_5101:
	s_andn2_saveexec_b64 s[34:35], vcc
	s_cbranch_execz .LBB169_5109
; %bb.5102:
	v_and_b32_e32 v1, 0x7fffffff, v46
	s_mov_b32 vcc_lo, 0x43800000
	v_cmp_gt_u32_e32 vcc, vcc_lo, v1
	v_mov_b32_e32 v4, 0x80
	s_and_saveexec_b64 s[36:37], vcc
	s_cbranch_execz .LBB169_5108
; %bb.5103:
	s_mov_b32 vcc_lo, 0x3bffffff
	v_cmp_lt_u32_e32 vcc, vcc_lo, v1
	s_mov_b64 s[38:39], 0
                                        ; implicit-def: $vgpr1
	s_and_saveexec_b64 s[40:41], vcc
	s_xor_b64 vcc, exec, s[40:41]
	s_cbranch_execnz .LBB169_5819
; %bb.5104:
	s_or_saveexec_b64 s[40:41], vcc
                                        ; implicit-def: $sgpr42
	s_xor_b64 exec, exec, s[40:41]
	s_cbranch_execnz .LBB169_5820
.LBB169_5105:
	s_or_b64 exec, exec, s[40:41]
	v_mov_b32_e32 v4, s42
	s_and_saveexec_b64 vcc, s[38:39]
.LBB169_5106:
	v_lshrrev_b32_e32 v4, 24, v46
	s_movk_i32 s38, 0x80
	v_and_or_b32 v4, v4, s38, v1
.LBB169_5107:
	s_or_b64 exec, exec, vcc
.LBB169_5108:
	s_or_b64 exec, exec, s[36:37]
	flat_store_byte v[2:3], v4
.LBB169_5109:
	s_or_b64 exec, exec, s[34:35]
	s_or_b64 s[4:5], s[4:5], exec
.LBB169_5110:
	s_or_b64 exec, exec, s[22:23]
	s_andn2_b64 s[22:23], s[14:15], exec
	s_and_b64 vcc, s[30:31], exec
	s_or_b64 s[22:23], s[22:23], vcc
	s_and_b64 s[4:5], s[4:5], exec
                                        ; implicit-def: $vgpr46
                                        ; implicit-def: $vgpr2_vgpr3
.LBB169_5111:
	s_andn2_saveexec_b64 s[28:29], s[28:29]
	s_cbranch_execz .LBB169_5155
; %bb.5112:
	v_mov_b32_e32 v1, 22
	v_cmp_gt_i16_sdwa vcc, v62, v1 src0_sel:BYTE_0 src1_sel:DWORD
	s_mov_b64 s[34:35], s[4:5]
	s_and_saveexec_b64 s[30:31], vcc
	s_xor_b64 s[30:31], exec, s[30:31]
	s_cbranch_execz .LBB169_5144
; %bb.5113:
	v_mov_b32_e32 v1, 23
	v_cmp_gt_i16_sdwa vcc, v62, v1 src0_sel:BYTE_0 src1_sel:DWORD
	s_and_saveexec_b64 s[34:35], vcc
	s_xor_b64 s[34:35], exec, s[34:35]
	s_cbranch_execz .LBB169_5133
; %bb.5114:
	v_mov_b32_e32 v1, 24
	v_cmp_gt_i16_sdwa vcc, v62, v1 src0_sel:BYTE_0 src1_sel:DWORD
	s_and_saveexec_b64 s[36:37], vcc
	s_xor_b64 s[36:37], exec, s[36:37]
	s_cbranch_execz .LBB169_5122
; %bb.5115:
	v_and_b32_e32 v1, 0x7fffffff, v46
	s_mov_b32 vcc_lo, 0x47800000
	v_cmp_gt_u32_e32 vcc, vcc_lo, v1
	v_mov_b32_e32 v4, 0x80
	s_and_saveexec_b64 s[38:39], vcc
	s_cbranch_execz .LBB169_5121
; %bb.5116:
	s_mov_b32 vcc_lo, 0x37ffffff
	v_cmp_lt_u32_e32 vcc, vcc_lo, v1
	s_mov_b64 s[40:41], 0
                                        ; implicit-def: $vgpr1
	s_and_saveexec_b64 s[42:43], vcc
	s_xor_b64 vcc, exec, s[42:43]
	s_cbranch_execnz .LBB169_5943
; %bb.5117:
	s_or_saveexec_b64 s[42:43], vcc
                                        ; implicit-def: $sgpr44
	s_xor_b64 exec, exec, s[42:43]
	s_cbranch_execnz .LBB169_5944
.LBB169_5118:
	s_or_b64 exec, exec, s[42:43]
	v_mov_b32_e32 v4, s44
	s_and_saveexec_b64 vcc, s[40:41]
.LBB169_5119:
	v_lshrrev_b32_e32 v4, 24, v46
	s_movk_i32 s40, 0x80
	v_and_or_b32 v4, v4, s40, v1
.LBB169_5120:
	s_or_b64 exec, exec, vcc
.LBB169_5121:
	s_or_b64 exec, exec, s[38:39]
	flat_store_byte v[2:3], v4
                                        ; implicit-def: $vgpr46
                                        ; implicit-def: $vgpr2_vgpr3
.LBB169_5122:
	s_andn2_saveexec_b64 s[36:37], s[36:37]
	s_cbranch_execz .LBB169_5132
; %bb.5123:
	v_and_b32_e32 v4, 0x7fffffff, v46
	s_mov_b32 vcc_lo, 0x43f00000
	v_cmp_gt_u32_e32 vcc, vcc_lo, v4
                                        ; implicit-def: $vgpr1
	s_and_saveexec_b64 s[38:39], vcc
	s_xor_b64 s[38:39], exec, s[38:39]
	s_cbranch_execz .LBB169_5129
; %bb.5124:
	s_mov_b32 vcc_lo, 0x3c7fffff
	v_cmp_lt_u32_e32 vcc, vcc_lo, v4
                                        ; implicit-def: $vgpr1
	s_and_saveexec_b64 s[40:41], vcc
	s_xor_b64 s[40:41], exec, s[40:41]
; %bb.5125:
	v_bfe_u32 v1, v46, 20, 1
	s_mov_b32 vcc_lo, 0x407ffff
	v_add3_u32 v1, v46, v1, vcc_lo
	v_lshrrev_b32_e32 v4, 20, v1
	v_and_b32_e32 v1, 0xff00000, v1
	s_mov_b32 vcc_lo, 0x7f00000
	v_mov_b32_e32 v5, 0x7e
	v_cmp_ne_u32_e32 vcc, vcc_lo, v1
	v_cndmask_b32_e32 v1, v5, v4, vcc
; %bb.5126:
	s_andn2_saveexec_b64 vcc, s[40:41]
; %bb.5127:
	s_mov_b32 s40, 0x46800000
	v_add_f32_e64 v1, |v46|, s40
; %bb.5128:
	s_or_b64 exec, exec, vcc
                                        ; implicit-def: $vgpr4
.LBB169_5129:
	s_andn2_saveexec_b64 s[38:39], s[38:39]
; %bb.5130:
	s_mov_b32 vcc_lo, 0x7f800000
	v_mov_b32_e32 v1, 0x7e
	v_mov_b32_e32 v5, 0x7f
	v_cmp_lt_u32_e32 vcc, vcc_lo, v4
	v_cndmask_b32_e32 v1, v1, v5, vcc
; %bb.5131:
	s_or_b64 exec, exec, s[38:39]
	v_lshrrev_b32_e32 v4, 24, v46
	s_movk_i32 vcc_lo, 0x80
	v_and_or_b32 v1, v4, vcc_lo, v1
	flat_store_byte v[2:3], v1
.LBB169_5132:
	s_or_b64 exec, exec, s[36:37]
                                        ; implicit-def: $vgpr46
                                        ; implicit-def: $vgpr2_vgpr3
.LBB169_5133:
	s_andn2_saveexec_b64 s[34:35], s[34:35]
	s_cbranch_execz .LBB169_5143
; %bb.5134:
	v_and_b32_e32 v4, 0x7fffffff, v46
	s_mov_b32 vcc_lo, 0x47800000
	v_cmp_gt_u32_e32 vcc, vcc_lo, v4
                                        ; implicit-def: $vgpr1
	s_and_saveexec_b64 s[36:37], vcc
	s_xor_b64 s[36:37], exec, s[36:37]
	s_cbranch_execz .LBB169_5140
; %bb.5135:
	s_mov_b32 vcc_lo, 0x387fffff
	v_cmp_lt_u32_e32 vcc, vcc_lo, v4
                                        ; implicit-def: $vgpr1
	s_and_saveexec_b64 s[38:39], vcc
	s_xor_b64 vcc, exec, s[38:39]
; %bb.5136:
	v_bfe_u32 v1, v46, 21, 1
	s_mov_b32 s38, 0x80fffff
	v_add3_u32 v1, v46, v1, s38
	v_lshrrev_b32_e32 v1, 21, v1
; %bb.5137:
	s_andn2_saveexec_b64 vcc, vcc
; %bb.5138:
	s_mov_b32 s38, 0x43000000
	v_add_f32_e64 v1, |v46|, s38
; %bb.5139:
	s_or_b64 exec, exec, vcc
                                        ; implicit-def: $vgpr4
.LBB169_5140:
	s_andn2_saveexec_b64 s[36:37], s[36:37]
; %bb.5141:
	s_mov_b32 vcc_lo, 0x7f800000
	v_mov_b32_e32 v1, 0x7c
	v_mov_b32_e32 v5, 0x7f
	v_cmp_lt_u32_e32 vcc, vcc_lo, v4
	v_cndmask_b32_e32 v1, v1, v5, vcc
; %bb.5142:
	s_or_b64 exec, exec, s[36:37]
	v_lshrrev_b32_e32 v4, 24, v46
	s_movk_i32 vcc_lo, 0x80
	v_and_or_b32 v1, v4, vcc_lo, v1
	flat_store_byte v[2:3], v1
.LBB169_5143:
	s_or_b64 exec, exec, s[34:35]
	s_or_b64 s[34:35], s[4:5], exec
                                        ; implicit-def: $vgpr46
                                        ; implicit-def: $vgpr2_vgpr3
.LBB169_5144:
	s_or_saveexec_b64 s[30:31], s[30:31]
	s_mov_b64 vcc, s[22:23]
	s_xor_b64 exec, exec, s[30:31]
	s_cbranch_execz .LBB169_5154
; %bb.5145:
	v_mov_b32_e32 v1, 14
	v_cmp_gt_i16_sdwa vcc, v62, v1 src0_sel:BYTE_0 src1_sel:DWORD
	s_mov_b64 s[36:37], s[34:35]
	s_mov_b64 s[38:39], s[22:23]
	s_and_saveexec_b64 s[40:41], vcc
	s_xor_b64 s[40:41], exec, s[40:41]
	s_cbranch_execz .LBB169_5149
; %bb.5146:
	v_mov_b32_e32 v1, 15
	v_cmp_eq_u16_sdwa s[42:43], v62, v1 src0_sel:BYTE_0 src1_sel:DWORD
	s_mov_b64 s[38:39], -1
	s_mov_b64 vcc, s[34:35]
	s_and_saveexec_b64 s[36:37], s[42:43]
	s_cbranch_execz .LBB169_5148
; %bb.5147:
	v_bfe_u32 v1, v46, 16, 1
	s_movk_i32 vcc_lo, 0x7fff
	v_add3_u32 v1, v46, v1, vcc_lo
	v_lshrrev_b32_e32 v1, 16, v1
	v_mov_b32_e32 v4, 0x7fc0
	v_cmp_o_f32_e32 vcc, v46, v46
	v_cndmask_b32_e32 v1, v4, v1, vcc
	flat_store_short v[2:3], v1
	s_xor_b64 s[38:39], exec, -1
	s_or_b64 vcc, s[34:35], exec
.LBB169_5148:
	s_or_b64 exec, exec, s[36:37]
	s_andn2_b64 s[36:37], s[22:23], exec
	s_and_b64 s[38:39], s[38:39], exec
	s_or_b64 s[38:39], s[36:37], s[38:39]
	s_andn2_b64 s[36:37], s[34:35], exec
	s_and_b64 vcc, vcc, exec
	s_or_b64 s[36:37], s[36:37], vcc
                                        ; implicit-def: $vgpr46
                                        ; implicit-def: $vgpr2_vgpr3
.LBB169_5149:
	s_andn2_saveexec_b64 s[40:41], s[40:41]
	s_cbranch_execz .LBB169_5153
; %bb.5150:
	v_mov_b32_e32 v1, 11
	v_cmp_eq_u16_sdwa s[46:47], v62, v1 src0_sel:BYTE_0 src1_sel:DWORD
	s_mov_b64 s[42:43], -1
	s_mov_b64 vcc, s[36:37]
	s_and_saveexec_b64 s[44:45], s[46:47]
	s_cbranch_execz .LBB169_5152
; %bb.5151:
	v_cmp_neq_f32_e32 vcc, 0, v46
	v_cndmask_b32_e64 v1, 0, 1, vcc
	flat_store_byte v[2:3], v1
	s_xor_b64 s[42:43], exec, -1
	s_or_b64 vcc, s[36:37], exec
.LBB169_5152:
	s_or_b64 exec, exec, s[44:45]
	s_andn2_b64 s[38:39], s[38:39], exec
	s_and_b64 s[42:43], s[42:43], exec
	s_andn2_b64 s[36:37], s[36:37], exec
	s_and_b64 vcc, vcc, exec
	s_or_b64 s[38:39], s[38:39], s[42:43]
	s_or_b64 s[36:37], s[36:37], vcc
.LBB169_5153:
	s_or_b64 exec, exec, s[40:41]
	s_andn2_b64 vcc, s[22:23], exec
	s_and_b64 s[38:39], s[38:39], exec
	s_andn2_b64 s[34:35], s[34:35], exec
	s_and_b64 s[36:37], s[36:37], exec
	s_or_b64 vcc, vcc, s[38:39]
	s_or_b64 s[34:35], s[34:35], s[36:37]
.LBB169_5154:
	s_or_b64 exec, exec, s[30:31]
	s_andn2_b64 s[22:23], s[22:23], exec
	s_and_b64 vcc, vcc, exec
	s_or_b64 s[22:23], s[22:23], vcc
	s_andn2_b64 s[4:5], s[4:5], exec
	s_and_b64 vcc, s[34:35], exec
	s_or_b64 s[4:5], s[4:5], vcc
.LBB169_5155:
	s_or_b64 exec, exec, s[28:29]
	s_andn2_b64 s[28:29], s[14:15], exec
	s_and_b64 s[22:23], s[22:23], exec
	s_or_b64 s[22:23], s[28:29], s[22:23]
	s_and_b64 s[4:5], s[4:5], exec
                                        ; implicit-def: $vgpr46
                                        ; implicit-def: $vgpr2_vgpr3
	s_andn2_saveexec_b64 s[18:19], s[18:19]
	s_cbranch_execz .LBB169_3867
.LBB169_5156:
	v_mov_b32_e32 v1, 4
	v_cmp_gt_i16_sdwa s[28:29], v62, v1 src0_sel:BYTE_0 src1_sel:DWORD
	s_and_saveexec_b64 vcc, s[28:29]
	s_xor_b64 s[28:29], exec, vcc
	s_cbranch_execz .LBB169_5178
; %bb.5157:
	v_mov_b32_e32 v1, 7
	v_cmp_gt_i16_sdwa vcc, v62, v1 src0_sel:BYTE_0 src1_sel:DWORD
	s_and_saveexec_b64 s[30:31], vcc
	s_xor_b64 vcc, exec, s[30:31]
	s_cbranch_execz .LBB169_5167
; %bb.5158:
	v_mov_b32_e32 v1, 8
	v_cmp_gt_i16_sdwa s[30:31], v62, v1 src0_sel:BYTE_0 src1_sel:DWORD
	s_and_saveexec_b64 s[34:35], s[30:31]
	s_xor_b64 s[30:31], exec, s[34:35]
	s_cbranch_execz .LBB169_5164
; %bb.5159:
	v_mov_b32_e32 v1, 9
	v_cmp_gt_i16_sdwa s[34:35], v62, v1 src0_sel:BYTE_0 src1_sel:DWORD
	s_and_saveexec_b64 s[36:37], s[34:35]
	s_xor_b64 s[34:35], exec, s[36:37]
	s_cbranch_execz .LBB169_5161
; %bb.5160:
	v_mov_b32_e32 v6, 0
	v_cvt_f64_f32_e32 v[4:5], v46
	v_mov_b32_e32 v7, v6
	flat_store_dwordx4 v[2:3], v[4:7]
                                        ; implicit-def: $vgpr46
                                        ; implicit-def: $vgpr2_vgpr3
.LBB169_5161:
	s_andn2_saveexec_b64 s[34:35], s[34:35]
	s_cbranch_execz .LBB169_5163
; %bb.5162:
	v_mov_b32_e32 v47, 0
	flat_store_dwordx2 v[2:3], v[46:47]
.LBB169_5163:
	s_or_b64 exec, exec, s[34:35]
                                        ; implicit-def: $vgpr46
                                        ; implicit-def: $vgpr2_vgpr3
.LBB169_5164:
	s_andn2_saveexec_b64 s[30:31], s[30:31]
	s_cbranch_execz .LBB169_5166
; %bb.5165:
	v_cvt_f16_f32_e32 v1, v46
	flat_store_dword v[2:3], v1
.LBB169_5166:
	s_or_b64 exec, exec, s[30:31]
                                        ; implicit-def: $vgpr46
                                        ; implicit-def: $vgpr2_vgpr3
.LBB169_5167:
	s_andn2_saveexec_b64 vcc, vcc
	s_cbranch_execz .LBB169_5177
; %bb.5168:
	v_mov_b32_e32 v1, 5
	v_cmp_gt_i16_sdwa s[30:31], v62, v1 src0_sel:BYTE_0 src1_sel:DWORD
	s_and_saveexec_b64 s[34:35], s[30:31]
	s_xor_b64 s[30:31], exec, s[34:35]
	s_cbranch_execz .LBB169_5174
; %bb.5169:
	v_mov_b32_e32 v1, 6
	v_cmp_gt_i16_sdwa s[34:35], v62, v1 src0_sel:BYTE_0 src1_sel:DWORD
	s_and_saveexec_b64 s[36:37], s[34:35]
	s_xor_b64 s[34:35], exec, s[36:37]
	s_cbranch_execz .LBB169_5171
; %bb.5170:
	v_cvt_f64_f32_e32 v[4:5], v46
	flat_store_dwordx2 v[2:3], v[4:5]
                                        ; implicit-def: $vgpr2_vgpr3
                                        ; implicit-def: $vgpr46
.LBB169_5171:
	s_andn2_saveexec_b64 s[34:35], s[34:35]
	s_cbranch_execz .LBB169_5173
; %bb.5172:
	flat_store_dword v[2:3], v46
.LBB169_5173:
	s_or_b64 exec, exec, s[34:35]
                                        ; implicit-def: $vgpr46
                                        ; implicit-def: $vgpr2_vgpr3
.LBB169_5174:
	s_andn2_saveexec_b64 s[30:31], s[30:31]
	s_cbranch_execz .LBB169_5176
; %bb.5175:
	v_cvt_f16_f32_e32 v1, v46
	flat_store_short v[2:3], v1
.LBB169_5176:
	s_or_b64 exec, exec, s[30:31]
.LBB169_5177:
	s_or_b64 exec, exec, vcc
                                        ; implicit-def: $vgpr46
                                        ; implicit-def: $vgpr2_vgpr3
.LBB169_5178:
	s_andn2_saveexec_b64 s[28:29], s[28:29]
	s_cbranch_execz .LBB169_5196
; %bb.5179:
	v_mov_b32_e32 v1, 1
	v_cmp_gt_i16_sdwa vcc, v62, v1 src0_sel:BYTE_0 src1_sel:DWORD
	s_and_saveexec_b64 s[30:31], vcc
	s_xor_b64 s[30:31], exec, s[30:31]
	s_cbranch_execz .LBB169_5189
; %bb.5180:
	v_mov_b32_e32 v1, 2
	v_cmp_gt_i16_sdwa vcc, v62, v1 src0_sel:BYTE_0 src1_sel:DWORD
	s_and_saveexec_b64 s[34:35], vcc
	s_xor_b64 s[34:35], exec, s[34:35]
	;; [unrolled: 6-line block ×3, first 2 shown]
	s_cbranch_execz .LBB169_5183
; %bb.5182:
	v_trunc_f32_e32 v1, v46
	s_mov_b32 s38, 0x2f800000
	v_mul_f32_e64 v4, |v1|, s38
	v_floor_f32_e32 v4, v4
	s_mov_b32 s38, 0xcf800000
	v_cvt_u32_f32_e32 v5, v4
	v_fma_f32 v4, v4, s38, |v1|
	v_cvt_u32_f32_e32 v4, v4
	v_ashrrev_i32_e32 v1, 31, v1
	v_xor_b32_e32 v5, v5, v1
                                        ; implicit-def: $vgpr46
	v_xor_b32_e32 v4, v4, v1
	v_sub_co_u32_e32 v4, vcc, v4, v1
	v_subb_co_u32_e32 v5, vcc, v5, v1, vcc
	flat_store_dwordx2 v[2:3], v[4:5]
                                        ; implicit-def: $vgpr2_vgpr3
.LBB169_5183:
	s_andn2_saveexec_b64 vcc, s[36:37]
	s_cbranch_execz .LBB169_5185
; %bb.5184:
	v_cvt_i32_f32_e32 v1, v46
	flat_store_dword v[2:3], v1
.LBB169_5185:
	s_or_b64 exec, exec, vcc
                                        ; implicit-def: $vgpr46
                                        ; implicit-def: $vgpr2_vgpr3
.LBB169_5186:
	s_andn2_saveexec_b64 vcc, s[34:35]
	s_cbranch_execz .LBB169_5188
; %bb.5187:
	v_cvt_i32_f32_e32 v1, v46
	flat_store_short v[2:3], v1
.LBB169_5188:
	s_or_b64 exec, exec, vcc
                                        ; implicit-def: $vgpr46
                                        ; implicit-def: $vgpr2_vgpr3
.LBB169_5189:
	s_andn2_saveexec_b64 vcc, s[30:31]
	s_cbranch_execz .LBB169_5195
; %bb.5190:
	v_mov_b32_e32 v1, 0
	v_cmp_gt_i16_sdwa s[30:31], v62, v1 src0_sel:BYTE_0 src1_sel:DWORD
	s_and_saveexec_b64 s[34:35], s[30:31]
	s_xor_b64 s[30:31], exec, s[34:35]
	s_cbranch_execz .LBB169_5192
; %bb.5191:
	v_cvt_i32_f32_e32 v1, v46
                                        ; implicit-def: $vgpr46
	flat_store_byte v[2:3], v1
                                        ; implicit-def: $vgpr2_vgpr3
.LBB169_5192:
	s_andn2_saveexec_b64 s[30:31], s[30:31]
	s_cbranch_execz .LBB169_5194
; %bb.5193:
	v_trunc_f32_e32 v1, v46
	s_mov_b32 s34, 0x2f800000
	v_mul_f32_e64 v4, |v1|, s34
	v_floor_f32_e32 v4, v4
	s_mov_b32 s34, 0xcf800000
	v_fma_f32 v4, v4, s34, |v1|
	v_cvt_u32_f32_e32 v4, v4
	v_ashrrev_i32_e32 v1, 31, v1
	v_xor_b32_e32 v4, v4, v1
	v_sub_u32_e32 v1, v4, v1
	flat_store_byte v[2:3], v1
.LBB169_5194:
	s_or_b64 exec, exec, s[30:31]
.LBB169_5195:
	s_or_b64 exec, exec, vcc
.LBB169_5196:
	s_or_b64 exec, exec, s[28:29]
	s_or_b64 s[4:5], s[4:5], exec
	s_or_b64 exec, exec, s[18:19]
	s_mov_b64 s[28:29], 0
	s_and_saveexec_b64 s[18:19], s[4:5]
	s_cbranch_execnz .LBB169_3868
	s_branch .LBB169_3869
.LBB169_5197:
	v_mov_b32_e32 v1, 25
	v_cmp_gt_i16_sdwa vcc, v62, v1 src0_sel:BYTE_0 src1_sel:DWORD
	s_mov_b64 s[30:31], s[18:19]
	s_and_saveexec_b64 s[34:35], vcc
	s_xor_b64 s[34:35], exec, s[34:35]
	s_cbranch_execz .LBB169_5233
; %bb.5198:
	v_mov_b32_e32 v1, 28
	v_cmp_gt_i16_sdwa vcc, v62, v1 src0_sel:BYTE_0 src1_sel:DWORD
	s_mov_b64 s[36:37], s[18:19]
	s_and_saveexec_b64 s[30:31], vcc
	s_xor_b64 s[30:31], exec, s[30:31]
	s_cbranch_execz .LBB169_5216
; %bb.5199:
	v_mov_b32_e32 v1, 43
	v_cmp_gt_i16_sdwa s[36:37], v62, v1 src0_sel:BYTE_0 src1_sel:DWORD
	s_mov_b64 vcc, s[18:19]
	s_and_saveexec_b64 s[38:39], s[36:37]
	s_xor_b64 s[36:37], exec, s[38:39]
	s_cbranch_execz .LBB169_5211
; %bb.5200:
	v_mov_b32_e32 v1, 45
	v_cmp_gt_i16_sdwa s[4:5], v62, v1 src0_sel:BYTE_0 src1_sel:DWORD
	s_mov_b64 s[38:39], 0
	s_mov_b64 s[40:41], s[18:19]
	s_and_saveexec_b64 vcc, s[4:5]
	s_xor_b64 s[4:5], exec, vcc
	s_cbranch_execz .LBB169_5204
; %bb.5201:
	v_mov_b32_e32 v1, 46
	v_cmp_eq_u16_sdwa s[42:43], v62, v1 src0_sel:BYTE_0 src1_sel:DWORD
	s_mov_b64 vcc, -1
	s_and_saveexec_b64 s[40:41], s[42:43]
	s_cbranch_execz .LBB169_5203
; %bb.5202:
	v_bfe_u32 v1, v44, 16, 1
	s_movk_i32 vcc_lo, 0x7fff
	v_add3_u32 v1, v44, v1, vcc_lo
	v_lshrrev_b32_e32 v1, 16, v1
	v_mov_b32_e32 v4, 0x7fc0
	v_cmp_o_f32_e32 vcc, v44, v44
	v_cndmask_b32_e32 v1, v4, v1, vcc
	s_mov_b64 s[38:39], exec
	flat_store_dword v[2:3], v1
	s_xor_b64 vcc, exec, -1
.LBB169_5203:
	s_or_b64 exec, exec, s[40:41]
	s_andn2_b64 s[40:41], s[18:19], exec
	s_and_b64 vcc, vcc, exec
	s_or_b64 s[40:41], s[40:41], vcc
	s_and_b64 s[38:39], s[38:39], exec
                                        ; implicit-def: $vgpr2_vgpr3
                                        ; implicit-def: $vgpr44
.LBB169_5204:
	s_andn2_saveexec_b64 s[42:43], s[4:5]
	s_cbranch_execz .LBB169_5210
; %bb.5205:
	v_mov_b32_e32 v1, 44
	v_cmp_eq_u16_sdwa s[46:47], v62, v1 src0_sel:BYTE_0 src1_sel:DWORD
	s_mov_b64 vcc, -1
	s_mov_b64 s[4:5], s[38:39]
	s_and_saveexec_b64 s[44:45], s[46:47]
	s_cbranch_execz .LBB169_5209
; %bb.5206:
	v_bfe_u32 v1, v44, 23, 8
	s_movk_i32 s4, 0xff
	v_cmp_ne_u32_e32 vcc, s4, v1
	v_mov_b32_e32 v4, 0xff
	s_and_saveexec_b64 s[46:47], vcc
; %bb.5207:
	s_mov_b32 s4, 0x3fffff
	v_and_b32_e32 v5, 0x400000, v44
	v_and_or_b32 v1, v44, s4, v1
	v_cmp_ne_u32_e32 vcc, 0, v5
	v_cmp_ne_u32_e64 s[4:5], 0, v1
	s_and_b64 s[4:5], vcc, s[4:5]
	v_lshrrev_b32_e32 v4, 23, v44
	v_cndmask_b32_e64 v1, 0, 1, s[4:5]
	v_add_u32_e32 v4, v4, v1
; %bb.5208:
	s_or_b64 exec, exec, s[46:47]
	s_xor_b64 vcc, exec, -1
	s_or_b64 s[4:5], s[38:39], exec
	flat_store_byte v[2:3], v4
.LBB169_5209:
	s_or_b64 exec, exec, s[44:45]
	s_andn2_b64 s[40:41], s[40:41], exec
	s_and_b64 vcc, vcc, exec
	s_or_b64 s[40:41], s[40:41], vcc
	s_andn2_b64 vcc, s[38:39], exec
	s_and_b64 s[4:5], s[4:5], exec
	s_or_b64 s[38:39], vcc, s[4:5]
.LBB169_5210:
	s_or_b64 exec, exec, s[42:43]
	s_andn2_b64 s[4:5], s[18:19], exec
	s_and_b64 vcc, s[40:41], exec
	s_or_b64 vcc, s[4:5], vcc
	s_and_b64 s[4:5], s[38:39], exec
                                        ; implicit-def: $vgpr44
                                        ; implicit-def: $vgpr2_vgpr3
.LBB169_5211:
	s_andn2_saveexec_b64 s[36:37], s[36:37]
	s_cbranch_execz .LBB169_5215
; %bb.5212:
	v_mov_b32_e32 v1, 29
	v_cmp_eq_u16_sdwa s[44:45], v62, v1 src0_sel:BYTE_0 src1_sel:DWORD
	s_mov_b64 s[42:43], -1
	s_mov_b64 s[40:41], s[4:5]
	s_and_saveexec_b64 s[38:39], s[44:45]
	s_cbranch_execz .LBB169_5214
; %bb.5213:
	v_trunc_f32_e32 v1, v44
	v_mul_f32_e32 v4, 0x2f800000, v1
	v_floor_f32_e32 v4, v4
	v_fmac_f32_e32 v1, 0xcf800000, v4
	v_cvt_u32_f32_e32 v5, v4
	v_cvt_u32_f32_e32 v4, v1
	s_xor_b64 s[42:43], exec, -1
	s_or_b64 s[40:41], s[4:5], exec
	flat_store_dwordx2 v[2:3], v[4:5]
.LBB169_5214:
	s_or_b64 exec, exec, s[38:39]
	s_andn2_b64 vcc, vcc, exec
	s_and_b64 s[38:39], s[42:43], exec
	s_or_b64 vcc, vcc, s[38:39]
	s_andn2_b64 s[4:5], s[4:5], exec
	s_and_b64 s[38:39], s[40:41], exec
	s_or_b64 s[4:5], s[4:5], s[38:39]
.LBB169_5215:
	s_or_b64 exec, exec, s[36:37]
	s_andn2_b64 s[36:37], s[18:19], exec
	s_and_b64 vcc, vcc, exec
	s_or_b64 s[36:37], s[36:37], vcc
	s_and_b64 s[4:5], s[4:5], exec
                                        ; implicit-def: $vgpr2_vgpr3
                                        ; implicit-def: $vgpr44
.LBB169_5216:
	s_andn2_saveexec_b64 s[30:31], s[30:31]
	s_cbranch_execz .LBB169_5232
; %bb.5217:
	v_mov_b32_e32 v1, 26
	v_cmp_gt_i16_sdwa vcc, v62, v1 src0_sel:BYTE_0 src1_sel:DWORD
	s_and_saveexec_b64 s[38:39], vcc
	s_xor_b64 vcc, exec, s[38:39]
	s_cbranch_execz .LBB169_5223
; %bb.5218:
	v_cvt_u32_f32_e32 v1, v44
	v_mov_b32_e32 v4, 27
	v_cmp_gt_i16_sdwa s[38:39], v62, v4 src0_sel:BYTE_0 src1_sel:DWORD
	s_and_saveexec_b64 s[40:41], s[38:39]
	s_xor_b64 s[38:39], exec, s[40:41]
	s_cbranch_execz .LBB169_5220
; %bb.5219:
	flat_store_dword v[2:3], v1
                                        ; implicit-def: $vgpr2_vgpr3
                                        ; implicit-def: $vgpr1
.LBB169_5220:
	s_andn2_saveexec_b64 s[38:39], s[38:39]
	s_cbranch_execz .LBB169_5222
; %bb.5221:
	flat_store_short v[2:3], v1
.LBB169_5222:
	s_or_b64 exec, exec, s[38:39]
                                        ; implicit-def: $vgpr2_vgpr3
                                        ; implicit-def: $vgpr44
.LBB169_5223:
	s_andn2_saveexec_b64 s[38:39], vcc
	s_cbranch_execz .LBB169_5231
; %bb.5224:
	v_and_b32_e32 v1, 0x7fffffff, v44
	s_mov_b32 vcc_lo, 0x43800000
	v_cmp_gt_u32_e32 vcc, vcc_lo, v1
	v_mov_b32_e32 v4, 0x80
	s_and_saveexec_b64 s[40:41], vcc
	s_cbranch_execz .LBB169_5230
; %bb.5225:
	s_mov_b32 vcc_lo, 0x3bffffff
	v_cmp_lt_u32_e32 vcc, vcc_lo, v1
	s_mov_b64 s[42:43], 0
                                        ; implicit-def: $vgpr1
	s_and_saveexec_b64 s[44:45], vcc
	s_xor_b64 vcc, exec, s[44:45]
	s_cbranch_execnz .LBB169_5945
; %bb.5226:
	s_or_saveexec_b64 s[44:45], vcc
                                        ; implicit-def: $sgpr46
	s_xor_b64 exec, exec, s[44:45]
	s_cbranch_execnz .LBB169_5946
.LBB169_5227:
	s_or_b64 exec, exec, s[44:45]
	v_mov_b32_e32 v4, s46
	s_and_saveexec_b64 vcc, s[42:43]
.LBB169_5228:
	v_lshrrev_b32_e32 v4, 24, v44
	s_movk_i32 s42, 0x80
	v_and_or_b32 v4, v4, s42, v1
.LBB169_5229:
	s_or_b64 exec, exec, vcc
.LBB169_5230:
	s_or_b64 exec, exec, s[40:41]
	flat_store_byte v[2:3], v4
.LBB169_5231:
	s_or_b64 exec, exec, s[38:39]
	s_or_b64 s[4:5], s[4:5], exec
.LBB169_5232:
	s_or_b64 exec, exec, s[30:31]
	s_andn2_b64 vcc, s[18:19], exec
	s_and_b64 s[30:31], s[36:37], exec
	s_or_b64 s[30:31], vcc, s[30:31]
	s_and_b64 s[4:5], s[4:5], exec
                                        ; implicit-def: $vgpr44
                                        ; implicit-def: $vgpr2_vgpr3
.LBB169_5233:
	s_andn2_saveexec_b64 s[34:35], s[34:35]
	s_cbranch_execz .LBB169_5277
; %bb.5234:
	v_mov_b32_e32 v1, 22
	v_cmp_gt_i16_sdwa vcc, v62, v1 src0_sel:BYTE_0 src1_sel:DWORD
	s_mov_b64 s[38:39], s[4:5]
	s_and_saveexec_b64 s[36:37], vcc
	s_xor_b64 s[36:37], exec, s[36:37]
	s_cbranch_execz .LBB169_5266
; %bb.5235:
	v_mov_b32_e32 v1, 23
	v_cmp_gt_i16_sdwa vcc, v62, v1 src0_sel:BYTE_0 src1_sel:DWORD
	s_and_saveexec_b64 s[38:39], vcc
	s_xor_b64 s[38:39], exec, s[38:39]
	s_cbranch_execz .LBB169_5255
; %bb.5236:
	v_mov_b32_e32 v1, 24
	v_cmp_gt_i16_sdwa vcc, v62, v1 src0_sel:BYTE_0 src1_sel:DWORD
	s_and_saveexec_b64 s[40:41], vcc
	s_xor_b64 s[40:41], exec, s[40:41]
	s_cbranch_execz .LBB169_5244
; %bb.5237:
	v_and_b32_e32 v1, 0x7fffffff, v44
	s_mov_b32 vcc_lo, 0x47800000
	v_cmp_gt_u32_e32 vcc, vcc_lo, v1
	v_mov_b32_e32 v4, 0x80
	s_and_saveexec_b64 s[42:43], vcc
	s_cbranch_execz .LBB169_5243
; %bb.5238:
	s_mov_b32 vcc_lo, 0x37ffffff
	v_cmp_lt_u32_e32 vcc, vcc_lo, v1
	s_mov_b64 s[44:45], 0
                                        ; implicit-def: $vgpr1
	s_and_saveexec_b64 s[46:47], vcc
	s_xor_b64 vcc, exec, s[46:47]
	s_cbranch_execnz .LBB169_6069
; %bb.5239:
	s_or_saveexec_b64 s[46:47], vcc
                                        ; implicit-def: $sgpr48
	s_xor_b64 exec, exec, s[46:47]
	s_cbranch_execnz .LBB169_6070
.LBB169_5240:
	s_or_b64 exec, exec, s[46:47]
	v_mov_b32_e32 v4, s48
	s_and_saveexec_b64 vcc, s[44:45]
.LBB169_5241:
	v_lshrrev_b32_e32 v4, 24, v44
	s_movk_i32 s44, 0x80
	v_and_or_b32 v4, v4, s44, v1
.LBB169_5242:
	s_or_b64 exec, exec, vcc
.LBB169_5243:
	s_or_b64 exec, exec, s[42:43]
	flat_store_byte v[2:3], v4
                                        ; implicit-def: $vgpr44
                                        ; implicit-def: $vgpr2_vgpr3
.LBB169_5244:
	s_andn2_saveexec_b64 s[40:41], s[40:41]
	s_cbranch_execz .LBB169_5254
; %bb.5245:
	v_and_b32_e32 v4, 0x7fffffff, v44
	s_mov_b32 vcc_lo, 0x43f00000
	v_cmp_gt_u32_e32 vcc, vcc_lo, v4
                                        ; implicit-def: $vgpr1
	s_and_saveexec_b64 s[42:43], vcc
	s_xor_b64 s[42:43], exec, s[42:43]
	s_cbranch_execz .LBB169_5251
; %bb.5246:
	s_mov_b32 vcc_lo, 0x3c7fffff
	v_cmp_lt_u32_e32 vcc, vcc_lo, v4
                                        ; implicit-def: $vgpr1
	s_and_saveexec_b64 s[44:45], vcc
	s_xor_b64 s[44:45], exec, s[44:45]
; %bb.5247:
	v_bfe_u32 v1, v44, 20, 1
	s_mov_b32 vcc_lo, 0x407ffff
	v_add3_u32 v1, v44, v1, vcc_lo
	v_lshrrev_b32_e32 v4, 20, v1
	v_and_b32_e32 v1, 0xff00000, v1
	s_mov_b32 vcc_lo, 0x7f00000
	v_mov_b32_e32 v5, 0x7e
	v_cmp_ne_u32_e32 vcc, vcc_lo, v1
	v_cndmask_b32_e32 v1, v5, v4, vcc
; %bb.5248:
	s_andn2_saveexec_b64 vcc, s[44:45]
; %bb.5249:
	s_mov_b32 s44, 0x46800000
	v_add_f32_e64 v1, |v44|, s44
; %bb.5250:
	s_or_b64 exec, exec, vcc
                                        ; implicit-def: $vgpr4
.LBB169_5251:
	s_andn2_saveexec_b64 s[42:43], s[42:43]
; %bb.5252:
	s_mov_b32 vcc_lo, 0x7f800000
	v_mov_b32_e32 v1, 0x7e
	v_mov_b32_e32 v5, 0x7f
	v_cmp_lt_u32_e32 vcc, vcc_lo, v4
	v_cndmask_b32_e32 v1, v1, v5, vcc
; %bb.5253:
	s_or_b64 exec, exec, s[42:43]
	v_lshrrev_b32_e32 v4, 24, v44
	s_movk_i32 vcc_lo, 0x80
	v_and_or_b32 v1, v4, vcc_lo, v1
	flat_store_byte v[2:3], v1
.LBB169_5254:
	s_or_b64 exec, exec, s[40:41]
                                        ; implicit-def: $vgpr44
                                        ; implicit-def: $vgpr2_vgpr3
.LBB169_5255:
	s_andn2_saveexec_b64 s[38:39], s[38:39]
	s_cbranch_execz .LBB169_5265
; %bb.5256:
	v_and_b32_e32 v4, 0x7fffffff, v44
	s_mov_b32 vcc_lo, 0x47800000
	v_cmp_gt_u32_e32 vcc, vcc_lo, v4
                                        ; implicit-def: $vgpr1
	s_and_saveexec_b64 s[40:41], vcc
	s_xor_b64 s[40:41], exec, s[40:41]
	s_cbranch_execz .LBB169_5262
; %bb.5257:
	s_mov_b32 vcc_lo, 0x387fffff
	v_cmp_lt_u32_e32 vcc, vcc_lo, v4
                                        ; implicit-def: $vgpr1
	s_and_saveexec_b64 s[42:43], vcc
	s_xor_b64 vcc, exec, s[42:43]
; %bb.5258:
	v_bfe_u32 v1, v44, 21, 1
	s_mov_b32 s42, 0x80fffff
	v_add3_u32 v1, v44, v1, s42
	v_lshrrev_b32_e32 v1, 21, v1
; %bb.5259:
	s_andn2_saveexec_b64 vcc, vcc
; %bb.5260:
	s_mov_b32 s42, 0x43000000
	v_add_f32_e64 v1, |v44|, s42
; %bb.5261:
	s_or_b64 exec, exec, vcc
                                        ; implicit-def: $vgpr4
.LBB169_5262:
	s_andn2_saveexec_b64 s[40:41], s[40:41]
; %bb.5263:
	s_mov_b32 vcc_lo, 0x7f800000
	v_mov_b32_e32 v1, 0x7c
	v_mov_b32_e32 v5, 0x7f
	v_cmp_lt_u32_e32 vcc, vcc_lo, v4
	v_cndmask_b32_e32 v1, v1, v5, vcc
; %bb.5264:
	s_or_b64 exec, exec, s[40:41]
	v_lshrrev_b32_e32 v4, 24, v44
	s_movk_i32 vcc_lo, 0x80
	v_and_or_b32 v1, v4, vcc_lo, v1
	flat_store_byte v[2:3], v1
.LBB169_5265:
	s_or_b64 exec, exec, s[38:39]
	s_or_b64 s[38:39], s[4:5], exec
                                        ; implicit-def: $vgpr44
                                        ; implicit-def: $vgpr2_vgpr3
.LBB169_5266:
	s_or_saveexec_b64 s[36:37], s[36:37]
	s_mov_b64 vcc, s[30:31]
	s_xor_b64 exec, exec, s[36:37]
	s_cbranch_execz .LBB169_5276
; %bb.5267:
	v_mov_b32_e32 v1, 14
	v_cmp_gt_i16_sdwa vcc, v62, v1 src0_sel:BYTE_0 src1_sel:DWORD
	s_mov_b64 s[40:41], s[38:39]
	s_mov_b64 s[42:43], s[30:31]
	s_and_saveexec_b64 s[44:45], vcc
	s_xor_b64 s[44:45], exec, s[44:45]
	s_cbranch_execz .LBB169_5271
; %bb.5268:
	v_mov_b32_e32 v1, 15
	v_cmp_eq_u16_sdwa s[46:47], v62, v1 src0_sel:BYTE_0 src1_sel:DWORD
	s_mov_b64 s[42:43], -1
	s_mov_b64 vcc, s[38:39]
	s_and_saveexec_b64 s[40:41], s[46:47]
	s_cbranch_execz .LBB169_5270
; %bb.5269:
	v_bfe_u32 v1, v44, 16, 1
	s_movk_i32 vcc_lo, 0x7fff
	v_add3_u32 v1, v44, v1, vcc_lo
	v_lshrrev_b32_e32 v1, 16, v1
	v_mov_b32_e32 v4, 0x7fc0
	v_cmp_o_f32_e32 vcc, v44, v44
	v_cndmask_b32_e32 v1, v4, v1, vcc
	flat_store_short v[2:3], v1
	s_xor_b64 s[42:43], exec, -1
	s_or_b64 vcc, s[38:39], exec
.LBB169_5270:
	s_or_b64 exec, exec, s[40:41]
	s_andn2_b64 s[40:41], s[30:31], exec
	s_and_b64 s[42:43], s[42:43], exec
	s_or_b64 s[42:43], s[40:41], s[42:43]
	s_andn2_b64 s[40:41], s[38:39], exec
	s_and_b64 vcc, vcc, exec
	s_or_b64 s[40:41], s[40:41], vcc
                                        ; implicit-def: $vgpr44
                                        ; implicit-def: $vgpr2_vgpr3
.LBB169_5271:
	s_andn2_saveexec_b64 s[44:45], s[44:45]
	s_cbranch_execz .LBB169_5275
; %bb.5272:
	v_mov_b32_e32 v1, 11
	v_cmp_eq_u16_sdwa s[50:51], v62, v1 src0_sel:BYTE_0 src1_sel:DWORD
	s_mov_b64 s[46:47], -1
	s_mov_b64 vcc, s[40:41]
	s_and_saveexec_b64 s[48:49], s[50:51]
	s_cbranch_execz .LBB169_5274
; %bb.5273:
	v_cmp_neq_f32_e32 vcc, 0, v44
	v_cndmask_b32_e64 v1, 0, 1, vcc
	flat_store_byte v[2:3], v1
	s_xor_b64 s[46:47], exec, -1
	s_or_b64 vcc, s[40:41], exec
.LBB169_5274:
	s_or_b64 exec, exec, s[48:49]
	s_andn2_b64 s[42:43], s[42:43], exec
	s_and_b64 s[46:47], s[46:47], exec
	s_andn2_b64 s[40:41], s[40:41], exec
	s_and_b64 vcc, vcc, exec
	s_or_b64 s[42:43], s[42:43], s[46:47]
	s_or_b64 s[40:41], s[40:41], vcc
.LBB169_5275:
	s_or_b64 exec, exec, s[44:45]
	s_andn2_b64 vcc, s[30:31], exec
	s_and_b64 s[42:43], s[42:43], exec
	s_andn2_b64 s[38:39], s[38:39], exec
	s_and_b64 s[40:41], s[40:41], exec
	s_or_b64 vcc, vcc, s[42:43]
	s_or_b64 s[38:39], s[38:39], s[40:41]
.LBB169_5276:
	s_or_b64 exec, exec, s[36:37]
	s_andn2_b64 s[30:31], s[30:31], exec
	s_and_b64 vcc, vcc, exec
	s_or_b64 s[30:31], s[30:31], vcc
	s_andn2_b64 s[4:5], s[4:5], exec
	s_and_b64 vcc, s[38:39], exec
	s_or_b64 s[4:5], s[4:5], vcc
.LBB169_5277:
	s_or_b64 exec, exec, s[34:35]
	s_andn2_b64 vcc, s[18:19], exec
	s_and_b64 s[30:31], s[30:31], exec
	s_or_b64 s[30:31], vcc, s[30:31]
	s_and_b64 s[4:5], s[4:5], exec
                                        ; implicit-def: $vgpr44
                                        ; implicit-def: $vgpr2_vgpr3
	s_andn2_saveexec_b64 s[22:23], s[22:23]
	s_cbranch_execz .LBB169_3874
.LBB169_5278:
	v_mov_b32_e32 v1, 4
	v_cmp_gt_i16_sdwa vcc, v62, v1 src0_sel:BYTE_0 src1_sel:DWORD
	s_and_saveexec_b64 s[34:35], vcc
	s_xor_b64 vcc, exec, s[34:35]
	s_cbranch_execz .LBB169_5300
; %bb.5279:
	v_mov_b32_e32 v1, 7
	v_cmp_gt_i16_sdwa s[34:35], v62, v1 src0_sel:BYTE_0 src1_sel:DWORD
	s_and_saveexec_b64 s[36:37], s[34:35]
	s_xor_b64 s[34:35], exec, s[36:37]
	s_cbranch_execz .LBB169_5289
; %bb.5280:
	v_mov_b32_e32 v1, 8
	v_cmp_gt_i16_sdwa s[36:37], v62, v1 src0_sel:BYTE_0 src1_sel:DWORD
	s_and_saveexec_b64 s[38:39], s[36:37]
	s_xor_b64 s[36:37], exec, s[38:39]
	;; [unrolled: 6-line block ×3, first 2 shown]
	s_cbranch_execz .LBB169_5283
; %bb.5282:
	v_mov_b32_e32 v6, 0
	v_cvt_f64_f32_e32 v[4:5], v44
	v_mov_b32_e32 v7, v6
	flat_store_dwordx4 v[2:3], v[4:7]
                                        ; implicit-def: $vgpr44
                                        ; implicit-def: $vgpr2_vgpr3
.LBB169_5283:
	s_andn2_saveexec_b64 s[38:39], s[38:39]
	s_cbranch_execz .LBB169_5285
; %bb.5284:
	v_mov_b32_e32 v45, 0
	flat_store_dwordx2 v[2:3], v[44:45]
.LBB169_5285:
	s_or_b64 exec, exec, s[38:39]
                                        ; implicit-def: $vgpr44
                                        ; implicit-def: $vgpr2_vgpr3
.LBB169_5286:
	s_andn2_saveexec_b64 s[36:37], s[36:37]
	s_cbranch_execz .LBB169_5288
; %bb.5287:
	v_cvt_f16_f32_e32 v1, v44
	flat_store_dword v[2:3], v1
.LBB169_5288:
	s_or_b64 exec, exec, s[36:37]
                                        ; implicit-def: $vgpr44
                                        ; implicit-def: $vgpr2_vgpr3
.LBB169_5289:
	s_andn2_saveexec_b64 s[34:35], s[34:35]
	s_cbranch_execz .LBB169_5299
; %bb.5290:
	v_mov_b32_e32 v1, 5
	v_cmp_gt_i16_sdwa s[36:37], v62, v1 src0_sel:BYTE_0 src1_sel:DWORD
	s_and_saveexec_b64 s[38:39], s[36:37]
	s_xor_b64 s[36:37], exec, s[38:39]
	s_cbranch_execz .LBB169_5296
; %bb.5291:
	v_mov_b32_e32 v1, 6
	v_cmp_gt_i16_sdwa s[38:39], v62, v1 src0_sel:BYTE_0 src1_sel:DWORD
	s_and_saveexec_b64 s[40:41], s[38:39]
	s_xor_b64 s[38:39], exec, s[40:41]
	s_cbranch_execz .LBB169_5293
; %bb.5292:
	v_cvt_f64_f32_e32 v[4:5], v44
	flat_store_dwordx2 v[2:3], v[4:5]
                                        ; implicit-def: $vgpr2_vgpr3
                                        ; implicit-def: $vgpr44
.LBB169_5293:
	s_andn2_saveexec_b64 s[38:39], s[38:39]
	s_cbranch_execz .LBB169_5295
; %bb.5294:
	flat_store_dword v[2:3], v44
.LBB169_5295:
	s_or_b64 exec, exec, s[38:39]
                                        ; implicit-def: $vgpr44
                                        ; implicit-def: $vgpr2_vgpr3
.LBB169_5296:
	s_andn2_saveexec_b64 s[36:37], s[36:37]
	s_cbranch_execz .LBB169_5298
; %bb.5297:
	v_cvt_f16_f32_e32 v1, v44
	flat_store_short v[2:3], v1
.LBB169_5298:
	s_or_b64 exec, exec, s[36:37]
.LBB169_5299:
	s_or_b64 exec, exec, s[34:35]
                                        ; implicit-def: $vgpr44
                                        ; implicit-def: $vgpr2_vgpr3
.LBB169_5300:
	s_andn2_saveexec_b64 s[34:35], vcc
	s_cbranch_execz .LBB169_5318
; %bb.5301:
	v_mov_b32_e32 v1, 1
	v_cmp_gt_i16_sdwa vcc, v62, v1 src0_sel:BYTE_0 src1_sel:DWORD
	s_and_saveexec_b64 s[36:37], vcc
	s_xor_b64 s[36:37], exec, s[36:37]
	s_cbranch_execz .LBB169_5311
; %bb.5302:
	v_mov_b32_e32 v1, 2
	v_cmp_gt_i16_sdwa vcc, v62, v1 src0_sel:BYTE_0 src1_sel:DWORD
	s_and_saveexec_b64 s[38:39], vcc
	s_xor_b64 s[38:39], exec, s[38:39]
	;; [unrolled: 6-line block ×3, first 2 shown]
	s_cbranch_execz .LBB169_5305
; %bb.5304:
	v_trunc_f32_e32 v1, v44
	s_mov_b32 s42, 0x2f800000
	v_mul_f32_e64 v4, |v1|, s42
	v_floor_f32_e32 v4, v4
	s_mov_b32 s42, 0xcf800000
	v_cvt_u32_f32_e32 v5, v4
	v_fma_f32 v4, v4, s42, |v1|
	v_cvt_u32_f32_e32 v4, v4
	v_ashrrev_i32_e32 v1, 31, v1
	v_xor_b32_e32 v5, v5, v1
                                        ; implicit-def: $vgpr44
	v_xor_b32_e32 v4, v4, v1
	v_sub_co_u32_e32 v4, vcc, v4, v1
	v_subb_co_u32_e32 v5, vcc, v5, v1, vcc
	flat_store_dwordx2 v[2:3], v[4:5]
                                        ; implicit-def: $vgpr2_vgpr3
.LBB169_5305:
	s_andn2_saveexec_b64 vcc, s[40:41]
	s_cbranch_execz .LBB169_5307
; %bb.5306:
	v_cvt_i32_f32_e32 v1, v44
	flat_store_dword v[2:3], v1
.LBB169_5307:
	s_or_b64 exec, exec, vcc
                                        ; implicit-def: $vgpr44
                                        ; implicit-def: $vgpr2_vgpr3
.LBB169_5308:
	s_andn2_saveexec_b64 vcc, s[38:39]
	s_cbranch_execz .LBB169_5310
; %bb.5309:
	v_cvt_i32_f32_e32 v1, v44
	flat_store_short v[2:3], v1
.LBB169_5310:
	s_or_b64 exec, exec, vcc
                                        ; implicit-def: $vgpr44
                                        ; implicit-def: $vgpr2_vgpr3
.LBB169_5311:
	s_andn2_saveexec_b64 vcc, s[36:37]
	s_cbranch_execz .LBB169_5317
; %bb.5312:
	v_mov_b32_e32 v1, 0
	v_cmp_gt_i16_sdwa s[36:37], v62, v1 src0_sel:BYTE_0 src1_sel:DWORD
	s_and_saveexec_b64 s[38:39], s[36:37]
	s_xor_b64 s[36:37], exec, s[38:39]
	s_cbranch_execz .LBB169_5314
; %bb.5313:
	v_cvt_i32_f32_e32 v1, v44
                                        ; implicit-def: $vgpr44
	flat_store_byte v[2:3], v1
                                        ; implicit-def: $vgpr2_vgpr3
.LBB169_5314:
	s_andn2_saveexec_b64 s[36:37], s[36:37]
	s_cbranch_execz .LBB169_5316
; %bb.5315:
	v_trunc_f32_e32 v1, v44
	s_mov_b32 s38, 0x2f800000
	v_mul_f32_e64 v4, |v1|, s38
	v_floor_f32_e32 v4, v4
	s_mov_b32 s38, 0xcf800000
	v_fma_f32 v4, v4, s38, |v1|
	v_cvt_u32_f32_e32 v4, v4
	v_ashrrev_i32_e32 v1, 31, v1
	v_xor_b32_e32 v4, v4, v1
	v_sub_u32_e32 v1, v4, v1
	flat_store_byte v[2:3], v1
.LBB169_5316:
	s_or_b64 exec, exec, s[36:37]
.LBB169_5317:
	s_or_b64 exec, exec, vcc
.LBB169_5318:
	s_or_b64 exec, exec, s[34:35]
	s_or_b64 s[4:5], s[4:5], exec
	s_or_b64 exec, exec, s[22:23]
	s_mov_b64 vcc, 0
	s_and_saveexec_b64 s[22:23], s[4:5]
	s_cbranch_execnz .LBB169_3875
	s_branch .LBB169_3876
.LBB169_5319:
	v_bfe_u32 v1, v60, 20, 1
	s_mov_b32 vcc_lo, 0x487ffff
	v_add3_u32 v1, v60, v1, vcc_lo
	s_mov_b64 s[22:23], exec
	v_lshrrev_b32_e32 v1, 20, v1
	s_or_saveexec_b64 s[28:29], s[28:29]
                                        ; implicit-def: $sgpr30
	s_xor_b64 exec, exec, s[28:29]
	s_cbranch_execz .LBB169_3752
.LBB169_5320:
	s_mov_b32 s30, 0x46000000
	v_add_f32_e64 v1, |v60|, s30
	v_and_b32_e32 v1, 0xff, v1
	v_cmp_ne_u32_e32 vcc, 0, v1
	s_andn2_b64 s[22:23], s[22:23], exec
	s_and_b64 vcc, vcc, exec
	s_mov_b32 s30, 0
	s_or_b64 s[22:23], s[22:23], vcc
	s_or_b64 exec, exec, s[28:29]
	v_mov_b32_e32 v4, s30
	s_and_saveexec_b64 s[28:29], s[22:23]
	s_cbranch_execnz .LBB169_3753
	s_branch .LBB169_3754
.LBB169_5321:
	v_mov_b32_e32 v1, 25
	v_cmp_gt_i16_sdwa vcc, v62, v1 src0_sel:BYTE_0 src1_sel:DWORD
	s_mov_b64 s[36:37], s[22:23]
	s_and_saveexec_b64 s[38:39], vcc
	s_xor_b64 s[38:39], exec, s[38:39]
	s_cbranch_execz .LBB169_5357
; %bb.5322:
	v_mov_b32_e32 v1, 28
	v_cmp_gt_i16_sdwa vcc, v62, v1 src0_sel:BYTE_0 src1_sel:DWORD
	s_mov_b64 s[40:41], s[22:23]
	s_and_saveexec_b64 s[36:37], vcc
	s_xor_b64 s[36:37], exec, s[36:37]
	s_cbranch_execz .LBB169_5340
; %bb.5323:
	v_mov_b32_e32 v1, 43
	v_cmp_gt_i16_sdwa s[40:41], v62, v1 src0_sel:BYTE_0 src1_sel:DWORD
	s_mov_b64 vcc, s[22:23]
	s_and_saveexec_b64 s[42:43], s[40:41]
	s_xor_b64 s[40:41], exec, s[42:43]
	s_cbranch_execz .LBB169_5335
; %bb.5324:
	v_mov_b32_e32 v1, 45
	v_cmp_gt_i16_sdwa s[4:5], v62, v1 src0_sel:BYTE_0 src1_sel:DWORD
	s_mov_b64 s[42:43], 0
	s_mov_b64 s[44:45], s[22:23]
	s_and_saveexec_b64 vcc, s[4:5]
	s_xor_b64 s[4:5], exec, vcc
	s_cbranch_execz .LBB169_5328
; %bb.5325:
	v_mov_b32_e32 v1, 46
	v_cmp_eq_u16_sdwa s[46:47], v62, v1 src0_sel:BYTE_0 src1_sel:DWORD
	s_mov_b64 vcc, -1
	s_and_saveexec_b64 s[44:45], s[46:47]
	s_cbranch_execz .LBB169_5327
; %bb.5326:
	v_bfe_u32 v1, v42, 16, 1
	s_movk_i32 vcc_lo, 0x7fff
	v_add3_u32 v1, v42, v1, vcc_lo
	v_lshrrev_b32_e32 v1, 16, v1
	v_mov_b32_e32 v4, 0x7fc0
	v_cmp_o_f32_e32 vcc, v42, v42
	v_cndmask_b32_e32 v1, v4, v1, vcc
	s_mov_b64 s[42:43], exec
	flat_store_dword v[2:3], v1
	s_xor_b64 vcc, exec, -1
.LBB169_5327:
	s_or_b64 exec, exec, s[44:45]
	s_andn2_b64 s[44:45], s[22:23], exec
	s_and_b64 vcc, vcc, exec
	s_or_b64 s[44:45], s[44:45], vcc
	s_and_b64 s[42:43], s[42:43], exec
                                        ; implicit-def: $vgpr2_vgpr3
                                        ; implicit-def: $vgpr42
.LBB169_5328:
	s_andn2_saveexec_b64 s[46:47], s[4:5]
	s_cbranch_execz .LBB169_5334
; %bb.5329:
	v_mov_b32_e32 v1, 44
	v_cmp_eq_u16_sdwa s[50:51], v62, v1 src0_sel:BYTE_0 src1_sel:DWORD
	s_mov_b64 vcc, -1
	s_mov_b64 s[4:5], s[42:43]
	s_and_saveexec_b64 s[48:49], s[50:51]
	s_cbranch_execz .LBB169_5333
; %bb.5330:
	v_bfe_u32 v1, v42, 23, 8
	s_movk_i32 s4, 0xff
	v_cmp_ne_u32_e32 vcc, s4, v1
	v_mov_b32_e32 v4, 0xff
	s_and_saveexec_b64 s[50:51], vcc
; %bb.5331:
	s_mov_b32 s4, 0x3fffff
	v_and_b32_e32 v5, 0x400000, v42
	v_and_or_b32 v1, v42, s4, v1
	v_cmp_ne_u32_e32 vcc, 0, v5
	v_cmp_ne_u32_e64 s[4:5], 0, v1
	s_and_b64 s[4:5], vcc, s[4:5]
	v_lshrrev_b32_e32 v4, 23, v42
	v_cndmask_b32_e64 v1, 0, 1, s[4:5]
	v_add_u32_e32 v4, v4, v1
; %bb.5332:
	s_or_b64 exec, exec, s[50:51]
	s_xor_b64 vcc, exec, -1
	s_or_b64 s[4:5], s[42:43], exec
	flat_store_byte v[2:3], v4
.LBB169_5333:
	s_or_b64 exec, exec, s[48:49]
	s_andn2_b64 s[44:45], s[44:45], exec
	s_and_b64 vcc, vcc, exec
	s_or_b64 s[44:45], s[44:45], vcc
	s_andn2_b64 vcc, s[42:43], exec
	s_and_b64 s[4:5], s[4:5], exec
	s_or_b64 s[42:43], vcc, s[4:5]
.LBB169_5334:
	s_or_b64 exec, exec, s[46:47]
	s_andn2_b64 s[4:5], s[22:23], exec
	s_and_b64 vcc, s[44:45], exec
	s_or_b64 vcc, s[4:5], vcc
	s_and_b64 s[4:5], s[42:43], exec
                                        ; implicit-def: $vgpr42
                                        ; implicit-def: $vgpr2_vgpr3
.LBB169_5335:
	s_andn2_saveexec_b64 s[40:41], s[40:41]
	s_cbranch_execz .LBB169_5339
; %bb.5336:
	v_mov_b32_e32 v1, 29
	v_cmp_eq_u16_sdwa s[48:49], v62, v1 src0_sel:BYTE_0 src1_sel:DWORD
	s_mov_b64 s[46:47], -1
	s_mov_b64 s[44:45], s[4:5]
	s_and_saveexec_b64 s[42:43], s[48:49]
	s_cbranch_execz .LBB169_5338
; %bb.5337:
	v_trunc_f32_e32 v1, v42
	v_mul_f32_e32 v4, 0x2f800000, v1
	v_floor_f32_e32 v4, v4
	v_fmac_f32_e32 v1, 0xcf800000, v4
	v_cvt_u32_f32_e32 v5, v4
	v_cvt_u32_f32_e32 v4, v1
	s_xor_b64 s[46:47], exec, -1
	s_or_b64 s[44:45], s[4:5], exec
	flat_store_dwordx2 v[2:3], v[4:5]
.LBB169_5338:
	s_or_b64 exec, exec, s[42:43]
	s_andn2_b64 vcc, vcc, exec
	s_and_b64 s[42:43], s[46:47], exec
	s_or_b64 vcc, vcc, s[42:43]
	s_andn2_b64 s[4:5], s[4:5], exec
	s_and_b64 s[42:43], s[44:45], exec
	s_or_b64 s[4:5], s[4:5], s[42:43]
.LBB169_5339:
	s_or_b64 exec, exec, s[40:41]
	s_andn2_b64 s[40:41], s[22:23], exec
	s_and_b64 vcc, vcc, exec
	s_or_b64 s[40:41], s[40:41], vcc
	s_and_b64 s[4:5], s[4:5], exec
                                        ; implicit-def: $vgpr2_vgpr3
                                        ; implicit-def: $vgpr42
.LBB169_5340:
	s_andn2_saveexec_b64 s[36:37], s[36:37]
	s_cbranch_execz .LBB169_5356
; %bb.5341:
	v_mov_b32_e32 v1, 26
	v_cmp_gt_i16_sdwa vcc, v62, v1 src0_sel:BYTE_0 src1_sel:DWORD
	s_and_saveexec_b64 s[42:43], vcc
	s_xor_b64 vcc, exec, s[42:43]
	s_cbranch_execz .LBB169_5347
; %bb.5342:
	v_cvt_u32_f32_e32 v1, v42
	v_mov_b32_e32 v4, 27
	v_cmp_gt_i16_sdwa s[42:43], v62, v4 src0_sel:BYTE_0 src1_sel:DWORD
	s_and_saveexec_b64 s[44:45], s[42:43]
	s_xor_b64 s[42:43], exec, s[44:45]
	s_cbranch_execz .LBB169_5344
; %bb.5343:
	flat_store_dword v[2:3], v1
                                        ; implicit-def: $vgpr2_vgpr3
                                        ; implicit-def: $vgpr1
.LBB169_5344:
	s_andn2_saveexec_b64 s[42:43], s[42:43]
	s_cbranch_execz .LBB169_5346
; %bb.5345:
	flat_store_short v[2:3], v1
.LBB169_5346:
	s_or_b64 exec, exec, s[42:43]
                                        ; implicit-def: $vgpr2_vgpr3
                                        ; implicit-def: $vgpr42
.LBB169_5347:
	s_andn2_saveexec_b64 s[42:43], vcc
	s_cbranch_execz .LBB169_5355
; %bb.5348:
	v_and_b32_e32 v1, 0x7fffffff, v42
	s_mov_b32 vcc_lo, 0x43800000
	v_cmp_gt_u32_e32 vcc, vcc_lo, v1
	v_mov_b32_e32 v4, 0x80
	s_and_saveexec_b64 s[44:45], vcc
	s_cbranch_execz .LBB169_5354
; %bb.5349:
	s_mov_b32 vcc_lo, 0x3bffffff
	v_cmp_lt_u32_e32 vcc, vcc_lo, v1
	s_mov_b64 s[46:47], 0
                                        ; implicit-def: $vgpr1
	s_and_saveexec_b64 s[48:49], vcc
	s_xor_b64 vcc, exec, s[48:49]
	s_cbranch_execnz .LBB169_6071
; %bb.5350:
	s_or_saveexec_b64 s[48:49], vcc
                                        ; implicit-def: $sgpr50
	s_xor_b64 exec, exec, s[48:49]
	s_cbranch_execnz .LBB169_6072
.LBB169_5351:
	s_or_b64 exec, exec, s[48:49]
	v_mov_b32_e32 v4, s50
	s_and_saveexec_b64 vcc, s[46:47]
.LBB169_5352:
	v_lshrrev_b32_e32 v4, 24, v42
	s_movk_i32 s46, 0x80
	v_and_or_b32 v4, v4, s46, v1
.LBB169_5353:
	s_or_b64 exec, exec, vcc
.LBB169_5354:
	s_or_b64 exec, exec, s[44:45]
	flat_store_byte v[2:3], v4
.LBB169_5355:
	s_or_b64 exec, exec, s[42:43]
	s_or_b64 s[4:5], s[4:5], exec
.LBB169_5356:
	s_or_b64 exec, exec, s[36:37]
	s_andn2_b64 vcc, s[22:23], exec
	s_and_b64 s[36:37], s[40:41], exec
	s_or_b64 s[36:37], vcc, s[36:37]
	s_and_b64 s[4:5], s[4:5], exec
                                        ; implicit-def: $vgpr42
                                        ; implicit-def: $vgpr2_vgpr3
.LBB169_5357:
	s_andn2_saveexec_b64 s[38:39], s[38:39]
	s_cbranch_execz .LBB169_5401
; %bb.5358:
	v_mov_b32_e32 v1, 22
	v_cmp_gt_i16_sdwa vcc, v62, v1 src0_sel:BYTE_0 src1_sel:DWORD
	s_mov_b64 s[42:43], s[4:5]
	s_and_saveexec_b64 s[40:41], vcc
	s_xor_b64 s[40:41], exec, s[40:41]
	s_cbranch_execz .LBB169_5390
; %bb.5359:
	v_mov_b32_e32 v1, 23
	v_cmp_gt_i16_sdwa vcc, v62, v1 src0_sel:BYTE_0 src1_sel:DWORD
	s_and_saveexec_b64 s[42:43], vcc
	s_xor_b64 s[42:43], exec, s[42:43]
	s_cbranch_execz .LBB169_5379
; %bb.5360:
	v_mov_b32_e32 v1, 24
	v_cmp_gt_i16_sdwa vcc, v62, v1 src0_sel:BYTE_0 src1_sel:DWORD
	s_and_saveexec_b64 s[44:45], vcc
	s_xor_b64 s[44:45], exec, s[44:45]
	s_cbranch_execz .LBB169_5368
; %bb.5361:
	v_and_b32_e32 v1, 0x7fffffff, v42
	s_mov_b32 vcc_lo, 0x47800000
	v_cmp_gt_u32_e32 vcc, vcc_lo, v1
	v_mov_b32_e32 v4, 0x80
	s_and_saveexec_b64 s[46:47], vcc
	s_cbranch_execz .LBB169_5367
; %bb.5362:
	s_mov_b32 vcc_lo, 0x37ffffff
	v_cmp_lt_u32_e32 vcc, vcc_lo, v1
	s_mov_b64 s[48:49], 0
                                        ; implicit-def: $vgpr1
	s_and_saveexec_b64 s[50:51], vcc
	s_xor_b64 vcc, exec, s[50:51]
	s_cbranch_execnz .LBB169_6195
; %bb.5363:
	s_or_saveexec_b64 s[50:51], vcc
                                        ; implicit-def: $sgpr52
	s_xor_b64 exec, exec, s[50:51]
	s_cbranch_execnz .LBB169_6196
.LBB169_5364:
	s_or_b64 exec, exec, s[50:51]
	v_mov_b32_e32 v4, s52
	s_and_saveexec_b64 vcc, s[48:49]
.LBB169_5365:
	v_lshrrev_b32_e32 v4, 24, v42
	s_movk_i32 s48, 0x80
	v_and_or_b32 v4, v4, s48, v1
.LBB169_5366:
	s_or_b64 exec, exec, vcc
.LBB169_5367:
	s_or_b64 exec, exec, s[46:47]
	flat_store_byte v[2:3], v4
                                        ; implicit-def: $vgpr42
                                        ; implicit-def: $vgpr2_vgpr3
.LBB169_5368:
	s_andn2_saveexec_b64 s[44:45], s[44:45]
	s_cbranch_execz .LBB169_5378
; %bb.5369:
	v_and_b32_e32 v4, 0x7fffffff, v42
	s_mov_b32 vcc_lo, 0x43f00000
	v_cmp_gt_u32_e32 vcc, vcc_lo, v4
                                        ; implicit-def: $vgpr1
	s_and_saveexec_b64 s[46:47], vcc
	s_xor_b64 s[46:47], exec, s[46:47]
	s_cbranch_execz .LBB169_5375
; %bb.5370:
	s_mov_b32 vcc_lo, 0x3c7fffff
	v_cmp_lt_u32_e32 vcc, vcc_lo, v4
                                        ; implicit-def: $vgpr1
	s_and_saveexec_b64 s[48:49], vcc
	s_xor_b64 s[48:49], exec, s[48:49]
; %bb.5371:
	v_bfe_u32 v1, v42, 20, 1
	s_mov_b32 vcc_lo, 0x407ffff
	v_add3_u32 v1, v42, v1, vcc_lo
	v_lshrrev_b32_e32 v4, 20, v1
	v_and_b32_e32 v1, 0xff00000, v1
	s_mov_b32 vcc_lo, 0x7f00000
	v_mov_b32_e32 v5, 0x7e
	v_cmp_ne_u32_e32 vcc, vcc_lo, v1
	v_cndmask_b32_e32 v1, v5, v4, vcc
; %bb.5372:
	s_andn2_saveexec_b64 vcc, s[48:49]
; %bb.5373:
	s_mov_b32 s48, 0x46800000
	v_add_f32_e64 v1, |v42|, s48
; %bb.5374:
	s_or_b64 exec, exec, vcc
                                        ; implicit-def: $vgpr4
.LBB169_5375:
	s_andn2_saveexec_b64 s[46:47], s[46:47]
; %bb.5376:
	s_mov_b32 vcc_lo, 0x7f800000
	v_mov_b32_e32 v1, 0x7e
	v_mov_b32_e32 v5, 0x7f
	v_cmp_lt_u32_e32 vcc, vcc_lo, v4
	v_cndmask_b32_e32 v1, v1, v5, vcc
; %bb.5377:
	s_or_b64 exec, exec, s[46:47]
	v_lshrrev_b32_e32 v4, 24, v42
	s_movk_i32 vcc_lo, 0x80
	v_and_or_b32 v1, v4, vcc_lo, v1
	flat_store_byte v[2:3], v1
.LBB169_5378:
	s_or_b64 exec, exec, s[44:45]
                                        ; implicit-def: $vgpr42
                                        ; implicit-def: $vgpr2_vgpr3
.LBB169_5379:
	s_andn2_saveexec_b64 s[42:43], s[42:43]
	s_cbranch_execz .LBB169_5389
; %bb.5380:
	v_and_b32_e32 v4, 0x7fffffff, v42
	s_mov_b32 vcc_lo, 0x47800000
	v_cmp_gt_u32_e32 vcc, vcc_lo, v4
                                        ; implicit-def: $vgpr1
	s_and_saveexec_b64 s[44:45], vcc
	s_xor_b64 s[44:45], exec, s[44:45]
	s_cbranch_execz .LBB169_5386
; %bb.5381:
	s_mov_b32 vcc_lo, 0x387fffff
	v_cmp_lt_u32_e32 vcc, vcc_lo, v4
                                        ; implicit-def: $vgpr1
	s_and_saveexec_b64 s[46:47], vcc
	s_xor_b64 vcc, exec, s[46:47]
; %bb.5382:
	v_bfe_u32 v1, v42, 21, 1
	s_mov_b32 s46, 0x80fffff
	v_add3_u32 v1, v42, v1, s46
	v_lshrrev_b32_e32 v1, 21, v1
; %bb.5383:
	s_andn2_saveexec_b64 vcc, vcc
; %bb.5384:
	s_mov_b32 s46, 0x43000000
	v_add_f32_e64 v1, |v42|, s46
; %bb.5385:
	s_or_b64 exec, exec, vcc
                                        ; implicit-def: $vgpr4
.LBB169_5386:
	s_andn2_saveexec_b64 s[44:45], s[44:45]
; %bb.5387:
	s_mov_b32 vcc_lo, 0x7f800000
	v_mov_b32_e32 v1, 0x7c
	v_mov_b32_e32 v5, 0x7f
	v_cmp_lt_u32_e32 vcc, vcc_lo, v4
	v_cndmask_b32_e32 v1, v1, v5, vcc
; %bb.5388:
	s_or_b64 exec, exec, s[44:45]
	v_lshrrev_b32_e32 v4, 24, v42
	s_movk_i32 vcc_lo, 0x80
	v_and_or_b32 v1, v4, vcc_lo, v1
	flat_store_byte v[2:3], v1
.LBB169_5389:
	s_or_b64 exec, exec, s[42:43]
	s_or_b64 s[42:43], s[4:5], exec
                                        ; implicit-def: $vgpr42
                                        ; implicit-def: $vgpr2_vgpr3
.LBB169_5390:
	s_or_saveexec_b64 s[40:41], s[40:41]
	s_mov_b64 vcc, s[36:37]
	s_xor_b64 exec, exec, s[40:41]
	s_cbranch_execz .LBB169_5400
; %bb.5391:
	v_mov_b32_e32 v1, 14
	v_cmp_gt_i16_sdwa vcc, v62, v1 src0_sel:BYTE_0 src1_sel:DWORD
	s_mov_b64 s[44:45], s[42:43]
	s_mov_b64 s[46:47], s[36:37]
	s_and_saveexec_b64 s[48:49], vcc
	s_xor_b64 s[48:49], exec, s[48:49]
	s_cbranch_execz .LBB169_5395
; %bb.5392:
	v_mov_b32_e32 v1, 15
	v_cmp_eq_u16_sdwa s[50:51], v62, v1 src0_sel:BYTE_0 src1_sel:DWORD
	s_mov_b64 s[46:47], -1
	s_mov_b64 vcc, s[42:43]
	s_and_saveexec_b64 s[44:45], s[50:51]
	s_cbranch_execz .LBB169_5394
; %bb.5393:
	v_bfe_u32 v1, v42, 16, 1
	s_movk_i32 vcc_lo, 0x7fff
	v_add3_u32 v1, v42, v1, vcc_lo
	v_lshrrev_b32_e32 v1, 16, v1
	v_mov_b32_e32 v4, 0x7fc0
	v_cmp_o_f32_e32 vcc, v42, v42
	v_cndmask_b32_e32 v1, v4, v1, vcc
	flat_store_short v[2:3], v1
	s_xor_b64 s[46:47], exec, -1
	s_or_b64 vcc, s[42:43], exec
.LBB169_5394:
	s_or_b64 exec, exec, s[44:45]
	s_andn2_b64 s[44:45], s[36:37], exec
	s_and_b64 s[46:47], s[46:47], exec
	s_or_b64 s[46:47], s[44:45], s[46:47]
	s_andn2_b64 s[44:45], s[42:43], exec
	s_and_b64 vcc, vcc, exec
	s_or_b64 s[44:45], s[44:45], vcc
                                        ; implicit-def: $vgpr42
                                        ; implicit-def: $vgpr2_vgpr3
.LBB169_5395:
	s_andn2_saveexec_b64 s[48:49], s[48:49]
	s_cbranch_execz .LBB169_5399
; %bb.5396:
	v_mov_b32_e32 v1, 11
	v_cmp_eq_u16_sdwa s[54:55], v62, v1 src0_sel:BYTE_0 src1_sel:DWORD
	s_mov_b64 s[50:51], -1
	s_mov_b64 vcc, s[44:45]
	s_and_saveexec_b64 s[52:53], s[54:55]
	s_cbranch_execz .LBB169_5398
; %bb.5397:
	v_cmp_neq_f32_e32 vcc, 0, v42
	v_cndmask_b32_e64 v1, 0, 1, vcc
	flat_store_byte v[2:3], v1
	s_xor_b64 s[50:51], exec, -1
	s_or_b64 vcc, s[44:45], exec
.LBB169_5398:
	s_or_b64 exec, exec, s[52:53]
	s_andn2_b64 s[46:47], s[46:47], exec
	s_and_b64 s[50:51], s[50:51], exec
	s_andn2_b64 s[44:45], s[44:45], exec
	s_and_b64 vcc, vcc, exec
	s_or_b64 s[46:47], s[46:47], s[50:51]
	s_or_b64 s[44:45], s[44:45], vcc
.LBB169_5399:
	s_or_b64 exec, exec, s[48:49]
	s_andn2_b64 vcc, s[36:37], exec
	s_and_b64 s[46:47], s[46:47], exec
	s_andn2_b64 s[42:43], s[42:43], exec
	s_and_b64 s[44:45], s[44:45], exec
	s_or_b64 vcc, vcc, s[46:47]
	s_or_b64 s[42:43], s[42:43], s[44:45]
.LBB169_5400:
	s_or_b64 exec, exec, s[40:41]
	s_andn2_b64 s[36:37], s[36:37], exec
	s_and_b64 vcc, vcc, exec
	s_or_b64 s[36:37], s[36:37], vcc
	s_andn2_b64 s[4:5], s[4:5], exec
	s_and_b64 vcc, s[42:43], exec
	s_or_b64 s[4:5], s[4:5], vcc
.LBB169_5401:
	s_or_b64 exec, exec, s[38:39]
	s_andn2_b64 vcc, s[22:23], exec
	s_and_b64 s[36:37], s[36:37], exec
	s_or_b64 s[36:37], vcc, s[36:37]
	s_and_b64 s[4:5], s[4:5], exec
                                        ; implicit-def: $vgpr42
                                        ; implicit-def: $vgpr2_vgpr3
	s_andn2_saveexec_b64 s[34:35], s[34:35]
	s_cbranch_execz .LBB169_3881
.LBB169_5402:
	v_mov_b32_e32 v1, 4
	v_cmp_gt_i16_sdwa vcc, v62, v1 src0_sel:BYTE_0 src1_sel:DWORD
	s_and_saveexec_b64 s[38:39], vcc
	s_xor_b64 vcc, exec, s[38:39]
	s_cbranch_execz .LBB169_5424
; %bb.5403:
	v_mov_b32_e32 v1, 7
	v_cmp_gt_i16_sdwa s[38:39], v62, v1 src0_sel:BYTE_0 src1_sel:DWORD
	s_and_saveexec_b64 s[40:41], s[38:39]
	s_xor_b64 s[38:39], exec, s[40:41]
	s_cbranch_execz .LBB169_5413
; %bb.5404:
	v_mov_b32_e32 v1, 8
	v_cmp_gt_i16_sdwa s[40:41], v62, v1 src0_sel:BYTE_0 src1_sel:DWORD
	s_and_saveexec_b64 s[42:43], s[40:41]
	s_xor_b64 s[40:41], exec, s[42:43]
	;; [unrolled: 6-line block ×3, first 2 shown]
	s_cbranch_execz .LBB169_5407
; %bb.5406:
	v_mov_b32_e32 v6, 0
	v_cvt_f64_f32_e32 v[4:5], v42
	v_mov_b32_e32 v7, v6
	flat_store_dwordx4 v[2:3], v[4:7]
                                        ; implicit-def: $vgpr42
                                        ; implicit-def: $vgpr2_vgpr3
.LBB169_5407:
	s_andn2_saveexec_b64 s[42:43], s[42:43]
	s_cbranch_execz .LBB169_5409
; %bb.5408:
	v_mov_b32_e32 v43, 0
	flat_store_dwordx2 v[2:3], v[42:43]
.LBB169_5409:
	s_or_b64 exec, exec, s[42:43]
                                        ; implicit-def: $vgpr42
                                        ; implicit-def: $vgpr2_vgpr3
.LBB169_5410:
	s_andn2_saveexec_b64 s[40:41], s[40:41]
	s_cbranch_execz .LBB169_5412
; %bb.5411:
	v_cvt_f16_f32_e32 v1, v42
	flat_store_dword v[2:3], v1
.LBB169_5412:
	s_or_b64 exec, exec, s[40:41]
                                        ; implicit-def: $vgpr42
                                        ; implicit-def: $vgpr2_vgpr3
.LBB169_5413:
	s_andn2_saveexec_b64 s[38:39], s[38:39]
	s_cbranch_execz .LBB169_5423
; %bb.5414:
	v_mov_b32_e32 v1, 5
	v_cmp_gt_i16_sdwa s[40:41], v62, v1 src0_sel:BYTE_0 src1_sel:DWORD
	s_and_saveexec_b64 s[42:43], s[40:41]
	s_xor_b64 s[40:41], exec, s[42:43]
	s_cbranch_execz .LBB169_5420
; %bb.5415:
	v_mov_b32_e32 v1, 6
	v_cmp_gt_i16_sdwa s[42:43], v62, v1 src0_sel:BYTE_0 src1_sel:DWORD
	s_and_saveexec_b64 s[44:45], s[42:43]
	s_xor_b64 s[42:43], exec, s[44:45]
	s_cbranch_execz .LBB169_5417
; %bb.5416:
	v_cvt_f64_f32_e32 v[4:5], v42
	flat_store_dwordx2 v[2:3], v[4:5]
                                        ; implicit-def: $vgpr2_vgpr3
                                        ; implicit-def: $vgpr42
.LBB169_5417:
	s_andn2_saveexec_b64 s[42:43], s[42:43]
	s_cbranch_execz .LBB169_5419
; %bb.5418:
	flat_store_dword v[2:3], v42
.LBB169_5419:
	s_or_b64 exec, exec, s[42:43]
                                        ; implicit-def: $vgpr42
                                        ; implicit-def: $vgpr2_vgpr3
.LBB169_5420:
	s_andn2_saveexec_b64 s[40:41], s[40:41]
	s_cbranch_execz .LBB169_5422
; %bb.5421:
	v_cvt_f16_f32_e32 v1, v42
	flat_store_short v[2:3], v1
.LBB169_5422:
	s_or_b64 exec, exec, s[40:41]
.LBB169_5423:
	s_or_b64 exec, exec, s[38:39]
                                        ; implicit-def: $vgpr42
                                        ; implicit-def: $vgpr2_vgpr3
.LBB169_5424:
	s_andn2_saveexec_b64 s[38:39], vcc
	s_cbranch_execz .LBB169_5442
; %bb.5425:
	v_mov_b32_e32 v1, 1
	v_cmp_gt_i16_sdwa vcc, v62, v1 src0_sel:BYTE_0 src1_sel:DWORD
	s_and_saveexec_b64 s[40:41], vcc
	s_xor_b64 s[40:41], exec, s[40:41]
	s_cbranch_execz .LBB169_5435
; %bb.5426:
	v_mov_b32_e32 v1, 2
	v_cmp_gt_i16_sdwa vcc, v62, v1 src0_sel:BYTE_0 src1_sel:DWORD
	s_and_saveexec_b64 s[42:43], vcc
	s_xor_b64 s[42:43], exec, s[42:43]
	;; [unrolled: 6-line block ×3, first 2 shown]
	s_cbranch_execz .LBB169_5429
; %bb.5428:
	v_trunc_f32_e32 v1, v42
	s_mov_b32 s46, 0x2f800000
	v_mul_f32_e64 v4, |v1|, s46
	v_floor_f32_e32 v4, v4
	s_mov_b32 s46, 0xcf800000
	v_cvt_u32_f32_e32 v5, v4
	v_fma_f32 v4, v4, s46, |v1|
	v_cvt_u32_f32_e32 v4, v4
	v_ashrrev_i32_e32 v1, 31, v1
	v_xor_b32_e32 v5, v5, v1
                                        ; implicit-def: $vgpr42
	v_xor_b32_e32 v4, v4, v1
	v_sub_co_u32_e32 v4, vcc, v4, v1
	v_subb_co_u32_e32 v5, vcc, v5, v1, vcc
	flat_store_dwordx2 v[2:3], v[4:5]
                                        ; implicit-def: $vgpr2_vgpr3
.LBB169_5429:
	s_andn2_saveexec_b64 vcc, s[44:45]
	s_cbranch_execz .LBB169_5431
; %bb.5430:
	v_cvt_i32_f32_e32 v1, v42
	flat_store_dword v[2:3], v1
.LBB169_5431:
	s_or_b64 exec, exec, vcc
                                        ; implicit-def: $vgpr42
                                        ; implicit-def: $vgpr2_vgpr3
.LBB169_5432:
	s_andn2_saveexec_b64 vcc, s[42:43]
	s_cbranch_execz .LBB169_5434
; %bb.5433:
	v_cvt_i32_f32_e32 v1, v42
	flat_store_short v[2:3], v1
.LBB169_5434:
	s_or_b64 exec, exec, vcc
                                        ; implicit-def: $vgpr42
                                        ; implicit-def: $vgpr2_vgpr3
.LBB169_5435:
	s_andn2_saveexec_b64 vcc, s[40:41]
	s_cbranch_execz .LBB169_5441
; %bb.5436:
	v_mov_b32_e32 v1, 0
	v_cmp_gt_i16_sdwa s[40:41], v62, v1 src0_sel:BYTE_0 src1_sel:DWORD
	s_and_saveexec_b64 s[42:43], s[40:41]
	s_xor_b64 s[40:41], exec, s[42:43]
	s_cbranch_execz .LBB169_5438
; %bb.5437:
	v_cvt_i32_f32_e32 v1, v42
                                        ; implicit-def: $vgpr42
	flat_store_byte v[2:3], v1
                                        ; implicit-def: $vgpr2_vgpr3
.LBB169_5438:
	s_andn2_saveexec_b64 s[40:41], s[40:41]
	s_cbranch_execz .LBB169_5440
; %bb.5439:
	v_trunc_f32_e32 v1, v42
	s_mov_b32 s42, 0x2f800000
	v_mul_f32_e64 v4, |v1|, s42
	v_floor_f32_e32 v4, v4
	s_mov_b32 s42, 0xcf800000
	v_fma_f32 v4, v4, s42, |v1|
	v_cvt_u32_f32_e32 v4, v4
	v_ashrrev_i32_e32 v1, 31, v1
	v_xor_b32_e32 v4, v4, v1
	v_sub_u32_e32 v1, v4, v1
	flat_store_byte v[2:3], v1
.LBB169_5440:
	s_or_b64 exec, exec, s[40:41]
.LBB169_5441:
	s_or_b64 exec, exec, vcc
.LBB169_5442:
	s_or_b64 exec, exec, s[38:39]
	s_or_b64 s[4:5], s[4:5], exec
	s_or_b64 exec, exec, s[34:35]
	s_mov_b64 vcc, 0
	s_and_saveexec_b64 s[34:35], s[4:5]
	s_cbranch_execnz .LBB169_3882
	s_branch .LBB169_3883
.LBB169_5443:
	v_bfe_u32 v1, v60, 21, 1
	s_mov_b32 s30, 0x88fffff
	v_add3_u32 v1, v60, v1, s30
	s_mov_b64 s[28:29], exec
	v_lshrrev_b32_e32 v1, 21, v1
	s_or_saveexec_b64 s[30:31], vcc
                                        ; implicit-def: $sgpr34
	s_xor_b64 exec, exec, s[30:31]
	s_cbranch_execz .LBB169_3765
.LBB169_5444:
	s_mov_b32 s34, 0x42800000
	v_add_f32_e64 v1, |v60|, s34
	v_and_b32_e32 v1, 0xff, v1
	v_cmp_ne_u32_e32 vcc, 0, v1
	s_andn2_b64 s[28:29], s[28:29], exec
	s_and_b64 vcc, vcc, exec
	s_mov_b32 s34, 0
	s_or_b64 s[28:29], s[28:29], vcc
	s_or_b64 exec, exec, s[30:31]
	v_mov_b32_e32 v4, s34
	s_and_saveexec_b64 vcc, s[28:29]
	s_cbranch_execnz .LBB169_3766
	s_branch .LBB169_3767
.LBB169_5445:
	v_mov_b32_e32 v1, 25
	v_cmp_gt_i16_sdwa vcc, v62, v1 src0_sel:BYTE_0 src1_sel:DWORD
	s_mov_b64 s[40:41], s[4:5]
	s_and_saveexec_b64 s[42:43], vcc
	s_xor_b64 s[42:43], exec, s[42:43]
	s_cbranch_execz .LBB169_5481
; %bb.5446:
	v_mov_b32_e32 v1, 28
	v_cmp_gt_i16_sdwa vcc, v62, v1 src0_sel:BYTE_0 src1_sel:DWORD
	s_mov_b64 s[44:45], 0
	s_mov_b64 s[40:41], s[4:5]
	s_and_saveexec_b64 s[38:39], vcc
	s_xor_b64 s[38:39], exec, s[38:39]
	s_cbranch_execz .LBB169_5464
; %bb.5447:
	v_mov_b32_e32 v1, 43
	v_cmp_gt_i16_sdwa s[40:41], v62, v1 src0_sel:BYTE_0 src1_sel:DWORD
	s_mov_b64 vcc, 0
	s_mov_b64 s[46:47], s[4:5]
	s_and_saveexec_b64 s[44:45], s[40:41]
	s_xor_b64 s[40:41], exec, s[44:45]
	s_cbranch_execz .LBB169_5459
; %bb.5448:
	v_mov_b32_e32 v1, 45
	v_cmp_gt_i16_sdwa vcc, v62, v1 src0_sel:BYTE_0 src1_sel:DWORD
	s_mov_b64 s[44:45], 0
	s_mov_b64 s[46:47], s[4:5]
	s_and_saveexec_b64 s[48:49], vcc
	s_xor_b64 s[48:49], exec, s[48:49]
	s_cbranch_execz .LBB169_5452
; %bb.5449:
	v_mov_b32_e32 v1, 46
	v_cmp_eq_u16_sdwa s[50:51], v62, v1 src0_sel:BYTE_0 src1_sel:DWORD
	s_mov_b64 vcc, -1
	s_and_saveexec_b64 s[46:47], s[50:51]
	s_cbranch_execz .LBB169_5451
; %bb.5450:
	v_bfe_u32 v1, v40, 16, 1
	s_movk_i32 vcc_lo, 0x7fff
	v_add3_u32 v1, v40, v1, vcc_lo
	v_lshrrev_b32_e32 v1, 16, v1
	v_mov_b32_e32 v4, 0x7fc0
	v_cmp_o_f32_e32 vcc, v40, v40
	v_cndmask_b32_e32 v1, v4, v1, vcc
	s_mov_b64 s[44:45], exec
	flat_store_dword v[2:3], v1
	s_xor_b64 vcc, exec, -1
.LBB169_5451:
	s_or_b64 exec, exec, s[46:47]
	s_andn2_b64 s[46:47], s[4:5], exec
	s_and_b64 vcc, vcc, exec
	s_or_b64 s[46:47], s[46:47], vcc
	s_and_b64 s[44:45], s[44:45], exec
                                        ; implicit-def: $vgpr2_vgpr3
                                        ; implicit-def: $vgpr40
.LBB169_5452:
	s_andn2_saveexec_b64 s[48:49], s[48:49]
	s_cbranch_execz .LBB169_5458
; %bb.5453:
	v_mov_b32_e32 v1, 44
	v_cmp_eq_u16_sdwa s[52:53], v62, v1 src0_sel:BYTE_0 src1_sel:DWORD
	s_mov_b64 s[54:55], -1
	s_mov_b64 vcc, s[44:45]
	s_and_saveexec_b64 s[50:51], s[52:53]
	s_cbranch_execz .LBB169_5457
; %bb.5454:
	s_mov_b64 s[52:53], s[4:5]
	v_bfe_u32 v1, v40, 23, 8
	s_movk_i32 s4, 0xff
	v_cmp_ne_u32_e32 vcc, s4, v1
	v_mov_b32_e32 v4, 0xff
	s_and_saveexec_b64 s[54:55], vcc
; %bb.5455:
	s_mov_b32 s4, 0x3fffff
	v_and_b32_e32 v5, 0x400000, v40
	v_and_or_b32 v1, v40, s4, v1
	v_cmp_ne_u32_e32 vcc, 0, v5
	v_cmp_ne_u32_e64 s[4:5], 0, v1
	s_and_b64 s[4:5], vcc, s[4:5]
	v_lshrrev_b32_e32 v4, 23, v40
	v_cndmask_b32_e64 v1, 0, 1, s[4:5]
	v_add_u32_e32 v4, v4, v1
; %bb.5456:
	s_or_b64 exec, exec, s[54:55]
	s_xor_b64 s[54:55], exec, -1
	s_or_b64 vcc, s[44:45], exec
	s_mov_b64 s[4:5], s[52:53]
	flat_store_byte v[2:3], v4
.LBB169_5457:
	s_or_b64 exec, exec, s[50:51]
	s_andn2_b64 s[46:47], s[46:47], exec
	s_and_b64 s[50:51], s[54:55], exec
	s_andn2_b64 s[44:45], s[44:45], exec
	s_and_b64 vcc, vcc, exec
	s_or_b64 s[46:47], s[46:47], s[50:51]
	s_or_b64 s[44:45], s[44:45], vcc
.LBB169_5458:
	s_or_b64 exec, exec, s[48:49]
	s_andn2_b64 vcc, s[4:5], exec
	s_and_b64 s[46:47], s[46:47], exec
	s_or_b64 s[46:47], vcc, s[46:47]
	s_and_b64 vcc, s[44:45], exec
                                        ; implicit-def: $vgpr40
                                        ; implicit-def: $vgpr2_vgpr3
.LBB169_5459:
	s_andn2_saveexec_b64 s[40:41], s[40:41]
	s_cbranch_execz .LBB169_5463
; %bb.5460:
	v_mov_b32_e32 v1, 29
	v_cmp_eq_u16_sdwa s[52:53], v62, v1 src0_sel:BYTE_0 src1_sel:DWORD
	s_mov_b64 s[50:51], -1
	s_mov_b64 s[48:49], vcc
	s_and_saveexec_b64 s[44:45], s[52:53]
	s_cbranch_execz .LBB169_5462
; %bb.5461:
	v_trunc_f32_e32 v1, v40
	v_mul_f32_e32 v4, 0x2f800000, v1
	v_floor_f32_e32 v4, v4
	v_fmac_f32_e32 v1, 0xcf800000, v4
	v_cvt_u32_f32_e32 v5, v4
	v_cvt_u32_f32_e32 v4, v1
	s_xor_b64 s[50:51], exec, -1
	s_or_b64 s[48:49], vcc, exec
	flat_store_dwordx2 v[2:3], v[4:5]
.LBB169_5462:
	s_or_b64 exec, exec, s[44:45]
	s_andn2_b64 s[44:45], s[46:47], exec
	s_and_b64 s[46:47], s[50:51], exec
	s_or_b64 s[46:47], s[44:45], s[46:47]
	s_andn2_b64 vcc, vcc, exec
	s_and_b64 s[44:45], s[48:49], exec
	s_or_b64 vcc, vcc, s[44:45]
.LBB169_5463:
	s_or_b64 exec, exec, s[40:41]
	s_andn2_b64 s[40:41], s[4:5], exec
	s_and_b64 s[44:45], s[46:47], exec
	s_or_b64 s[40:41], s[40:41], s[44:45]
	s_and_b64 s[44:45], vcc, exec
                                        ; implicit-def: $vgpr2_vgpr3
                                        ; implicit-def: $vgpr40
.LBB169_5464:
	s_andn2_saveexec_b64 s[38:39], s[38:39]
	s_cbranch_execz .LBB169_5480
; %bb.5465:
	v_mov_b32_e32 v1, 26
	v_cmp_gt_i16_sdwa vcc, v62, v1 src0_sel:BYTE_0 src1_sel:DWORD
	s_and_saveexec_b64 s[46:47], vcc
	s_xor_b64 vcc, exec, s[46:47]
	s_cbranch_execz .LBB169_5471
; %bb.5466:
	v_cvt_u32_f32_e32 v1, v40
	v_mov_b32_e32 v4, 27
	v_cmp_gt_i16_sdwa s[46:47], v62, v4 src0_sel:BYTE_0 src1_sel:DWORD
	s_and_saveexec_b64 s[48:49], s[46:47]
	s_xor_b64 s[46:47], exec, s[48:49]
	s_cbranch_execz .LBB169_5468
; %bb.5467:
	flat_store_dword v[2:3], v1
                                        ; implicit-def: $vgpr2_vgpr3
                                        ; implicit-def: $vgpr1
.LBB169_5468:
	s_andn2_saveexec_b64 s[46:47], s[46:47]
	s_cbranch_execz .LBB169_5470
; %bb.5469:
	flat_store_short v[2:3], v1
.LBB169_5470:
	s_or_b64 exec, exec, s[46:47]
                                        ; implicit-def: $vgpr2_vgpr3
                                        ; implicit-def: $vgpr40
.LBB169_5471:
	s_andn2_saveexec_b64 s[46:47], vcc
	s_cbranch_execz .LBB169_5479
; %bb.5472:
	v_and_b32_e32 v1, 0x7fffffff, v40
	s_mov_b32 vcc_lo, 0x43800000
	v_cmp_gt_u32_e32 vcc, vcc_lo, v1
	v_mov_b32_e32 v4, 0x80
	s_and_saveexec_b64 s[48:49], vcc
	s_cbranch_execz .LBB169_5478
; %bb.5473:
	s_mov_b32 vcc_lo, 0x3bffffff
	v_cmp_lt_u32_e32 vcc, vcc_lo, v1
	s_mov_b64 s[50:51], 0
                                        ; implicit-def: $vgpr1
	s_and_saveexec_b64 s[52:53], vcc
	s_xor_b64 vcc, exec, s[52:53]
	s_cbranch_execnz .LBB169_6197
; %bb.5474:
	s_or_saveexec_b64 s[52:53], vcc
                                        ; implicit-def: $sgpr54
	s_xor_b64 exec, exec, s[52:53]
	s_cbranch_execnz .LBB169_6198
.LBB169_5475:
	s_or_b64 exec, exec, s[52:53]
	v_mov_b32_e32 v4, s54
	s_and_saveexec_b64 vcc, s[50:51]
.LBB169_5476:
	v_lshrrev_b32_e32 v4, 24, v40
	s_movk_i32 s50, 0x80
	v_and_or_b32 v4, v4, s50, v1
.LBB169_5477:
	s_or_b64 exec, exec, vcc
.LBB169_5478:
	s_or_b64 exec, exec, s[48:49]
	flat_store_byte v[2:3], v4
.LBB169_5479:
	s_or_b64 exec, exec, s[46:47]
	s_or_b64 s[44:45], s[44:45], exec
.LBB169_5480:
	s_or_b64 exec, exec, s[38:39]
	s_andn2_b64 vcc, s[4:5], exec
	s_and_b64 s[38:39], s[40:41], exec
	s_or_b64 s[40:41], vcc, s[38:39]
	s_and_b64 s[38:39], s[44:45], exec
                                        ; implicit-def: $vgpr40
                                        ; implicit-def: $vgpr2_vgpr3
.LBB169_5481:
	s_andn2_saveexec_b64 s[42:43], s[42:43]
	s_cbranch_execz .LBB169_5525
; %bb.5482:
	v_mov_b32_e32 v1, 22
	v_cmp_gt_i16_sdwa vcc, v62, v1 src0_sel:BYTE_0 src1_sel:DWORD
	s_mov_b64 s[46:47], s[38:39]
	s_and_saveexec_b64 s[44:45], vcc
	s_xor_b64 s[44:45], exec, s[44:45]
	s_cbranch_execz .LBB169_5514
; %bb.5483:
	v_mov_b32_e32 v1, 23
	v_cmp_gt_i16_sdwa vcc, v62, v1 src0_sel:BYTE_0 src1_sel:DWORD
	s_and_saveexec_b64 s[46:47], vcc
	s_xor_b64 s[46:47], exec, s[46:47]
	s_cbranch_execz .LBB169_5503
; %bb.5484:
	v_mov_b32_e32 v1, 24
	v_cmp_gt_i16_sdwa vcc, v62, v1 src0_sel:BYTE_0 src1_sel:DWORD
	s_and_saveexec_b64 s[48:49], vcc
	s_xor_b64 s[48:49], exec, s[48:49]
	s_cbranch_execz .LBB169_5492
; %bb.5485:
	v_and_b32_e32 v1, 0x7fffffff, v40
	s_mov_b32 vcc_lo, 0x47800000
	v_cmp_gt_u32_e32 vcc, vcc_lo, v1
	v_mov_b32_e32 v4, 0x80
	s_and_saveexec_b64 s[50:51], vcc
	s_cbranch_execz .LBB169_5491
; %bb.5486:
	s_mov_b32 vcc_lo, 0x37ffffff
	v_cmp_lt_u32_e32 vcc, vcc_lo, v1
	s_mov_b64 s[52:53], 0
                                        ; implicit-def: $vgpr1
	s_and_saveexec_b64 s[54:55], vcc
	s_xor_b64 vcc, exec, s[54:55]
	s_cbranch_execnz .LBB169_6321
; %bb.5487:
	s_or_saveexec_b64 s[54:55], vcc
                                        ; implicit-def: $sgpr56
	s_xor_b64 exec, exec, s[54:55]
	s_cbranch_execnz .LBB169_6322
.LBB169_5488:
	s_or_b64 exec, exec, s[54:55]
	v_mov_b32_e32 v4, s56
	s_and_saveexec_b64 vcc, s[52:53]
.LBB169_5489:
	v_lshrrev_b32_e32 v4, 24, v40
	s_movk_i32 s52, 0x80
	v_and_or_b32 v4, v4, s52, v1
.LBB169_5490:
	s_or_b64 exec, exec, vcc
.LBB169_5491:
	s_or_b64 exec, exec, s[50:51]
	flat_store_byte v[2:3], v4
                                        ; implicit-def: $vgpr40
                                        ; implicit-def: $vgpr2_vgpr3
.LBB169_5492:
	s_andn2_saveexec_b64 s[48:49], s[48:49]
	s_cbranch_execz .LBB169_5502
; %bb.5493:
	v_and_b32_e32 v4, 0x7fffffff, v40
	s_mov_b32 vcc_lo, 0x43f00000
	v_cmp_gt_u32_e32 vcc, vcc_lo, v4
                                        ; implicit-def: $vgpr1
	s_and_saveexec_b64 s[50:51], vcc
	s_xor_b64 s[50:51], exec, s[50:51]
	s_cbranch_execz .LBB169_5499
; %bb.5494:
	s_mov_b32 vcc_lo, 0x3c7fffff
	v_cmp_lt_u32_e32 vcc, vcc_lo, v4
                                        ; implicit-def: $vgpr1
	s_and_saveexec_b64 s[52:53], vcc
	s_xor_b64 s[52:53], exec, s[52:53]
; %bb.5495:
	v_bfe_u32 v1, v40, 20, 1
	s_mov_b32 vcc_lo, 0x407ffff
	v_add3_u32 v1, v40, v1, vcc_lo
	v_lshrrev_b32_e32 v4, 20, v1
	v_and_b32_e32 v1, 0xff00000, v1
	s_mov_b32 vcc_lo, 0x7f00000
	v_mov_b32_e32 v5, 0x7e
	v_cmp_ne_u32_e32 vcc, vcc_lo, v1
	v_cndmask_b32_e32 v1, v5, v4, vcc
; %bb.5496:
	s_andn2_saveexec_b64 vcc, s[52:53]
; %bb.5497:
	s_mov_b32 s52, 0x46800000
	v_add_f32_e64 v1, |v40|, s52
; %bb.5498:
	s_or_b64 exec, exec, vcc
                                        ; implicit-def: $vgpr4
.LBB169_5499:
	s_andn2_saveexec_b64 s[50:51], s[50:51]
; %bb.5500:
	s_mov_b32 vcc_lo, 0x7f800000
	v_mov_b32_e32 v1, 0x7e
	v_mov_b32_e32 v5, 0x7f
	v_cmp_lt_u32_e32 vcc, vcc_lo, v4
	v_cndmask_b32_e32 v1, v1, v5, vcc
; %bb.5501:
	s_or_b64 exec, exec, s[50:51]
	v_lshrrev_b32_e32 v4, 24, v40
	s_movk_i32 vcc_lo, 0x80
	v_and_or_b32 v1, v4, vcc_lo, v1
	flat_store_byte v[2:3], v1
.LBB169_5502:
	s_or_b64 exec, exec, s[48:49]
                                        ; implicit-def: $vgpr40
                                        ; implicit-def: $vgpr2_vgpr3
.LBB169_5503:
	s_andn2_saveexec_b64 s[46:47], s[46:47]
	s_cbranch_execz .LBB169_5513
; %bb.5504:
	v_and_b32_e32 v4, 0x7fffffff, v40
	s_mov_b32 vcc_lo, 0x47800000
	v_cmp_gt_u32_e32 vcc, vcc_lo, v4
                                        ; implicit-def: $vgpr1
	s_and_saveexec_b64 s[48:49], vcc
	s_xor_b64 s[48:49], exec, s[48:49]
	s_cbranch_execz .LBB169_5510
; %bb.5505:
	s_mov_b32 vcc_lo, 0x387fffff
	v_cmp_lt_u32_e32 vcc, vcc_lo, v4
                                        ; implicit-def: $vgpr1
	s_and_saveexec_b64 s[50:51], vcc
	s_xor_b64 vcc, exec, s[50:51]
; %bb.5506:
	v_bfe_u32 v1, v40, 21, 1
	s_mov_b32 s50, 0x80fffff
	v_add3_u32 v1, v40, v1, s50
	v_lshrrev_b32_e32 v1, 21, v1
; %bb.5507:
	s_andn2_saveexec_b64 vcc, vcc
; %bb.5508:
	s_mov_b32 s50, 0x43000000
	v_add_f32_e64 v1, |v40|, s50
; %bb.5509:
	s_or_b64 exec, exec, vcc
                                        ; implicit-def: $vgpr4
.LBB169_5510:
	s_andn2_saveexec_b64 s[48:49], s[48:49]
; %bb.5511:
	s_mov_b32 vcc_lo, 0x7f800000
	v_mov_b32_e32 v1, 0x7c
	v_mov_b32_e32 v5, 0x7f
	v_cmp_lt_u32_e32 vcc, vcc_lo, v4
	v_cndmask_b32_e32 v1, v1, v5, vcc
; %bb.5512:
	s_or_b64 exec, exec, s[48:49]
	v_lshrrev_b32_e32 v4, 24, v40
	s_movk_i32 vcc_lo, 0x80
	v_and_or_b32 v1, v4, vcc_lo, v1
	flat_store_byte v[2:3], v1
.LBB169_5513:
	s_or_b64 exec, exec, s[46:47]
	s_or_b64 s[46:47], s[38:39], exec
                                        ; implicit-def: $vgpr40
                                        ; implicit-def: $vgpr2_vgpr3
.LBB169_5514:
	s_or_saveexec_b64 s[44:45], s[44:45]
	s_mov_b64 vcc, s[40:41]
	s_xor_b64 exec, exec, s[44:45]
	s_cbranch_execz .LBB169_5524
; %bb.5515:
	v_mov_b32_e32 v1, 14
	v_cmp_gt_i16_sdwa vcc, v62, v1 src0_sel:BYTE_0 src1_sel:DWORD
	s_mov_b64 s[48:49], s[46:47]
	s_mov_b64 s[50:51], s[40:41]
	s_and_saveexec_b64 s[52:53], vcc
	s_xor_b64 s[52:53], exec, s[52:53]
	s_cbranch_execz .LBB169_5519
; %bb.5516:
	v_mov_b32_e32 v1, 15
	v_cmp_eq_u16_sdwa s[54:55], v62, v1 src0_sel:BYTE_0 src1_sel:DWORD
	s_mov_b64 s[50:51], -1
	s_mov_b64 vcc, s[46:47]
	s_and_saveexec_b64 s[48:49], s[54:55]
	s_cbranch_execz .LBB169_5518
; %bb.5517:
	v_bfe_u32 v1, v40, 16, 1
	s_movk_i32 vcc_lo, 0x7fff
	v_add3_u32 v1, v40, v1, vcc_lo
	v_lshrrev_b32_e32 v1, 16, v1
	v_mov_b32_e32 v4, 0x7fc0
	v_cmp_o_f32_e32 vcc, v40, v40
	v_cndmask_b32_e32 v1, v4, v1, vcc
	flat_store_short v[2:3], v1
	s_xor_b64 s[50:51], exec, -1
	s_or_b64 vcc, s[46:47], exec
.LBB169_5518:
	s_or_b64 exec, exec, s[48:49]
	s_andn2_b64 s[48:49], s[40:41], exec
	s_and_b64 s[50:51], s[50:51], exec
	s_or_b64 s[50:51], s[48:49], s[50:51]
	s_andn2_b64 s[48:49], s[46:47], exec
	s_and_b64 vcc, vcc, exec
	s_or_b64 s[48:49], s[48:49], vcc
                                        ; implicit-def: $vgpr40
                                        ; implicit-def: $vgpr2_vgpr3
.LBB169_5519:
	s_andn2_saveexec_b64 s[52:53], s[52:53]
	s_cbranch_execz .LBB169_5523
; %bb.5520:
	v_mov_b32_e32 v1, 11
	v_cmp_eq_u16_sdwa s[58:59], v62, v1 src0_sel:BYTE_0 src1_sel:DWORD
	s_mov_b64 s[54:55], -1
	s_mov_b64 vcc, s[48:49]
	s_and_saveexec_b64 s[56:57], s[58:59]
	s_cbranch_execz .LBB169_5522
; %bb.5521:
	v_cmp_neq_f32_e32 vcc, 0, v40
	v_cndmask_b32_e64 v1, 0, 1, vcc
	flat_store_byte v[2:3], v1
	s_xor_b64 s[54:55], exec, -1
	s_or_b64 vcc, s[48:49], exec
.LBB169_5522:
	s_or_b64 exec, exec, s[56:57]
	s_andn2_b64 s[50:51], s[50:51], exec
	s_and_b64 s[54:55], s[54:55], exec
	s_andn2_b64 s[48:49], s[48:49], exec
	s_and_b64 vcc, vcc, exec
	s_or_b64 s[50:51], s[50:51], s[54:55]
	s_or_b64 s[48:49], s[48:49], vcc
.LBB169_5523:
	s_or_b64 exec, exec, s[52:53]
	s_andn2_b64 vcc, s[40:41], exec
	s_and_b64 s[50:51], s[50:51], exec
	s_andn2_b64 s[46:47], s[46:47], exec
	s_and_b64 s[48:49], s[48:49], exec
	s_or_b64 vcc, vcc, s[50:51]
	s_or_b64 s[46:47], s[46:47], s[48:49]
.LBB169_5524:
	s_or_b64 exec, exec, s[44:45]
	s_andn2_b64 s[40:41], s[40:41], exec
	s_and_b64 vcc, vcc, exec
	s_or_b64 s[40:41], s[40:41], vcc
	s_andn2_b64 vcc, s[38:39], exec
	s_and_b64 s[38:39], s[46:47], exec
	s_or_b64 s[38:39], vcc, s[38:39]
.LBB169_5525:
	s_or_b64 exec, exec, s[42:43]
	s_andn2_b64 vcc, s[4:5], exec
	s_and_b64 s[40:41], s[40:41], exec
	s_or_b64 s[40:41], vcc, s[40:41]
	s_and_b64 s[38:39], s[38:39], exec
                                        ; implicit-def: $vgpr40
                                        ; implicit-def: $vgpr2_vgpr3
	s_andn2_saveexec_b64 s[34:35], s[34:35]
	s_cbranch_execz .LBB169_3888
.LBB169_5526:
	v_mov_b32_e32 v1, 4
	v_cmp_gt_i16_sdwa vcc, v62, v1 src0_sel:BYTE_0 src1_sel:DWORD
	s_and_saveexec_b64 s[42:43], vcc
	s_xor_b64 vcc, exec, s[42:43]
	s_cbranch_execz .LBB169_5548
; %bb.5527:
	v_mov_b32_e32 v1, 7
	v_cmp_gt_i16_sdwa s[42:43], v62, v1 src0_sel:BYTE_0 src1_sel:DWORD
	s_and_saveexec_b64 s[44:45], s[42:43]
	s_xor_b64 s[42:43], exec, s[44:45]
	s_cbranch_execz .LBB169_5537
; %bb.5528:
	v_mov_b32_e32 v1, 8
	v_cmp_gt_i16_sdwa s[44:45], v62, v1 src0_sel:BYTE_0 src1_sel:DWORD
	s_and_saveexec_b64 s[46:47], s[44:45]
	s_xor_b64 s[44:45], exec, s[46:47]
	;; [unrolled: 6-line block ×3, first 2 shown]
	s_cbranch_execz .LBB169_5531
; %bb.5530:
	v_mov_b32_e32 v6, 0
	v_cvt_f64_f32_e32 v[4:5], v40
	v_mov_b32_e32 v7, v6
	flat_store_dwordx4 v[2:3], v[4:7]
                                        ; implicit-def: $vgpr40
                                        ; implicit-def: $vgpr2_vgpr3
.LBB169_5531:
	s_andn2_saveexec_b64 s[46:47], s[46:47]
	s_cbranch_execz .LBB169_5533
; %bb.5532:
	v_mov_b32_e32 v41, 0
	flat_store_dwordx2 v[2:3], v[40:41]
.LBB169_5533:
	s_or_b64 exec, exec, s[46:47]
                                        ; implicit-def: $vgpr40
                                        ; implicit-def: $vgpr2_vgpr3
.LBB169_5534:
	s_andn2_saveexec_b64 s[44:45], s[44:45]
	s_cbranch_execz .LBB169_5536
; %bb.5535:
	v_cvt_f16_f32_e32 v1, v40
	flat_store_dword v[2:3], v1
.LBB169_5536:
	s_or_b64 exec, exec, s[44:45]
                                        ; implicit-def: $vgpr40
                                        ; implicit-def: $vgpr2_vgpr3
.LBB169_5537:
	s_andn2_saveexec_b64 s[42:43], s[42:43]
	s_cbranch_execz .LBB169_5547
; %bb.5538:
	v_mov_b32_e32 v1, 5
	v_cmp_gt_i16_sdwa s[44:45], v62, v1 src0_sel:BYTE_0 src1_sel:DWORD
	s_and_saveexec_b64 s[46:47], s[44:45]
	s_xor_b64 s[44:45], exec, s[46:47]
	s_cbranch_execz .LBB169_5544
; %bb.5539:
	v_mov_b32_e32 v1, 6
	v_cmp_gt_i16_sdwa s[46:47], v62, v1 src0_sel:BYTE_0 src1_sel:DWORD
	s_and_saveexec_b64 s[48:49], s[46:47]
	s_xor_b64 s[46:47], exec, s[48:49]
	s_cbranch_execz .LBB169_5541
; %bb.5540:
	v_cvt_f64_f32_e32 v[4:5], v40
	flat_store_dwordx2 v[2:3], v[4:5]
                                        ; implicit-def: $vgpr2_vgpr3
                                        ; implicit-def: $vgpr40
.LBB169_5541:
	s_andn2_saveexec_b64 s[46:47], s[46:47]
	s_cbranch_execz .LBB169_5543
; %bb.5542:
	flat_store_dword v[2:3], v40
.LBB169_5543:
	s_or_b64 exec, exec, s[46:47]
                                        ; implicit-def: $vgpr40
                                        ; implicit-def: $vgpr2_vgpr3
.LBB169_5544:
	s_andn2_saveexec_b64 s[44:45], s[44:45]
	s_cbranch_execz .LBB169_5546
; %bb.5545:
	v_cvt_f16_f32_e32 v1, v40
	flat_store_short v[2:3], v1
.LBB169_5546:
	s_or_b64 exec, exec, s[44:45]
.LBB169_5547:
	s_or_b64 exec, exec, s[42:43]
                                        ; implicit-def: $vgpr40
                                        ; implicit-def: $vgpr2_vgpr3
.LBB169_5548:
	s_andn2_saveexec_b64 s[42:43], vcc
	s_cbranch_execz .LBB169_5566
; %bb.5549:
	v_mov_b32_e32 v1, 1
	v_cmp_gt_i16_sdwa vcc, v62, v1 src0_sel:BYTE_0 src1_sel:DWORD
	s_and_saveexec_b64 s[44:45], vcc
	s_xor_b64 s[44:45], exec, s[44:45]
	s_cbranch_execz .LBB169_5559
; %bb.5550:
	v_mov_b32_e32 v1, 2
	v_cmp_gt_i16_sdwa vcc, v62, v1 src0_sel:BYTE_0 src1_sel:DWORD
	s_and_saveexec_b64 s[46:47], vcc
	s_xor_b64 s[46:47], exec, s[46:47]
	;; [unrolled: 6-line block ×3, first 2 shown]
	s_cbranch_execz .LBB169_5553
; %bb.5552:
	v_trunc_f32_e32 v1, v40
	s_mov_b32 s50, 0x2f800000
	v_mul_f32_e64 v4, |v1|, s50
	v_floor_f32_e32 v4, v4
	s_mov_b32 s50, 0xcf800000
	v_cvt_u32_f32_e32 v5, v4
	v_fma_f32 v4, v4, s50, |v1|
	v_cvt_u32_f32_e32 v4, v4
	v_ashrrev_i32_e32 v1, 31, v1
	v_xor_b32_e32 v5, v5, v1
                                        ; implicit-def: $vgpr40
	v_xor_b32_e32 v4, v4, v1
	v_sub_co_u32_e32 v4, vcc, v4, v1
	v_subb_co_u32_e32 v5, vcc, v5, v1, vcc
	flat_store_dwordx2 v[2:3], v[4:5]
                                        ; implicit-def: $vgpr2_vgpr3
.LBB169_5553:
	s_andn2_saveexec_b64 vcc, s[48:49]
	s_cbranch_execz .LBB169_5555
; %bb.5554:
	v_cvt_i32_f32_e32 v1, v40
	flat_store_dword v[2:3], v1
.LBB169_5555:
	s_or_b64 exec, exec, vcc
                                        ; implicit-def: $vgpr40
                                        ; implicit-def: $vgpr2_vgpr3
.LBB169_5556:
	s_andn2_saveexec_b64 vcc, s[46:47]
	s_cbranch_execz .LBB169_5558
; %bb.5557:
	v_cvt_i32_f32_e32 v1, v40
	flat_store_short v[2:3], v1
.LBB169_5558:
	s_or_b64 exec, exec, vcc
                                        ; implicit-def: $vgpr40
                                        ; implicit-def: $vgpr2_vgpr3
.LBB169_5559:
	s_andn2_saveexec_b64 vcc, s[44:45]
	s_cbranch_execz .LBB169_5565
; %bb.5560:
	v_mov_b32_e32 v1, 0
	v_cmp_gt_i16_sdwa s[44:45], v62, v1 src0_sel:BYTE_0 src1_sel:DWORD
	s_and_saveexec_b64 s[46:47], s[44:45]
	s_xor_b64 s[44:45], exec, s[46:47]
	s_cbranch_execz .LBB169_5562
; %bb.5561:
	v_cvt_i32_f32_e32 v1, v40
                                        ; implicit-def: $vgpr40
	flat_store_byte v[2:3], v1
                                        ; implicit-def: $vgpr2_vgpr3
.LBB169_5562:
	s_andn2_saveexec_b64 s[44:45], s[44:45]
	s_cbranch_execz .LBB169_5564
; %bb.5563:
	v_trunc_f32_e32 v1, v40
	s_mov_b32 s46, 0x2f800000
	v_mul_f32_e64 v4, |v1|, s46
	v_floor_f32_e32 v4, v4
	s_mov_b32 s46, 0xcf800000
	v_fma_f32 v4, v4, s46, |v1|
	v_cvt_u32_f32_e32 v4, v4
	v_ashrrev_i32_e32 v1, 31, v1
	v_xor_b32_e32 v4, v4, v1
	v_sub_u32_e32 v1, v4, v1
	flat_store_byte v[2:3], v1
.LBB169_5564:
	s_or_b64 exec, exec, s[44:45]
.LBB169_5565:
	s_or_b64 exec, exec, vcc
.LBB169_5566:
	s_or_b64 exec, exec, s[42:43]
	s_or_b64 s[38:39], s[38:39], exec
	s_or_b64 exec, exec, s[34:35]
	s_mov_b64 vcc, 0
	s_and_saveexec_b64 s[34:35], s[38:39]
	s_cbranch_execnz .LBB169_3889
	s_branch .LBB169_3890
.LBB169_5567:
	v_bfe_u32 v1, v58, 20, 1
	s_mov_b32 s30, 0x487ffff
	v_add3_u32 v1, v58, v1, s30
	s_mov_b64 s[28:29], exec
	v_lshrrev_b32_e32 v1, 20, v1
	s_or_saveexec_b64 s[30:31], vcc
                                        ; implicit-def: $sgpr34
	s_xor_b64 exec, exec, s[30:31]
	s_cbranch_execz .LBB169_4860
.LBB169_5568:
	s_mov_b32 s34, 0x46000000
	v_add_f32_e64 v1, |v58|, s34
	v_and_b32_e32 v1, 0xff, v1
	v_cmp_ne_u32_e32 vcc, 0, v1
	s_andn2_b64 s[28:29], s[28:29], exec
	s_and_b64 vcc, vcc, exec
	s_mov_b32 s34, 0
	s_or_b64 s[28:29], s[28:29], vcc
	s_or_b64 exec, exec, s[30:31]
	v_mov_b32_e32 v4, s34
	s_and_saveexec_b64 vcc, s[28:29]
	s_cbranch_execnz .LBB169_4861
	s_branch .LBB169_4862
.LBB169_5569:
	v_mov_b32_e32 v1, 25
	v_cmp_gt_i16_sdwa vcc, v62, v1 src0_sel:BYTE_0 src1_sel:DWORD
	s_mov_b64 s[44:45], s[34:35]
	s_and_saveexec_b64 s[46:47], vcc
	s_xor_b64 s[46:47], exec, s[46:47]
	s_cbranch_execz .LBB169_5605
; %bb.5570:
	v_mov_b32_e32 v1, 28
	v_cmp_gt_i16_sdwa vcc, v62, v1 src0_sel:BYTE_0 src1_sel:DWORD
	s_mov_b64 s[48:49], 0
	s_mov_b64 s[44:45], s[34:35]
	s_and_saveexec_b64 s[42:43], vcc
	s_xor_b64 s[42:43], exec, s[42:43]
	s_cbranch_execz .LBB169_5588
; %bb.5571:
	v_mov_b32_e32 v1, 43
	v_cmp_gt_i16_sdwa s[44:45], v62, v1 src0_sel:BYTE_0 src1_sel:DWORD
	s_mov_b64 vcc, 0
	s_mov_b64 s[52:53], s[34:35]
	s_and_saveexec_b64 s[48:49], s[44:45]
	s_xor_b64 s[44:45], exec, s[48:49]
	s_cbranch_execz .LBB169_5583
; %bb.5572:
	v_mov_b32_e32 v1, 45
	s_mov_b64 s[48:49], s[4:5]
	v_cmp_gt_i16_sdwa s[4:5], v62, v1 src0_sel:BYTE_0 src1_sel:DWORD
	s_mov_b64 s[50:51], 0
	s_mov_b64 s[52:53], s[34:35]
	s_and_saveexec_b64 vcc, s[4:5]
	s_xor_b64 s[4:5], exec, vcc
	s_cbranch_execz .LBB169_5576
; %bb.5573:
	v_mov_b32_e32 v1, 46
	v_cmp_eq_u16_sdwa s[54:55], v62, v1 src0_sel:BYTE_0 src1_sel:DWORD
	s_mov_b64 vcc, -1
	s_and_saveexec_b64 s[52:53], s[54:55]
	s_cbranch_execz .LBB169_5575
; %bb.5574:
	v_bfe_u32 v1, v118, 16, 1
	s_movk_i32 vcc_lo, 0x7fff
	v_add3_u32 v1, v118, v1, vcc_lo
	v_lshrrev_b32_e32 v1, 16, v1
	v_mov_b32_e32 v4, 0x7fc0
	v_cmp_o_f32_e32 vcc, v118, v118
	v_cndmask_b32_e32 v1, v4, v1, vcc
	s_mov_b64 s[50:51], exec
	flat_store_dword v[2:3], v1
	s_xor_b64 vcc, exec, -1
.LBB169_5575:
	s_or_b64 exec, exec, s[52:53]
	s_andn2_b64 s[52:53], s[34:35], exec
	s_and_b64 vcc, vcc, exec
	s_or_b64 s[52:53], s[52:53], vcc
	s_and_b64 s[50:51], s[50:51], exec
                                        ; implicit-def: $vgpr2_vgpr3
                                        ; implicit-def: $vgpr118
.LBB169_5576:
	s_andn2_saveexec_b64 s[54:55], s[4:5]
	s_cbranch_execz .LBB169_5582
; %bb.5577:
	v_mov_b32_e32 v1, 44
	v_cmp_eq_u16_sdwa s[58:59], v62, v1 src0_sel:BYTE_0 src1_sel:DWORD
	s_mov_b64 vcc, -1
	s_mov_b64 s[4:5], s[50:51]
	s_and_saveexec_b64 s[56:57], s[58:59]
	s_cbranch_execz .LBB169_5581
; %bb.5578:
	v_bfe_u32 v1, v118, 23, 8
	s_movk_i32 s4, 0xff
	v_cmp_ne_u32_e32 vcc, s4, v1
	v_mov_b32_e32 v4, 0xff
	s_and_saveexec_b64 s[58:59], vcc
; %bb.5579:
	s_mov_b32 s4, 0x3fffff
	v_and_b32_e32 v5, 0x400000, v118
	v_and_or_b32 v1, v118, s4, v1
	v_cmp_ne_u32_e32 vcc, 0, v5
	v_cmp_ne_u32_e64 s[4:5], 0, v1
	s_and_b64 s[4:5], vcc, s[4:5]
	v_lshrrev_b32_e32 v4, 23, v118
	v_cndmask_b32_e64 v1, 0, 1, s[4:5]
	v_add_u32_e32 v4, v4, v1
; %bb.5580:
	s_or_b64 exec, exec, s[58:59]
	s_xor_b64 vcc, exec, -1
	s_or_b64 s[4:5], s[50:51], exec
	flat_store_byte v[2:3], v4
.LBB169_5581:
	s_or_b64 exec, exec, s[56:57]
	s_andn2_b64 s[52:53], s[52:53], exec
	s_and_b64 vcc, vcc, exec
	s_or_b64 s[52:53], s[52:53], vcc
	s_andn2_b64 vcc, s[50:51], exec
	s_and_b64 s[4:5], s[4:5], exec
	s_or_b64 s[50:51], vcc, s[4:5]
.LBB169_5582:
	s_or_b64 exec, exec, s[54:55]
	s_andn2_b64 s[4:5], s[34:35], exec
	s_and_b64 vcc, s[52:53], exec
	s_or_b64 s[52:53], s[4:5], vcc
	s_and_b64 vcc, s[50:51], exec
	s_mov_b64 s[4:5], s[48:49]
                                        ; implicit-def: $vgpr118
                                        ; implicit-def: $vgpr2_vgpr3
.LBB169_5583:
	s_andn2_saveexec_b64 s[44:45], s[44:45]
	s_cbranch_execz .LBB169_5587
; %bb.5584:
	v_mov_b32_e32 v1, 29
	v_cmp_eq_u16_sdwa s[56:57], v62, v1 src0_sel:BYTE_0 src1_sel:DWORD
	s_mov_b64 s[54:55], -1
	s_mov_b64 s[50:51], vcc
	s_and_saveexec_b64 s[48:49], s[56:57]
	s_cbranch_execz .LBB169_5586
; %bb.5585:
	v_trunc_f32_e32 v1, v118
	v_mul_f32_e32 v4, 0x2f800000, v1
	v_floor_f32_e32 v4, v4
	v_fmac_f32_e32 v1, 0xcf800000, v4
	v_cvt_u32_f32_e32 v5, v4
	v_cvt_u32_f32_e32 v4, v1
	s_xor_b64 s[54:55], exec, -1
	s_or_b64 s[50:51], vcc, exec
	flat_store_dwordx2 v[2:3], v[4:5]
.LBB169_5586:
	s_or_b64 exec, exec, s[48:49]
	s_andn2_b64 s[48:49], s[52:53], exec
	s_and_b64 s[52:53], s[54:55], exec
	s_or_b64 s[52:53], s[48:49], s[52:53]
	s_andn2_b64 vcc, vcc, exec
	s_and_b64 s[48:49], s[50:51], exec
	s_or_b64 vcc, vcc, s[48:49]
.LBB169_5587:
	s_or_b64 exec, exec, s[44:45]
	s_andn2_b64 s[44:45], s[34:35], exec
	s_and_b64 s[48:49], s[52:53], exec
	s_or_b64 s[44:45], s[44:45], s[48:49]
	s_and_b64 s[48:49], vcc, exec
                                        ; implicit-def: $vgpr2_vgpr3
                                        ; implicit-def: $vgpr118
.LBB169_5588:
	s_andn2_saveexec_b64 s[42:43], s[42:43]
	s_cbranch_execz .LBB169_5604
; %bb.5589:
	v_mov_b32_e32 v1, 26
	v_cmp_gt_i16_sdwa vcc, v62, v1 src0_sel:BYTE_0 src1_sel:DWORD
	s_and_saveexec_b64 s[50:51], vcc
	s_xor_b64 vcc, exec, s[50:51]
	s_cbranch_execz .LBB169_5595
; %bb.5590:
	v_cvt_u32_f32_e32 v1, v118
	v_mov_b32_e32 v4, 27
	v_cmp_gt_i16_sdwa s[50:51], v62, v4 src0_sel:BYTE_0 src1_sel:DWORD
	s_and_saveexec_b64 s[52:53], s[50:51]
	s_xor_b64 s[50:51], exec, s[52:53]
	s_cbranch_execz .LBB169_5592
; %bb.5591:
	flat_store_dword v[2:3], v1
                                        ; implicit-def: $vgpr2_vgpr3
                                        ; implicit-def: $vgpr1
.LBB169_5592:
	s_andn2_saveexec_b64 s[50:51], s[50:51]
	s_cbranch_execz .LBB169_5594
; %bb.5593:
	flat_store_short v[2:3], v1
.LBB169_5594:
	s_or_b64 exec, exec, s[50:51]
                                        ; implicit-def: $vgpr2_vgpr3
                                        ; implicit-def: $vgpr118
.LBB169_5595:
	s_andn2_saveexec_b64 s[50:51], vcc
	s_cbranch_execz .LBB169_5603
; %bb.5596:
	v_and_b32_e32 v1, 0x7fffffff, v118
	s_mov_b32 vcc_lo, 0x43800000
	v_cmp_gt_u32_e32 vcc, vcc_lo, v1
	v_mov_b32_e32 v4, 0x80
	s_and_saveexec_b64 s[52:53], vcc
	s_cbranch_execz .LBB169_5602
; %bb.5597:
	s_mov_b32 vcc_lo, 0x3bffffff
	v_cmp_lt_u32_e32 vcc, vcc_lo, v1
	s_mov_b64 s[54:55], 0
                                        ; implicit-def: $vgpr1
	s_and_saveexec_b64 s[56:57], vcc
	s_xor_b64 vcc, exec, s[56:57]
	s_cbranch_execnz .LBB169_6323
; %bb.5598:
	s_or_saveexec_b64 s[56:57], vcc
                                        ; implicit-def: $sgpr58
	s_xor_b64 exec, exec, s[56:57]
	s_cbranch_execnz .LBB169_6324
.LBB169_5599:
	s_or_b64 exec, exec, s[56:57]
	v_mov_b32_e32 v4, s58
	s_and_saveexec_b64 vcc, s[54:55]
.LBB169_5600:
	v_lshrrev_b32_e32 v4, 24, v118
	s_movk_i32 s54, 0x80
	v_and_or_b32 v4, v4, s54, v1
.LBB169_5601:
	s_or_b64 exec, exec, vcc
.LBB169_5602:
	s_or_b64 exec, exec, s[52:53]
	flat_store_byte v[2:3], v4
.LBB169_5603:
	s_or_b64 exec, exec, s[50:51]
	s_or_b64 s[48:49], s[48:49], exec
.LBB169_5604:
	s_or_b64 exec, exec, s[42:43]
	s_andn2_b64 vcc, s[34:35], exec
	s_and_b64 s[42:43], s[44:45], exec
	s_or_b64 s[44:45], vcc, s[42:43]
	s_and_b64 s[42:43], s[48:49], exec
                                        ; implicit-def: $vgpr118
                                        ; implicit-def: $vgpr2_vgpr3
.LBB169_5605:
	s_andn2_saveexec_b64 s[46:47], s[46:47]
	s_cbranch_execz .LBB169_5649
; %bb.5606:
	v_mov_b32_e32 v1, 22
	v_cmp_gt_i16_sdwa vcc, v62, v1 src0_sel:BYTE_0 src1_sel:DWORD
	s_mov_b64 s[50:51], s[42:43]
	s_and_saveexec_b64 s[48:49], vcc
	s_xor_b64 s[48:49], exec, s[48:49]
	s_cbranch_execz .LBB169_5638
; %bb.5607:
	v_mov_b32_e32 v1, 23
	v_cmp_gt_i16_sdwa vcc, v62, v1 src0_sel:BYTE_0 src1_sel:DWORD
	s_and_saveexec_b64 s[50:51], vcc
	s_xor_b64 s[50:51], exec, s[50:51]
	s_cbranch_execz .LBB169_5627
; %bb.5608:
	v_mov_b32_e32 v1, 24
	v_cmp_gt_i16_sdwa vcc, v62, v1 src0_sel:BYTE_0 src1_sel:DWORD
	s_and_saveexec_b64 s[52:53], vcc
	s_xor_b64 s[52:53], exec, s[52:53]
	s_cbranch_execz .LBB169_5616
; %bb.5609:
	v_and_b32_e32 v1, 0x7fffffff, v118
	s_mov_b32 vcc_lo, 0x47800000
	v_cmp_gt_u32_e32 vcc, vcc_lo, v1
	v_mov_b32_e32 v4, 0x80
	s_and_saveexec_b64 s[54:55], vcc
	s_cbranch_execz .LBB169_5615
; %bb.5610:
	s_mov_b32 vcc_lo, 0x37ffffff
	v_cmp_lt_u32_e32 vcc, vcc_lo, v1
	s_mov_b64 s[56:57], 0
                                        ; implicit-def: $vgpr1
	s_and_saveexec_b64 s[58:59], vcc
	s_xor_b64 vcc, exec, s[58:59]
	s_cbranch_execnz .LBB169_6447
; %bb.5611:
	s_or_saveexec_b64 s[58:59], vcc
                                        ; implicit-def: $sgpr60
	s_xor_b64 exec, exec, s[58:59]
	s_cbranch_execnz .LBB169_6448
.LBB169_5612:
	s_or_b64 exec, exec, s[58:59]
	v_mov_b32_e32 v4, s60
	s_and_saveexec_b64 vcc, s[56:57]
.LBB169_5613:
	v_lshrrev_b32_e32 v4, 24, v118
	s_movk_i32 s56, 0x80
	v_and_or_b32 v4, v4, s56, v1
.LBB169_5614:
	s_or_b64 exec, exec, vcc
.LBB169_5615:
	s_or_b64 exec, exec, s[54:55]
	flat_store_byte v[2:3], v4
                                        ; implicit-def: $vgpr118
                                        ; implicit-def: $vgpr2_vgpr3
.LBB169_5616:
	s_andn2_saveexec_b64 s[52:53], s[52:53]
	s_cbranch_execz .LBB169_5626
; %bb.5617:
	v_and_b32_e32 v4, 0x7fffffff, v118
	s_mov_b32 vcc_lo, 0x43f00000
	v_cmp_gt_u32_e32 vcc, vcc_lo, v4
                                        ; implicit-def: $vgpr1
	s_and_saveexec_b64 s[54:55], vcc
	s_xor_b64 s[54:55], exec, s[54:55]
	s_cbranch_execz .LBB169_5623
; %bb.5618:
	s_mov_b32 vcc_lo, 0x3c7fffff
	v_cmp_lt_u32_e32 vcc, vcc_lo, v4
                                        ; implicit-def: $vgpr1
	s_and_saveexec_b64 s[56:57], vcc
	s_xor_b64 s[56:57], exec, s[56:57]
; %bb.5619:
	v_bfe_u32 v1, v118, 20, 1
	s_mov_b32 vcc_lo, 0x407ffff
	v_add3_u32 v1, v118, v1, vcc_lo
	v_lshrrev_b32_e32 v4, 20, v1
	v_and_b32_e32 v1, 0xff00000, v1
	s_mov_b32 vcc_lo, 0x7f00000
	v_mov_b32_e32 v5, 0x7e
	v_cmp_ne_u32_e32 vcc, vcc_lo, v1
	v_cndmask_b32_e32 v1, v5, v4, vcc
; %bb.5620:
	s_andn2_saveexec_b64 vcc, s[56:57]
; %bb.5621:
	s_mov_b32 s56, 0x46800000
	v_add_f32_e64 v1, |v118|, s56
; %bb.5622:
	s_or_b64 exec, exec, vcc
                                        ; implicit-def: $vgpr4
.LBB169_5623:
	s_andn2_saveexec_b64 s[54:55], s[54:55]
; %bb.5624:
	s_mov_b32 vcc_lo, 0x7f800000
	v_mov_b32_e32 v1, 0x7e
	v_mov_b32_e32 v5, 0x7f
	v_cmp_lt_u32_e32 vcc, vcc_lo, v4
	v_cndmask_b32_e32 v1, v1, v5, vcc
; %bb.5625:
	s_or_b64 exec, exec, s[54:55]
	v_lshrrev_b32_e32 v4, 24, v118
	s_movk_i32 vcc_lo, 0x80
	v_and_or_b32 v1, v4, vcc_lo, v1
	flat_store_byte v[2:3], v1
.LBB169_5626:
	s_or_b64 exec, exec, s[52:53]
                                        ; implicit-def: $vgpr118
                                        ; implicit-def: $vgpr2_vgpr3
.LBB169_5627:
	s_andn2_saveexec_b64 s[50:51], s[50:51]
	s_cbranch_execz .LBB169_5637
; %bb.5628:
	v_and_b32_e32 v4, 0x7fffffff, v118
	s_mov_b32 vcc_lo, 0x47800000
	v_cmp_gt_u32_e32 vcc, vcc_lo, v4
                                        ; implicit-def: $vgpr1
	s_and_saveexec_b64 s[52:53], vcc
	s_xor_b64 s[52:53], exec, s[52:53]
	s_cbranch_execz .LBB169_5634
; %bb.5629:
	s_mov_b32 vcc_lo, 0x387fffff
	v_cmp_lt_u32_e32 vcc, vcc_lo, v4
                                        ; implicit-def: $vgpr1
	s_and_saveexec_b64 s[54:55], vcc
	s_xor_b64 vcc, exec, s[54:55]
; %bb.5630:
	v_bfe_u32 v1, v118, 21, 1
	s_mov_b32 s54, 0x80fffff
	v_add3_u32 v1, v118, v1, s54
	v_lshrrev_b32_e32 v1, 21, v1
; %bb.5631:
	s_andn2_saveexec_b64 vcc, vcc
; %bb.5632:
	s_mov_b32 s54, 0x43000000
	v_add_f32_e64 v1, |v118|, s54
; %bb.5633:
	s_or_b64 exec, exec, vcc
                                        ; implicit-def: $vgpr4
.LBB169_5634:
	s_andn2_saveexec_b64 s[52:53], s[52:53]
; %bb.5635:
	s_mov_b32 vcc_lo, 0x7f800000
	v_mov_b32_e32 v1, 0x7c
	v_mov_b32_e32 v5, 0x7f
	v_cmp_lt_u32_e32 vcc, vcc_lo, v4
	v_cndmask_b32_e32 v1, v1, v5, vcc
; %bb.5636:
	s_or_b64 exec, exec, s[52:53]
	v_lshrrev_b32_e32 v4, 24, v118
	s_movk_i32 vcc_lo, 0x80
	v_and_or_b32 v1, v4, vcc_lo, v1
	flat_store_byte v[2:3], v1
.LBB169_5637:
	s_or_b64 exec, exec, s[50:51]
	s_or_b64 s[50:51], s[42:43], exec
                                        ; implicit-def: $vgpr118
                                        ; implicit-def: $vgpr2_vgpr3
.LBB169_5638:
	s_or_saveexec_b64 s[48:49], s[48:49]
	s_mov_b64 vcc, s[44:45]
	s_xor_b64 exec, exec, s[48:49]
	s_cbranch_execz .LBB169_5648
; %bb.5639:
	v_mov_b32_e32 v1, 14
	v_cmp_gt_i16_sdwa vcc, v62, v1 src0_sel:BYTE_0 src1_sel:DWORD
	s_mov_b64 s[52:53], s[50:51]
	s_mov_b64 s[54:55], s[44:45]
	s_and_saveexec_b64 s[56:57], vcc
	s_xor_b64 s[56:57], exec, s[56:57]
	s_cbranch_execz .LBB169_5643
; %bb.5640:
	v_mov_b32_e32 v1, 15
	v_cmp_eq_u16_sdwa s[58:59], v62, v1 src0_sel:BYTE_0 src1_sel:DWORD
	s_mov_b64 s[54:55], -1
	s_mov_b64 vcc, s[50:51]
	s_and_saveexec_b64 s[52:53], s[58:59]
	s_cbranch_execz .LBB169_5642
; %bb.5641:
	v_bfe_u32 v1, v118, 16, 1
	s_movk_i32 vcc_lo, 0x7fff
	v_add3_u32 v1, v118, v1, vcc_lo
	v_lshrrev_b32_e32 v1, 16, v1
	v_mov_b32_e32 v4, 0x7fc0
	v_cmp_o_f32_e32 vcc, v118, v118
	v_cndmask_b32_e32 v1, v4, v1, vcc
	flat_store_short v[2:3], v1
	s_xor_b64 s[54:55], exec, -1
	s_or_b64 vcc, s[50:51], exec
.LBB169_5642:
	s_or_b64 exec, exec, s[52:53]
	s_andn2_b64 s[52:53], s[44:45], exec
	s_and_b64 s[54:55], s[54:55], exec
	s_or_b64 s[54:55], s[52:53], s[54:55]
	s_andn2_b64 s[52:53], s[50:51], exec
	s_and_b64 vcc, vcc, exec
	s_or_b64 s[52:53], s[52:53], vcc
                                        ; implicit-def: $vgpr118
                                        ; implicit-def: $vgpr2_vgpr3
.LBB169_5643:
	s_andn2_saveexec_b64 s[56:57], s[56:57]
	s_cbranch_execz .LBB169_5647
; %bb.5644:
	v_mov_b32_e32 v1, 11
	v_cmp_eq_u16_sdwa s[62:63], v62, v1 src0_sel:BYTE_0 src1_sel:DWORD
	s_mov_b64 s[58:59], -1
	s_mov_b64 vcc, s[52:53]
	s_and_saveexec_b64 s[60:61], s[62:63]
	s_cbranch_execz .LBB169_5646
; %bb.5645:
	v_cmp_neq_f32_e32 vcc, 0, v118
	v_cndmask_b32_e64 v1, 0, 1, vcc
	flat_store_byte v[2:3], v1
	s_xor_b64 s[58:59], exec, -1
	s_or_b64 vcc, s[52:53], exec
.LBB169_5646:
	s_or_b64 exec, exec, s[60:61]
	s_andn2_b64 s[54:55], s[54:55], exec
	s_and_b64 s[58:59], s[58:59], exec
	s_andn2_b64 s[52:53], s[52:53], exec
	s_and_b64 vcc, vcc, exec
	s_or_b64 s[54:55], s[54:55], s[58:59]
	s_or_b64 s[52:53], s[52:53], vcc
.LBB169_5647:
	s_or_b64 exec, exec, s[56:57]
	s_andn2_b64 vcc, s[44:45], exec
	s_and_b64 s[54:55], s[54:55], exec
	s_andn2_b64 s[50:51], s[50:51], exec
	s_and_b64 s[52:53], s[52:53], exec
	s_or_b64 vcc, vcc, s[54:55]
	s_or_b64 s[50:51], s[50:51], s[52:53]
.LBB169_5648:
	s_or_b64 exec, exec, s[48:49]
	s_andn2_b64 s[44:45], s[44:45], exec
	s_and_b64 vcc, vcc, exec
	s_or_b64 s[44:45], s[44:45], vcc
	s_andn2_b64 vcc, s[42:43], exec
	s_and_b64 s[42:43], s[50:51], exec
	s_or_b64 s[42:43], vcc, s[42:43]
.LBB169_5649:
	s_or_b64 exec, exec, s[46:47]
	s_andn2_b64 vcc, s[34:35], exec
	s_and_b64 s[44:45], s[44:45], exec
	s_or_b64 s[44:45], vcc, s[44:45]
	s_and_b64 s[42:43], s[42:43], exec
                                        ; implicit-def: $vgpr118
                                        ; implicit-def: $vgpr2_vgpr3
	s_andn2_saveexec_b64 s[38:39], s[38:39]
	s_cbranch_execz .LBB169_3895
.LBB169_5650:
	v_mov_b32_e32 v1, 4
	v_cmp_gt_i16_sdwa vcc, v62, v1 src0_sel:BYTE_0 src1_sel:DWORD
	s_and_saveexec_b64 s[46:47], vcc
	s_xor_b64 vcc, exec, s[46:47]
	s_cbranch_execz .LBB169_5672
; %bb.5651:
	v_mov_b32_e32 v1, 7
	v_cmp_gt_i16_sdwa s[46:47], v62, v1 src0_sel:BYTE_0 src1_sel:DWORD
	s_and_saveexec_b64 s[48:49], s[46:47]
	s_xor_b64 s[46:47], exec, s[48:49]
	s_cbranch_execz .LBB169_5661
; %bb.5652:
	v_mov_b32_e32 v1, 8
	v_cmp_gt_i16_sdwa s[48:49], v62, v1 src0_sel:BYTE_0 src1_sel:DWORD
	s_and_saveexec_b64 s[50:51], s[48:49]
	s_xor_b64 s[48:49], exec, s[50:51]
	;; [unrolled: 6-line block ×3, first 2 shown]
	s_cbranch_execz .LBB169_5655
; %bb.5654:
	v_mov_b32_e32 v6, 0
	v_cvt_f64_f32_e32 v[4:5], v118
	v_mov_b32_e32 v7, v6
	flat_store_dwordx4 v[2:3], v[4:7]
                                        ; implicit-def: $vgpr118
                                        ; implicit-def: $vgpr2_vgpr3
.LBB169_5655:
	s_andn2_saveexec_b64 s[50:51], s[50:51]
	s_cbranch_execz .LBB169_5657
; %bb.5656:
	v_mov_b32_e32 v119, 0
	flat_store_dwordx2 v[2:3], v[118:119]
.LBB169_5657:
	s_or_b64 exec, exec, s[50:51]
                                        ; implicit-def: $vgpr118
                                        ; implicit-def: $vgpr2_vgpr3
.LBB169_5658:
	s_andn2_saveexec_b64 s[48:49], s[48:49]
	s_cbranch_execz .LBB169_5660
; %bb.5659:
	v_cvt_f16_f32_e32 v1, v118
	flat_store_dword v[2:3], v1
.LBB169_5660:
	s_or_b64 exec, exec, s[48:49]
                                        ; implicit-def: $vgpr118
                                        ; implicit-def: $vgpr2_vgpr3
.LBB169_5661:
	s_andn2_saveexec_b64 s[46:47], s[46:47]
	s_cbranch_execz .LBB169_5671
; %bb.5662:
	v_mov_b32_e32 v1, 5
	v_cmp_gt_i16_sdwa s[48:49], v62, v1 src0_sel:BYTE_0 src1_sel:DWORD
	s_and_saveexec_b64 s[50:51], s[48:49]
	s_xor_b64 s[48:49], exec, s[50:51]
	s_cbranch_execz .LBB169_5668
; %bb.5663:
	v_mov_b32_e32 v1, 6
	v_cmp_gt_i16_sdwa s[50:51], v62, v1 src0_sel:BYTE_0 src1_sel:DWORD
	s_and_saveexec_b64 s[52:53], s[50:51]
	s_xor_b64 s[50:51], exec, s[52:53]
	s_cbranch_execz .LBB169_5665
; %bb.5664:
	v_cvt_f64_f32_e32 v[4:5], v118
	flat_store_dwordx2 v[2:3], v[4:5]
                                        ; implicit-def: $vgpr2_vgpr3
                                        ; implicit-def: $vgpr118
.LBB169_5665:
	s_andn2_saveexec_b64 s[50:51], s[50:51]
	s_cbranch_execz .LBB169_5667
; %bb.5666:
	flat_store_dword v[2:3], v118
.LBB169_5667:
	s_or_b64 exec, exec, s[50:51]
                                        ; implicit-def: $vgpr118
                                        ; implicit-def: $vgpr2_vgpr3
.LBB169_5668:
	s_andn2_saveexec_b64 s[48:49], s[48:49]
	s_cbranch_execz .LBB169_5670
; %bb.5669:
	v_cvt_f16_f32_e32 v1, v118
	flat_store_short v[2:3], v1
.LBB169_5670:
	s_or_b64 exec, exec, s[48:49]
.LBB169_5671:
	s_or_b64 exec, exec, s[46:47]
                                        ; implicit-def: $vgpr118
                                        ; implicit-def: $vgpr2_vgpr3
.LBB169_5672:
	s_andn2_saveexec_b64 s[46:47], vcc
	s_cbranch_execz .LBB169_5690
; %bb.5673:
	v_mov_b32_e32 v1, 1
	v_cmp_gt_i16_sdwa vcc, v62, v1 src0_sel:BYTE_0 src1_sel:DWORD
	s_and_saveexec_b64 s[48:49], vcc
	s_xor_b64 s[48:49], exec, s[48:49]
	s_cbranch_execz .LBB169_5683
; %bb.5674:
	v_mov_b32_e32 v1, 2
	v_cmp_gt_i16_sdwa vcc, v62, v1 src0_sel:BYTE_0 src1_sel:DWORD
	s_and_saveexec_b64 s[50:51], vcc
	s_xor_b64 s[50:51], exec, s[50:51]
	;; [unrolled: 6-line block ×3, first 2 shown]
	s_cbranch_execz .LBB169_5677
; %bb.5676:
	v_trunc_f32_e32 v1, v118
	s_mov_b32 s54, 0x2f800000
	v_mul_f32_e64 v4, |v1|, s54
	v_floor_f32_e32 v4, v4
	s_mov_b32 s54, 0xcf800000
	v_cvt_u32_f32_e32 v5, v4
	v_fma_f32 v4, v4, s54, |v1|
	v_cvt_u32_f32_e32 v4, v4
	v_ashrrev_i32_e32 v1, 31, v1
	v_xor_b32_e32 v5, v5, v1
                                        ; implicit-def: $vgpr118
	v_xor_b32_e32 v4, v4, v1
	v_sub_co_u32_e32 v4, vcc, v4, v1
	v_subb_co_u32_e32 v5, vcc, v5, v1, vcc
	flat_store_dwordx2 v[2:3], v[4:5]
                                        ; implicit-def: $vgpr2_vgpr3
.LBB169_5677:
	s_andn2_saveexec_b64 vcc, s[52:53]
	s_cbranch_execz .LBB169_5679
; %bb.5678:
	v_cvt_i32_f32_e32 v1, v118
	flat_store_dword v[2:3], v1
.LBB169_5679:
	s_or_b64 exec, exec, vcc
                                        ; implicit-def: $vgpr118
                                        ; implicit-def: $vgpr2_vgpr3
.LBB169_5680:
	s_andn2_saveexec_b64 vcc, s[50:51]
	s_cbranch_execz .LBB169_5682
; %bb.5681:
	v_cvt_i32_f32_e32 v1, v118
	flat_store_short v[2:3], v1
.LBB169_5682:
	s_or_b64 exec, exec, vcc
                                        ; implicit-def: $vgpr118
                                        ; implicit-def: $vgpr2_vgpr3
.LBB169_5683:
	s_andn2_saveexec_b64 vcc, s[48:49]
	s_cbranch_execz .LBB169_5689
; %bb.5684:
	v_mov_b32_e32 v1, 0
	v_cmp_gt_i16_sdwa s[48:49], v62, v1 src0_sel:BYTE_0 src1_sel:DWORD
	s_and_saveexec_b64 s[50:51], s[48:49]
	s_xor_b64 s[48:49], exec, s[50:51]
	s_cbranch_execz .LBB169_5686
; %bb.5685:
	v_cvt_i32_f32_e32 v1, v118
                                        ; implicit-def: $vgpr118
	flat_store_byte v[2:3], v1
                                        ; implicit-def: $vgpr2_vgpr3
.LBB169_5686:
	s_andn2_saveexec_b64 s[48:49], s[48:49]
	s_cbranch_execz .LBB169_5688
; %bb.5687:
	v_trunc_f32_e32 v1, v118
	s_mov_b32 s50, 0x2f800000
	v_mul_f32_e64 v4, |v1|, s50
	v_floor_f32_e32 v4, v4
	s_mov_b32 s50, 0xcf800000
	v_fma_f32 v4, v4, s50, |v1|
	v_cvt_u32_f32_e32 v4, v4
	v_ashrrev_i32_e32 v1, 31, v1
	v_xor_b32_e32 v4, v4, v1
	v_sub_u32_e32 v1, v4, v1
	flat_store_byte v[2:3], v1
.LBB169_5688:
	s_or_b64 exec, exec, s[48:49]
.LBB169_5689:
	s_or_b64 exec, exec, vcc
.LBB169_5690:
	s_or_b64 exec, exec, s[46:47]
	s_or_b64 s[42:43], s[42:43], exec
	s_or_b64 exec, exec, s[38:39]
	s_mov_b64 vcc, 0
	s_and_saveexec_b64 s[38:39], s[42:43]
	s_cbranch_execnz .LBB169_3896
	s_branch .LBB169_3897
.LBB169_5691:
	v_bfe_u32 v1, v58, 21, 1
	s_mov_b32 s34, 0x88fffff
	v_add3_u32 v1, v58, v1, s34
	s_mov_b64 s[30:31], exec
	v_lshrrev_b32_e32 v1, 21, v1
	s_or_saveexec_b64 s[34:35], vcc
                                        ; implicit-def: $sgpr36
	s_xor_b64 exec, exec, s[34:35]
	s_cbranch_execz .LBB169_4873
.LBB169_5692:
	s_mov_b32 s36, 0x42800000
	v_add_f32_e64 v1, |v58|, s36
	v_and_b32_e32 v1, 0xff, v1
	v_cmp_ne_u32_e32 vcc, 0, v1
	s_andn2_b64 s[30:31], s[30:31], exec
	s_and_b64 vcc, vcc, exec
	s_mov_b32 s36, 0
	s_or_b64 s[30:31], s[30:31], vcc
	s_or_b64 exec, exec, s[34:35]
	v_mov_b32_e32 v4, s36
	s_and_saveexec_b64 vcc, s[30:31]
	s_cbranch_execnz .LBB169_4874
	s_branch .LBB169_4875
.LBB169_5693:
	v_bfe_u32 v1, v56, 20, 1
	s_mov_b32 s36, 0x487ffff
	v_add3_u32 v1, v56, v1, s36
	s_mov_b64 s[34:35], exec
	v_lshrrev_b32_e32 v1, 20, v1
	s_or_saveexec_b64 s[36:37], vcc
                                        ; implicit-def: $sgpr38
	s_xor_b64 exec, exec, s[36:37]
	s_cbranch_execz .LBB169_4983
.LBB169_5694:
	s_mov_b32 s38, 0x46000000
	v_add_f32_e64 v1, |v56|, s38
	v_and_b32_e32 v1, 0xff, v1
	v_cmp_ne_u32_e32 vcc, 0, v1
	s_andn2_b64 s[34:35], s[34:35], exec
	s_and_b64 vcc, vcc, exec
	s_mov_b32 s38, 0
	s_or_b64 s[34:35], s[34:35], vcc
	s_or_b64 exec, exec, s[36:37]
	v_mov_b32_e32 v4, s38
	s_and_saveexec_b64 vcc, s[34:35]
	s_cbranch_execnz .LBB169_4984
	s_branch .LBB169_4985
.LBB169_5695:
	v_mov_b32_e32 v1, 25
	v_cmp_gt_i16_sdwa vcc, v62, v1 src0_sel:BYTE_0 src1_sel:DWORD
	s_mov_b64 s[46:47], s[38:39]
	s_and_saveexec_b64 s[48:49], vcc
	s_xor_b64 s[48:49], exec, s[48:49]
	s_cbranch_execz .LBB169_5731
; %bb.5696:
	v_mov_b32_e32 v1, 28
	v_cmp_gt_i16_sdwa vcc, v62, v1 src0_sel:BYTE_0 src1_sel:DWORD
	s_mov_b64 s[50:51], 0
	s_mov_b64 s[52:53], s[38:39]
	s_and_saveexec_b64 s[44:45], vcc
	s_xor_b64 s[44:45], exec, s[44:45]
	s_cbranch_execz .LBB169_5714
; %bb.5697:
	v_mov_b32_e32 v1, 43
	s_mov_b64 s[46:47], s[4:5]
	v_cmp_gt_i16_sdwa s[50:51], v62, v1 src0_sel:BYTE_0 src1_sel:DWORD
	s_mov_b64 s[4:5], 0
	s_mov_b64 vcc, s[38:39]
	s_and_saveexec_b64 s[52:53], s[50:51]
	s_xor_b64 s[50:51], exec, s[52:53]
	s_cbranch_execz .LBB169_5709
; %bb.5698:
	v_mov_b32_e32 v1, 45
	v_cmp_gt_i16_sdwa s[4:5], v62, v1 src0_sel:BYTE_0 src1_sel:DWORD
	s_mov_b64 s[52:53], 0
	s_mov_b64 s[54:55], s[38:39]
	s_and_saveexec_b64 vcc, s[4:5]
	s_xor_b64 s[4:5], exec, vcc
	s_cbranch_execz .LBB169_5702
; %bb.5699:
	v_mov_b32_e32 v1, 46
	v_cmp_eq_u16_sdwa s[56:57], v62, v1 src0_sel:BYTE_0 src1_sel:DWORD
	s_mov_b64 vcc, -1
	s_and_saveexec_b64 s[54:55], s[56:57]
	s_cbranch_execz .LBB169_5701
; %bb.5700:
	v_bfe_u32 v1, v116, 16, 1
	s_movk_i32 vcc_lo, 0x7fff
	v_add3_u32 v1, v116, v1, vcc_lo
	v_lshrrev_b32_e32 v1, 16, v1
	v_mov_b32_e32 v4, 0x7fc0
	v_cmp_o_f32_e32 vcc, v116, v116
	v_cndmask_b32_e32 v1, v4, v1, vcc
	s_mov_b64 s[52:53], exec
	flat_store_dword v[2:3], v1
	s_xor_b64 vcc, exec, -1
.LBB169_5701:
	s_or_b64 exec, exec, s[54:55]
	s_andn2_b64 s[54:55], s[38:39], exec
	s_and_b64 vcc, vcc, exec
	s_or_b64 s[54:55], s[54:55], vcc
	s_and_b64 s[52:53], s[52:53], exec
                                        ; implicit-def: $vgpr2_vgpr3
                                        ; implicit-def: $vgpr116
.LBB169_5702:
	s_andn2_saveexec_b64 s[56:57], s[4:5]
	s_cbranch_execz .LBB169_5708
; %bb.5703:
	v_mov_b32_e32 v1, 44
	v_cmp_eq_u16_sdwa s[60:61], v62, v1 src0_sel:BYTE_0 src1_sel:DWORD
	s_mov_b64 vcc, -1
	s_mov_b64 s[4:5], s[52:53]
	s_and_saveexec_b64 s[58:59], s[60:61]
	s_cbranch_execz .LBB169_5707
; %bb.5704:
	v_bfe_u32 v1, v116, 23, 8
	s_movk_i32 s4, 0xff
	v_cmp_ne_u32_e32 vcc, s4, v1
	v_mov_b32_e32 v4, 0xff
	s_and_saveexec_b64 s[60:61], vcc
; %bb.5705:
	s_mov_b32 s4, 0x3fffff
	v_and_b32_e32 v5, 0x400000, v116
	v_and_or_b32 v1, v116, s4, v1
	v_cmp_ne_u32_e32 vcc, 0, v5
	v_cmp_ne_u32_e64 s[4:5], 0, v1
	s_and_b64 s[4:5], vcc, s[4:5]
	v_lshrrev_b32_e32 v4, 23, v116
	v_cndmask_b32_e64 v1, 0, 1, s[4:5]
	v_add_u32_e32 v4, v4, v1
; %bb.5706:
	s_or_b64 exec, exec, s[60:61]
	s_xor_b64 vcc, exec, -1
	s_or_b64 s[4:5], s[52:53], exec
	flat_store_byte v[2:3], v4
.LBB169_5707:
	s_or_b64 exec, exec, s[58:59]
	s_andn2_b64 s[54:55], s[54:55], exec
	s_and_b64 vcc, vcc, exec
	s_or_b64 s[54:55], s[54:55], vcc
	s_andn2_b64 vcc, s[52:53], exec
	s_and_b64 s[4:5], s[4:5], exec
	s_or_b64 s[52:53], vcc, s[4:5]
.LBB169_5708:
	s_or_b64 exec, exec, s[56:57]
	s_andn2_b64 s[4:5], s[38:39], exec
	s_and_b64 vcc, s[54:55], exec
	s_or_b64 vcc, s[4:5], vcc
	s_and_b64 s[4:5], s[52:53], exec
                                        ; implicit-def: $vgpr116
                                        ; implicit-def: $vgpr2_vgpr3
.LBB169_5709:
	s_andn2_saveexec_b64 s[50:51], s[50:51]
	s_cbranch_execz .LBB169_5713
; %bb.5710:
	v_mov_b32_e32 v1, 29
	v_cmp_eq_u16_sdwa s[58:59], v62, v1 src0_sel:BYTE_0 src1_sel:DWORD
	s_mov_b64 s[56:57], -1
	s_mov_b64 s[54:55], s[4:5]
	s_and_saveexec_b64 s[52:53], s[58:59]
	s_cbranch_execz .LBB169_5712
; %bb.5711:
	v_trunc_f32_e32 v1, v116
	v_mul_f32_e32 v4, 0x2f800000, v1
	v_floor_f32_e32 v4, v4
	v_fmac_f32_e32 v1, 0xcf800000, v4
	v_cvt_u32_f32_e32 v5, v4
	v_cvt_u32_f32_e32 v4, v1
	s_xor_b64 s[56:57], exec, -1
	s_or_b64 s[54:55], s[4:5], exec
	flat_store_dwordx2 v[2:3], v[4:5]
.LBB169_5712:
	s_or_b64 exec, exec, s[52:53]
	s_andn2_b64 vcc, vcc, exec
	s_and_b64 s[52:53], s[56:57], exec
	s_or_b64 vcc, vcc, s[52:53]
	s_andn2_b64 s[4:5], s[4:5], exec
	s_and_b64 s[52:53], s[54:55], exec
	s_or_b64 s[4:5], s[4:5], s[52:53]
.LBB169_5713:
	s_or_b64 exec, exec, s[50:51]
	s_andn2_b64 s[50:51], s[38:39], exec
	s_and_b64 vcc, vcc, exec
	s_or_b64 s[52:53], s[50:51], vcc
	s_and_b64 s[50:51], s[4:5], exec
	s_mov_b64 s[4:5], s[46:47]
                                        ; implicit-def: $vgpr2_vgpr3
                                        ; implicit-def: $vgpr116
.LBB169_5714:
	s_andn2_saveexec_b64 s[44:45], s[44:45]
	s_cbranch_execz .LBB169_5730
; %bb.5715:
	v_mov_b32_e32 v1, 26
	v_cmp_gt_i16_sdwa vcc, v62, v1 src0_sel:BYTE_0 src1_sel:DWORD
	s_and_saveexec_b64 s[46:47], vcc
	s_xor_b64 vcc, exec, s[46:47]
	s_cbranch_execz .LBB169_5721
; %bb.5716:
	v_cvt_u32_f32_e32 v1, v116
	v_mov_b32_e32 v4, 27
	v_cmp_gt_i16_sdwa s[46:47], v62, v4 src0_sel:BYTE_0 src1_sel:DWORD
	s_and_saveexec_b64 s[54:55], s[46:47]
	s_xor_b64 s[46:47], exec, s[54:55]
	s_cbranch_execz .LBB169_5718
; %bb.5717:
	flat_store_dword v[2:3], v1
                                        ; implicit-def: $vgpr2_vgpr3
                                        ; implicit-def: $vgpr1
.LBB169_5718:
	s_andn2_saveexec_b64 s[46:47], s[46:47]
	s_cbranch_execz .LBB169_5720
; %bb.5719:
	flat_store_short v[2:3], v1
.LBB169_5720:
	s_or_b64 exec, exec, s[46:47]
                                        ; implicit-def: $vgpr2_vgpr3
                                        ; implicit-def: $vgpr116
.LBB169_5721:
	s_andn2_saveexec_b64 s[46:47], vcc
	s_cbranch_execz .LBB169_5729
; %bb.5722:
	v_and_b32_e32 v1, 0x7fffffff, v116
	s_mov_b32 vcc_lo, 0x43800000
	v_cmp_gt_u32_e32 vcc, vcc_lo, v1
	v_mov_b32_e32 v4, 0x80
	s_and_saveexec_b64 s[54:55], vcc
	s_cbranch_execz .LBB169_5728
; %bb.5723:
	s_mov_b32 vcc_lo, 0x3bffffff
	v_cmp_lt_u32_e32 vcc, vcc_lo, v1
	s_mov_b64 s[56:57], 0
                                        ; implicit-def: $vgpr1
	s_and_saveexec_b64 s[58:59], vcc
	s_xor_b64 vcc, exec, s[58:59]
	s_cbranch_execnz .LBB169_6449
; %bb.5724:
	s_or_saveexec_b64 s[58:59], vcc
                                        ; implicit-def: $sgpr60
	s_xor_b64 exec, exec, s[58:59]
	s_cbranch_execnz .LBB169_6450
.LBB169_5725:
	s_or_b64 exec, exec, s[58:59]
	v_mov_b32_e32 v4, s60
	s_and_saveexec_b64 vcc, s[56:57]
.LBB169_5726:
	v_lshrrev_b32_e32 v4, 24, v116
	s_movk_i32 s56, 0x80
	v_and_or_b32 v4, v4, s56, v1
.LBB169_5727:
	s_or_b64 exec, exec, vcc
.LBB169_5728:
	s_or_b64 exec, exec, s[54:55]
	flat_store_byte v[2:3], v4
.LBB169_5729:
	s_or_b64 exec, exec, s[46:47]
	s_or_b64 s[50:51], s[50:51], exec
.LBB169_5730:
	s_or_b64 exec, exec, s[44:45]
	s_andn2_b64 vcc, s[38:39], exec
	s_and_b64 s[44:45], s[52:53], exec
	s_or_b64 s[46:47], vcc, s[44:45]
	s_and_b64 s[44:45], s[50:51], exec
                                        ; implicit-def: $vgpr116
                                        ; implicit-def: $vgpr2_vgpr3
.LBB169_5731:
	s_andn2_saveexec_b64 s[48:49], s[48:49]
	s_cbranch_execz .LBB169_5775
; %bb.5732:
	v_mov_b32_e32 v1, 22
	v_cmp_gt_i16_sdwa vcc, v62, v1 src0_sel:BYTE_0 src1_sel:DWORD
	s_mov_b64 s[52:53], s[44:45]
	s_and_saveexec_b64 s[50:51], vcc
	s_xor_b64 s[50:51], exec, s[50:51]
	s_cbranch_execz .LBB169_5764
; %bb.5733:
	v_mov_b32_e32 v1, 23
	v_cmp_gt_i16_sdwa vcc, v62, v1 src0_sel:BYTE_0 src1_sel:DWORD
	s_and_saveexec_b64 s[52:53], vcc
	s_xor_b64 s[52:53], exec, s[52:53]
	s_cbranch_execz .LBB169_5753
; %bb.5734:
	v_mov_b32_e32 v1, 24
	v_cmp_gt_i16_sdwa vcc, v62, v1 src0_sel:BYTE_0 src1_sel:DWORD
	s_and_saveexec_b64 s[54:55], vcc
	s_xor_b64 s[54:55], exec, s[54:55]
	s_cbranch_execz .LBB169_5742
; %bb.5735:
	v_and_b32_e32 v1, 0x7fffffff, v116
	s_mov_b32 vcc_lo, 0x47800000
	v_cmp_gt_u32_e32 vcc, vcc_lo, v1
	v_mov_b32_e32 v4, 0x80
	s_and_saveexec_b64 s[56:57], vcc
	s_cbranch_execz .LBB169_5741
; %bb.5736:
	s_mov_b32 vcc_lo, 0x37ffffff
	v_cmp_lt_u32_e32 vcc, vcc_lo, v1
	s_mov_b64 s[58:59], 0
                                        ; implicit-def: $vgpr1
	s_and_saveexec_b64 s[60:61], vcc
	s_xor_b64 vcc, exec, s[60:61]
	s_cbranch_execnz .LBB169_6573
; %bb.5737:
	s_or_saveexec_b64 s[60:61], vcc
                                        ; implicit-def: $sgpr62
	s_xor_b64 exec, exec, s[60:61]
	s_cbranch_execnz .LBB169_6574
.LBB169_5738:
	s_or_b64 exec, exec, s[60:61]
	v_mov_b32_e32 v4, s62
	s_and_saveexec_b64 vcc, s[58:59]
.LBB169_5739:
	v_lshrrev_b32_e32 v4, 24, v116
	s_movk_i32 s58, 0x80
	v_and_or_b32 v4, v4, s58, v1
.LBB169_5740:
	s_or_b64 exec, exec, vcc
.LBB169_5741:
	s_or_b64 exec, exec, s[56:57]
	flat_store_byte v[2:3], v4
                                        ; implicit-def: $vgpr116
                                        ; implicit-def: $vgpr2_vgpr3
.LBB169_5742:
	s_andn2_saveexec_b64 s[54:55], s[54:55]
	s_cbranch_execz .LBB169_5752
; %bb.5743:
	v_and_b32_e32 v4, 0x7fffffff, v116
	s_mov_b32 vcc_lo, 0x43f00000
	v_cmp_gt_u32_e32 vcc, vcc_lo, v4
                                        ; implicit-def: $vgpr1
	s_and_saveexec_b64 s[56:57], vcc
	s_xor_b64 s[56:57], exec, s[56:57]
	s_cbranch_execz .LBB169_5749
; %bb.5744:
	s_mov_b32 vcc_lo, 0x3c7fffff
	v_cmp_lt_u32_e32 vcc, vcc_lo, v4
                                        ; implicit-def: $vgpr1
	s_and_saveexec_b64 s[58:59], vcc
	s_xor_b64 s[58:59], exec, s[58:59]
; %bb.5745:
	v_bfe_u32 v1, v116, 20, 1
	s_mov_b32 vcc_lo, 0x407ffff
	v_add3_u32 v1, v116, v1, vcc_lo
	v_lshrrev_b32_e32 v4, 20, v1
	v_and_b32_e32 v1, 0xff00000, v1
	s_mov_b32 vcc_lo, 0x7f00000
	v_mov_b32_e32 v5, 0x7e
	v_cmp_ne_u32_e32 vcc, vcc_lo, v1
	v_cndmask_b32_e32 v1, v5, v4, vcc
; %bb.5746:
	s_andn2_saveexec_b64 vcc, s[58:59]
; %bb.5747:
	s_mov_b32 s58, 0x46800000
	v_add_f32_e64 v1, |v116|, s58
; %bb.5748:
	s_or_b64 exec, exec, vcc
                                        ; implicit-def: $vgpr4
.LBB169_5749:
	s_andn2_saveexec_b64 s[56:57], s[56:57]
; %bb.5750:
	s_mov_b32 vcc_lo, 0x7f800000
	v_mov_b32_e32 v1, 0x7e
	v_mov_b32_e32 v5, 0x7f
	v_cmp_lt_u32_e32 vcc, vcc_lo, v4
	v_cndmask_b32_e32 v1, v1, v5, vcc
; %bb.5751:
	s_or_b64 exec, exec, s[56:57]
	v_lshrrev_b32_e32 v4, 24, v116
	s_movk_i32 vcc_lo, 0x80
	v_and_or_b32 v1, v4, vcc_lo, v1
	flat_store_byte v[2:3], v1
.LBB169_5752:
	s_or_b64 exec, exec, s[54:55]
                                        ; implicit-def: $vgpr116
                                        ; implicit-def: $vgpr2_vgpr3
.LBB169_5753:
	s_andn2_saveexec_b64 s[52:53], s[52:53]
	s_cbranch_execz .LBB169_5763
; %bb.5754:
	v_and_b32_e32 v4, 0x7fffffff, v116
	s_mov_b32 vcc_lo, 0x47800000
	v_cmp_gt_u32_e32 vcc, vcc_lo, v4
                                        ; implicit-def: $vgpr1
	s_and_saveexec_b64 s[54:55], vcc
	s_xor_b64 s[54:55], exec, s[54:55]
	s_cbranch_execz .LBB169_5760
; %bb.5755:
	s_mov_b32 vcc_lo, 0x387fffff
	v_cmp_lt_u32_e32 vcc, vcc_lo, v4
                                        ; implicit-def: $vgpr1
	s_and_saveexec_b64 s[56:57], vcc
	s_xor_b64 vcc, exec, s[56:57]
; %bb.5756:
	v_bfe_u32 v1, v116, 21, 1
	s_mov_b32 s56, 0x80fffff
	v_add3_u32 v1, v116, v1, s56
	v_lshrrev_b32_e32 v1, 21, v1
; %bb.5757:
	s_andn2_saveexec_b64 vcc, vcc
; %bb.5758:
	s_mov_b32 s56, 0x43000000
	v_add_f32_e64 v1, |v116|, s56
; %bb.5759:
	s_or_b64 exec, exec, vcc
                                        ; implicit-def: $vgpr4
.LBB169_5760:
	s_andn2_saveexec_b64 s[54:55], s[54:55]
; %bb.5761:
	s_mov_b32 vcc_lo, 0x7f800000
	v_mov_b32_e32 v1, 0x7c
	v_mov_b32_e32 v5, 0x7f
	v_cmp_lt_u32_e32 vcc, vcc_lo, v4
	v_cndmask_b32_e32 v1, v1, v5, vcc
; %bb.5762:
	s_or_b64 exec, exec, s[54:55]
	v_lshrrev_b32_e32 v4, 24, v116
	s_movk_i32 vcc_lo, 0x80
	v_and_or_b32 v1, v4, vcc_lo, v1
	flat_store_byte v[2:3], v1
.LBB169_5763:
	s_or_b64 exec, exec, s[52:53]
	s_or_b64 s[52:53], s[44:45], exec
                                        ; implicit-def: $vgpr116
                                        ; implicit-def: $vgpr2_vgpr3
.LBB169_5764:
	s_or_saveexec_b64 s[50:51], s[50:51]
	s_mov_b64 vcc, s[46:47]
	s_xor_b64 exec, exec, s[50:51]
	s_cbranch_execz .LBB169_5774
; %bb.5765:
	v_mov_b32_e32 v1, 14
	v_cmp_gt_i16_sdwa vcc, v62, v1 src0_sel:BYTE_0 src1_sel:DWORD
	s_mov_b64 s[54:55], s[52:53]
	s_mov_b64 s[56:57], s[46:47]
	s_and_saveexec_b64 s[58:59], vcc
	s_xor_b64 s[58:59], exec, s[58:59]
	s_cbranch_execz .LBB169_5769
; %bb.5766:
	v_mov_b32_e32 v1, 15
	v_cmp_eq_u16_sdwa s[60:61], v62, v1 src0_sel:BYTE_0 src1_sel:DWORD
	s_mov_b64 s[56:57], -1
	s_mov_b64 vcc, s[52:53]
	s_and_saveexec_b64 s[54:55], s[60:61]
	s_cbranch_execz .LBB169_5768
; %bb.5767:
	v_bfe_u32 v1, v116, 16, 1
	s_movk_i32 vcc_lo, 0x7fff
	v_add3_u32 v1, v116, v1, vcc_lo
	v_lshrrev_b32_e32 v1, 16, v1
	v_mov_b32_e32 v4, 0x7fc0
	v_cmp_o_f32_e32 vcc, v116, v116
	v_cndmask_b32_e32 v1, v4, v1, vcc
	flat_store_short v[2:3], v1
	s_xor_b64 s[56:57], exec, -1
	s_or_b64 vcc, s[52:53], exec
.LBB169_5768:
	s_or_b64 exec, exec, s[54:55]
	s_andn2_b64 s[54:55], s[46:47], exec
	s_and_b64 s[56:57], s[56:57], exec
	s_or_b64 s[56:57], s[54:55], s[56:57]
	s_andn2_b64 s[54:55], s[52:53], exec
	s_and_b64 vcc, vcc, exec
	s_or_b64 s[54:55], s[54:55], vcc
                                        ; implicit-def: $vgpr116
                                        ; implicit-def: $vgpr2_vgpr3
.LBB169_5769:
	s_andn2_saveexec_b64 s[58:59], s[58:59]
	s_cbranch_execz .LBB169_5773
; %bb.5770:
	v_mov_b32_e32 v1, 11
	v_cmp_eq_u16_sdwa s[64:65], v62, v1 src0_sel:BYTE_0 src1_sel:DWORD
	s_mov_b64 s[60:61], -1
	s_mov_b64 vcc, s[54:55]
	s_and_saveexec_b64 s[62:63], s[64:65]
	s_cbranch_execz .LBB169_5772
; %bb.5771:
	v_cmp_neq_f32_e32 vcc, 0, v116
	v_cndmask_b32_e64 v1, 0, 1, vcc
	flat_store_byte v[2:3], v1
	s_xor_b64 s[60:61], exec, -1
	s_or_b64 vcc, s[54:55], exec
.LBB169_5772:
	s_or_b64 exec, exec, s[62:63]
	s_andn2_b64 s[56:57], s[56:57], exec
	s_and_b64 s[60:61], s[60:61], exec
	s_andn2_b64 s[54:55], s[54:55], exec
	s_and_b64 vcc, vcc, exec
	s_or_b64 s[56:57], s[56:57], s[60:61]
	s_or_b64 s[54:55], s[54:55], vcc
.LBB169_5773:
	s_or_b64 exec, exec, s[58:59]
	s_andn2_b64 vcc, s[46:47], exec
	s_and_b64 s[56:57], s[56:57], exec
	s_andn2_b64 s[52:53], s[52:53], exec
	s_and_b64 s[54:55], s[54:55], exec
	s_or_b64 vcc, vcc, s[56:57]
	s_or_b64 s[52:53], s[52:53], s[54:55]
.LBB169_5774:
	s_or_b64 exec, exec, s[50:51]
	s_andn2_b64 s[46:47], s[46:47], exec
	s_and_b64 vcc, vcc, exec
	s_or_b64 s[46:47], s[46:47], vcc
	s_andn2_b64 vcc, s[44:45], exec
	s_and_b64 s[44:45], s[52:53], exec
	s_or_b64 s[44:45], vcc, s[44:45]
.LBB169_5775:
	s_or_b64 exec, exec, s[48:49]
	s_andn2_b64 vcc, s[38:39], exec
	s_and_b64 s[46:47], s[46:47], exec
	s_or_b64 s[46:47], vcc, s[46:47]
	s_and_b64 s[44:45], s[44:45], exec
                                        ; implicit-def: $vgpr116
                                        ; implicit-def: $vgpr2_vgpr3
	s_andn2_saveexec_b64 s[42:43], s[42:43]
	s_cbranch_execz .LBB169_3902
.LBB169_5776:
	v_mov_b32_e32 v1, 4
	v_cmp_gt_i16_sdwa vcc, v62, v1 src0_sel:BYTE_0 src1_sel:DWORD
	s_and_saveexec_b64 s[48:49], vcc
	s_xor_b64 vcc, exec, s[48:49]
	s_cbranch_execz .LBB169_5798
; %bb.5777:
	v_mov_b32_e32 v1, 7
	v_cmp_gt_i16_sdwa s[48:49], v62, v1 src0_sel:BYTE_0 src1_sel:DWORD
	s_and_saveexec_b64 s[50:51], s[48:49]
	s_xor_b64 s[48:49], exec, s[50:51]
	s_cbranch_execz .LBB169_5787
; %bb.5778:
	v_mov_b32_e32 v1, 8
	v_cmp_gt_i16_sdwa s[50:51], v62, v1 src0_sel:BYTE_0 src1_sel:DWORD
	s_and_saveexec_b64 s[52:53], s[50:51]
	s_xor_b64 s[50:51], exec, s[52:53]
	;; [unrolled: 6-line block ×3, first 2 shown]
	s_cbranch_execz .LBB169_5781
; %bb.5780:
	v_mov_b32_e32 v6, 0
	v_cvt_f64_f32_e32 v[4:5], v116
	v_mov_b32_e32 v7, v6
	flat_store_dwordx4 v[2:3], v[4:7]
                                        ; implicit-def: $vgpr116
                                        ; implicit-def: $vgpr2_vgpr3
.LBB169_5781:
	s_andn2_saveexec_b64 s[52:53], s[52:53]
	s_cbranch_execz .LBB169_5783
; %bb.5782:
	v_mov_b32_e32 v117, 0
	flat_store_dwordx2 v[2:3], v[116:117]
.LBB169_5783:
	s_or_b64 exec, exec, s[52:53]
                                        ; implicit-def: $vgpr116
                                        ; implicit-def: $vgpr2_vgpr3
.LBB169_5784:
	s_andn2_saveexec_b64 s[50:51], s[50:51]
	s_cbranch_execz .LBB169_5786
; %bb.5785:
	v_cvt_f16_f32_e32 v1, v116
	flat_store_dword v[2:3], v1
.LBB169_5786:
	s_or_b64 exec, exec, s[50:51]
                                        ; implicit-def: $vgpr116
                                        ; implicit-def: $vgpr2_vgpr3
.LBB169_5787:
	s_andn2_saveexec_b64 s[48:49], s[48:49]
	s_cbranch_execz .LBB169_5797
; %bb.5788:
	v_mov_b32_e32 v1, 5
	v_cmp_gt_i16_sdwa s[50:51], v62, v1 src0_sel:BYTE_0 src1_sel:DWORD
	s_and_saveexec_b64 s[52:53], s[50:51]
	s_xor_b64 s[50:51], exec, s[52:53]
	s_cbranch_execz .LBB169_5794
; %bb.5789:
	v_mov_b32_e32 v1, 6
	v_cmp_gt_i16_sdwa s[52:53], v62, v1 src0_sel:BYTE_0 src1_sel:DWORD
	s_and_saveexec_b64 s[54:55], s[52:53]
	s_xor_b64 s[52:53], exec, s[54:55]
	s_cbranch_execz .LBB169_5791
; %bb.5790:
	v_cvt_f64_f32_e32 v[4:5], v116
	flat_store_dwordx2 v[2:3], v[4:5]
                                        ; implicit-def: $vgpr2_vgpr3
                                        ; implicit-def: $vgpr116
.LBB169_5791:
	s_andn2_saveexec_b64 s[52:53], s[52:53]
	s_cbranch_execz .LBB169_5793
; %bb.5792:
	flat_store_dword v[2:3], v116
.LBB169_5793:
	s_or_b64 exec, exec, s[52:53]
                                        ; implicit-def: $vgpr116
                                        ; implicit-def: $vgpr2_vgpr3
.LBB169_5794:
	s_andn2_saveexec_b64 s[50:51], s[50:51]
	s_cbranch_execz .LBB169_5796
; %bb.5795:
	v_cvt_f16_f32_e32 v1, v116
	flat_store_short v[2:3], v1
.LBB169_5796:
	s_or_b64 exec, exec, s[50:51]
.LBB169_5797:
	s_or_b64 exec, exec, s[48:49]
                                        ; implicit-def: $vgpr116
                                        ; implicit-def: $vgpr2_vgpr3
.LBB169_5798:
	s_andn2_saveexec_b64 s[48:49], vcc
	s_cbranch_execz .LBB169_5816
; %bb.5799:
	v_mov_b32_e32 v1, 1
	v_cmp_gt_i16_sdwa vcc, v62, v1 src0_sel:BYTE_0 src1_sel:DWORD
	s_and_saveexec_b64 s[50:51], vcc
	s_xor_b64 s[50:51], exec, s[50:51]
	s_cbranch_execz .LBB169_5809
; %bb.5800:
	v_mov_b32_e32 v1, 2
	v_cmp_gt_i16_sdwa vcc, v62, v1 src0_sel:BYTE_0 src1_sel:DWORD
	s_and_saveexec_b64 s[52:53], vcc
	s_xor_b64 s[52:53], exec, s[52:53]
	;; [unrolled: 6-line block ×3, first 2 shown]
	s_cbranch_execz .LBB169_5803
; %bb.5802:
	v_trunc_f32_e32 v1, v116
	s_mov_b32 s56, 0x2f800000
	v_mul_f32_e64 v4, |v1|, s56
	v_floor_f32_e32 v4, v4
	s_mov_b32 s56, 0xcf800000
	v_cvt_u32_f32_e32 v5, v4
	v_fma_f32 v4, v4, s56, |v1|
	v_cvt_u32_f32_e32 v4, v4
	v_ashrrev_i32_e32 v1, 31, v1
	v_xor_b32_e32 v5, v5, v1
                                        ; implicit-def: $vgpr116
	v_xor_b32_e32 v4, v4, v1
	v_sub_co_u32_e32 v4, vcc, v4, v1
	v_subb_co_u32_e32 v5, vcc, v5, v1, vcc
	flat_store_dwordx2 v[2:3], v[4:5]
                                        ; implicit-def: $vgpr2_vgpr3
.LBB169_5803:
	s_andn2_saveexec_b64 vcc, s[54:55]
	s_cbranch_execz .LBB169_5805
; %bb.5804:
	v_cvt_i32_f32_e32 v1, v116
	flat_store_dword v[2:3], v1
.LBB169_5805:
	s_or_b64 exec, exec, vcc
                                        ; implicit-def: $vgpr116
                                        ; implicit-def: $vgpr2_vgpr3
.LBB169_5806:
	s_andn2_saveexec_b64 vcc, s[52:53]
	s_cbranch_execz .LBB169_5808
; %bb.5807:
	v_cvt_i32_f32_e32 v1, v116
	flat_store_short v[2:3], v1
.LBB169_5808:
	s_or_b64 exec, exec, vcc
                                        ; implicit-def: $vgpr116
                                        ; implicit-def: $vgpr2_vgpr3
.LBB169_5809:
	s_andn2_saveexec_b64 vcc, s[50:51]
	s_cbranch_execz .LBB169_5815
; %bb.5810:
	v_mov_b32_e32 v1, 0
	v_cmp_gt_i16_sdwa s[50:51], v62, v1 src0_sel:BYTE_0 src1_sel:DWORD
	s_and_saveexec_b64 s[52:53], s[50:51]
	s_xor_b64 s[50:51], exec, s[52:53]
	s_cbranch_execz .LBB169_5812
; %bb.5811:
	v_cvt_i32_f32_e32 v1, v116
                                        ; implicit-def: $vgpr116
	flat_store_byte v[2:3], v1
                                        ; implicit-def: $vgpr2_vgpr3
.LBB169_5812:
	s_andn2_saveexec_b64 s[50:51], s[50:51]
	s_cbranch_execz .LBB169_5814
; %bb.5813:
	v_trunc_f32_e32 v1, v116
	s_mov_b32 s52, 0x2f800000
	v_mul_f32_e64 v4, |v1|, s52
	v_floor_f32_e32 v4, v4
	s_mov_b32 s52, 0xcf800000
	v_fma_f32 v4, v4, s52, |v1|
	v_cvt_u32_f32_e32 v4, v4
	v_ashrrev_i32_e32 v1, 31, v1
	v_xor_b32_e32 v4, v4, v1
	v_sub_u32_e32 v1, v4, v1
	flat_store_byte v[2:3], v1
.LBB169_5814:
	s_or_b64 exec, exec, s[50:51]
.LBB169_5815:
	s_or_b64 exec, exec, vcc
.LBB169_5816:
	s_or_b64 exec, exec, s[48:49]
	s_or_b64 s[44:45], s[44:45], exec
	s_or_b64 exec, exec, s[42:43]
	s_mov_b64 vcc, 0
	s_and_saveexec_b64 s[42:43], s[44:45]
	s_cbranch_execnz .LBB169_3903
	s_branch .LBB169_3904
.LBB169_5817:
	v_bfe_u32 v1, v56, 21, 1
	s_mov_b32 s38, 0x88fffff
	v_add3_u32 v1, v56, v1, s38
	s_mov_b64 s[36:37], exec
	v_lshrrev_b32_e32 v1, 21, v1
	s_or_saveexec_b64 s[38:39], vcc
                                        ; implicit-def: $sgpr40
	s_xor_b64 exec, exec, s[38:39]
	s_cbranch_execz .LBB169_4996
.LBB169_5818:
	s_mov_b32 s40, 0x42800000
	v_add_f32_e64 v1, |v56|, s40
	v_and_b32_e32 v1, 0xff, v1
	v_cmp_ne_u32_e32 vcc, 0, v1
	s_andn2_b64 s[36:37], s[36:37], exec
	s_and_b64 vcc, vcc, exec
	s_mov_b32 s40, 0
	s_or_b64 s[36:37], s[36:37], vcc
	s_or_b64 exec, exec, s[38:39]
	v_mov_b32_e32 v4, s40
	s_and_saveexec_b64 vcc, s[36:37]
	s_cbranch_execnz .LBB169_4997
	s_branch .LBB169_4998
.LBB169_5819:
	v_bfe_u32 v1, v46, 20, 1
	s_mov_b32 s40, 0x487ffff
	v_add3_u32 v1, v46, v1, s40
	s_mov_b64 s[38:39], exec
	v_lshrrev_b32_e32 v1, 20, v1
	s_or_saveexec_b64 s[40:41], vcc
                                        ; implicit-def: $sgpr42
	s_xor_b64 exec, exec, s[40:41]
	s_cbranch_execz .LBB169_5105
.LBB169_5820:
	s_mov_b32 s42, 0x46000000
	v_add_f32_e64 v1, |v46|, s42
	v_and_b32_e32 v1, 0xff, v1
	v_cmp_ne_u32_e32 vcc, 0, v1
	s_andn2_b64 s[38:39], s[38:39], exec
	s_and_b64 vcc, vcc, exec
	s_mov_b32 s42, 0
	s_or_b64 s[38:39], s[38:39], vcc
	s_or_b64 exec, exec, s[40:41]
	v_mov_b32_e32 v4, s42
	s_and_saveexec_b64 vcc, s[38:39]
	s_cbranch_execnz .LBB169_5106
	s_branch .LBB169_5107
.LBB169_5821:
	v_mov_b32_e32 v1, 25
	v_cmp_gt_i16_sdwa s[48:49], v62, v1 src0_sel:BYTE_0 src1_sel:DWORD
	s_mov_b64 s[46:47], vcc
	s_and_saveexec_b64 s[50:51], s[48:49]
	s_xor_b64 s[48:49], exec, s[50:51]
	s_cbranch_execz .LBB169_5857
; %bb.5822:
	v_mov_b32_e32 v1, 28
	s_mov_b64 s[50:51], s[4:5]
	v_cmp_gt_i16_sdwa s[44:45], v62, v1 src0_sel:BYTE_0 src1_sel:DWORD
	s_mov_b64 s[4:5], 0
	s_mov_b64 s[46:47], vcc
	s_and_saveexec_b64 s[52:53], s[44:45]
	s_xor_b64 s[44:45], exec, s[52:53]
	s_cbranch_execz .LBB169_5840
; %bb.5823:
	v_mov_b32_e32 v1, 43
	v_cmp_gt_i16_sdwa s[46:47], v62, v1 src0_sel:BYTE_0 src1_sel:DWORD
	s_mov_b64 s[54:55], vcc
	s_and_saveexec_b64 vcc, s[46:47]
	s_xor_b64 s[46:47], exec, vcc
	s_cbranch_execz .LBB169_5835
; %bb.5824:
	v_mov_b32_e32 v1, 45
	v_readlane_b32 s54, v78, 58
	v_cmp_gt_i16_sdwa s[4:5], v62, v1 src0_sel:BYTE_0 src1_sel:DWORD
	s_mov_b64 s[52:53], 0
	v_readlane_b32 s55, v78, 59
	s_and_saveexec_b64 vcc, s[4:5]
	s_xor_b64 s[4:5], exec, vcc
	s_cbranch_execz .LBB169_5828
; %bb.5825:
	v_mov_b32_e32 v1, 46
	v_cmp_eq_u16_sdwa s[56:57], v62, v1 src0_sel:BYTE_0 src1_sel:DWORD
	s_mov_b64 vcc, -1
	s_and_saveexec_b64 s[54:55], s[56:57]
	s_cbranch_execz .LBB169_5827
; %bb.5826:
	v_bfe_u32 v1, v114, 16, 1
	s_movk_i32 vcc_lo, 0x7fff
	v_add3_u32 v1, v114, v1, vcc_lo
	v_lshrrev_b32_e32 v1, 16, v1
	v_mov_b32_e32 v4, 0x7fc0
	v_cmp_o_f32_e32 vcc, v114, v114
	v_cndmask_b32_e32 v1, v4, v1, vcc
	s_mov_b64 s[52:53], exec
	flat_store_dword v[2:3], v1
	s_xor_b64 vcc, exec, -1
.LBB169_5827:
	s_or_b64 exec, exec, s[54:55]
	v_readlane_b32 s54, v78, 58
	v_readlane_b32 s55, v78, 59
	s_andn2_b64 s[54:55], s[54:55], exec
	s_and_b64 vcc, vcc, exec
	s_or_b64 s[54:55], s[54:55], vcc
	s_and_b64 s[52:53], s[52:53], exec
                                        ; implicit-def: $vgpr2_vgpr3
                                        ; implicit-def: $vgpr114
.LBB169_5828:
	s_andn2_saveexec_b64 s[56:57], s[4:5]
	s_cbranch_execz .LBB169_5834
; %bb.5829:
	v_mov_b32_e32 v1, 44
	v_cmp_eq_u16_sdwa s[60:61], v62, v1 src0_sel:BYTE_0 src1_sel:DWORD
	s_mov_b64 vcc, -1
	s_mov_b64 s[4:5], s[52:53]
	s_and_saveexec_b64 s[58:59], s[60:61]
	s_cbranch_execz .LBB169_5833
; %bb.5830:
	v_bfe_u32 v1, v114, 23, 8
	s_movk_i32 s4, 0xff
	v_cmp_ne_u32_e32 vcc, s4, v1
	v_mov_b32_e32 v4, 0xff
	s_and_saveexec_b64 s[60:61], vcc
; %bb.5831:
	s_mov_b32 s4, 0x3fffff
	v_and_b32_e32 v5, 0x400000, v114
	v_and_or_b32 v1, v114, s4, v1
	v_cmp_ne_u32_e32 vcc, 0, v5
	v_cmp_ne_u32_e64 s[4:5], 0, v1
	s_and_b64 s[4:5], vcc, s[4:5]
	v_lshrrev_b32_e32 v4, 23, v114
	v_cndmask_b32_e64 v1, 0, 1, s[4:5]
	v_add_u32_e32 v4, v4, v1
; %bb.5832:
	s_or_b64 exec, exec, s[60:61]
	s_xor_b64 vcc, exec, -1
	s_or_b64 s[4:5], s[52:53], exec
	flat_store_byte v[2:3], v4
.LBB169_5833:
	s_or_b64 exec, exec, s[58:59]
	s_andn2_b64 s[54:55], s[54:55], exec
	s_and_b64 vcc, vcc, exec
	s_or_b64 s[54:55], s[54:55], vcc
	s_andn2_b64 vcc, s[52:53], exec
	s_and_b64 s[4:5], s[4:5], exec
	s_or_b64 s[52:53], vcc, s[4:5]
.LBB169_5834:
	s_or_b64 exec, exec, s[56:57]
	v_readlane_b32 s4, v78, 58
	v_readlane_b32 s5, v78, 59
	s_andn2_b64 s[4:5], s[4:5], exec
	s_and_b64 vcc, s[54:55], exec
	s_or_b64 s[54:55], s[4:5], vcc
	s_and_b64 s[4:5], s[52:53], exec
                                        ; implicit-def: $vgpr114
                                        ; implicit-def: $vgpr2_vgpr3
.LBB169_5835:
	s_andn2_saveexec_b64 vcc, s[46:47]
	s_cbranch_execz .LBB169_5839
; %bb.5836:
	v_mov_b32_e32 v1, 29
	v_cmp_eq_u16_sdwa s[58:59], v62, v1 src0_sel:BYTE_0 src1_sel:DWORD
	s_mov_b64 s[56:57], -1
	s_mov_b64 s[52:53], s[4:5]
	s_and_saveexec_b64 s[46:47], s[58:59]
	s_cbranch_execz .LBB169_5838
; %bb.5837:
	v_trunc_f32_e32 v1, v114
	v_mul_f32_e32 v4, 0x2f800000, v1
	v_floor_f32_e32 v4, v4
	v_fmac_f32_e32 v1, 0xcf800000, v4
	v_cvt_u32_f32_e32 v5, v4
	v_cvt_u32_f32_e32 v4, v1
	s_xor_b64 s[56:57], exec, -1
	s_or_b64 s[52:53], s[4:5], exec
	flat_store_dwordx2 v[2:3], v[4:5]
.LBB169_5838:
	s_or_b64 exec, exec, s[46:47]
	s_andn2_b64 s[46:47], s[54:55], exec
	s_and_b64 s[54:55], s[56:57], exec
	s_or_b64 s[54:55], s[46:47], s[54:55]
	s_andn2_b64 s[4:5], s[4:5], exec
	s_and_b64 s[46:47], s[52:53], exec
	s_or_b64 s[4:5], s[4:5], s[46:47]
.LBB169_5839:
	s_or_b64 exec, exec, vcc
	v_readlane_b32 vcc_lo, v78, 58
	v_readlane_b32 vcc_hi, v78, 59
	s_andn2_b64 s[46:47], vcc, exec
	s_and_b64 s[52:53], s[54:55], exec
	s_or_b64 s[46:47], s[46:47], s[52:53]
	s_and_b64 s[4:5], s[4:5], exec
                                        ; implicit-def: $vgpr2_vgpr3
                                        ; implicit-def: $vgpr114
.LBB169_5840:
	s_andn2_saveexec_b64 s[44:45], s[44:45]
	s_cbranch_execz .LBB169_5856
; %bb.5841:
	v_mov_b32_e32 v1, 26
	v_cmp_gt_i16_sdwa vcc, v62, v1 src0_sel:BYTE_0 src1_sel:DWORD
	s_and_saveexec_b64 s[52:53], vcc
	s_xor_b64 vcc, exec, s[52:53]
	s_cbranch_execz .LBB169_5847
; %bb.5842:
	v_cvt_u32_f32_e32 v1, v114
	v_mov_b32_e32 v4, 27
	v_cmp_gt_i16_sdwa s[52:53], v62, v4 src0_sel:BYTE_0 src1_sel:DWORD
	s_and_saveexec_b64 s[54:55], s[52:53]
	s_xor_b64 s[52:53], exec, s[54:55]
	s_cbranch_execz .LBB169_5844
; %bb.5843:
	flat_store_dword v[2:3], v1
                                        ; implicit-def: $vgpr2_vgpr3
                                        ; implicit-def: $vgpr1
.LBB169_5844:
	s_andn2_saveexec_b64 s[52:53], s[52:53]
	s_cbranch_execz .LBB169_5846
; %bb.5845:
	flat_store_short v[2:3], v1
.LBB169_5846:
	s_or_b64 exec, exec, s[52:53]
                                        ; implicit-def: $vgpr2_vgpr3
                                        ; implicit-def: $vgpr114
.LBB169_5847:
	s_andn2_saveexec_b64 s[52:53], vcc
	s_cbranch_execz .LBB169_5855
; %bb.5848:
	v_and_b32_e32 v1, 0x7fffffff, v114
	s_mov_b32 vcc_lo, 0x43800000
	v_cmp_gt_u32_e32 vcc, vcc_lo, v1
	v_mov_b32_e32 v4, 0x80
	s_and_saveexec_b64 s[54:55], vcc
	s_cbranch_execz .LBB169_5854
; %bb.5849:
	s_mov_b32 vcc_lo, 0x3bffffff
	v_cmp_lt_u32_e32 vcc, vcc_lo, v1
	s_mov_b64 s[56:57], 0
                                        ; implicit-def: $vgpr1
	s_and_saveexec_b64 s[58:59], vcc
	s_xor_b64 vcc, exec, s[58:59]
	s_cbranch_execnz .LBB169_6575
; %bb.5850:
	s_or_saveexec_b64 s[58:59], vcc
                                        ; implicit-def: $sgpr60
	s_xor_b64 exec, exec, s[58:59]
	s_cbranch_execnz .LBB169_6576
.LBB169_5851:
	s_or_b64 exec, exec, s[58:59]
	v_mov_b32_e32 v4, s60
	s_and_saveexec_b64 vcc, s[56:57]
.LBB169_5852:
	v_lshrrev_b32_e32 v4, 24, v114
	s_movk_i32 s56, 0x80
	v_and_or_b32 v4, v4, s56, v1
.LBB169_5853:
	s_or_b64 exec, exec, vcc
.LBB169_5854:
	s_or_b64 exec, exec, s[54:55]
	flat_store_byte v[2:3], v4
.LBB169_5855:
	s_or_b64 exec, exec, s[52:53]
	v_readlane_b32 vcc_lo, v78, 58
	s_or_b64 s[4:5], s[4:5], exec
	v_readlane_b32 vcc_hi, v78, 59
.LBB169_5856:
	s_or_b64 exec, exec, s[44:45]
	s_andn2_b64 s[44:45], vcc, exec
	s_and_b64 s[46:47], s[46:47], exec
	s_or_b64 s[46:47], s[44:45], s[46:47]
	s_and_b64 s[44:45], s[4:5], exec
	s_mov_b64 s[4:5], s[50:51]
                                        ; implicit-def: $vgpr114
                                        ; implicit-def: $vgpr2_vgpr3
.LBB169_5857:
	s_andn2_saveexec_b64 s[48:49], s[48:49]
	s_cbranch_execz .LBB169_5901
; %bb.5858:
	v_mov_b32_e32 v1, 22
	v_cmp_gt_i16_sdwa vcc, v62, v1 src0_sel:BYTE_0 src1_sel:DWORD
	s_mov_b64 s[52:53], s[44:45]
	s_and_saveexec_b64 s[50:51], vcc
	s_xor_b64 s[50:51], exec, s[50:51]
	s_cbranch_execz .LBB169_5890
; %bb.5859:
	v_mov_b32_e32 v1, 23
	v_cmp_gt_i16_sdwa vcc, v62, v1 src0_sel:BYTE_0 src1_sel:DWORD
	s_and_saveexec_b64 s[52:53], vcc
	s_xor_b64 s[52:53], exec, s[52:53]
	s_cbranch_execz .LBB169_5879
; %bb.5860:
	v_mov_b32_e32 v1, 24
	v_cmp_gt_i16_sdwa vcc, v62, v1 src0_sel:BYTE_0 src1_sel:DWORD
	s_and_saveexec_b64 s[54:55], vcc
	s_xor_b64 s[54:55], exec, s[54:55]
	s_cbranch_execz .LBB169_5868
; %bb.5861:
	v_and_b32_e32 v1, 0x7fffffff, v114
	s_mov_b32 vcc_lo, 0x47800000
	v_cmp_gt_u32_e32 vcc, vcc_lo, v1
	v_mov_b32_e32 v4, 0x80
	s_and_saveexec_b64 s[56:57], vcc
	s_cbranch_execz .LBB169_5867
; %bb.5862:
	s_mov_b32 vcc_lo, 0x37ffffff
	v_cmp_lt_u32_e32 vcc, vcc_lo, v1
	s_mov_b64 s[58:59], 0
                                        ; implicit-def: $vgpr1
	s_and_saveexec_b64 s[60:61], vcc
	s_xor_b64 vcc, exec, s[60:61]
	s_cbranch_execnz .LBB169_6699
; %bb.5863:
	s_or_saveexec_b64 s[60:61], vcc
                                        ; implicit-def: $sgpr62
	s_xor_b64 exec, exec, s[60:61]
	s_cbranch_execnz .LBB169_6700
.LBB169_5864:
	s_or_b64 exec, exec, s[60:61]
	v_mov_b32_e32 v4, s62
	s_and_saveexec_b64 vcc, s[58:59]
.LBB169_5865:
	v_lshrrev_b32_e32 v4, 24, v114
	s_movk_i32 s58, 0x80
	v_and_or_b32 v4, v4, s58, v1
.LBB169_5866:
	s_or_b64 exec, exec, vcc
.LBB169_5867:
	s_or_b64 exec, exec, s[56:57]
	flat_store_byte v[2:3], v4
                                        ; implicit-def: $vgpr114
                                        ; implicit-def: $vgpr2_vgpr3
.LBB169_5868:
	s_andn2_saveexec_b64 s[54:55], s[54:55]
	s_cbranch_execz .LBB169_5878
; %bb.5869:
	v_and_b32_e32 v4, 0x7fffffff, v114
	s_mov_b32 vcc_lo, 0x43f00000
	v_cmp_gt_u32_e32 vcc, vcc_lo, v4
                                        ; implicit-def: $vgpr1
	s_and_saveexec_b64 s[56:57], vcc
	s_xor_b64 s[56:57], exec, s[56:57]
	s_cbranch_execz .LBB169_5875
; %bb.5870:
	s_mov_b32 vcc_lo, 0x3c7fffff
	v_cmp_lt_u32_e32 vcc, vcc_lo, v4
                                        ; implicit-def: $vgpr1
	s_and_saveexec_b64 s[58:59], vcc
	s_xor_b64 s[58:59], exec, s[58:59]
; %bb.5871:
	v_bfe_u32 v1, v114, 20, 1
	s_mov_b32 vcc_lo, 0x407ffff
	v_add3_u32 v1, v114, v1, vcc_lo
	v_lshrrev_b32_e32 v4, 20, v1
	v_and_b32_e32 v1, 0xff00000, v1
	s_mov_b32 vcc_lo, 0x7f00000
	v_mov_b32_e32 v5, 0x7e
	v_cmp_ne_u32_e32 vcc, vcc_lo, v1
	v_cndmask_b32_e32 v1, v5, v4, vcc
; %bb.5872:
	s_andn2_saveexec_b64 vcc, s[58:59]
; %bb.5873:
	s_mov_b32 s58, 0x46800000
	v_add_f32_e64 v1, |v114|, s58
; %bb.5874:
	s_or_b64 exec, exec, vcc
                                        ; implicit-def: $vgpr4
.LBB169_5875:
	s_andn2_saveexec_b64 s[56:57], s[56:57]
; %bb.5876:
	s_mov_b32 vcc_lo, 0x7f800000
	v_mov_b32_e32 v1, 0x7e
	v_mov_b32_e32 v5, 0x7f
	v_cmp_lt_u32_e32 vcc, vcc_lo, v4
	v_cndmask_b32_e32 v1, v1, v5, vcc
; %bb.5877:
	s_or_b64 exec, exec, s[56:57]
	v_lshrrev_b32_e32 v4, 24, v114
	s_movk_i32 vcc_lo, 0x80
	v_and_or_b32 v1, v4, vcc_lo, v1
	flat_store_byte v[2:3], v1
.LBB169_5878:
	s_or_b64 exec, exec, s[54:55]
                                        ; implicit-def: $vgpr114
                                        ; implicit-def: $vgpr2_vgpr3
.LBB169_5879:
	s_andn2_saveexec_b64 s[52:53], s[52:53]
	s_cbranch_execz .LBB169_5889
; %bb.5880:
	v_and_b32_e32 v4, 0x7fffffff, v114
	s_mov_b32 vcc_lo, 0x47800000
	v_cmp_gt_u32_e32 vcc, vcc_lo, v4
                                        ; implicit-def: $vgpr1
	s_and_saveexec_b64 s[54:55], vcc
	s_xor_b64 s[54:55], exec, s[54:55]
	s_cbranch_execz .LBB169_5886
; %bb.5881:
	s_mov_b32 vcc_lo, 0x387fffff
	v_cmp_lt_u32_e32 vcc, vcc_lo, v4
                                        ; implicit-def: $vgpr1
	s_and_saveexec_b64 s[56:57], vcc
	s_xor_b64 vcc, exec, s[56:57]
; %bb.5882:
	v_bfe_u32 v1, v114, 21, 1
	s_mov_b32 s56, 0x80fffff
	v_add3_u32 v1, v114, v1, s56
	v_lshrrev_b32_e32 v1, 21, v1
; %bb.5883:
	s_andn2_saveexec_b64 vcc, vcc
; %bb.5884:
	s_mov_b32 s56, 0x43000000
	v_add_f32_e64 v1, |v114|, s56
; %bb.5885:
	s_or_b64 exec, exec, vcc
                                        ; implicit-def: $vgpr4
.LBB169_5886:
	s_andn2_saveexec_b64 s[54:55], s[54:55]
; %bb.5887:
	s_mov_b32 vcc_lo, 0x7f800000
	v_mov_b32_e32 v1, 0x7c
	v_mov_b32_e32 v5, 0x7f
	v_cmp_lt_u32_e32 vcc, vcc_lo, v4
	v_cndmask_b32_e32 v1, v1, v5, vcc
; %bb.5888:
	s_or_b64 exec, exec, s[54:55]
	v_lshrrev_b32_e32 v4, 24, v114
	s_movk_i32 vcc_lo, 0x80
	v_and_or_b32 v1, v4, vcc_lo, v1
	flat_store_byte v[2:3], v1
.LBB169_5889:
	s_or_b64 exec, exec, s[52:53]
	s_or_b64 s[52:53], s[44:45], exec
                                        ; implicit-def: $vgpr114
                                        ; implicit-def: $vgpr2_vgpr3
.LBB169_5890:
	s_or_saveexec_b64 s[50:51], s[50:51]
	s_mov_b64 vcc, s[46:47]
	s_xor_b64 exec, exec, s[50:51]
	s_cbranch_execz .LBB169_5900
; %bb.5891:
	v_mov_b32_e32 v1, 14
	v_cmp_gt_i16_sdwa vcc, v62, v1 src0_sel:BYTE_0 src1_sel:DWORD
	s_mov_b64 s[54:55], s[52:53]
	s_mov_b64 s[56:57], s[46:47]
	s_and_saveexec_b64 s[58:59], vcc
	s_xor_b64 s[58:59], exec, s[58:59]
	s_cbranch_execz .LBB169_5895
; %bb.5892:
	v_mov_b32_e32 v1, 15
	v_cmp_eq_u16_sdwa s[60:61], v62, v1 src0_sel:BYTE_0 src1_sel:DWORD
	s_mov_b64 s[56:57], -1
	s_mov_b64 vcc, s[52:53]
	s_and_saveexec_b64 s[54:55], s[60:61]
	s_cbranch_execz .LBB169_5894
; %bb.5893:
	v_bfe_u32 v1, v114, 16, 1
	s_movk_i32 vcc_lo, 0x7fff
	v_add3_u32 v1, v114, v1, vcc_lo
	v_lshrrev_b32_e32 v1, 16, v1
	v_mov_b32_e32 v4, 0x7fc0
	v_cmp_o_f32_e32 vcc, v114, v114
	v_cndmask_b32_e32 v1, v4, v1, vcc
	flat_store_short v[2:3], v1
	s_xor_b64 s[56:57], exec, -1
	s_or_b64 vcc, s[52:53], exec
.LBB169_5894:
	s_or_b64 exec, exec, s[54:55]
	s_andn2_b64 s[54:55], s[46:47], exec
	s_and_b64 s[56:57], s[56:57], exec
	s_or_b64 s[56:57], s[54:55], s[56:57]
	s_andn2_b64 s[54:55], s[52:53], exec
	s_and_b64 vcc, vcc, exec
	s_or_b64 s[54:55], s[54:55], vcc
                                        ; implicit-def: $vgpr114
                                        ; implicit-def: $vgpr2_vgpr3
.LBB169_5895:
	s_andn2_saveexec_b64 s[58:59], s[58:59]
	s_cbranch_execz .LBB169_5899
; %bb.5896:
	v_mov_b32_e32 v1, 11
	v_cmp_eq_u16_sdwa s[64:65], v62, v1 src0_sel:BYTE_0 src1_sel:DWORD
	s_mov_b64 s[60:61], -1
	s_mov_b64 vcc, s[54:55]
	s_and_saveexec_b64 s[62:63], s[64:65]
	s_cbranch_execz .LBB169_5898
; %bb.5897:
	v_cmp_neq_f32_e32 vcc, 0, v114
	v_cndmask_b32_e64 v1, 0, 1, vcc
	flat_store_byte v[2:3], v1
	s_xor_b64 s[60:61], exec, -1
	s_or_b64 vcc, s[54:55], exec
.LBB169_5898:
	s_or_b64 exec, exec, s[62:63]
	s_andn2_b64 s[56:57], s[56:57], exec
	s_and_b64 s[60:61], s[60:61], exec
	s_andn2_b64 s[54:55], s[54:55], exec
	s_and_b64 vcc, vcc, exec
	s_or_b64 s[56:57], s[56:57], s[60:61]
	s_or_b64 s[54:55], s[54:55], vcc
.LBB169_5899:
	s_or_b64 exec, exec, s[58:59]
	s_andn2_b64 vcc, s[46:47], exec
	s_and_b64 s[56:57], s[56:57], exec
	s_andn2_b64 s[52:53], s[52:53], exec
	s_and_b64 s[54:55], s[54:55], exec
	s_or_b64 vcc, vcc, s[56:57]
	s_or_b64 s[52:53], s[52:53], s[54:55]
.LBB169_5900:
	s_or_b64 exec, exec, s[50:51]
	s_andn2_b64 s[46:47], s[46:47], exec
	s_and_b64 vcc, vcc, exec
	s_or_b64 s[46:47], s[46:47], vcc
	s_andn2_b64 vcc, s[44:45], exec
	s_and_b64 s[44:45], s[52:53], exec
	s_or_b64 s[44:45], vcc, s[44:45]
	v_readlane_b32 vcc_lo, v78, 58
	v_readlane_b32 vcc_hi, v78, 59
.LBB169_5901:
	s_or_b64 exec, exec, s[48:49]
	s_andn2_b64 s[48:49], vcc, exec
	s_and_b64 s[46:47], s[46:47], exec
	s_or_b64 s[46:47], s[48:49], s[46:47]
	s_and_b64 s[44:45], s[44:45], exec
                                        ; implicit-def: $vgpr114
                                        ; implicit-def: $vgpr2_vgpr3
	s_andn2_saveexec_b64 s[42:43], s[42:43]
	s_cbranch_execz .LBB169_3909
.LBB169_5902:
	v_mov_b32_e32 v1, 4
	v_cmp_gt_i16_sdwa s[48:49], v62, v1 src0_sel:BYTE_0 src1_sel:DWORD
	s_and_saveexec_b64 s[50:51], s[48:49]
	s_xor_b64 s[48:49], exec, s[50:51]
	s_cbranch_execz .LBB169_5924
; %bb.5903:
	v_mov_b32_e32 v1, 7
	v_cmp_gt_i16_sdwa vcc, v62, v1 src0_sel:BYTE_0 src1_sel:DWORD
	s_and_saveexec_b64 s[50:51], vcc
	s_xor_b64 vcc, exec, s[50:51]
	s_cbranch_execz .LBB169_5913
; %bb.5904:
	v_mov_b32_e32 v1, 8
	v_cmp_gt_i16_sdwa s[50:51], v62, v1 src0_sel:BYTE_0 src1_sel:DWORD
	s_and_saveexec_b64 s[52:53], s[50:51]
	s_xor_b64 s[50:51], exec, s[52:53]
	s_cbranch_execz .LBB169_5910
; %bb.5905:
	v_mov_b32_e32 v1, 9
	v_cmp_gt_i16_sdwa s[52:53], v62, v1 src0_sel:BYTE_0 src1_sel:DWORD
	s_and_saveexec_b64 s[54:55], s[52:53]
	s_xor_b64 s[52:53], exec, s[54:55]
	s_cbranch_execz .LBB169_5907
; %bb.5906:
	v_mov_b32_e32 v6, 0
	v_cvt_f64_f32_e32 v[4:5], v114
	v_mov_b32_e32 v7, v6
	flat_store_dwordx4 v[2:3], v[4:7]
                                        ; implicit-def: $vgpr114
                                        ; implicit-def: $vgpr2_vgpr3
.LBB169_5907:
	s_andn2_saveexec_b64 s[52:53], s[52:53]
	s_cbranch_execz .LBB169_5909
; %bb.5908:
	v_mov_b32_e32 v115, 0
	flat_store_dwordx2 v[2:3], v[114:115]
.LBB169_5909:
	s_or_b64 exec, exec, s[52:53]
                                        ; implicit-def: $vgpr114
                                        ; implicit-def: $vgpr2_vgpr3
.LBB169_5910:
	s_andn2_saveexec_b64 s[50:51], s[50:51]
	s_cbranch_execz .LBB169_5912
; %bb.5911:
	v_cvt_f16_f32_e32 v1, v114
	flat_store_dword v[2:3], v1
.LBB169_5912:
	s_or_b64 exec, exec, s[50:51]
                                        ; implicit-def: $vgpr114
                                        ; implicit-def: $vgpr2_vgpr3
.LBB169_5913:
	s_andn2_saveexec_b64 vcc, vcc
	s_cbranch_execz .LBB169_5923
; %bb.5914:
	v_mov_b32_e32 v1, 5
	v_cmp_gt_i16_sdwa s[50:51], v62, v1 src0_sel:BYTE_0 src1_sel:DWORD
	s_and_saveexec_b64 s[52:53], s[50:51]
	s_xor_b64 s[50:51], exec, s[52:53]
	s_cbranch_execz .LBB169_5920
; %bb.5915:
	v_mov_b32_e32 v1, 6
	v_cmp_gt_i16_sdwa s[52:53], v62, v1 src0_sel:BYTE_0 src1_sel:DWORD
	s_and_saveexec_b64 s[54:55], s[52:53]
	s_xor_b64 s[52:53], exec, s[54:55]
	s_cbranch_execz .LBB169_5917
; %bb.5916:
	v_cvt_f64_f32_e32 v[4:5], v114
	flat_store_dwordx2 v[2:3], v[4:5]
                                        ; implicit-def: $vgpr2_vgpr3
                                        ; implicit-def: $vgpr114
.LBB169_5917:
	s_andn2_saveexec_b64 s[52:53], s[52:53]
	s_cbranch_execz .LBB169_5919
; %bb.5918:
	flat_store_dword v[2:3], v114
.LBB169_5919:
	s_or_b64 exec, exec, s[52:53]
                                        ; implicit-def: $vgpr114
                                        ; implicit-def: $vgpr2_vgpr3
.LBB169_5920:
	s_andn2_saveexec_b64 s[50:51], s[50:51]
	s_cbranch_execz .LBB169_5922
; %bb.5921:
	v_cvt_f16_f32_e32 v1, v114
	flat_store_short v[2:3], v1
.LBB169_5922:
	s_or_b64 exec, exec, s[50:51]
.LBB169_5923:
	s_or_b64 exec, exec, vcc
	v_readlane_b32 vcc_lo, v78, 58
	v_readlane_b32 vcc_hi, v78, 59
                                        ; implicit-def: $vgpr114
                                        ; implicit-def: $vgpr2_vgpr3
.LBB169_5924:
	s_andn2_saveexec_b64 s[48:49], s[48:49]
	s_cbranch_execz .LBB169_5942
; %bb.5925:
	v_mov_b32_e32 v1, 1
	v_cmp_gt_i16_sdwa vcc, v62, v1 src0_sel:BYTE_0 src1_sel:DWORD
	s_and_saveexec_b64 s[50:51], vcc
	s_xor_b64 s[50:51], exec, s[50:51]
	s_cbranch_execz .LBB169_5935
; %bb.5926:
	v_mov_b32_e32 v1, 2
	v_cmp_gt_i16_sdwa vcc, v62, v1 src0_sel:BYTE_0 src1_sel:DWORD
	s_and_saveexec_b64 s[52:53], vcc
	s_xor_b64 s[52:53], exec, s[52:53]
	s_cbranch_execz .LBB169_5932
; %bb.5927:
	v_mov_b32_e32 v1, 3
	v_cmp_gt_i16_sdwa vcc, v62, v1 src0_sel:BYTE_0 src1_sel:DWORD
	s_and_saveexec_b64 s[54:55], vcc
	s_xor_b64 s[54:55], exec, s[54:55]
	s_cbranch_execz .LBB169_5929
; %bb.5928:
	v_trunc_f32_e32 v1, v114
	s_mov_b32 s56, 0x2f800000
	v_mul_f32_e64 v4, |v1|, s56
	v_floor_f32_e32 v4, v4
	s_mov_b32 s56, 0xcf800000
	v_cvt_u32_f32_e32 v5, v4
	v_fma_f32 v4, v4, s56, |v1|
	v_cvt_u32_f32_e32 v4, v4
	v_ashrrev_i32_e32 v1, 31, v1
	v_xor_b32_e32 v5, v5, v1
                                        ; implicit-def: $vgpr114
	v_xor_b32_e32 v4, v4, v1
	v_sub_co_u32_e32 v4, vcc, v4, v1
	v_subb_co_u32_e32 v5, vcc, v5, v1, vcc
	flat_store_dwordx2 v[2:3], v[4:5]
                                        ; implicit-def: $vgpr2_vgpr3
.LBB169_5929:
	s_andn2_saveexec_b64 vcc, s[54:55]
	s_cbranch_execz .LBB169_5931
; %bb.5930:
	v_cvt_i32_f32_e32 v1, v114
	flat_store_dword v[2:3], v1
.LBB169_5931:
	s_or_b64 exec, exec, vcc
                                        ; implicit-def: $vgpr114
                                        ; implicit-def: $vgpr2_vgpr3
.LBB169_5932:
	s_andn2_saveexec_b64 vcc, s[52:53]
	s_cbranch_execz .LBB169_5934
; %bb.5933:
	v_cvt_i32_f32_e32 v1, v114
	flat_store_short v[2:3], v1
.LBB169_5934:
	s_or_b64 exec, exec, vcc
                                        ; implicit-def: $vgpr114
                                        ; implicit-def: $vgpr2_vgpr3
.LBB169_5935:
	s_andn2_saveexec_b64 vcc, s[50:51]
	s_cbranch_execz .LBB169_5941
; %bb.5936:
	v_mov_b32_e32 v1, 0
	v_cmp_gt_i16_sdwa s[50:51], v62, v1 src0_sel:BYTE_0 src1_sel:DWORD
	s_and_saveexec_b64 s[52:53], s[50:51]
	s_xor_b64 s[50:51], exec, s[52:53]
	s_cbranch_execz .LBB169_5938
; %bb.5937:
	v_cvt_i32_f32_e32 v1, v114
                                        ; implicit-def: $vgpr114
	flat_store_byte v[2:3], v1
                                        ; implicit-def: $vgpr2_vgpr3
.LBB169_5938:
	s_andn2_saveexec_b64 s[50:51], s[50:51]
	s_cbranch_execz .LBB169_5940
; %bb.5939:
	v_trunc_f32_e32 v1, v114
	s_mov_b32 s52, 0x2f800000
	v_mul_f32_e64 v4, |v1|, s52
	v_floor_f32_e32 v4, v4
	s_mov_b32 s52, 0xcf800000
	v_fma_f32 v4, v4, s52, |v1|
	v_cvt_u32_f32_e32 v4, v4
	v_ashrrev_i32_e32 v1, 31, v1
	v_xor_b32_e32 v4, v4, v1
	v_sub_u32_e32 v1, v4, v1
	flat_store_byte v[2:3], v1
.LBB169_5940:
	s_or_b64 exec, exec, s[50:51]
.LBB169_5941:
	s_or_b64 exec, exec, vcc
	v_readlane_b32 vcc_lo, v78, 58
	v_readlane_b32 vcc_hi, v78, 59
.LBB169_5942:
	s_or_b64 exec, exec, s[48:49]
	s_or_b64 s[44:45], s[44:45], exec
	s_or_b64 exec, exec, s[42:43]
	s_mov_b64 s[42:43], 0
	s_and_saveexec_b64 s[48:49], s[44:45]
	s_cbranch_execnz .LBB169_3910
	s_branch .LBB169_3911
.LBB169_5943:
	v_bfe_u32 v1, v46, 21, 1
	s_mov_b32 s42, 0x88fffff
	v_add3_u32 v1, v46, v1, s42
	s_mov_b64 s[40:41], exec
	v_lshrrev_b32_e32 v1, 21, v1
	s_or_saveexec_b64 s[42:43], vcc
                                        ; implicit-def: $sgpr44
	s_xor_b64 exec, exec, s[42:43]
	s_cbranch_execz .LBB169_5118
.LBB169_5944:
	s_mov_b32 s44, 0x42800000
	v_add_f32_e64 v1, |v46|, s44
	v_and_b32_e32 v1, 0xff, v1
	v_cmp_ne_u32_e32 vcc, 0, v1
	s_andn2_b64 s[40:41], s[40:41], exec
	s_and_b64 vcc, vcc, exec
	s_mov_b32 s44, 0
	s_or_b64 s[40:41], s[40:41], vcc
	s_or_b64 exec, exec, s[42:43]
	v_mov_b32_e32 v4, s44
	s_and_saveexec_b64 vcc, s[40:41]
	s_cbranch_execnz .LBB169_5119
	s_branch .LBB169_5120
.LBB169_5945:
	v_bfe_u32 v1, v44, 20, 1
	s_mov_b32 s44, 0x487ffff
	v_add3_u32 v1, v44, v1, s44
	s_mov_b64 s[42:43], exec
	v_lshrrev_b32_e32 v1, 20, v1
	s_or_saveexec_b64 s[44:45], vcc
                                        ; implicit-def: $sgpr46
	s_xor_b64 exec, exec, s[44:45]
	s_cbranch_execz .LBB169_5227
.LBB169_5946:
	s_mov_b32 s46, 0x46000000
	v_add_f32_e64 v1, |v44|, s46
	v_and_b32_e32 v1, 0xff, v1
	v_cmp_ne_u32_e32 vcc, 0, v1
	s_andn2_b64 s[42:43], s[42:43], exec
	s_and_b64 vcc, vcc, exec
	s_mov_b32 s46, 0
	s_or_b64 s[42:43], s[42:43], vcc
	s_or_b64 exec, exec, s[44:45]
	v_mov_b32_e32 v4, s46
	s_and_saveexec_b64 vcc, s[42:43]
	s_cbranch_execnz .LBB169_5228
	s_branch .LBB169_5229
.LBB169_5947:
	v_mov_b32_e32 v1, 25
	s_mov_b64 s[44:45], s[4:5]
	v_cmp_gt_i16_sdwa s[48:49], v62, v1 src0_sel:BYTE_0 src1_sel:DWORD
	s_mov_b64 s[4:5], 0
	s_mov_b64 s[46:47], vcc
	s_and_saveexec_b64 s[50:51], s[48:49]
	s_xor_b64 s[48:49], exec, s[50:51]
	s_cbranch_execz .LBB169_5983
; %bb.5948:
	v_mov_b32_e32 v1, 28
	v_cmp_gt_i16_sdwa s[46:47], v62, v1 src0_sel:BYTE_0 src1_sel:DWORD
	s_mov_b64 s[50:51], vcc
	s_and_saveexec_b64 vcc, s[46:47]
	s_xor_b64 s[46:47], exec, vcc
	s_cbranch_execz .LBB169_5966
; %bb.5949:
	v_mov_b32_e32 v1, 43
	v_readlane_b32 vcc_lo, v78, 62
	v_cmp_gt_i16_sdwa s[50:51], v62, v1 src0_sel:BYTE_0 src1_sel:DWORD
	v_readlane_b32 vcc_hi, v78, 63
	s_and_saveexec_b64 s[52:53], s[50:51]
	s_xor_b64 s[50:51], exec, s[52:53]
	s_cbranch_execz .LBB169_5961
; %bb.5950:
	v_mov_b32_e32 v1, 45
	v_readlane_b32 s54, v78, 62
	v_cmp_gt_i16_sdwa s[4:5], v62, v1 src0_sel:BYTE_0 src1_sel:DWORD
	s_mov_b64 s[52:53], 0
	v_readlane_b32 s55, v78, 63
	s_and_saveexec_b64 vcc, s[4:5]
	s_xor_b64 s[4:5], exec, vcc
	s_cbranch_execz .LBB169_5954
; %bb.5951:
	v_mov_b32_e32 v1, 46
	v_cmp_eq_u16_sdwa s[56:57], v62, v1 src0_sel:BYTE_0 src1_sel:DWORD
	s_mov_b64 vcc, -1
	s_and_saveexec_b64 s[54:55], s[56:57]
	s_cbranch_execz .LBB169_5953
; %bb.5952:
	v_bfe_u32 v1, v112, 16, 1
	s_movk_i32 vcc_lo, 0x7fff
	v_add3_u32 v1, v112, v1, vcc_lo
	v_lshrrev_b32_e32 v1, 16, v1
	v_mov_b32_e32 v4, 0x7fc0
	v_cmp_o_f32_e32 vcc, v112, v112
	v_cndmask_b32_e32 v1, v4, v1, vcc
	s_mov_b64 s[52:53], exec
	flat_store_dword v[2:3], v1
	s_xor_b64 vcc, exec, -1
.LBB169_5953:
	s_or_b64 exec, exec, s[54:55]
	v_readlane_b32 s54, v78, 62
	v_readlane_b32 s55, v78, 63
	s_andn2_b64 s[54:55], s[54:55], exec
	s_and_b64 vcc, vcc, exec
	s_or_b64 s[54:55], s[54:55], vcc
	s_and_b64 s[52:53], s[52:53], exec
                                        ; implicit-def: $vgpr2_vgpr3
                                        ; implicit-def: $vgpr112
.LBB169_5954:
	s_andn2_saveexec_b64 s[56:57], s[4:5]
	s_cbranch_execz .LBB169_5960
; %bb.5955:
	v_mov_b32_e32 v1, 44
	v_cmp_eq_u16_sdwa s[60:61], v62, v1 src0_sel:BYTE_0 src1_sel:DWORD
	s_mov_b64 vcc, -1
	s_mov_b64 s[4:5], s[52:53]
	s_and_saveexec_b64 s[58:59], s[60:61]
	s_cbranch_execz .LBB169_5959
; %bb.5956:
	v_bfe_u32 v1, v112, 23, 8
	s_movk_i32 s4, 0xff
	v_cmp_ne_u32_e32 vcc, s4, v1
	v_mov_b32_e32 v4, 0xff
	s_and_saveexec_b64 s[60:61], vcc
; %bb.5957:
	s_mov_b32 s4, 0x3fffff
	v_and_b32_e32 v5, 0x400000, v112
	v_and_or_b32 v1, v112, s4, v1
	v_cmp_ne_u32_e32 vcc, 0, v5
	v_cmp_ne_u32_e64 s[4:5], 0, v1
	s_and_b64 s[4:5], vcc, s[4:5]
	v_lshrrev_b32_e32 v4, 23, v112
	v_cndmask_b32_e64 v1, 0, 1, s[4:5]
	v_add_u32_e32 v4, v4, v1
; %bb.5958:
	s_or_b64 exec, exec, s[60:61]
	s_xor_b64 vcc, exec, -1
	s_or_b64 s[4:5], s[52:53], exec
	flat_store_byte v[2:3], v4
.LBB169_5959:
	s_or_b64 exec, exec, s[58:59]
	s_andn2_b64 s[54:55], s[54:55], exec
	s_and_b64 vcc, vcc, exec
	s_or_b64 s[54:55], s[54:55], vcc
	s_andn2_b64 vcc, s[52:53], exec
	s_and_b64 s[4:5], s[4:5], exec
	s_or_b64 s[52:53], vcc, s[4:5]
.LBB169_5960:
	s_or_b64 exec, exec, s[56:57]
	v_readlane_b32 s4, v78, 62
	v_readlane_b32 s5, v78, 63
	s_andn2_b64 s[4:5], s[4:5], exec
	s_and_b64 vcc, s[54:55], exec
	s_or_b64 vcc, s[4:5], vcc
	s_and_b64 s[4:5], s[52:53], exec
                                        ; implicit-def: $vgpr112
                                        ; implicit-def: $vgpr2_vgpr3
.LBB169_5961:
	s_andn2_saveexec_b64 s[50:51], s[50:51]
	s_cbranch_execz .LBB169_5965
; %bb.5962:
	v_mov_b32_e32 v1, 29
	v_cmp_eq_u16_sdwa s[58:59], v62, v1 src0_sel:BYTE_0 src1_sel:DWORD
	s_mov_b64 s[56:57], -1
	s_mov_b64 s[54:55], s[4:5]
	s_and_saveexec_b64 s[52:53], s[58:59]
	s_cbranch_execz .LBB169_5964
; %bb.5963:
	v_trunc_f32_e32 v1, v112
	v_mul_f32_e32 v4, 0x2f800000, v1
	v_floor_f32_e32 v4, v4
	v_fmac_f32_e32 v1, 0xcf800000, v4
	v_cvt_u32_f32_e32 v5, v4
	v_cvt_u32_f32_e32 v4, v1
	s_xor_b64 s[56:57], exec, -1
	s_or_b64 s[54:55], s[4:5], exec
	flat_store_dwordx2 v[2:3], v[4:5]
.LBB169_5964:
	s_or_b64 exec, exec, s[52:53]
	s_andn2_b64 vcc, vcc, exec
	s_and_b64 s[52:53], s[56:57], exec
	s_or_b64 vcc, vcc, s[52:53]
	s_andn2_b64 s[4:5], s[4:5], exec
	s_and_b64 s[52:53], s[54:55], exec
	s_or_b64 s[4:5], s[4:5], s[52:53]
.LBB169_5965:
	s_or_b64 exec, exec, s[50:51]
	v_readlane_b32 s50, v78, 62
	v_readlane_b32 s51, v78, 63
	s_andn2_b64 s[50:51], s[50:51], exec
	s_and_b64 vcc, vcc, exec
	s_or_b64 s[50:51], s[50:51], vcc
	s_and_b64 s[4:5], s[4:5], exec
                                        ; implicit-def: $vgpr2_vgpr3
                                        ; implicit-def: $vgpr112
.LBB169_5966:
	s_andn2_saveexec_b64 s[46:47], s[46:47]
	s_cbranch_execz .LBB169_5982
; %bb.5967:
	v_mov_b32_e32 v1, 26
	v_cmp_gt_i16_sdwa vcc, v62, v1 src0_sel:BYTE_0 src1_sel:DWORD
	s_and_saveexec_b64 s[52:53], vcc
	s_xor_b64 vcc, exec, s[52:53]
	s_cbranch_execz .LBB169_5973
; %bb.5968:
	v_cvt_u32_f32_e32 v1, v112
	v_mov_b32_e32 v4, 27
	v_cmp_gt_i16_sdwa s[52:53], v62, v4 src0_sel:BYTE_0 src1_sel:DWORD
	s_and_saveexec_b64 s[54:55], s[52:53]
	s_xor_b64 s[52:53], exec, s[54:55]
	s_cbranch_execz .LBB169_5970
; %bb.5969:
	flat_store_dword v[2:3], v1
                                        ; implicit-def: $vgpr2_vgpr3
                                        ; implicit-def: $vgpr1
.LBB169_5970:
	s_andn2_saveexec_b64 s[52:53], s[52:53]
	s_cbranch_execz .LBB169_5972
; %bb.5971:
	flat_store_short v[2:3], v1
.LBB169_5972:
	s_or_b64 exec, exec, s[52:53]
                                        ; implicit-def: $vgpr2_vgpr3
                                        ; implicit-def: $vgpr112
.LBB169_5973:
	s_andn2_saveexec_b64 s[52:53], vcc
	s_cbranch_execz .LBB169_5981
; %bb.5974:
	v_and_b32_e32 v1, 0x7fffffff, v112
	s_mov_b32 vcc_lo, 0x43800000
	v_cmp_gt_u32_e32 vcc, vcc_lo, v1
	v_mov_b32_e32 v4, 0x80
	s_and_saveexec_b64 s[54:55], vcc
	s_cbranch_execz .LBB169_5980
; %bb.5975:
	s_mov_b32 vcc_lo, 0x3bffffff
	v_cmp_lt_u32_e32 vcc, vcc_lo, v1
	s_mov_b64 s[56:57], 0
                                        ; implicit-def: $vgpr1
	s_and_saveexec_b64 s[58:59], vcc
	s_xor_b64 vcc, exec, s[58:59]
	s_cbranch_execnz .LBB169_6701
; %bb.5976:
	s_or_saveexec_b64 s[58:59], vcc
                                        ; implicit-def: $sgpr60
	s_xor_b64 exec, exec, s[58:59]
	s_cbranch_execnz .LBB169_6702
.LBB169_5977:
	s_or_b64 exec, exec, s[58:59]
	v_mov_b32_e32 v4, s60
	s_and_saveexec_b64 vcc, s[56:57]
.LBB169_5978:
	v_lshrrev_b32_e32 v4, 24, v112
	s_movk_i32 s56, 0x80
	v_and_or_b32 v4, v4, s56, v1
.LBB169_5979:
	s_or_b64 exec, exec, vcc
.LBB169_5980:
	s_or_b64 exec, exec, s[54:55]
	flat_store_byte v[2:3], v4
.LBB169_5981:
	s_or_b64 exec, exec, s[52:53]
	s_or_b64 s[4:5], s[4:5], exec
.LBB169_5982:
	s_or_b64 exec, exec, s[46:47]
	v_readlane_b32 vcc_lo, v78, 62
	v_readlane_b32 vcc_hi, v78, 63
	s_andn2_b64 s[46:47], vcc, exec
	s_and_b64 s[50:51], s[50:51], exec
	s_or_b64 s[46:47], s[46:47], s[50:51]
	s_and_b64 s[4:5], s[4:5], exec
                                        ; implicit-def: $vgpr112
                                        ; implicit-def: $vgpr2_vgpr3
.LBB169_5983:
	s_andn2_saveexec_b64 s[48:49], s[48:49]
	s_cbranch_execz .LBB169_6027
; %bb.5984:
	v_mov_b32_e32 v1, 22
	v_cmp_gt_i16_sdwa vcc, v62, v1 src0_sel:BYTE_0 src1_sel:DWORD
	s_mov_b64 s[52:53], s[4:5]
	s_and_saveexec_b64 s[50:51], vcc
	s_xor_b64 s[50:51], exec, s[50:51]
	s_cbranch_execz .LBB169_6016
; %bb.5985:
	v_mov_b32_e32 v1, 23
	v_cmp_gt_i16_sdwa vcc, v62, v1 src0_sel:BYTE_0 src1_sel:DWORD
	s_and_saveexec_b64 s[52:53], vcc
	s_xor_b64 s[52:53], exec, s[52:53]
	s_cbranch_execz .LBB169_6005
; %bb.5986:
	v_mov_b32_e32 v1, 24
	v_cmp_gt_i16_sdwa vcc, v62, v1 src0_sel:BYTE_0 src1_sel:DWORD
	s_and_saveexec_b64 s[54:55], vcc
	s_xor_b64 s[54:55], exec, s[54:55]
	s_cbranch_execz .LBB169_5994
; %bb.5987:
	v_and_b32_e32 v1, 0x7fffffff, v112
	s_mov_b32 vcc_lo, 0x47800000
	v_cmp_gt_u32_e32 vcc, vcc_lo, v1
	v_mov_b32_e32 v4, 0x80
	s_and_saveexec_b64 s[56:57], vcc
	s_cbranch_execz .LBB169_5993
; %bb.5988:
	s_mov_b32 vcc_lo, 0x37ffffff
	v_cmp_lt_u32_e32 vcc, vcc_lo, v1
	s_mov_b64 s[58:59], 0
                                        ; implicit-def: $vgpr1
	s_and_saveexec_b64 s[60:61], vcc
	s_xor_b64 vcc, exec, s[60:61]
	s_cbranch_execnz .LBB169_6825
; %bb.5989:
	s_or_saveexec_b64 s[60:61], vcc
                                        ; implicit-def: $sgpr62
	s_xor_b64 exec, exec, s[60:61]
	s_cbranch_execnz .LBB169_6826
.LBB169_5990:
	s_or_b64 exec, exec, s[60:61]
	v_mov_b32_e32 v4, s62
	s_and_saveexec_b64 vcc, s[58:59]
.LBB169_5991:
	v_lshrrev_b32_e32 v4, 24, v112
	s_movk_i32 s58, 0x80
	v_and_or_b32 v4, v4, s58, v1
.LBB169_5992:
	s_or_b64 exec, exec, vcc
.LBB169_5993:
	s_or_b64 exec, exec, s[56:57]
	flat_store_byte v[2:3], v4
                                        ; implicit-def: $vgpr112
                                        ; implicit-def: $vgpr2_vgpr3
.LBB169_5994:
	s_andn2_saveexec_b64 s[54:55], s[54:55]
	s_cbranch_execz .LBB169_6004
; %bb.5995:
	v_and_b32_e32 v4, 0x7fffffff, v112
	s_mov_b32 vcc_lo, 0x43f00000
	v_cmp_gt_u32_e32 vcc, vcc_lo, v4
                                        ; implicit-def: $vgpr1
	s_and_saveexec_b64 s[56:57], vcc
	s_xor_b64 s[56:57], exec, s[56:57]
	s_cbranch_execz .LBB169_6001
; %bb.5996:
	s_mov_b32 vcc_lo, 0x3c7fffff
	v_cmp_lt_u32_e32 vcc, vcc_lo, v4
                                        ; implicit-def: $vgpr1
	s_and_saveexec_b64 s[58:59], vcc
	s_xor_b64 s[58:59], exec, s[58:59]
; %bb.5997:
	v_bfe_u32 v1, v112, 20, 1
	s_mov_b32 vcc_lo, 0x407ffff
	v_add3_u32 v1, v112, v1, vcc_lo
	v_lshrrev_b32_e32 v4, 20, v1
	v_and_b32_e32 v1, 0xff00000, v1
	s_mov_b32 vcc_lo, 0x7f00000
	v_mov_b32_e32 v5, 0x7e
	v_cmp_ne_u32_e32 vcc, vcc_lo, v1
	v_cndmask_b32_e32 v1, v5, v4, vcc
; %bb.5998:
	s_andn2_saveexec_b64 vcc, s[58:59]
; %bb.5999:
	s_mov_b32 s58, 0x46800000
	v_add_f32_e64 v1, |v112|, s58
; %bb.6000:
	s_or_b64 exec, exec, vcc
                                        ; implicit-def: $vgpr4
.LBB169_6001:
	s_andn2_saveexec_b64 s[56:57], s[56:57]
; %bb.6002:
	s_mov_b32 vcc_lo, 0x7f800000
	v_mov_b32_e32 v1, 0x7e
	v_mov_b32_e32 v5, 0x7f
	v_cmp_lt_u32_e32 vcc, vcc_lo, v4
	v_cndmask_b32_e32 v1, v1, v5, vcc
; %bb.6003:
	s_or_b64 exec, exec, s[56:57]
	v_lshrrev_b32_e32 v4, 24, v112
	s_movk_i32 vcc_lo, 0x80
	v_and_or_b32 v1, v4, vcc_lo, v1
	flat_store_byte v[2:3], v1
.LBB169_6004:
	s_or_b64 exec, exec, s[54:55]
                                        ; implicit-def: $vgpr112
                                        ; implicit-def: $vgpr2_vgpr3
.LBB169_6005:
	s_andn2_saveexec_b64 s[52:53], s[52:53]
	s_cbranch_execz .LBB169_6015
; %bb.6006:
	v_and_b32_e32 v4, 0x7fffffff, v112
	s_mov_b32 vcc_lo, 0x47800000
	v_cmp_gt_u32_e32 vcc, vcc_lo, v4
                                        ; implicit-def: $vgpr1
	s_and_saveexec_b64 s[54:55], vcc
	s_xor_b64 s[54:55], exec, s[54:55]
	s_cbranch_execz .LBB169_6012
; %bb.6007:
	s_mov_b32 vcc_lo, 0x387fffff
	v_cmp_lt_u32_e32 vcc, vcc_lo, v4
                                        ; implicit-def: $vgpr1
	s_and_saveexec_b64 s[56:57], vcc
	s_xor_b64 vcc, exec, s[56:57]
; %bb.6008:
	v_bfe_u32 v1, v112, 21, 1
	s_mov_b32 s56, 0x80fffff
	v_add3_u32 v1, v112, v1, s56
	v_lshrrev_b32_e32 v1, 21, v1
; %bb.6009:
	s_andn2_saveexec_b64 vcc, vcc
; %bb.6010:
	s_mov_b32 s56, 0x43000000
	v_add_f32_e64 v1, |v112|, s56
; %bb.6011:
	s_or_b64 exec, exec, vcc
                                        ; implicit-def: $vgpr4
.LBB169_6012:
	s_andn2_saveexec_b64 s[54:55], s[54:55]
; %bb.6013:
	s_mov_b32 vcc_lo, 0x7f800000
	v_mov_b32_e32 v1, 0x7c
	v_mov_b32_e32 v5, 0x7f
	v_cmp_lt_u32_e32 vcc, vcc_lo, v4
	v_cndmask_b32_e32 v1, v1, v5, vcc
; %bb.6014:
	s_or_b64 exec, exec, s[54:55]
	v_lshrrev_b32_e32 v4, 24, v112
	s_movk_i32 vcc_lo, 0x80
	v_and_or_b32 v1, v4, vcc_lo, v1
	flat_store_byte v[2:3], v1
.LBB169_6015:
	s_or_b64 exec, exec, s[52:53]
	s_or_b64 s[52:53], s[4:5], exec
                                        ; implicit-def: $vgpr112
                                        ; implicit-def: $vgpr2_vgpr3
.LBB169_6016:
	s_or_saveexec_b64 s[50:51], s[50:51]
	s_mov_b64 vcc, s[46:47]
	s_xor_b64 exec, exec, s[50:51]
	s_cbranch_execz .LBB169_6026
; %bb.6017:
	v_mov_b32_e32 v1, 14
	v_cmp_gt_i16_sdwa vcc, v62, v1 src0_sel:BYTE_0 src1_sel:DWORD
	s_mov_b64 s[54:55], s[52:53]
	s_mov_b64 s[56:57], s[46:47]
	s_and_saveexec_b64 s[58:59], vcc
	s_xor_b64 s[58:59], exec, s[58:59]
	s_cbranch_execz .LBB169_6021
; %bb.6018:
	v_mov_b32_e32 v1, 15
	v_cmp_eq_u16_sdwa s[60:61], v62, v1 src0_sel:BYTE_0 src1_sel:DWORD
	s_mov_b64 s[56:57], -1
	s_mov_b64 vcc, s[52:53]
	s_and_saveexec_b64 s[54:55], s[60:61]
	s_cbranch_execz .LBB169_6020
; %bb.6019:
	v_bfe_u32 v1, v112, 16, 1
	s_movk_i32 vcc_lo, 0x7fff
	v_add3_u32 v1, v112, v1, vcc_lo
	v_lshrrev_b32_e32 v1, 16, v1
	v_mov_b32_e32 v4, 0x7fc0
	v_cmp_o_f32_e32 vcc, v112, v112
	v_cndmask_b32_e32 v1, v4, v1, vcc
	flat_store_short v[2:3], v1
	s_xor_b64 s[56:57], exec, -1
	s_or_b64 vcc, s[52:53], exec
.LBB169_6020:
	s_or_b64 exec, exec, s[54:55]
	s_andn2_b64 s[54:55], s[46:47], exec
	s_and_b64 s[56:57], s[56:57], exec
	s_or_b64 s[56:57], s[54:55], s[56:57]
	s_andn2_b64 s[54:55], s[52:53], exec
	s_and_b64 vcc, vcc, exec
	s_or_b64 s[54:55], s[54:55], vcc
                                        ; implicit-def: $vgpr112
                                        ; implicit-def: $vgpr2_vgpr3
.LBB169_6021:
	s_andn2_saveexec_b64 s[58:59], s[58:59]
	s_cbranch_execz .LBB169_6025
; %bb.6022:
	v_mov_b32_e32 v1, 11
	v_cmp_eq_u16_sdwa s[64:65], v62, v1 src0_sel:BYTE_0 src1_sel:DWORD
	s_mov_b64 s[60:61], -1
	s_mov_b64 vcc, s[54:55]
	s_and_saveexec_b64 s[62:63], s[64:65]
	s_cbranch_execz .LBB169_6024
; %bb.6023:
	v_cmp_neq_f32_e32 vcc, 0, v112
	v_cndmask_b32_e64 v1, 0, 1, vcc
	flat_store_byte v[2:3], v1
	s_xor_b64 s[60:61], exec, -1
	s_or_b64 vcc, s[54:55], exec
.LBB169_6024:
	s_or_b64 exec, exec, s[62:63]
	s_andn2_b64 s[56:57], s[56:57], exec
	s_and_b64 s[60:61], s[60:61], exec
	s_andn2_b64 s[54:55], s[54:55], exec
	s_and_b64 vcc, vcc, exec
	s_or_b64 s[56:57], s[56:57], s[60:61]
	s_or_b64 s[54:55], s[54:55], vcc
.LBB169_6025:
	s_or_b64 exec, exec, s[58:59]
	s_andn2_b64 vcc, s[46:47], exec
	s_and_b64 s[56:57], s[56:57], exec
	s_andn2_b64 s[52:53], s[52:53], exec
	s_and_b64 s[54:55], s[54:55], exec
	s_or_b64 vcc, vcc, s[56:57]
	s_or_b64 s[52:53], s[52:53], s[54:55]
.LBB169_6026:
	s_or_b64 exec, exec, s[50:51]
	s_andn2_b64 s[46:47], s[46:47], exec
	s_and_b64 vcc, vcc, exec
	s_or_b64 s[46:47], s[46:47], vcc
	s_andn2_b64 s[4:5], s[4:5], exec
	s_and_b64 vcc, s[52:53], exec
	s_or_b64 s[4:5], s[4:5], vcc
	v_readlane_b32 vcc_lo, v78, 62
	v_readlane_b32 vcc_hi, v78, 63
.LBB169_6027:
	s_or_b64 exec, exec, s[48:49]
	s_andn2_b64 s[48:49], vcc, exec
	s_and_b64 s[46:47], s[46:47], exec
	s_or_b64 s[46:47], s[48:49], s[46:47]
	s_and_b64 s[48:49], s[4:5], exec
	s_mov_b64 s[4:5], s[44:45]
                                        ; implicit-def: $vgpr112
                                        ; implicit-def: $vgpr2_vgpr3
	s_andn2_saveexec_b64 s[42:43], s[42:43]
	s_cbranch_execz .LBB169_3916
.LBB169_6028:
	v_mov_b32_e32 v1, 4
	v_cmp_gt_i16_sdwa vcc, v62, v1 src0_sel:BYTE_0 src1_sel:DWORD
	s_and_saveexec_b64 s[44:45], vcc
	s_xor_b64 vcc, exec, s[44:45]
	s_cbranch_execz .LBB169_6050
; %bb.6029:
	v_mov_b32_e32 v1, 7
	v_cmp_gt_i16_sdwa s[44:45], v62, v1 src0_sel:BYTE_0 src1_sel:DWORD
	s_and_saveexec_b64 s[50:51], s[44:45]
	s_xor_b64 s[44:45], exec, s[50:51]
	s_cbranch_execz .LBB169_6039
; %bb.6030:
	v_mov_b32_e32 v1, 8
	v_cmp_gt_i16_sdwa s[50:51], v62, v1 src0_sel:BYTE_0 src1_sel:DWORD
	s_and_saveexec_b64 s[52:53], s[50:51]
	s_xor_b64 s[50:51], exec, s[52:53]
	;; [unrolled: 6-line block ×3, first 2 shown]
	s_cbranch_execz .LBB169_6033
; %bb.6032:
	v_mov_b32_e32 v6, 0
	v_cvt_f64_f32_e32 v[4:5], v112
	v_mov_b32_e32 v7, v6
	flat_store_dwordx4 v[2:3], v[4:7]
                                        ; implicit-def: $vgpr112
                                        ; implicit-def: $vgpr2_vgpr3
.LBB169_6033:
	s_andn2_saveexec_b64 s[52:53], s[52:53]
	s_cbranch_execz .LBB169_6035
; %bb.6034:
	v_mov_b32_e32 v113, 0
	flat_store_dwordx2 v[2:3], v[112:113]
.LBB169_6035:
	s_or_b64 exec, exec, s[52:53]
                                        ; implicit-def: $vgpr112
                                        ; implicit-def: $vgpr2_vgpr3
.LBB169_6036:
	s_andn2_saveexec_b64 s[50:51], s[50:51]
	s_cbranch_execz .LBB169_6038
; %bb.6037:
	v_cvt_f16_f32_e32 v1, v112
	flat_store_dword v[2:3], v1
.LBB169_6038:
	s_or_b64 exec, exec, s[50:51]
                                        ; implicit-def: $vgpr112
                                        ; implicit-def: $vgpr2_vgpr3
.LBB169_6039:
	s_andn2_saveexec_b64 s[44:45], s[44:45]
	s_cbranch_execz .LBB169_6049
; %bb.6040:
	v_mov_b32_e32 v1, 5
	v_cmp_gt_i16_sdwa s[50:51], v62, v1 src0_sel:BYTE_0 src1_sel:DWORD
	s_and_saveexec_b64 s[52:53], s[50:51]
	s_xor_b64 s[50:51], exec, s[52:53]
	s_cbranch_execz .LBB169_6046
; %bb.6041:
	v_mov_b32_e32 v1, 6
	v_cmp_gt_i16_sdwa s[52:53], v62, v1 src0_sel:BYTE_0 src1_sel:DWORD
	s_and_saveexec_b64 s[54:55], s[52:53]
	s_xor_b64 s[52:53], exec, s[54:55]
	s_cbranch_execz .LBB169_6043
; %bb.6042:
	v_cvt_f64_f32_e32 v[4:5], v112
	flat_store_dwordx2 v[2:3], v[4:5]
                                        ; implicit-def: $vgpr2_vgpr3
                                        ; implicit-def: $vgpr112
.LBB169_6043:
	s_andn2_saveexec_b64 s[52:53], s[52:53]
	s_cbranch_execz .LBB169_6045
; %bb.6044:
	flat_store_dword v[2:3], v112
.LBB169_6045:
	s_or_b64 exec, exec, s[52:53]
                                        ; implicit-def: $vgpr112
                                        ; implicit-def: $vgpr2_vgpr3
.LBB169_6046:
	s_andn2_saveexec_b64 s[50:51], s[50:51]
	s_cbranch_execz .LBB169_6048
; %bb.6047:
	v_cvt_f16_f32_e32 v1, v112
	flat_store_short v[2:3], v1
.LBB169_6048:
	s_or_b64 exec, exec, s[50:51]
.LBB169_6049:
	s_or_b64 exec, exec, s[44:45]
                                        ; implicit-def: $vgpr112
                                        ; implicit-def: $vgpr2_vgpr3
.LBB169_6050:
	s_andn2_saveexec_b64 s[44:45], vcc
	s_cbranch_execz .LBB169_6068
; %bb.6051:
	v_mov_b32_e32 v1, 1
	v_cmp_gt_i16_sdwa vcc, v62, v1 src0_sel:BYTE_0 src1_sel:DWORD
	s_and_saveexec_b64 s[50:51], vcc
	s_xor_b64 s[50:51], exec, s[50:51]
	s_cbranch_execz .LBB169_6061
; %bb.6052:
	v_mov_b32_e32 v1, 2
	v_cmp_gt_i16_sdwa vcc, v62, v1 src0_sel:BYTE_0 src1_sel:DWORD
	s_and_saveexec_b64 s[52:53], vcc
	s_xor_b64 s[52:53], exec, s[52:53]
	;; [unrolled: 6-line block ×3, first 2 shown]
	s_cbranch_execz .LBB169_6055
; %bb.6054:
	v_trunc_f32_e32 v1, v112
	s_mov_b32 s56, 0x2f800000
	v_mul_f32_e64 v4, |v1|, s56
	v_floor_f32_e32 v4, v4
	s_mov_b32 s56, 0xcf800000
	v_cvt_u32_f32_e32 v5, v4
	v_fma_f32 v4, v4, s56, |v1|
	v_cvt_u32_f32_e32 v4, v4
	v_ashrrev_i32_e32 v1, 31, v1
	v_xor_b32_e32 v5, v5, v1
                                        ; implicit-def: $vgpr112
	v_xor_b32_e32 v4, v4, v1
	v_sub_co_u32_e32 v4, vcc, v4, v1
	v_subb_co_u32_e32 v5, vcc, v5, v1, vcc
	flat_store_dwordx2 v[2:3], v[4:5]
                                        ; implicit-def: $vgpr2_vgpr3
.LBB169_6055:
	s_andn2_saveexec_b64 vcc, s[54:55]
	s_cbranch_execz .LBB169_6057
; %bb.6056:
	v_cvt_i32_f32_e32 v1, v112
	flat_store_dword v[2:3], v1
.LBB169_6057:
	s_or_b64 exec, exec, vcc
                                        ; implicit-def: $vgpr112
                                        ; implicit-def: $vgpr2_vgpr3
.LBB169_6058:
	s_andn2_saveexec_b64 vcc, s[52:53]
	s_cbranch_execz .LBB169_6060
; %bb.6059:
	v_cvt_i32_f32_e32 v1, v112
	flat_store_short v[2:3], v1
.LBB169_6060:
	s_or_b64 exec, exec, vcc
                                        ; implicit-def: $vgpr112
                                        ; implicit-def: $vgpr2_vgpr3
.LBB169_6061:
	s_andn2_saveexec_b64 vcc, s[50:51]
	s_cbranch_execz .LBB169_6067
; %bb.6062:
	v_mov_b32_e32 v1, 0
	v_cmp_gt_i16_sdwa s[50:51], v62, v1 src0_sel:BYTE_0 src1_sel:DWORD
	s_and_saveexec_b64 s[52:53], s[50:51]
	s_xor_b64 s[50:51], exec, s[52:53]
	s_cbranch_execz .LBB169_6064
; %bb.6063:
	v_cvt_i32_f32_e32 v1, v112
                                        ; implicit-def: $vgpr112
	flat_store_byte v[2:3], v1
                                        ; implicit-def: $vgpr2_vgpr3
.LBB169_6064:
	s_andn2_saveexec_b64 s[50:51], s[50:51]
	s_cbranch_execz .LBB169_6066
; %bb.6065:
	v_trunc_f32_e32 v1, v112
	s_mov_b32 s52, 0x2f800000
	v_mul_f32_e64 v4, |v1|, s52
	v_floor_f32_e32 v4, v4
	s_mov_b32 s52, 0xcf800000
	v_fma_f32 v4, v4, s52, |v1|
	v_cvt_u32_f32_e32 v4, v4
	v_ashrrev_i32_e32 v1, 31, v1
	v_xor_b32_e32 v4, v4, v1
	v_sub_u32_e32 v1, v4, v1
	flat_store_byte v[2:3], v1
.LBB169_6066:
	s_or_b64 exec, exec, s[50:51]
.LBB169_6067:
	s_or_b64 exec, exec, vcc
.LBB169_6068:
	s_or_b64 exec, exec, s[44:45]
	v_readlane_b32 vcc_lo, v78, 62
	s_or_b64 s[48:49], s[48:49], exec
	v_readlane_b32 vcc_hi, v78, 63
	s_or_b64 exec, exec, s[42:43]
	s_mov_b64 s[42:43], 0
	s_and_saveexec_b64 s[44:45], s[48:49]
	s_cbranch_execnz .LBB169_3917
	s_branch .LBB169_3918
.LBB169_6069:
	v_bfe_u32 v1, v44, 21, 1
	s_mov_b32 s46, 0x88fffff
	v_add3_u32 v1, v44, v1, s46
	s_mov_b64 s[44:45], exec
	v_lshrrev_b32_e32 v1, 21, v1
	s_or_saveexec_b64 s[46:47], vcc
                                        ; implicit-def: $sgpr48
	s_xor_b64 exec, exec, s[46:47]
	s_cbranch_execz .LBB169_5240
.LBB169_6070:
	s_mov_b32 s48, 0x42800000
	v_add_f32_e64 v1, |v44|, s48
	v_and_b32_e32 v1, 0xff, v1
	v_cmp_ne_u32_e32 vcc, 0, v1
	s_andn2_b64 s[44:45], s[44:45], exec
	s_and_b64 vcc, vcc, exec
	s_mov_b32 s48, 0
	s_or_b64 s[44:45], s[44:45], vcc
	s_or_b64 exec, exec, s[46:47]
	v_mov_b32_e32 v4, s48
	s_and_saveexec_b64 vcc, s[44:45]
	s_cbranch_execnz .LBB169_5241
	s_branch .LBB169_5242
.LBB169_6071:
	v_bfe_u32 v1, v42, 20, 1
	s_mov_b32 s48, 0x487ffff
	v_add3_u32 v1, v42, v1, s48
	s_mov_b64 s[46:47], exec
	v_lshrrev_b32_e32 v1, 20, v1
	s_or_saveexec_b64 s[48:49], vcc
                                        ; implicit-def: $sgpr50
	s_xor_b64 exec, exec, s[48:49]
	s_cbranch_execz .LBB169_5351
.LBB169_6072:
	s_mov_b32 s50, 0x46000000
	v_add_f32_e64 v1, |v42|, s50
	v_and_b32_e32 v1, 0xff, v1
	v_cmp_ne_u32_e32 vcc, 0, v1
	s_andn2_b64 s[46:47], s[46:47], exec
	s_and_b64 vcc, vcc, exec
	s_mov_b32 s50, 0
	s_or_b64 s[46:47], s[46:47], vcc
	s_or_b64 exec, exec, s[48:49]
	v_mov_b32_e32 v4, s50
	s_and_saveexec_b64 vcc, s[46:47]
	s_cbranch_execnz .LBB169_5352
	s_branch .LBB169_5353
.LBB169_6073:
	v_mov_b32_e32 v1, 25
	v_cmp_gt_i16_sdwa s[48:49], v62, v1 src0_sel:BYTE_0 src1_sel:DWORD
	s_mov_b64 s[46:47], vcc
	s_and_saveexec_b64 vcc, s[48:49]
	s_xor_b64 s[48:49], exec, vcc
	s_cbranch_execz .LBB169_6109
; %bb.6074:
	v_mov_b32_e32 v1, 28
	v_readlane_b32 s50, v77, 2
	v_cmp_gt_i16_sdwa vcc, v62, v1 src0_sel:BYTE_0 src1_sel:DWORD
	v_readlane_b32 s51, v77, 3
	s_and_saveexec_b64 s[46:47], vcc
	s_xor_b64 s[46:47], exec, s[46:47]
	s_cbranch_execz .LBB169_6092
; %bb.6075:
	v_mov_b32_e32 v1, 43
	v_readlane_b32 vcc_lo, v77, 2
	v_cmp_gt_i16_sdwa s[50:51], v62, v1 src0_sel:BYTE_0 src1_sel:DWORD
	v_readlane_b32 vcc_hi, v77, 3
	s_and_saveexec_b64 s[52:53], s[50:51]
	s_xor_b64 s[50:51], exec, s[52:53]
	s_cbranch_execz .LBB169_6087
; %bb.6076:
	v_mov_b32_e32 v1, 45
	v_readlane_b32 s54, v77, 2
	v_cmp_gt_i16_sdwa s[4:5], v62, v1 src0_sel:BYTE_0 src1_sel:DWORD
	s_mov_b64 s[52:53], 0
	v_readlane_b32 s55, v77, 3
	s_and_saveexec_b64 vcc, s[4:5]
	s_xor_b64 s[4:5], exec, vcc
	s_cbranch_execz .LBB169_6080
; %bb.6077:
	v_mov_b32_e32 v1, 46
	v_cmp_eq_u16_sdwa s[56:57], v62, v1 src0_sel:BYTE_0 src1_sel:DWORD
	s_mov_b64 vcc, -1
	s_and_saveexec_b64 s[54:55], s[56:57]
	s_cbranch_execz .LBB169_6079
; %bb.6078:
	v_bfe_u32 v1, v102, 16, 1
	s_movk_i32 vcc_lo, 0x7fff
	v_add3_u32 v1, v102, v1, vcc_lo
	v_lshrrev_b32_e32 v1, 16, v1
	v_mov_b32_e32 v4, 0x7fc0
	v_cmp_o_f32_e32 vcc, v102, v102
	v_cndmask_b32_e32 v1, v4, v1, vcc
	s_mov_b64 s[52:53], exec
	flat_store_dword v[2:3], v1
	s_xor_b64 vcc, exec, -1
.LBB169_6079:
	s_or_b64 exec, exec, s[54:55]
	v_readlane_b32 s54, v77, 2
	v_readlane_b32 s55, v77, 3
	s_andn2_b64 s[54:55], s[54:55], exec
	s_and_b64 vcc, vcc, exec
	s_or_b64 s[54:55], s[54:55], vcc
	s_and_b64 s[52:53], s[52:53], exec
                                        ; implicit-def: $vgpr2_vgpr3
                                        ; implicit-def: $vgpr102
.LBB169_6080:
	s_andn2_saveexec_b64 s[56:57], s[4:5]
	s_cbranch_execz .LBB169_6086
; %bb.6081:
	v_mov_b32_e32 v1, 44
	v_cmp_eq_u16_sdwa s[60:61], v62, v1 src0_sel:BYTE_0 src1_sel:DWORD
	s_mov_b64 vcc, -1
	s_mov_b64 s[4:5], s[52:53]
	s_and_saveexec_b64 s[58:59], s[60:61]
	s_cbranch_execz .LBB169_6085
; %bb.6082:
	v_bfe_u32 v1, v102, 23, 8
	s_movk_i32 s4, 0xff
	v_cmp_ne_u32_e32 vcc, s4, v1
	v_mov_b32_e32 v4, 0xff
	s_and_saveexec_b64 s[60:61], vcc
; %bb.6083:
	s_mov_b32 s4, 0x3fffff
	v_and_b32_e32 v5, 0x400000, v102
	v_and_or_b32 v1, v102, s4, v1
	v_cmp_ne_u32_e32 vcc, 0, v5
	v_cmp_ne_u32_e64 s[4:5], 0, v1
	s_and_b64 s[4:5], vcc, s[4:5]
	v_lshrrev_b32_e32 v4, 23, v102
	v_cndmask_b32_e64 v1, 0, 1, s[4:5]
	v_add_u32_e32 v4, v4, v1
; %bb.6084:
	s_or_b64 exec, exec, s[60:61]
	s_xor_b64 vcc, exec, -1
	s_or_b64 s[4:5], s[52:53], exec
	flat_store_byte v[2:3], v4
.LBB169_6085:
	s_or_b64 exec, exec, s[58:59]
	s_andn2_b64 s[54:55], s[54:55], exec
	s_and_b64 vcc, vcc, exec
	s_or_b64 s[54:55], s[54:55], vcc
	s_andn2_b64 vcc, s[52:53], exec
	s_and_b64 s[4:5], s[4:5], exec
	s_or_b64 s[52:53], vcc, s[4:5]
.LBB169_6086:
	s_or_b64 exec, exec, s[56:57]
	v_readlane_b32 s4, v77, 2
	v_readlane_b32 s5, v77, 3
	s_andn2_b64 s[4:5], s[4:5], exec
	s_and_b64 vcc, s[54:55], exec
	s_or_b64 vcc, s[4:5], vcc
	s_and_b64 s[4:5], s[52:53], exec
                                        ; implicit-def: $vgpr102
                                        ; implicit-def: $vgpr2_vgpr3
.LBB169_6087:
	s_andn2_saveexec_b64 s[50:51], s[50:51]
	s_cbranch_execz .LBB169_6091
; %bb.6088:
	v_mov_b32_e32 v1, 29
	v_cmp_eq_u16_sdwa s[58:59], v62, v1 src0_sel:BYTE_0 src1_sel:DWORD
	s_mov_b64 s[56:57], -1
	s_mov_b64 s[54:55], s[4:5]
	s_and_saveexec_b64 s[52:53], s[58:59]
	s_cbranch_execz .LBB169_6090
; %bb.6089:
	v_trunc_f32_e32 v1, v102
	v_mul_f32_e32 v4, 0x2f800000, v1
	v_floor_f32_e32 v4, v4
	v_fmac_f32_e32 v1, 0xcf800000, v4
	v_cvt_u32_f32_e32 v5, v4
	v_cvt_u32_f32_e32 v4, v1
	s_xor_b64 s[56:57], exec, -1
	s_or_b64 s[54:55], s[4:5], exec
	flat_store_dwordx2 v[2:3], v[4:5]
.LBB169_6090:
	s_or_b64 exec, exec, s[52:53]
	s_andn2_b64 vcc, vcc, exec
	s_and_b64 s[52:53], s[56:57], exec
	s_or_b64 vcc, vcc, s[52:53]
	s_andn2_b64 s[4:5], s[4:5], exec
	s_and_b64 s[52:53], s[54:55], exec
	s_or_b64 s[4:5], s[4:5], s[52:53]
.LBB169_6091:
	s_or_b64 exec, exec, s[50:51]
	v_readlane_b32 s50, v77, 2
	v_readlane_b32 s51, v77, 3
	s_andn2_b64 s[50:51], s[50:51], exec
	s_and_b64 vcc, vcc, exec
	s_or_b64 s[50:51], s[50:51], vcc
	s_and_b64 s[4:5], s[4:5], exec
                                        ; implicit-def: $vgpr2_vgpr3
                                        ; implicit-def: $vgpr102
.LBB169_6092:
	s_andn2_saveexec_b64 s[46:47], s[46:47]
	s_cbranch_execz .LBB169_6108
; %bb.6093:
	v_mov_b32_e32 v1, 26
	v_cmp_gt_i16_sdwa vcc, v62, v1 src0_sel:BYTE_0 src1_sel:DWORD
	s_and_saveexec_b64 s[52:53], vcc
	s_xor_b64 vcc, exec, s[52:53]
	s_cbranch_execz .LBB169_6099
; %bb.6094:
	v_cvt_u32_f32_e32 v1, v102
	v_mov_b32_e32 v4, 27
	v_cmp_gt_i16_sdwa s[52:53], v62, v4 src0_sel:BYTE_0 src1_sel:DWORD
	s_and_saveexec_b64 s[54:55], s[52:53]
	s_xor_b64 s[52:53], exec, s[54:55]
	s_cbranch_execz .LBB169_6096
; %bb.6095:
	flat_store_dword v[2:3], v1
                                        ; implicit-def: $vgpr2_vgpr3
                                        ; implicit-def: $vgpr1
.LBB169_6096:
	s_andn2_saveexec_b64 s[52:53], s[52:53]
	s_cbranch_execz .LBB169_6098
; %bb.6097:
	flat_store_short v[2:3], v1
.LBB169_6098:
	s_or_b64 exec, exec, s[52:53]
                                        ; implicit-def: $vgpr2_vgpr3
                                        ; implicit-def: $vgpr102
.LBB169_6099:
	s_andn2_saveexec_b64 s[52:53], vcc
	s_cbranch_execz .LBB169_6107
; %bb.6100:
	v_and_b32_e32 v1, 0x7fffffff, v102
	s_mov_b32 vcc_lo, 0x43800000
	v_cmp_gt_u32_e32 vcc, vcc_lo, v1
	v_mov_b32_e32 v4, 0x80
	s_and_saveexec_b64 s[54:55], vcc
	s_cbranch_execz .LBB169_6106
; %bb.6101:
	s_mov_b32 vcc_lo, 0x3bffffff
	v_cmp_lt_u32_e32 vcc, vcc_lo, v1
	s_mov_b64 s[56:57], 0
                                        ; implicit-def: $vgpr1
	s_and_saveexec_b64 s[58:59], vcc
	s_xor_b64 vcc, exec, s[58:59]
	s_cbranch_execnz .LBB169_6827
; %bb.6102:
	s_or_saveexec_b64 s[58:59], vcc
                                        ; implicit-def: $sgpr60
	s_xor_b64 exec, exec, s[58:59]
	s_cbranch_execnz .LBB169_6828
.LBB169_6103:
	s_or_b64 exec, exec, s[58:59]
	v_mov_b32_e32 v4, s60
	s_and_saveexec_b64 vcc, s[56:57]
.LBB169_6104:
	v_lshrrev_b32_e32 v4, 24, v102
	s_movk_i32 s56, 0x80
	v_and_or_b32 v4, v4, s56, v1
.LBB169_6105:
	s_or_b64 exec, exec, vcc
.LBB169_6106:
	s_or_b64 exec, exec, s[54:55]
	flat_store_byte v[2:3], v4
.LBB169_6107:
	s_or_b64 exec, exec, s[52:53]
	s_or_b64 s[4:5], s[4:5], exec
.LBB169_6108:
	s_or_b64 exec, exec, s[46:47]
	v_readlane_b32 vcc_lo, v77, 2
	v_readlane_b32 vcc_hi, v77, 3
	s_andn2_b64 vcc, vcc, exec
	s_and_b64 s[46:47], s[50:51], exec
	s_or_b64 s[46:47], vcc, s[46:47]
	s_and_b64 s[4:5], s[4:5], exec
                                        ; implicit-def: $vgpr102
                                        ; implicit-def: $vgpr2_vgpr3
.LBB169_6109:
	s_andn2_saveexec_b64 s[48:49], s[48:49]
	s_cbranch_execz .LBB169_6153
; %bb.6110:
	v_mov_b32_e32 v1, 22
	v_cmp_gt_i16_sdwa vcc, v62, v1 src0_sel:BYTE_0 src1_sel:DWORD
	s_mov_b64 s[52:53], s[4:5]
	s_and_saveexec_b64 s[50:51], vcc
	s_xor_b64 s[50:51], exec, s[50:51]
	s_cbranch_execz .LBB169_6142
; %bb.6111:
	v_mov_b32_e32 v1, 23
	v_cmp_gt_i16_sdwa vcc, v62, v1 src0_sel:BYTE_0 src1_sel:DWORD
	s_and_saveexec_b64 s[52:53], vcc
	s_xor_b64 s[52:53], exec, s[52:53]
	s_cbranch_execz .LBB169_6131
; %bb.6112:
	v_mov_b32_e32 v1, 24
	v_cmp_gt_i16_sdwa vcc, v62, v1 src0_sel:BYTE_0 src1_sel:DWORD
	s_and_saveexec_b64 s[54:55], vcc
	s_xor_b64 s[54:55], exec, s[54:55]
	s_cbranch_execz .LBB169_6120
; %bb.6113:
	v_and_b32_e32 v1, 0x7fffffff, v102
	s_mov_b32 vcc_lo, 0x47800000
	v_cmp_gt_u32_e32 vcc, vcc_lo, v1
	v_mov_b32_e32 v4, 0x80
	s_and_saveexec_b64 s[56:57], vcc
	s_cbranch_execz .LBB169_6119
; %bb.6114:
	s_mov_b32 vcc_lo, 0x37ffffff
	v_cmp_lt_u32_e32 vcc, vcc_lo, v1
	s_mov_b64 s[58:59], 0
                                        ; implicit-def: $vgpr1
	s_and_saveexec_b64 s[60:61], vcc
	s_xor_b64 vcc, exec, s[60:61]
	s_cbranch_execnz .LBB169_6951
; %bb.6115:
	s_or_saveexec_b64 s[60:61], vcc
                                        ; implicit-def: $sgpr62
	s_xor_b64 exec, exec, s[60:61]
	s_cbranch_execnz .LBB169_6952
.LBB169_6116:
	s_or_b64 exec, exec, s[60:61]
	v_mov_b32_e32 v4, s62
	s_and_saveexec_b64 vcc, s[58:59]
.LBB169_6117:
	v_lshrrev_b32_e32 v4, 24, v102
	s_movk_i32 s58, 0x80
	v_and_or_b32 v4, v4, s58, v1
.LBB169_6118:
	s_or_b64 exec, exec, vcc
.LBB169_6119:
	s_or_b64 exec, exec, s[56:57]
	flat_store_byte v[2:3], v4
                                        ; implicit-def: $vgpr102
                                        ; implicit-def: $vgpr2_vgpr3
.LBB169_6120:
	s_andn2_saveexec_b64 s[54:55], s[54:55]
	s_cbranch_execz .LBB169_6130
; %bb.6121:
	v_and_b32_e32 v4, 0x7fffffff, v102
	s_mov_b32 vcc_lo, 0x43f00000
	v_cmp_gt_u32_e32 vcc, vcc_lo, v4
                                        ; implicit-def: $vgpr1
	s_and_saveexec_b64 s[56:57], vcc
	s_xor_b64 s[56:57], exec, s[56:57]
	s_cbranch_execz .LBB169_6127
; %bb.6122:
	s_mov_b32 vcc_lo, 0x3c7fffff
	v_cmp_lt_u32_e32 vcc, vcc_lo, v4
                                        ; implicit-def: $vgpr1
	s_and_saveexec_b64 s[58:59], vcc
	s_xor_b64 s[58:59], exec, s[58:59]
; %bb.6123:
	v_bfe_u32 v1, v102, 20, 1
	s_mov_b32 vcc_lo, 0x407ffff
	v_add3_u32 v1, v102, v1, vcc_lo
	v_lshrrev_b32_e32 v4, 20, v1
	v_and_b32_e32 v1, 0xff00000, v1
	s_mov_b32 vcc_lo, 0x7f00000
	v_mov_b32_e32 v5, 0x7e
	v_cmp_ne_u32_e32 vcc, vcc_lo, v1
	v_cndmask_b32_e32 v1, v5, v4, vcc
; %bb.6124:
	s_andn2_saveexec_b64 vcc, s[58:59]
; %bb.6125:
	s_mov_b32 s58, 0x46800000
	v_add_f32_e64 v1, |v102|, s58
; %bb.6126:
	s_or_b64 exec, exec, vcc
                                        ; implicit-def: $vgpr4
.LBB169_6127:
	s_andn2_saveexec_b64 s[56:57], s[56:57]
; %bb.6128:
	s_mov_b32 vcc_lo, 0x7f800000
	v_mov_b32_e32 v1, 0x7e
	v_mov_b32_e32 v5, 0x7f
	v_cmp_lt_u32_e32 vcc, vcc_lo, v4
	v_cndmask_b32_e32 v1, v1, v5, vcc
; %bb.6129:
	s_or_b64 exec, exec, s[56:57]
	v_lshrrev_b32_e32 v4, 24, v102
	s_movk_i32 vcc_lo, 0x80
	v_and_or_b32 v1, v4, vcc_lo, v1
	flat_store_byte v[2:3], v1
.LBB169_6130:
	s_or_b64 exec, exec, s[54:55]
                                        ; implicit-def: $vgpr102
                                        ; implicit-def: $vgpr2_vgpr3
.LBB169_6131:
	s_andn2_saveexec_b64 s[52:53], s[52:53]
	s_cbranch_execz .LBB169_6141
; %bb.6132:
	v_and_b32_e32 v4, 0x7fffffff, v102
	s_mov_b32 vcc_lo, 0x47800000
	v_cmp_gt_u32_e32 vcc, vcc_lo, v4
                                        ; implicit-def: $vgpr1
	s_and_saveexec_b64 s[54:55], vcc
	s_xor_b64 s[54:55], exec, s[54:55]
	s_cbranch_execz .LBB169_6138
; %bb.6133:
	s_mov_b32 vcc_lo, 0x387fffff
	v_cmp_lt_u32_e32 vcc, vcc_lo, v4
                                        ; implicit-def: $vgpr1
	s_and_saveexec_b64 s[56:57], vcc
	s_xor_b64 vcc, exec, s[56:57]
; %bb.6134:
	v_bfe_u32 v1, v102, 21, 1
	s_mov_b32 s56, 0x80fffff
	v_add3_u32 v1, v102, v1, s56
	v_lshrrev_b32_e32 v1, 21, v1
; %bb.6135:
	s_andn2_saveexec_b64 vcc, vcc
; %bb.6136:
	s_mov_b32 s56, 0x43000000
	v_add_f32_e64 v1, |v102|, s56
; %bb.6137:
	s_or_b64 exec, exec, vcc
                                        ; implicit-def: $vgpr4
.LBB169_6138:
	s_andn2_saveexec_b64 s[54:55], s[54:55]
; %bb.6139:
	s_mov_b32 vcc_lo, 0x7f800000
	v_mov_b32_e32 v1, 0x7c
	v_mov_b32_e32 v5, 0x7f
	v_cmp_lt_u32_e32 vcc, vcc_lo, v4
	v_cndmask_b32_e32 v1, v1, v5, vcc
; %bb.6140:
	s_or_b64 exec, exec, s[54:55]
	v_lshrrev_b32_e32 v4, 24, v102
	s_movk_i32 vcc_lo, 0x80
	v_and_or_b32 v1, v4, vcc_lo, v1
	flat_store_byte v[2:3], v1
.LBB169_6141:
	s_or_b64 exec, exec, s[52:53]
	s_or_b64 s[52:53], s[4:5], exec
                                        ; implicit-def: $vgpr102
                                        ; implicit-def: $vgpr2_vgpr3
.LBB169_6142:
	s_or_saveexec_b64 s[50:51], s[50:51]
	s_mov_b64 vcc, s[46:47]
	s_xor_b64 exec, exec, s[50:51]
	s_cbranch_execz .LBB169_6152
; %bb.6143:
	v_mov_b32_e32 v1, 14
	v_cmp_gt_i16_sdwa vcc, v62, v1 src0_sel:BYTE_0 src1_sel:DWORD
	s_mov_b64 s[54:55], s[52:53]
	s_mov_b64 s[56:57], s[46:47]
	s_and_saveexec_b64 s[58:59], vcc
	s_xor_b64 s[58:59], exec, s[58:59]
	s_cbranch_execz .LBB169_6147
; %bb.6144:
	v_mov_b32_e32 v1, 15
	v_cmp_eq_u16_sdwa s[60:61], v62, v1 src0_sel:BYTE_0 src1_sel:DWORD
	s_mov_b64 s[56:57], -1
	s_mov_b64 vcc, s[52:53]
	s_and_saveexec_b64 s[54:55], s[60:61]
	s_cbranch_execz .LBB169_6146
; %bb.6145:
	v_bfe_u32 v1, v102, 16, 1
	s_movk_i32 vcc_lo, 0x7fff
	v_add3_u32 v1, v102, v1, vcc_lo
	v_lshrrev_b32_e32 v1, 16, v1
	v_mov_b32_e32 v4, 0x7fc0
	v_cmp_o_f32_e32 vcc, v102, v102
	v_cndmask_b32_e32 v1, v4, v1, vcc
	flat_store_short v[2:3], v1
	s_xor_b64 s[56:57], exec, -1
	s_or_b64 vcc, s[52:53], exec
.LBB169_6146:
	s_or_b64 exec, exec, s[54:55]
	s_andn2_b64 s[54:55], s[46:47], exec
	s_and_b64 s[56:57], s[56:57], exec
	s_or_b64 s[56:57], s[54:55], s[56:57]
	s_andn2_b64 s[54:55], s[52:53], exec
	s_and_b64 vcc, vcc, exec
	s_or_b64 s[54:55], s[54:55], vcc
                                        ; implicit-def: $vgpr102
                                        ; implicit-def: $vgpr2_vgpr3
.LBB169_6147:
	s_andn2_saveexec_b64 s[58:59], s[58:59]
	s_cbranch_execz .LBB169_6151
; %bb.6148:
	v_mov_b32_e32 v1, 11
	v_cmp_eq_u16_sdwa s[64:65], v62, v1 src0_sel:BYTE_0 src1_sel:DWORD
	s_mov_b64 s[60:61], -1
	s_mov_b64 vcc, s[54:55]
	s_and_saveexec_b64 s[62:63], s[64:65]
	s_cbranch_execz .LBB169_6150
; %bb.6149:
	v_cmp_neq_f32_e32 vcc, 0, v102
	v_cndmask_b32_e64 v1, 0, 1, vcc
	flat_store_byte v[2:3], v1
	s_xor_b64 s[60:61], exec, -1
	s_or_b64 vcc, s[54:55], exec
.LBB169_6150:
	s_or_b64 exec, exec, s[62:63]
	s_andn2_b64 s[56:57], s[56:57], exec
	s_and_b64 s[60:61], s[60:61], exec
	s_andn2_b64 s[54:55], s[54:55], exec
	s_and_b64 vcc, vcc, exec
	s_or_b64 s[56:57], s[56:57], s[60:61]
	s_or_b64 s[54:55], s[54:55], vcc
.LBB169_6151:
	s_or_b64 exec, exec, s[58:59]
	s_andn2_b64 vcc, s[46:47], exec
	s_and_b64 s[56:57], s[56:57], exec
	s_andn2_b64 s[52:53], s[52:53], exec
	s_and_b64 s[54:55], s[54:55], exec
	s_or_b64 vcc, vcc, s[56:57]
	s_or_b64 s[52:53], s[52:53], s[54:55]
.LBB169_6152:
	s_or_b64 exec, exec, s[50:51]
	s_andn2_b64 s[46:47], s[46:47], exec
	s_and_b64 vcc, vcc, exec
	s_or_b64 s[46:47], s[46:47], vcc
	s_andn2_b64 s[4:5], s[4:5], exec
	s_and_b64 vcc, s[52:53], exec
	s_or_b64 s[4:5], s[4:5], vcc
.LBB169_6153:
	s_or_b64 exec, exec, s[48:49]
	v_readlane_b32 vcc_lo, v77, 2
	v_readlane_b32 vcc_hi, v77, 3
	s_andn2_b64 vcc, vcc, exec
	s_and_b64 s[46:47], s[46:47], exec
	s_or_b64 s[46:47], vcc, s[46:47]
	s_and_b64 s[4:5], s[4:5], exec
                                        ; implicit-def: $vgpr102
                                        ; implicit-def: $vgpr2_vgpr3
	s_andn2_saveexec_b64 s[40:41], s[40:41]
	s_cbranch_execz .LBB169_3923
.LBB169_6154:
	v_mov_b32_e32 v1, 4
	v_cmp_gt_i16_sdwa vcc, v62, v1 src0_sel:BYTE_0 src1_sel:DWORD
	s_and_saveexec_b64 s[48:49], vcc
	s_xor_b64 vcc, exec, s[48:49]
	s_cbranch_execz .LBB169_6176
; %bb.6155:
	v_mov_b32_e32 v1, 7
	v_cmp_gt_i16_sdwa s[48:49], v62, v1 src0_sel:BYTE_0 src1_sel:DWORD
	s_and_saveexec_b64 s[50:51], s[48:49]
	s_xor_b64 s[48:49], exec, s[50:51]
	s_cbranch_execz .LBB169_6165
; %bb.6156:
	v_mov_b32_e32 v1, 8
	v_cmp_gt_i16_sdwa s[50:51], v62, v1 src0_sel:BYTE_0 src1_sel:DWORD
	s_and_saveexec_b64 s[52:53], s[50:51]
	s_xor_b64 s[50:51], exec, s[52:53]
	;; [unrolled: 6-line block ×3, first 2 shown]
	s_cbranch_execz .LBB169_6159
; %bb.6158:
	v_mov_b32_e32 v6, 0
	v_cvt_f64_f32_e32 v[4:5], v102
	v_mov_b32_e32 v7, v6
	flat_store_dwordx4 v[2:3], v[4:7]
                                        ; implicit-def: $vgpr102
                                        ; implicit-def: $vgpr2_vgpr3
.LBB169_6159:
	s_andn2_saveexec_b64 s[52:53], s[52:53]
	s_cbranch_execz .LBB169_6161
; %bb.6160:
	v_mov_b32_e32 v103, 0
	flat_store_dwordx2 v[2:3], v[102:103]
.LBB169_6161:
	s_or_b64 exec, exec, s[52:53]
                                        ; implicit-def: $vgpr102
                                        ; implicit-def: $vgpr2_vgpr3
.LBB169_6162:
	s_andn2_saveexec_b64 s[50:51], s[50:51]
	s_cbranch_execz .LBB169_6164
; %bb.6163:
	v_cvt_f16_f32_e32 v1, v102
	flat_store_dword v[2:3], v1
.LBB169_6164:
	s_or_b64 exec, exec, s[50:51]
                                        ; implicit-def: $vgpr102
                                        ; implicit-def: $vgpr2_vgpr3
.LBB169_6165:
	s_andn2_saveexec_b64 s[48:49], s[48:49]
	s_cbranch_execz .LBB169_6175
; %bb.6166:
	v_mov_b32_e32 v1, 5
	v_cmp_gt_i16_sdwa s[50:51], v62, v1 src0_sel:BYTE_0 src1_sel:DWORD
	s_and_saveexec_b64 s[52:53], s[50:51]
	s_xor_b64 s[50:51], exec, s[52:53]
	s_cbranch_execz .LBB169_6172
; %bb.6167:
	v_mov_b32_e32 v1, 6
	v_cmp_gt_i16_sdwa s[52:53], v62, v1 src0_sel:BYTE_0 src1_sel:DWORD
	s_and_saveexec_b64 s[54:55], s[52:53]
	s_xor_b64 s[52:53], exec, s[54:55]
	s_cbranch_execz .LBB169_6169
; %bb.6168:
	v_cvt_f64_f32_e32 v[4:5], v102
	flat_store_dwordx2 v[2:3], v[4:5]
                                        ; implicit-def: $vgpr2_vgpr3
                                        ; implicit-def: $vgpr102
.LBB169_6169:
	s_andn2_saveexec_b64 s[52:53], s[52:53]
	s_cbranch_execz .LBB169_6171
; %bb.6170:
	flat_store_dword v[2:3], v102
.LBB169_6171:
	s_or_b64 exec, exec, s[52:53]
                                        ; implicit-def: $vgpr102
                                        ; implicit-def: $vgpr2_vgpr3
.LBB169_6172:
	s_andn2_saveexec_b64 s[50:51], s[50:51]
	s_cbranch_execz .LBB169_6174
; %bb.6173:
	v_cvt_f16_f32_e32 v1, v102
	flat_store_short v[2:3], v1
.LBB169_6174:
	s_or_b64 exec, exec, s[50:51]
.LBB169_6175:
	s_or_b64 exec, exec, s[48:49]
                                        ; implicit-def: $vgpr102
                                        ; implicit-def: $vgpr2_vgpr3
.LBB169_6176:
	s_andn2_saveexec_b64 s[48:49], vcc
	s_cbranch_execz .LBB169_6194
; %bb.6177:
	v_mov_b32_e32 v1, 1
	v_cmp_gt_i16_sdwa vcc, v62, v1 src0_sel:BYTE_0 src1_sel:DWORD
	s_and_saveexec_b64 s[50:51], vcc
	s_xor_b64 s[50:51], exec, s[50:51]
	s_cbranch_execz .LBB169_6187
; %bb.6178:
	v_mov_b32_e32 v1, 2
	v_cmp_gt_i16_sdwa vcc, v62, v1 src0_sel:BYTE_0 src1_sel:DWORD
	s_and_saveexec_b64 s[52:53], vcc
	s_xor_b64 s[52:53], exec, s[52:53]
	s_cbranch_execz .LBB169_6184
; %bb.6179:
	v_mov_b32_e32 v1, 3
	v_cmp_gt_i16_sdwa vcc, v62, v1 src0_sel:BYTE_0 src1_sel:DWORD
	s_and_saveexec_b64 s[54:55], vcc
	s_xor_b64 s[54:55], exec, s[54:55]
	s_cbranch_execz .LBB169_6181
; %bb.6180:
	v_trunc_f32_e32 v1, v102
	s_mov_b32 s56, 0x2f800000
	v_mul_f32_e64 v4, |v1|, s56
	v_floor_f32_e32 v4, v4
	s_mov_b32 s56, 0xcf800000
	v_cvt_u32_f32_e32 v5, v4
	v_fma_f32 v4, v4, s56, |v1|
	v_cvt_u32_f32_e32 v4, v4
	v_ashrrev_i32_e32 v1, 31, v1
	v_xor_b32_e32 v5, v5, v1
                                        ; implicit-def: $vgpr102
	v_xor_b32_e32 v4, v4, v1
	v_sub_co_u32_e32 v4, vcc, v4, v1
	v_subb_co_u32_e32 v5, vcc, v5, v1, vcc
	flat_store_dwordx2 v[2:3], v[4:5]
                                        ; implicit-def: $vgpr2_vgpr3
.LBB169_6181:
	s_andn2_saveexec_b64 vcc, s[54:55]
	s_cbranch_execz .LBB169_6183
; %bb.6182:
	v_cvt_i32_f32_e32 v1, v102
	flat_store_dword v[2:3], v1
.LBB169_6183:
	s_or_b64 exec, exec, vcc
                                        ; implicit-def: $vgpr102
                                        ; implicit-def: $vgpr2_vgpr3
.LBB169_6184:
	s_andn2_saveexec_b64 vcc, s[52:53]
	s_cbranch_execz .LBB169_6186
; %bb.6185:
	v_cvt_i32_f32_e32 v1, v102
	flat_store_short v[2:3], v1
.LBB169_6186:
	s_or_b64 exec, exec, vcc
                                        ; implicit-def: $vgpr102
                                        ; implicit-def: $vgpr2_vgpr3
.LBB169_6187:
	s_andn2_saveexec_b64 vcc, s[50:51]
	s_cbranch_execz .LBB169_6193
; %bb.6188:
	v_mov_b32_e32 v1, 0
	v_cmp_gt_i16_sdwa s[50:51], v62, v1 src0_sel:BYTE_0 src1_sel:DWORD
	s_and_saveexec_b64 s[52:53], s[50:51]
	s_xor_b64 s[50:51], exec, s[52:53]
	s_cbranch_execz .LBB169_6190
; %bb.6189:
	v_cvt_i32_f32_e32 v1, v102
                                        ; implicit-def: $vgpr102
	flat_store_byte v[2:3], v1
                                        ; implicit-def: $vgpr2_vgpr3
.LBB169_6190:
	s_andn2_saveexec_b64 s[50:51], s[50:51]
	s_cbranch_execz .LBB169_6192
; %bb.6191:
	v_trunc_f32_e32 v1, v102
	s_mov_b32 s52, 0x2f800000
	v_mul_f32_e64 v4, |v1|, s52
	v_floor_f32_e32 v4, v4
	s_mov_b32 s52, 0xcf800000
	v_fma_f32 v4, v4, s52, |v1|
	v_cvt_u32_f32_e32 v4, v4
	v_ashrrev_i32_e32 v1, 31, v1
	v_xor_b32_e32 v4, v4, v1
	v_sub_u32_e32 v1, v4, v1
	flat_store_byte v[2:3], v1
.LBB169_6192:
	s_or_b64 exec, exec, s[50:51]
.LBB169_6193:
	s_or_b64 exec, exec, vcc
.LBB169_6194:
	s_or_b64 exec, exec, s[48:49]
	s_or_b64 s[4:5], s[4:5], exec
	s_or_b64 exec, exec, s[40:41]
	s_mov_b64 vcc, 0
	s_and_saveexec_b64 s[40:41], s[4:5]
	s_cbranch_execnz .LBB169_3924
	s_branch .LBB169_3925
.LBB169_6195:
	v_bfe_u32 v1, v42, 21, 1
	s_mov_b32 s50, 0x88fffff
	v_add3_u32 v1, v42, v1, s50
	s_mov_b64 s[48:49], exec
	v_lshrrev_b32_e32 v1, 21, v1
	s_or_saveexec_b64 s[50:51], vcc
                                        ; implicit-def: $sgpr52
	s_xor_b64 exec, exec, s[50:51]
	s_cbranch_execz .LBB169_5364
.LBB169_6196:
	s_mov_b32 s52, 0x42800000
	v_add_f32_e64 v1, |v42|, s52
	v_and_b32_e32 v1, 0xff, v1
	v_cmp_ne_u32_e32 vcc, 0, v1
	s_andn2_b64 s[48:49], s[48:49], exec
	s_and_b64 vcc, vcc, exec
	s_mov_b32 s52, 0
	s_or_b64 s[48:49], s[48:49], vcc
	s_or_b64 exec, exec, s[50:51]
	v_mov_b32_e32 v4, s52
	s_and_saveexec_b64 vcc, s[48:49]
	s_cbranch_execnz .LBB169_5365
	s_branch .LBB169_5366
.LBB169_6197:
	v_bfe_u32 v1, v40, 20, 1
	s_mov_b32 s52, 0x487ffff
	v_add3_u32 v1, v40, v1, s52
	s_mov_b64 s[50:51], exec
	v_lshrrev_b32_e32 v1, 20, v1
	s_or_saveexec_b64 s[52:53], vcc
                                        ; implicit-def: $sgpr54
	s_xor_b64 exec, exec, s[52:53]
	s_cbranch_execz .LBB169_5475
.LBB169_6198:
	s_mov_b32 s54, 0x46000000
	v_add_f32_e64 v1, |v40|, s54
	v_and_b32_e32 v1, 0xff, v1
	v_cmp_ne_u32_e32 vcc, 0, v1
	s_andn2_b64 s[50:51], s[50:51], exec
	s_and_b64 vcc, vcc, exec
	s_mov_b32 s54, 0
	s_or_b64 s[50:51], s[50:51], vcc
	s_or_b64 exec, exec, s[52:53]
	v_mov_b32_e32 v4, s54
	s_and_saveexec_b64 vcc, s[50:51]
	s_cbranch_execnz .LBB169_5476
	s_branch .LBB169_5477
.LBB169_6199:
	v_mov_b32_e32 v1, 25
	v_cmp_gt_i16_sdwa vcc, v62, v1 src0_sel:BYTE_0 src1_sel:DWORD
	s_mov_b64 s[46:47], s[40:41]
	s_and_saveexec_b64 s[48:49], vcc
	s_xor_b64 s[48:49], exec, s[48:49]
	s_cbranch_execz .LBB169_6235
; %bb.6200:
	v_mov_b32_e32 v1, 28
	v_cmp_gt_i16_sdwa vcc, v62, v1 src0_sel:BYTE_0 src1_sel:DWORD
	s_mov_b64 s[50:51], s[40:41]
	s_and_saveexec_b64 s[46:47], vcc
	s_xor_b64 s[46:47], exec, s[46:47]
	s_cbranch_execz .LBB169_6218
; %bb.6201:
	v_mov_b32_e32 v1, 43
	v_cmp_gt_i16_sdwa s[50:51], v62, v1 src0_sel:BYTE_0 src1_sel:DWORD
	s_mov_b64 vcc, s[40:41]
	s_and_saveexec_b64 s[52:53], s[50:51]
	s_xor_b64 s[50:51], exec, s[52:53]
	s_cbranch_execz .LBB169_6213
; %bb.6202:
	v_mov_b32_e32 v1, 45
	v_cmp_gt_i16_sdwa s[4:5], v62, v1 src0_sel:BYTE_0 src1_sel:DWORD
	s_mov_b64 s[52:53], 0
	s_mov_b64 s[54:55], s[40:41]
	s_and_saveexec_b64 vcc, s[4:5]
	s_xor_b64 s[4:5], exec, vcc
	s_cbranch_execz .LBB169_6206
; %bb.6203:
	v_mov_b32_e32 v1, 46
	v_cmp_eq_u16_sdwa s[56:57], v62, v1 src0_sel:BYTE_0 src1_sel:DWORD
	s_mov_b64 vcc, -1
	s_and_saveexec_b64 s[54:55], s[56:57]
	s_cbranch_execz .LBB169_6205
; %bb.6204:
	v_bfe_u32 v1, v100, 16, 1
	s_movk_i32 vcc_lo, 0x7fff
	v_add3_u32 v1, v100, v1, vcc_lo
	v_lshrrev_b32_e32 v1, 16, v1
	v_mov_b32_e32 v4, 0x7fc0
	v_cmp_o_f32_e32 vcc, v100, v100
	v_cndmask_b32_e32 v1, v4, v1, vcc
	s_mov_b64 s[52:53], exec
	flat_store_dword v[2:3], v1
	s_xor_b64 vcc, exec, -1
.LBB169_6205:
	s_or_b64 exec, exec, s[54:55]
	s_andn2_b64 s[54:55], s[40:41], exec
	s_and_b64 vcc, vcc, exec
	s_or_b64 s[54:55], s[54:55], vcc
	s_and_b64 s[52:53], s[52:53], exec
                                        ; implicit-def: $vgpr2_vgpr3
                                        ; implicit-def: $vgpr100
.LBB169_6206:
	s_andn2_saveexec_b64 s[56:57], s[4:5]
	s_cbranch_execz .LBB169_6212
; %bb.6207:
	v_mov_b32_e32 v1, 44
	v_cmp_eq_u16_sdwa s[60:61], v62, v1 src0_sel:BYTE_0 src1_sel:DWORD
	s_mov_b64 vcc, -1
	s_mov_b64 s[4:5], s[52:53]
	s_and_saveexec_b64 s[58:59], s[60:61]
	s_cbranch_execz .LBB169_6211
; %bb.6208:
	v_bfe_u32 v1, v100, 23, 8
	s_movk_i32 s4, 0xff
	v_cmp_ne_u32_e32 vcc, s4, v1
	v_mov_b32_e32 v4, 0xff
	s_and_saveexec_b64 s[60:61], vcc
; %bb.6209:
	s_mov_b32 s4, 0x3fffff
	v_and_b32_e32 v5, 0x400000, v100
	v_and_or_b32 v1, v100, s4, v1
	v_cmp_ne_u32_e32 vcc, 0, v5
	v_cmp_ne_u32_e64 s[4:5], 0, v1
	s_and_b64 s[4:5], vcc, s[4:5]
	v_lshrrev_b32_e32 v4, 23, v100
	v_cndmask_b32_e64 v1, 0, 1, s[4:5]
	v_add_u32_e32 v4, v4, v1
; %bb.6210:
	s_or_b64 exec, exec, s[60:61]
	s_xor_b64 vcc, exec, -1
	s_or_b64 s[4:5], s[52:53], exec
	flat_store_byte v[2:3], v4
.LBB169_6211:
	s_or_b64 exec, exec, s[58:59]
	s_andn2_b64 s[54:55], s[54:55], exec
	s_and_b64 vcc, vcc, exec
	s_or_b64 s[54:55], s[54:55], vcc
	s_andn2_b64 vcc, s[52:53], exec
	s_and_b64 s[4:5], s[4:5], exec
	s_or_b64 s[52:53], vcc, s[4:5]
.LBB169_6212:
	s_or_b64 exec, exec, s[56:57]
	s_andn2_b64 s[4:5], s[40:41], exec
	s_and_b64 vcc, s[54:55], exec
	s_or_b64 vcc, s[4:5], vcc
	s_and_b64 s[4:5], s[52:53], exec
                                        ; implicit-def: $vgpr100
                                        ; implicit-def: $vgpr2_vgpr3
.LBB169_6213:
	s_andn2_saveexec_b64 s[50:51], s[50:51]
	s_cbranch_execz .LBB169_6217
; %bb.6214:
	v_mov_b32_e32 v1, 29
	v_cmp_eq_u16_sdwa s[58:59], v62, v1 src0_sel:BYTE_0 src1_sel:DWORD
	s_mov_b64 s[56:57], -1
	s_mov_b64 s[54:55], s[4:5]
	s_and_saveexec_b64 s[52:53], s[58:59]
	s_cbranch_execz .LBB169_6216
; %bb.6215:
	v_trunc_f32_e32 v1, v100
	v_mul_f32_e32 v4, 0x2f800000, v1
	v_floor_f32_e32 v4, v4
	v_fmac_f32_e32 v1, 0xcf800000, v4
	v_cvt_u32_f32_e32 v5, v4
	v_cvt_u32_f32_e32 v4, v1
	s_xor_b64 s[56:57], exec, -1
	s_or_b64 s[54:55], s[4:5], exec
	flat_store_dwordx2 v[2:3], v[4:5]
.LBB169_6216:
	s_or_b64 exec, exec, s[52:53]
	s_andn2_b64 vcc, vcc, exec
	s_and_b64 s[52:53], s[56:57], exec
	s_or_b64 vcc, vcc, s[52:53]
	s_andn2_b64 s[4:5], s[4:5], exec
	s_and_b64 s[52:53], s[54:55], exec
	s_or_b64 s[4:5], s[4:5], s[52:53]
.LBB169_6217:
	s_or_b64 exec, exec, s[50:51]
	s_andn2_b64 s[50:51], s[40:41], exec
	s_and_b64 vcc, vcc, exec
	s_or_b64 s[50:51], s[50:51], vcc
	s_and_b64 s[4:5], s[4:5], exec
                                        ; implicit-def: $vgpr2_vgpr3
                                        ; implicit-def: $vgpr100
.LBB169_6218:
	s_andn2_saveexec_b64 s[46:47], s[46:47]
	s_cbranch_execz .LBB169_6234
; %bb.6219:
	v_mov_b32_e32 v1, 26
	v_cmp_gt_i16_sdwa vcc, v62, v1 src0_sel:BYTE_0 src1_sel:DWORD
	s_and_saveexec_b64 s[52:53], vcc
	s_xor_b64 vcc, exec, s[52:53]
	s_cbranch_execz .LBB169_6225
; %bb.6220:
	v_cvt_u32_f32_e32 v1, v100
	v_mov_b32_e32 v4, 27
	v_cmp_gt_i16_sdwa s[52:53], v62, v4 src0_sel:BYTE_0 src1_sel:DWORD
	s_and_saveexec_b64 s[54:55], s[52:53]
	s_xor_b64 s[52:53], exec, s[54:55]
	s_cbranch_execz .LBB169_6222
; %bb.6221:
	flat_store_dword v[2:3], v1
                                        ; implicit-def: $vgpr2_vgpr3
                                        ; implicit-def: $vgpr1
.LBB169_6222:
	s_andn2_saveexec_b64 s[52:53], s[52:53]
	s_cbranch_execz .LBB169_6224
; %bb.6223:
	flat_store_short v[2:3], v1
.LBB169_6224:
	s_or_b64 exec, exec, s[52:53]
                                        ; implicit-def: $vgpr2_vgpr3
                                        ; implicit-def: $vgpr100
.LBB169_6225:
	s_andn2_saveexec_b64 s[52:53], vcc
	s_cbranch_execz .LBB169_6233
; %bb.6226:
	v_and_b32_e32 v1, 0x7fffffff, v100
	s_mov_b32 vcc_lo, 0x43800000
	v_cmp_gt_u32_e32 vcc, vcc_lo, v1
	v_mov_b32_e32 v4, 0x80
	s_and_saveexec_b64 s[54:55], vcc
	s_cbranch_execz .LBB169_6232
; %bb.6227:
	s_mov_b32 vcc_lo, 0x3bffffff
	v_cmp_lt_u32_e32 vcc, vcc_lo, v1
	s_mov_b64 s[56:57], 0
                                        ; implicit-def: $vgpr1
	s_and_saveexec_b64 s[58:59], vcc
	s_xor_b64 vcc, exec, s[58:59]
	s_cbranch_execnz .LBB169_6953
; %bb.6228:
	s_or_saveexec_b64 s[58:59], vcc
                                        ; implicit-def: $sgpr60
	s_xor_b64 exec, exec, s[58:59]
	s_cbranch_execnz .LBB169_6954
.LBB169_6229:
	s_or_b64 exec, exec, s[58:59]
	v_mov_b32_e32 v4, s60
	s_and_saveexec_b64 vcc, s[56:57]
.LBB169_6230:
	v_lshrrev_b32_e32 v4, 24, v100
	s_movk_i32 s56, 0x80
	v_and_or_b32 v4, v4, s56, v1
.LBB169_6231:
	s_or_b64 exec, exec, vcc
.LBB169_6232:
	s_or_b64 exec, exec, s[54:55]
	flat_store_byte v[2:3], v4
.LBB169_6233:
	s_or_b64 exec, exec, s[52:53]
	s_or_b64 s[4:5], s[4:5], exec
.LBB169_6234:
	s_or_b64 exec, exec, s[46:47]
	s_andn2_b64 vcc, s[40:41], exec
	s_and_b64 s[46:47], s[50:51], exec
	s_or_b64 s[46:47], vcc, s[46:47]
	s_and_b64 s[4:5], s[4:5], exec
                                        ; implicit-def: $vgpr100
                                        ; implicit-def: $vgpr2_vgpr3
.LBB169_6235:
	s_andn2_saveexec_b64 s[48:49], s[48:49]
	s_cbranch_execz .LBB169_6279
; %bb.6236:
	v_mov_b32_e32 v1, 22
	v_cmp_gt_i16_sdwa vcc, v62, v1 src0_sel:BYTE_0 src1_sel:DWORD
	s_mov_b64 s[52:53], s[4:5]
	s_and_saveexec_b64 s[50:51], vcc
	s_xor_b64 s[50:51], exec, s[50:51]
	s_cbranch_execz .LBB169_6268
; %bb.6237:
	v_mov_b32_e32 v1, 23
	v_cmp_gt_i16_sdwa vcc, v62, v1 src0_sel:BYTE_0 src1_sel:DWORD
	s_and_saveexec_b64 s[52:53], vcc
	s_xor_b64 s[52:53], exec, s[52:53]
	s_cbranch_execz .LBB169_6257
; %bb.6238:
	v_mov_b32_e32 v1, 24
	v_cmp_gt_i16_sdwa vcc, v62, v1 src0_sel:BYTE_0 src1_sel:DWORD
	s_and_saveexec_b64 s[54:55], vcc
	s_xor_b64 s[54:55], exec, s[54:55]
	s_cbranch_execz .LBB169_6246
; %bb.6239:
	v_and_b32_e32 v1, 0x7fffffff, v100
	s_mov_b32 vcc_lo, 0x47800000
	v_cmp_gt_u32_e32 vcc, vcc_lo, v1
	v_mov_b32_e32 v4, 0x80
	s_and_saveexec_b64 s[56:57], vcc
	s_cbranch_execz .LBB169_6245
; %bb.6240:
	s_mov_b32 vcc_lo, 0x37ffffff
	v_cmp_lt_u32_e32 vcc, vcc_lo, v1
	s_mov_b64 s[58:59], 0
                                        ; implicit-def: $vgpr1
	s_and_saveexec_b64 s[60:61], vcc
	s_xor_b64 vcc, exec, s[60:61]
	s_cbranch_execnz .LBB169_7077
; %bb.6241:
	s_or_saveexec_b64 s[60:61], vcc
                                        ; implicit-def: $sgpr62
	s_xor_b64 exec, exec, s[60:61]
	s_cbranch_execnz .LBB169_7078
.LBB169_6242:
	s_or_b64 exec, exec, s[60:61]
	v_mov_b32_e32 v4, s62
	s_and_saveexec_b64 vcc, s[58:59]
.LBB169_6243:
	v_lshrrev_b32_e32 v4, 24, v100
	s_movk_i32 s58, 0x80
	v_and_or_b32 v4, v4, s58, v1
.LBB169_6244:
	s_or_b64 exec, exec, vcc
.LBB169_6245:
	s_or_b64 exec, exec, s[56:57]
	flat_store_byte v[2:3], v4
                                        ; implicit-def: $vgpr100
                                        ; implicit-def: $vgpr2_vgpr3
.LBB169_6246:
	s_andn2_saveexec_b64 s[54:55], s[54:55]
	s_cbranch_execz .LBB169_6256
; %bb.6247:
	v_and_b32_e32 v4, 0x7fffffff, v100
	s_mov_b32 vcc_lo, 0x43f00000
	v_cmp_gt_u32_e32 vcc, vcc_lo, v4
                                        ; implicit-def: $vgpr1
	s_and_saveexec_b64 s[56:57], vcc
	s_xor_b64 s[56:57], exec, s[56:57]
	s_cbranch_execz .LBB169_6253
; %bb.6248:
	s_mov_b32 vcc_lo, 0x3c7fffff
	v_cmp_lt_u32_e32 vcc, vcc_lo, v4
                                        ; implicit-def: $vgpr1
	s_and_saveexec_b64 s[58:59], vcc
	s_xor_b64 s[58:59], exec, s[58:59]
; %bb.6249:
	v_bfe_u32 v1, v100, 20, 1
	s_mov_b32 vcc_lo, 0x407ffff
	v_add3_u32 v1, v100, v1, vcc_lo
	v_lshrrev_b32_e32 v4, 20, v1
	v_and_b32_e32 v1, 0xff00000, v1
	s_mov_b32 vcc_lo, 0x7f00000
	v_mov_b32_e32 v5, 0x7e
	v_cmp_ne_u32_e32 vcc, vcc_lo, v1
	v_cndmask_b32_e32 v1, v5, v4, vcc
; %bb.6250:
	s_andn2_saveexec_b64 vcc, s[58:59]
; %bb.6251:
	s_mov_b32 s58, 0x46800000
	v_add_f32_e64 v1, |v100|, s58
; %bb.6252:
	s_or_b64 exec, exec, vcc
                                        ; implicit-def: $vgpr4
.LBB169_6253:
	s_andn2_saveexec_b64 s[56:57], s[56:57]
; %bb.6254:
	s_mov_b32 vcc_lo, 0x7f800000
	v_mov_b32_e32 v1, 0x7e
	v_mov_b32_e32 v5, 0x7f
	v_cmp_lt_u32_e32 vcc, vcc_lo, v4
	v_cndmask_b32_e32 v1, v1, v5, vcc
; %bb.6255:
	s_or_b64 exec, exec, s[56:57]
	v_lshrrev_b32_e32 v4, 24, v100
	s_movk_i32 vcc_lo, 0x80
	v_and_or_b32 v1, v4, vcc_lo, v1
	flat_store_byte v[2:3], v1
.LBB169_6256:
	s_or_b64 exec, exec, s[54:55]
                                        ; implicit-def: $vgpr100
                                        ; implicit-def: $vgpr2_vgpr3
.LBB169_6257:
	s_andn2_saveexec_b64 s[52:53], s[52:53]
	s_cbranch_execz .LBB169_6267
; %bb.6258:
	v_and_b32_e32 v4, 0x7fffffff, v100
	s_mov_b32 vcc_lo, 0x47800000
	v_cmp_gt_u32_e32 vcc, vcc_lo, v4
                                        ; implicit-def: $vgpr1
	s_and_saveexec_b64 s[54:55], vcc
	s_xor_b64 s[54:55], exec, s[54:55]
	s_cbranch_execz .LBB169_6264
; %bb.6259:
	s_mov_b32 vcc_lo, 0x387fffff
	v_cmp_lt_u32_e32 vcc, vcc_lo, v4
                                        ; implicit-def: $vgpr1
	s_and_saveexec_b64 s[56:57], vcc
	s_xor_b64 vcc, exec, s[56:57]
; %bb.6260:
	v_bfe_u32 v1, v100, 21, 1
	s_mov_b32 s56, 0x80fffff
	v_add3_u32 v1, v100, v1, s56
	v_lshrrev_b32_e32 v1, 21, v1
; %bb.6261:
	s_andn2_saveexec_b64 vcc, vcc
; %bb.6262:
	s_mov_b32 s56, 0x43000000
	v_add_f32_e64 v1, |v100|, s56
; %bb.6263:
	s_or_b64 exec, exec, vcc
                                        ; implicit-def: $vgpr4
.LBB169_6264:
	s_andn2_saveexec_b64 s[54:55], s[54:55]
; %bb.6265:
	s_mov_b32 vcc_lo, 0x7f800000
	v_mov_b32_e32 v1, 0x7c
	v_mov_b32_e32 v5, 0x7f
	v_cmp_lt_u32_e32 vcc, vcc_lo, v4
	v_cndmask_b32_e32 v1, v1, v5, vcc
; %bb.6266:
	s_or_b64 exec, exec, s[54:55]
	v_lshrrev_b32_e32 v4, 24, v100
	s_movk_i32 vcc_lo, 0x80
	v_and_or_b32 v1, v4, vcc_lo, v1
	flat_store_byte v[2:3], v1
.LBB169_6267:
	s_or_b64 exec, exec, s[52:53]
	s_or_b64 s[52:53], s[4:5], exec
                                        ; implicit-def: $vgpr100
                                        ; implicit-def: $vgpr2_vgpr3
.LBB169_6268:
	s_or_saveexec_b64 s[50:51], s[50:51]
	s_mov_b64 vcc, s[46:47]
	s_xor_b64 exec, exec, s[50:51]
	s_cbranch_execz .LBB169_6278
; %bb.6269:
	v_mov_b32_e32 v1, 14
	v_cmp_gt_i16_sdwa vcc, v62, v1 src0_sel:BYTE_0 src1_sel:DWORD
	s_mov_b64 s[54:55], s[52:53]
	s_mov_b64 s[56:57], s[46:47]
	s_and_saveexec_b64 s[58:59], vcc
	s_xor_b64 s[58:59], exec, s[58:59]
	s_cbranch_execz .LBB169_6273
; %bb.6270:
	v_mov_b32_e32 v1, 15
	v_cmp_eq_u16_sdwa s[60:61], v62, v1 src0_sel:BYTE_0 src1_sel:DWORD
	s_mov_b64 s[56:57], -1
	s_mov_b64 vcc, s[52:53]
	s_and_saveexec_b64 s[54:55], s[60:61]
	s_cbranch_execz .LBB169_6272
; %bb.6271:
	v_bfe_u32 v1, v100, 16, 1
	s_movk_i32 vcc_lo, 0x7fff
	v_add3_u32 v1, v100, v1, vcc_lo
	v_lshrrev_b32_e32 v1, 16, v1
	v_mov_b32_e32 v4, 0x7fc0
	v_cmp_o_f32_e32 vcc, v100, v100
	v_cndmask_b32_e32 v1, v4, v1, vcc
	flat_store_short v[2:3], v1
	s_xor_b64 s[56:57], exec, -1
	s_or_b64 vcc, s[52:53], exec
.LBB169_6272:
	s_or_b64 exec, exec, s[54:55]
	s_andn2_b64 s[54:55], s[46:47], exec
	s_and_b64 s[56:57], s[56:57], exec
	s_or_b64 s[56:57], s[54:55], s[56:57]
	s_andn2_b64 s[54:55], s[52:53], exec
	s_and_b64 vcc, vcc, exec
	s_or_b64 s[54:55], s[54:55], vcc
                                        ; implicit-def: $vgpr100
                                        ; implicit-def: $vgpr2_vgpr3
.LBB169_6273:
	s_andn2_saveexec_b64 s[58:59], s[58:59]
	s_cbranch_execz .LBB169_6277
; %bb.6274:
	v_mov_b32_e32 v1, 11
	v_cmp_eq_u16_sdwa s[64:65], v62, v1 src0_sel:BYTE_0 src1_sel:DWORD
	s_mov_b64 s[60:61], -1
	s_mov_b64 vcc, s[54:55]
	s_and_saveexec_b64 s[62:63], s[64:65]
	s_cbranch_execz .LBB169_6276
; %bb.6275:
	v_cmp_neq_f32_e32 vcc, 0, v100
	v_cndmask_b32_e64 v1, 0, 1, vcc
	flat_store_byte v[2:3], v1
	s_xor_b64 s[60:61], exec, -1
	s_or_b64 vcc, s[54:55], exec
.LBB169_6276:
	s_or_b64 exec, exec, s[62:63]
	s_andn2_b64 s[56:57], s[56:57], exec
	s_and_b64 s[60:61], s[60:61], exec
	s_andn2_b64 s[54:55], s[54:55], exec
	s_and_b64 vcc, vcc, exec
	s_or_b64 s[56:57], s[56:57], s[60:61]
	s_or_b64 s[54:55], s[54:55], vcc
.LBB169_6277:
	s_or_b64 exec, exec, s[58:59]
	s_andn2_b64 vcc, s[46:47], exec
	s_and_b64 s[56:57], s[56:57], exec
	s_andn2_b64 s[52:53], s[52:53], exec
	s_and_b64 s[54:55], s[54:55], exec
	s_or_b64 vcc, vcc, s[56:57]
	s_or_b64 s[52:53], s[52:53], s[54:55]
.LBB169_6278:
	s_or_b64 exec, exec, s[50:51]
	s_andn2_b64 s[46:47], s[46:47], exec
	s_and_b64 vcc, vcc, exec
	s_or_b64 s[46:47], s[46:47], vcc
	s_andn2_b64 s[4:5], s[4:5], exec
	s_and_b64 vcc, s[52:53], exec
	s_or_b64 s[4:5], s[4:5], vcc
.LBB169_6279:
	s_or_b64 exec, exec, s[48:49]
	s_andn2_b64 vcc, s[40:41], exec
	s_and_b64 s[46:47], s[46:47], exec
	s_or_b64 s[46:47], vcc, s[46:47]
	s_and_b64 s[4:5], s[4:5], exec
                                        ; implicit-def: $vgpr100
                                        ; implicit-def: $vgpr2_vgpr3
	s_andn2_saveexec_b64 s[42:43], s[42:43]
	s_cbranch_execz .LBB169_3930
.LBB169_6280:
	v_mov_b32_e32 v1, 4
	v_cmp_gt_i16_sdwa vcc, v62, v1 src0_sel:BYTE_0 src1_sel:DWORD
	s_and_saveexec_b64 s[48:49], vcc
	s_xor_b64 vcc, exec, s[48:49]
	s_cbranch_execz .LBB169_6302
; %bb.6281:
	v_mov_b32_e32 v1, 7
	v_cmp_gt_i16_sdwa s[48:49], v62, v1 src0_sel:BYTE_0 src1_sel:DWORD
	s_and_saveexec_b64 s[50:51], s[48:49]
	s_xor_b64 s[48:49], exec, s[50:51]
	s_cbranch_execz .LBB169_6291
; %bb.6282:
	v_mov_b32_e32 v1, 8
	v_cmp_gt_i16_sdwa s[50:51], v62, v1 src0_sel:BYTE_0 src1_sel:DWORD
	s_and_saveexec_b64 s[52:53], s[50:51]
	s_xor_b64 s[50:51], exec, s[52:53]
	;; [unrolled: 6-line block ×3, first 2 shown]
	s_cbranch_execz .LBB169_6285
; %bb.6284:
	v_mov_b32_e32 v6, 0
	v_cvt_f64_f32_e32 v[4:5], v100
	v_mov_b32_e32 v7, v6
	flat_store_dwordx4 v[2:3], v[4:7]
                                        ; implicit-def: $vgpr100
                                        ; implicit-def: $vgpr2_vgpr3
.LBB169_6285:
	s_andn2_saveexec_b64 s[52:53], s[52:53]
	s_cbranch_execz .LBB169_6287
; %bb.6286:
	v_mov_b32_e32 v101, 0
	flat_store_dwordx2 v[2:3], v[100:101]
.LBB169_6287:
	s_or_b64 exec, exec, s[52:53]
                                        ; implicit-def: $vgpr100
                                        ; implicit-def: $vgpr2_vgpr3
.LBB169_6288:
	s_andn2_saveexec_b64 s[50:51], s[50:51]
	s_cbranch_execz .LBB169_6290
; %bb.6289:
	v_cvt_f16_f32_e32 v1, v100
	flat_store_dword v[2:3], v1
.LBB169_6290:
	s_or_b64 exec, exec, s[50:51]
                                        ; implicit-def: $vgpr100
                                        ; implicit-def: $vgpr2_vgpr3
.LBB169_6291:
	s_andn2_saveexec_b64 s[48:49], s[48:49]
	s_cbranch_execz .LBB169_6301
; %bb.6292:
	v_mov_b32_e32 v1, 5
	v_cmp_gt_i16_sdwa s[50:51], v62, v1 src0_sel:BYTE_0 src1_sel:DWORD
	s_and_saveexec_b64 s[52:53], s[50:51]
	s_xor_b64 s[50:51], exec, s[52:53]
	s_cbranch_execz .LBB169_6298
; %bb.6293:
	v_mov_b32_e32 v1, 6
	v_cmp_gt_i16_sdwa s[52:53], v62, v1 src0_sel:BYTE_0 src1_sel:DWORD
	s_and_saveexec_b64 s[54:55], s[52:53]
	s_xor_b64 s[52:53], exec, s[54:55]
	s_cbranch_execz .LBB169_6295
; %bb.6294:
	v_cvt_f64_f32_e32 v[4:5], v100
	flat_store_dwordx2 v[2:3], v[4:5]
                                        ; implicit-def: $vgpr2_vgpr3
                                        ; implicit-def: $vgpr100
.LBB169_6295:
	s_andn2_saveexec_b64 s[52:53], s[52:53]
	s_cbranch_execz .LBB169_6297
; %bb.6296:
	flat_store_dword v[2:3], v100
.LBB169_6297:
	s_or_b64 exec, exec, s[52:53]
                                        ; implicit-def: $vgpr100
                                        ; implicit-def: $vgpr2_vgpr3
.LBB169_6298:
	s_andn2_saveexec_b64 s[50:51], s[50:51]
	s_cbranch_execz .LBB169_6300
; %bb.6299:
	v_cvt_f16_f32_e32 v1, v100
	flat_store_short v[2:3], v1
.LBB169_6300:
	s_or_b64 exec, exec, s[50:51]
.LBB169_6301:
	s_or_b64 exec, exec, s[48:49]
                                        ; implicit-def: $vgpr100
                                        ; implicit-def: $vgpr2_vgpr3
.LBB169_6302:
	s_andn2_saveexec_b64 s[48:49], vcc
	s_cbranch_execz .LBB169_6320
; %bb.6303:
	v_mov_b32_e32 v1, 1
	v_cmp_gt_i16_sdwa vcc, v62, v1 src0_sel:BYTE_0 src1_sel:DWORD
	s_and_saveexec_b64 s[50:51], vcc
	s_xor_b64 s[50:51], exec, s[50:51]
	s_cbranch_execz .LBB169_6313
; %bb.6304:
	v_mov_b32_e32 v1, 2
	v_cmp_gt_i16_sdwa vcc, v62, v1 src0_sel:BYTE_0 src1_sel:DWORD
	s_and_saveexec_b64 s[52:53], vcc
	s_xor_b64 s[52:53], exec, s[52:53]
	;; [unrolled: 6-line block ×3, first 2 shown]
	s_cbranch_execz .LBB169_6307
; %bb.6306:
	v_trunc_f32_e32 v1, v100
	s_mov_b32 s56, 0x2f800000
	v_mul_f32_e64 v4, |v1|, s56
	v_floor_f32_e32 v4, v4
	s_mov_b32 s56, 0xcf800000
	v_cvt_u32_f32_e32 v5, v4
	v_fma_f32 v4, v4, s56, |v1|
	v_cvt_u32_f32_e32 v4, v4
	v_ashrrev_i32_e32 v1, 31, v1
	v_xor_b32_e32 v5, v5, v1
                                        ; implicit-def: $vgpr100
	v_xor_b32_e32 v4, v4, v1
	v_sub_co_u32_e32 v4, vcc, v4, v1
	v_subb_co_u32_e32 v5, vcc, v5, v1, vcc
	flat_store_dwordx2 v[2:3], v[4:5]
                                        ; implicit-def: $vgpr2_vgpr3
.LBB169_6307:
	s_andn2_saveexec_b64 vcc, s[54:55]
	s_cbranch_execz .LBB169_6309
; %bb.6308:
	v_cvt_i32_f32_e32 v1, v100
	flat_store_dword v[2:3], v1
.LBB169_6309:
	s_or_b64 exec, exec, vcc
                                        ; implicit-def: $vgpr100
                                        ; implicit-def: $vgpr2_vgpr3
.LBB169_6310:
	s_andn2_saveexec_b64 vcc, s[52:53]
	s_cbranch_execz .LBB169_6312
; %bb.6311:
	v_cvt_i32_f32_e32 v1, v100
	flat_store_short v[2:3], v1
.LBB169_6312:
	s_or_b64 exec, exec, vcc
                                        ; implicit-def: $vgpr100
                                        ; implicit-def: $vgpr2_vgpr3
.LBB169_6313:
	s_andn2_saveexec_b64 vcc, s[50:51]
	s_cbranch_execz .LBB169_6319
; %bb.6314:
	v_mov_b32_e32 v1, 0
	v_cmp_gt_i16_sdwa s[50:51], v62, v1 src0_sel:BYTE_0 src1_sel:DWORD
	s_and_saveexec_b64 s[52:53], s[50:51]
	s_xor_b64 s[50:51], exec, s[52:53]
	s_cbranch_execz .LBB169_6316
; %bb.6315:
	v_cvt_i32_f32_e32 v1, v100
                                        ; implicit-def: $vgpr100
	flat_store_byte v[2:3], v1
                                        ; implicit-def: $vgpr2_vgpr3
.LBB169_6316:
	s_andn2_saveexec_b64 s[50:51], s[50:51]
	s_cbranch_execz .LBB169_6318
; %bb.6317:
	v_trunc_f32_e32 v1, v100
	s_mov_b32 s52, 0x2f800000
	v_mul_f32_e64 v4, |v1|, s52
	v_floor_f32_e32 v4, v4
	s_mov_b32 s52, 0xcf800000
	v_fma_f32 v4, v4, s52, |v1|
	v_cvt_u32_f32_e32 v4, v4
	v_ashrrev_i32_e32 v1, 31, v1
	v_xor_b32_e32 v4, v4, v1
	v_sub_u32_e32 v1, v4, v1
	flat_store_byte v[2:3], v1
.LBB169_6318:
	s_or_b64 exec, exec, s[50:51]
.LBB169_6319:
	s_or_b64 exec, exec, vcc
.LBB169_6320:
	s_or_b64 exec, exec, s[48:49]
	s_or_b64 s[4:5], s[4:5], exec
	s_or_b64 exec, exec, s[42:43]
	s_mov_b64 vcc, 0
	s_and_saveexec_b64 s[42:43], s[4:5]
	s_cbranch_execnz .LBB169_3931
	s_branch .LBB169_3932
.LBB169_6321:
	v_bfe_u32 v1, v40, 21, 1
	s_mov_b32 s54, 0x88fffff
	v_add3_u32 v1, v40, v1, s54
	s_mov_b64 s[52:53], exec
	v_lshrrev_b32_e32 v1, 21, v1
	s_or_saveexec_b64 s[54:55], vcc
                                        ; implicit-def: $sgpr56
	s_xor_b64 exec, exec, s[54:55]
	s_cbranch_execz .LBB169_5488
.LBB169_6322:
	s_mov_b32 s56, 0x42800000
	v_add_f32_e64 v1, |v40|, s56
	v_and_b32_e32 v1, 0xff, v1
	v_cmp_ne_u32_e32 vcc, 0, v1
	s_andn2_b64 s[52:53], s[52:53], exec
	s_and_b64 vcc, vcc, exec
	s_mov_b32 s56, 0
	s_or_b64 s[52:53], s[52:53], vcc
	s_or_b64 exec, exec, s[54:55]
	v_mov_b32_e32 v4, s56
	s_and_saveexec_b64 vcc, s[52:53]
	s_cbranch_execnz .LBB169_5489
	s_branch .LBB169_5490
.LBB169_6323:
	v_bfe_u32 v1, v118, 20, 1
	s_mov_b32 s56, 0x487ffff
	v_add3_u32 v1, v118, v1, s56
	s_mov_b64 s[54:55], exec
	v_lshrrev_b32_e32 v1, 20, v1
	s_or_saveexec_b64 s[56:57], vcc
                                        ; implicit-def: $sgpr58
	s_xor_b64 exec, exec, s[56:57]
	s_cbranch_execz .LBB169_5599
.LBB169_6324:
	s_mov_b32 s58, 0x46000000
	v_add_f32_e64 v1, |v118|, s58
	v_and_b32_e32 v1, 0xff, v1
	v_cmp_ne_u32_e32 vcc, 0, v1
	s_andn2_b64 s[54:55], s[54:55], exec
	s_and_b64 vcc, vcc, exec
	s_mov_b32 s58, 0
	s_or_b64 s[54:55], s[54:55], vcc
	s_or_b64 exec, exec, s[56:57]
	v_mov_b32_e32 v4, s58
	s_and_saveexec_b64 vcc, s[54:55]
	s_cbranch_execnz .LBB169_5600
	s_branch .LBB169_5601
.LBB169_6325:
	v_mov_b32_e32 v1, 25
	v_cmp_gt_i16_sdwa vcc, v62, v1 src0_sel:BYTE_0 src1_sel:DWORD
	s_mov_b64 s[50:51], s[42:43]
	s_and_saveexec_b64 s[52:53], vcc
	s_xor_b64 s[52:53], exec, s[52:53]
	s_cbranch_execz .LBB169_6361
; %bb.6326:
	v_mov_b32_e32 v1, 28
	v_cmp_gt_i16_sdwa vcc, v62, v1 src0_sel:BYTE_0 src1_sel:DWORD
	s_mov_b64 s[54:55], s[42:43]
	s_and_saveexec_b64 s[50:51], vcc
	s_xor_b64 s[50:51], exec, s[50:51]
	s_cbranch_execz .LBB169_6344
; %bb.6327:
	v_mov_b32_e32 v1, 43
	v_cmp_gt_i16_sdwa s[54:55], v62, v1 src0_sel:BYTE_0 src1_sel:DWORD
	s_mov_b64 vcc, s[42:43]
	s_and_saveexec_b64 s[56:57], s[54:55]
	s_xor_b64 s[54:55], exec, s[56:57]
	s_cbranch_execz .LBB169_6339
; %bb.6328:
	v_mov_b32_e32 v1, 45
	v_cmp_gt_i16_sdwa s[4:5], v62, v1 src0_sel:BYTE_0 src1_sel:DWORD
	s_mov_b64 s[56:57], 0
	s_mov_b64 s[58:59], s[42:43]
	s_and_saveexec_b64 vcc, s[4:5]
	s_xor_b64 s[4:5], exec, vcc
	s_cbranch_execz .LBB169_6332
; %bb.6329:
	v_mov_b32_e32 v1, 46
	v_cmp_eq_u16_sdwa s[60:61], v62, v1 src0_sel:BYTE_0 src1_sel:DWORD
	s_mov_b64 vcc, -1
	s_and_saveexec_b64 s[58:59], s[60:61]
	s_cbranch_execz .LBB169_6331
; %bb.6330:
	v_bfe_u32 v1, v98, 16, 1
	s_movk_i32 vcc_lo, 0x7fff
	v_add3_u32 v1, v98, v1, vcc_lo
	v_lshrrev_b32_e32 v1, 16, v1
	v_mov_b32_e32 v4, 0x7fc0
	v_cmp_o_f32_e32 vcc, v98, v98
	v_cndmask_b32_e32 v1, v4, v1, vcc
	s_mov_b64 s[56:57], exec
	flat_store_dword v[2:3], v1
	s_xor_b64 vcc, exec, -1
.LBB169_6331:
	s_or_b64 exec, exec, s[58:59]
	s_andn2_b64 s[58:59], s[42:43], exec
	s_and_b64 vcc, vcc, exec
	s_or_b64 s[58:59], s[58:59], vcc
	s_and_b64 s[56:57], s[56:57], exec
                                        ; implicit-def: $vgpr2_vgpr3
                                        ; implicit-def: $vgpr98
.LBB169_6332:
	s_andn2_saveexec_b64 s[60:61], s[4:5]
	s_cbranch_execz .LBB169_6338
; %bb.6333:
	v_mov_b32_e32 v1, 44
	v_cmp_eq_u16_sdwa s[64:65], v62, v1 src0_sel:BYTE_0 src1_sel:DWORD
	s_mov_b64 vcc, -1
	s_mov_b64 s[4:5], s[56:57]
	s_and_saveexec_b64 s[62:63], s[64:65]
	s_cbranch_execz .LBB169_6337
; %bb.6334:
	v_bfe_u32 v1, v98, 23, 8
	s_movk_i32 s4, 0xff
	v_cmp_ne_u32_e32 vcc, s4, v1
	v_mov_b32_e32 v4, 0xff
	s_and_saveexec_b64 s[64:65], vcc
; %bb.6335:
	s_mov_b32 s4, 0x3fffff
	v_and_b32_e32 v5, 0x400000, v98
	v_and_or_b32 v1, v98, s4, v1
	v_cmp_ne_u32_e32 vcc, 0, v5
	v_cmp_ne_u32_e64 s[4:5], 0, v1
	s_and_b64 s[4:5], vcc, s[4:5]
	v_lshrrev_b32_e32 v4, 23, v98
	v_cndmask_b32_e64 v1, 0, 1, s[4:5]
	v_add_u32_e32 v4, v4, v1
; %bb.6336:
	s_or_b64 exec, exec, s[64:65]
	s_xor_b64 vcc, exec, -1
	s_or_b64 s[4:5], s[56:57], exec
	flat_store_byte v[2:3], v4
.LBB169_6337:
	s_or_b64 exec, exec, s[62:63]
	s_andn2_b64 s[58:59], s[58:59], exec
	s_and_b64 vcc, vcc, exec
	s_or_b64 s[58:59], s[58:59], vcc
	s_andn2_b64 vcc, s[56:57], exec
	s_and_b64 s[4:5], s[4:5], exec
	s_or_b64 s[56:57], vcc, s[4:5]
.LBB169_6338:
	s_or_b64 exec, exec, s[60:61]
	s_andn2_b64 s[4:5], s[42:43], exec
	s_and_b64 vcc, s[58:59], exec
	s_or_b64 vcc, s[4:5], vcc
	s_and_b64 s[4:5], s[56:57], exec
                                        ; implicit-def: $vgpr98
                                        ; implicit-def: $vgpr2_vgpr3
.LBB169_6339:
	s_andn2_saveexec_b64 s[54:55], s[54:55]
	s_cbranch_execz .LBB169_6343
; %bb.6340:
	v_mov_b32_e32 v1, 29
	v_cmp_eq_u16_sdwa s[62:63], v62, v1 src0_sel:BYTE_0 src1_sel:DWORD
	s_mov_b64 s[60:61], -1
	s_mov_b64 s[58:59], s[4:5]
	s_and_saveexec_b64 s[56:57], s[62:63]
	s_cbranch_execz .LBB169_6342
; %bb.6341:
	v_trunc_f32_e32 v1, v98
	v_mul_f32_e32 v4, 0x2f800000, v1
	v_floor_f32_e32 v4, v4
	v_fmac_f32_e32 v1, 0xcf800000, v4
	v_cvt_u32_f32_e32 v5, v4
	v_cvt_u32_f32_e32 v4, v1
	s_xor_b64 s[60:61], exec, -1
	s_or_b64 s[58:59], s[4:5], exec
	flat_store_dwordx2 v[2:3], v[4:5]
.LBB169_6342:
	s_or_b64 exec, exec, s[56:57]
	s_andn2_b64 vcc, vcc, exec
	s_and_b64 s[56:57], s[60:61], exec
	s_or_b64 vcc, vcc, s[56:57]
	s_andn2_b64 s[4:5], s[4:5], exec
	s_and_b64 s[56:57], s[58:59], exec
	s_or_b64 s[4:5], s[4:5], s[56:57]
.LBB169_6343:
	s_or_b64 exec, exec, s[54:55]
	s_andn2_b64 s[54:55], s[42:43], exec
	s_and_b64 vcc, vcc, exec
	s_or_b64 s[54:55], s[54:55], vcc
	s_and_b64 s[4:5], s[4:5], exec
                                        ; implicit-def: $vgpr2_vgpr3
                                        ; implicit-def: $vgpr98
.LBB169_6344:
	s_andn2_saveexec_b64 s[50:51], s[50:51]
	s_cbranch_execz .LBB169_6360
; %bb.6345:
	v_mov_b32_e32 v1, 26
	v_cmp_gt_i16_sdwa vcc, v62, v1 src0_sel:BYTE_0 src1_sel:DWORD
	s_and_saveexec_b64 s[56:57], vcc
	s_xor_b64 vcc, exec, s[56:57]
	s_cbranch_execz .LBB169_6351
; %bb.6346:
	v_cvt_u32_f32_e32 v1, v98
	v_mov_b32_e32 v4, 27
	v_cmp_gt_i16_sdwa s[56:57], v62, v4 src0_sel:BYTE_0 src1_sel:DWORD
	s_and_saveexec_b64 s[58:59], s[56:57]
	s_xor_b64 s[56:57], exec, s[58:59]
	s_cbranch_execz .LBB169_6348
; %bb.6347:
	flat_store_dword v[2:3], v1
                                        ; implicit-def: $vgpr2_vgpr3
                                        ; implicit-def: $vgpr1
.LBB169_6348:
	s_andn2_saveexec_b64 s[56:57], s[56:57]
	s_cbranch_execz .LBB169_6350
; %bb.6349:
	flat_store_short v[2:3], v1
.LBB169_6350:
	s_or_b64 exec, exec, s[56:57]
                                        ; implicit-def: $vgpr2_vgpr3
                                        ; implicit-def: $vgpr98
.LBB169_6351:
	s_andn2_saveexec_b64 s[56:57], vcc
	s_cbranch_execz .LBB169_6359
; %bb.6352:
	v_and_b32_e32 v1, 0x7fffffff, v98
	s_mov_b32 vcc_lo, 0x43800000
	v_cmp_gt_u32_e32 vcc, vcc_lo, v1
	v_mov_b32_e32 v4, 0x80
	s_and_saveexec_b64 s[58:59], vcc
	s_cbranch_execz .LBB169_6358
; %bb.6353:
	s_mov_b32 vcc_lo, 0x3bffffff
	v_cmp_lt_u32_e32 vcc, vcc_lo, v1
	s_mov_b64 s[60:61], 0
                                        ; implicit-def: $vgpr1
	s_and_saveexec_b64 s[62:63], vcc
	s_xor_b64 vcc, exec, s[62:63]
	s_cbranch_execnz .LBB169_7079
; %bb.6354:
	s_or_saveexec_b64 s[62:63], vcc
                                        ; implicit-def: $sgpr64
	s_xor_b64 exec, exec, s[62:63]
	s_cbranch_execnz .LBB169_7080
.LBB169_6355:
	s_or_b64 exec, exec, s[62:63]
	v_mov_b32_e32 v4, s64
	s_and_saveexec_b64 vcc, s[60:61]
.LBB169_6356:
	v_lshrrev_b32_e32 v4, 24, v98
	s_movk_i32 s60, 0x80
	v_and_or_b32 v4, v4, s60, v1
.LBB169_6357:
	s_or_b64 exec, exec, vcc
.LBB169_6358:
	s_or_b64 exec, exec, s[58:59]
	flat_store_byte v[2:3], v4
.LBB169_6359:
	s_or_b64 exec, exec, s[56:57]
	s_or_b64 s[4:5], s[4:5], exec
.LBB169_6360:
	s_or_b64 exec, exec, s[50:51]
	s_andn2_b64 vcc, s[42:43], exec
	s_and_b64 s[50:51], s[54:55], exec
	s_or_b64 s[50:51], vcc, s[50:51]
	s_and_b64 s[4:5], s[4:5], exec
                                        ; implicit-def: $vgpr98
                                        ; implicit-def: $vgpr2_vgpr3
.LBB169_6361:
	s_andn2_saveexec_b64 s[52:53], s[52:53]
	s_cbranch_execz .LBB169_6405
; %bb.6362:
	v_mov_b32_e32 v1, 22
	v_cmp_gt_i16_sdwa vcc, v62, v1 src0_sel:BYTE_0 src1_sel:DWORD
	s_mov_b64 s[56:57], s[4:5]
	s_and_saveexec_b64 s[54:55], vcc
	s_xor_b64 s[54:55], exec, s[54:55]
	s_cbranch_execz .LBB169_6394
; %bb.6363:
	v_mov_b32_e32 v1, 23
	v_cmp_gt_i16_sdwa vcc, v62, v1 src0_sel:BYTE_0 src1_sel:DWORD
	s_and_saveexec_b64 s[56:57], vcc
	s_xor_b64 s[56:57], exec, s[56:57]
	s_cbranch_execz .LBB169_6383
; %bb.6364:
	v_mov_b32_e32 v1, 24
	v_cmp_gt_i16_sdwa vcc, v62, v1 src0_sel:BYTE_0 src1_sel:DWORD
	s_and_saveexec_b64 s[58:59], vcc
	s_xor_b64 s[58:59], exec, s[58:59]
	s_cbranch_execz .LBB169_6372
; %bb.6365:
	v_and_b32_e32 v1, 0x7fffffff, v98
	s_mov_b32 vcc_lo, 0x47800000
	v_cmp_gt_u32_e32 vcc, vcc_lo, v1
	v_mov_b32_e32 v4, 0x80
	s_and_saveexec_b64 s[60:61], vcc
	s_cbranch_execz .LBB169_6371
; %bb.6366:
	s_mov_b32 vcc_lo, 0x37ffffff
	v_cmp_lt_u32_e32 vcc, vcc_lo, v1
	s_mov_b64 s[62:63], 0
                                        ; implicit-def: $vgpr1
	s_and_saveexec_b64 s[64:65], vcc
	s_xor_b64 vcc, exec, s[64:65]
	s_cbranch_execnz .LBB169_7203
; %bb.6367:
	s_or_saveexec_b64 s[64:65], vcc
                                        ; implicit-def: $sgpr66
	s_xor_b64 exec, exec, s[64:65]
	s_cbranch_execnz .LBB169_7204
.LBB169_6368:
	s_or_b64 exec, exec, s[64:65]
	v_mov_b32_e32 v4, s66
	s_and_saveexec_b64 vcc, s[62:63]
.LBB169_6369:
	v_lshrrev_b32_e32 v4, 24, v98
	s_movk_i32 s62, 0x80
	v_and_or_b32 v4, v4, s62, v1
.LBB169_6370:
	s_or_b64 exec, exec, vcc
.LBB169_6371:
	s_or_b64 exec, exec, s[60:61]
	flat_store_byte v[2:3], v4
                                        ; implicit-def: $vgpr98
                                        ; implicit-def: $vgpr2_vgpr3
.LBB169_6372:
	s_andn2_saveexec_b64 s[58:59], s[58:59]
	s_cbranch_execz .LBB169_6382
; %bb.6373:
	v_and_b32_e32 v4, 0x7fffffff, v98
	s_mov_b32 vcc_lo, 0x43f00000
	v_cmp_gt_u32_e32 vcc, vcc_lo, v4
                                        ; implicit-def: $vgpr1
	s_and_saveexec_b64 s[60:61], vcc
	s_xor_b64 s[60:61], exec, s[60:61]
	s_cbranch_execz .LBB169_6379
; %bb.6374:
	s_mov_b32 vcc_lo, 0x3c7fffff
	v_cmp_lt_u32_e32 vcc, vcc_lo, v4
                                        ; implicit-def: $vgpr1
	s_and_saveexec_b64 s[62:63], vcc
	s_xor_b64 s[62:63], exec, s[62:63]
; %bb.6375:
	v_bfe_u32 v1, v98, 20, 1
	s_mov_b32 vcc_lo, 0x407ffff
	v_add3_u32 v1, v98, v1, vcc_lo
	v_lshrrev_b32_e32 v4, 20, v1
	v_and_b32_e32 v1, 0xff00000, v1
	s_mov_b32 vcc_lo, 0x7f00000
	v_mov_b32_e32 v5, 0x7e
	v_cmp_ne_u32_e32 vcc, vcc_lo, v1
	v_cndmask_b32_e32 v1, v5, v4, vcc
; %bb.6376:
	s_andn2_saveexec_b64 vcc, s[62:63]
; %bb.6377:
	s_mov_b32 s62, 0x46800000
	v_add_f32_e64 v1, |v98|, s62
; %bb.6378:
	s_or_b64 exec, exec, vcc
                                        ; implicit-def: $vgpr4
.LBB169_6379:
	s_andn2_saveexec_b64 s[60:61], s[60:61]
; %bb.6380:
	s_mov_b32 vcc_lo, 0x7f800000
	v_mov_b32_e32 v1, 0x7e
	v_mov_b32_e32 v5, 0x7f
	v_cmp_lt_u32_e32 vcc, vcc_lo, v4
	v_cndmask_b32_e32 v1, v1, v5, vcc
; %bb.6381:
	s_or_b64 exec, exec, s[60:61]
	v_lshrrev_b32_e32 v4, 24, v98
	s_movk_i32 vcc_lo, 0x80
	v_and_or_b32 v1, v4, vcc_lo, v1
	flat_store_byte v[2:3], v1
.LBB169_6382:
	s_or_b64 exec, exec, s[58:59]
                                        ; implicit-def: $vgpr98
                                        ; implicit-def: $vgpr2_vgpr3
.LBB169_6383:
	s_andn2_saveexec_b64 s[56:57], s[56:57]
	s_cbranch_execz .LBB169_6393
; %bb.6384:
	v_and_b32_e32 v4, 0x7fffffff, v98
	s_mov_b32 vcc_lo, 0x47800000
	v_cmp_gt_u32_e32 vcc, vcc_lo, v4
                                        ; implicit-def: $vgpr1
	s_and_saveexec_b64 s[58:59], vcc
	s_xor_b64 s[58:59], exec, s[58:59]
	s_cbranch_execz .LBB169_6390
; %bb.6385:
	s_mov_b32 vcc_lo, 0x387fffff
	v_cmp_lt_u32_e32 vcc, vcc_lo, v4
                                        ; implicit-def: $vgpr1
	s_and_saveexec_b64 s[60:61], vcc
	s_xor_b64 vcc, exec, s[60:61]
; %bb.6386:
	v_bfe_u32 v1, v98, 21, 1
	s_mov_b32 s60, 0x80fffff
	v_add3_u32 v1, v98, v1, s60
	v_lshrrev_b32_e32 v1, 21, v1
; %bb.6387:
	s_andn2_saveexec_b64 vcc, vcc
; %bb.6388:
	s_mov_b32 s60, 0x43000000
	v_add_f32_e64 v1, |v98|, s60
; %bb.6389:
	s_or_b64 exec, exec, vcc
                                        ; implicit-def: $vgpr4
.LBB169_6390:
	s_andn2_saveexec_b64 s[58:59], s[58:59]
; %bb.6391:
	s_mov_b32 vcc_lo, 0x7f800000
	v_mov_b32_e32 v1, 0x7c
	v_mov_b32_e32 v5, 0x7f
	v_cmp_lt_u32_e32 vcc, vcc_lo, v4
	v_cndmask_b32_e32 v1, v1, v5, vcc
; %bb.6392:
	s_or_b64 exec, exec, s[58:59]
	v_lshrrev_b32_e32 v4, 24, v98
	s_movk_i32 vcc_lo, 0x80
	v_and_or_b32 v1, v4, vcc_lo, v1
	flat_store_byte v[2:3], v1
.LBB169_6393:
	s_or_b64 exec, exec, s[56:57]
	s_or_b64 s[56:57], s[4:5], exec
                                        ; implicit-def: $vgpr98
                                        ; implicit-def: $vgpr2_vgpr3
.LBB169_6394:
	s_or_saveexec_b64 s[54:55], s[54:55]
	s_mov_b64 vcc, s[50:51]
	s_xor_b64 exec, exec, s[54:55]
	s_cbranch_execz .LBB169_6404
; %bb.6395:
	v_mov_b32_e32 v1, 14
	v_cmp_gt_i16_sdwa vcc, v62, v1 src0_sel:BYTE_0 src1_sel:DWORD
	s_mov_b64 s[58:59], s[56:57]
	s_mov_b64 s[60:61], s[50:51]
	s_and_saveexec_b64 s[62:63], vcc
	s_xor_b64 s[62:63], exec, s[62:63]
	s_cbranch_execz .LBB169_6399
; %bb.6396:
	v_mov_b32_e32 v1, 15
	v_cmp_eq_u16_sdwa s[64:65], v62, v1 src0_sel:BYTE_0 src1_sel:DWORD
	s_mov_b64 s[60:61], -1
	s_mov_b64 vcc, s[56:57]
	s_and_saveexec_b64 s[58:59], s[64:65]
	s_cbranch_execz .LBB169_6398
; %bb.6397:
	v_bfe_u32 v1, v98, 16, 1
	s_movk_i32 vcc_lo, 0x7fff
	v_add3_u32 v1, v98, v1, vcc_lo
	v_lshrrev_b32_e32 v1, 16, v1
	v_mov_b32_e32 v4, 0x7fc0
	v_cmp_o_f32_e32 vcc, v98, v98
	v_cndmask_b32_e32 v1, v4, v1, vcc
	flat_store_short v[2:3], v1
	s_xor_b64 s[60:61], exec, -1
	s_or_b64 vcc, s[56:57], exec
.LBB169_6398:
	s_or_b64 exec, exec, s[58:59]
	s_andn2_b64 s[58:59], s[50:51], exec
	s_and_b64 s[60:61], s[60:61], exec
	s_or_b64 s[60:61], s[58:59], s[60:61]
	s_andn2_b64 s[58:59], s[56:57], exec
	s_and_b64 vcc, vcc, exec
	s_or_b64 s[58:59], s[58:59], vcc
                                        ; implicit-def: $vgpr98
                                        ; implicit-def: $vgpr2_vgpr3
.LBB169_6399:
	s_andn2_saveexec_b64 s[62:63], s[62:63]
	s_cbranch_execz .LBB169_6403
; %bb.6400:
	v_mov_b32_e32 v1, 11
	v_cmp_eq_u16_sdwa s[68:69], v62, v1 src0_sel:BYTE_0 src1_sel:DWORD
	s_mov_b64 s[64:65], -1
	s_mov_b64 vcc, s[58:59]
	s_and_saveexec_b64 s[66:67], s[68:69]
	s_cbranch_execz .LBB169_6402
; %bb.6401:
	v_cmp_neq_f32_e32 vcc, 0, v98
	v_cndmask_b32_e64 v1, 0, 1, vcc
	flat_store_byte v[2:3], v1
	s_xor_b64 s[64:65], exec, -1
	s_or_b64 vcc, s[58:59], exec
.LBB169_6402:
	s_or_b64 exec, exec, s[66:67]
	s_andn2_b64 s[60:61], s[60:61], exec
	s_and_b64 s[64:65], s[64:65], exec
	s_andn2_b64 s[58:59], s[58:59], exec
	s_and_b64 vcc, vcc, exec
	s_or_b64 s[60:61], s[60:61], s[64:65]
	s_or_b64 s[58:59], s[58:59], vcc
.LBB169_6403:
	s_or_b64 exec, exec, s[62:63]
	s_andn2_b64 vcc, s[50:51], exec
	s_and_b64 s[60:61], s[60:61], exec
	s_andn2_b64 s[56:57], s[56:57], exec
	s_and_b64 s[58:59], s[58:59], exec
	s_or_b64 vcc, vcc, s[60:61]
	s_or_b64 s[56:57], s[56:57], s[58:59]
.LBB169_6404:
	s_or_b64 exec, exec, s[54:55]
	s_andn2_b64 s[50:51], s[50:51], exec
	s_and_b64 vcc, vcc, exec
	s_or_b64 s[50:51], s[50:51], vcc
	s_andn2_b64 s[4:5], s[4:5], exec
	s_and_b64 vcc, s[56:57], exec
	s_or_b64 s[4:5], s[4:5], vcc
.LBB169_6405:
	s_or_b64 exec, exec, s[52:53]
	s_andn2_b64 vcc, s[42:43], exec
	s_and_b64 s[50:51], s[50:51], exec
	s_or_b64 s[50:51], vcc, s[50:51]
	s_and_b64 s[4:5], s[4:5], exec
                                        ; implicit-def: $vgpr98
                                        ; implicit-def: $vgpr2_vgpr3
	s_andn2_saveexec_b64 s[46:47], s[46:47]
	s_cbranch_execz .LBB169_3937
.LBB169_6406:
	v_mov_b32_e32 v1, 4
	v_cmp_gt_i16_sdwa vcc, v62, v1 src0_sel:BYTE_0 src1_sel:DWORD
	s_and_saveexec_b64 s[52:53], vcc
	s_xor_b64 vcc, exec, s[52:53]
	s_cbranch_execz .LBB169_6428
; %bb.6407:
	v_mov_b32_e32 v1, 7
	v_cmp_gt_i16_sdwa s[52:53], v62, v1 src0_sel:BYTE_0 src1_sel:DWORD
	s_and_saveexec_b64 s[54:55], s[52:53]
	s_xor_b64 s[52:53], exec, s[54:55]
	s_cbranch_execz .LBB169_6417
; %bb.6408:
	v_mov_b32_e32 v1, 8
	v_cmp_gt_i16_sdwa s[54:55], v62, v1 src0_sel:BYTE_0 src1_sel:DWORD
	s_and_saveexec_b64 s[56:57], s[54:55]
	s_xor_b64 s[54:55], exec, s[56:57]
	;; [unrolled: 6-line block ×3, first 2 shown]
	s_cbranch_execz .LBB169_6411
; %bb.6410:
	v_mov_b32_e32 v6, 0
	v_cvt_f64_f32_e32 v[4:5], v98
	v_mov_b32_e32 v7, v6
	flat_store_dwordx4 v[2:3], v[4:7]
                                        ; implicit-def: $vgpr98
                                        ; implicit-def: $vgpr2_vgpr3
.LBB169_6411:
	s_andn2_saveexec_b64 s[56:57], s[56:57]
	s_cbranch_execz .LBB169_6413
; %bb.6412:
	v_mov_b32_e32 v99, 0
	flat_store_dwordx2 v[2:3], v[98:99]
.LBB169_6413:
	s_or_b64 exec, exec, s[56:57]
                                        ; implicit-def: $vgpr98
                                        ; implicit-def: $vgpr2_vgpr3
.LBB169_6414:
	s_andn2_saveexec_b64 s[54:55], s[54:55]
	s_cbranch_execz .LBB169_6416
; %bb.6415:
	v_cvt_f16_f32_e32 v1, v98
	flat_store_dword v[2:3], v1
.LBB169_6416:
	s_or_b64 exec, exec, s[54:55]
                                        ; implicit-def: $vgpr98
                                        ; implicit-def: $vgpr2_vgpr3
.LBB169_6417:
	s_andn2_saveexec_b64 s[52:53], s[52:53]
	s_cbranch_execz .LBB169_6427
; %bb.6418:
	v_mov_b32_e32 v1, 5
	v_cmp_gt_i16_sdwa s[54:55], v62, v1 src0_sel:BYTE_0 src1_sel:DWORD
	s_and_saveexec_b64 s[56:57], s[54:55]
	s_xor_b64 s[54:55], exec, s[56:57]
	s_cbranch_execz .LBB169_6424
; %bb.6419:
	v_mov_b32_e32 v1, 6
	v_cmp_gt_i16_sdwa s[56:57], v62, v1 src0_sel:BYTE_0 src1_sel:DWORD
	s_and_saveexec_b64 s[58:59], s[56:57]
	s_xor_b64 s[56:57], exec, s[58:59]
	s_cbranch_execz .LBB169_6421
; %bb.6420:
	v_cvt_f64_f32_e32 v[4:5], v98
	flat_store_dwordx2 v[2:3], v[4:5]
                                        ; implicit-def: $vgpr2_vgpr3
                                        ; implicit-def: $vgpr98
.LBB169_6421:
	s_andn2_saveexec_b64 s[56:57], s[56:57]
	s_cbranch_execz .LBB169_6423
; %bb.6422:
	flat_store_dword v[2:3], v98
.LBB169_6423:
	s_or_b64 exec, exec, s[56:57]
                                        ; implicit-def: $vgpr98
                                        ; implicit-def: $vgpr2_vgpr3
.LBB169_6424:
	s_andn2_saveexec_b64 s[54:55], s[54:55]
	s_cbranch_execz .LBB169_6426
; %bb.6425:
	v_cvt_f16_f32_e32 v1, v98
	flat_store_short v[2:3], v1
.LBB169_6426:
	s_or_b64 exec, exec, s[54:55]
.LBB169_6427:
	s_or_b64 exec, exec, s[52:53]
                                        ; implicit-def: $vgpr98
                                        ; implicit-def: $vgpr2_vgpr3
.LBB169_6428:
	s_andn2_saveexec_b64 s[52:53], vcc
	s_cbranch_execz .LBB169_6446
; %bb.6429:
	v_mov_b32_e32 v1, 1
	v_cmp_gt_i16_sdwa vcc, v62, v1 src0_sel:BYTE_0 src1_sel:DWORD
	s_and_saveexec_b64 s[54:55], vcc
	s_xor_b64 s[54:55], exec, s[54:55]
	s_cbranch_execz .LBB169_6439
; %bb.6430:
	v_mov_b32_e32 v1, 2
	v_cmp_gt_i16_sdwa vcc, v62, v1 src0_sel:BYTE_0 src1_sel:DWORD
	s_and_saveexec_b64 s[56:57], vcc
	s_xor_b64 s[56:57], exec, s[56:57]
	;; [unrolled: 6-line block ×3, first 2 shown]
	s_cbranch_execz .LBB169_6433
; %bb.6432:
	v_trunc_f32_e32 v1, v98
	s_mov_b32 s60, 0x2f800000
	v_mul_f32_e64 v4, |v1|, s60
	v_floor_f32_e32 v4, v4
	s_mov_b32 s60, 0xcf800000
	v_cvt_u32_f32_e32 v5, v4
	v_fma_f32 v4, v4, s60, |v1|
	v_cvt_u32_f32_e32 v4, v4
	v_ashrrev_i32_e32 v1, 31, v1
	v_xor_b32_e32 v5, v5, v1
                                        ; implicit-def: $vgpr98
	v_xor_b32_e32 v4, v4, v1
	v_sub_co_u32_e32 v4, vcc, v4, v1
	v_subb_co_u32_e32 v5, vcc, v5, v1, vcc
	flat_store_dwordx2 v[2:3], v[4:5]
                                        ; implicit-def: $vgpr2_vgpr3
.LBB169_6433:
	s_andn2_saveexec_b64 vcc, s[58:59]
	s_cbranch_execz .LBB169_6435
; %bb.6434:
	v_cvt_i32_f32_e32 v1, v98
	flat_store_dword v[2:3], v1
.LBB169_6435:
	s_or_b64 exec, exec, vcc
                                        ; implicit-def: $vgpr98
                                        ; implicit-def: $vgpr2_vgpr3
.LBB169_6436:
	s_andn2_saveexec_b64 vcc, s[56:57]
	s_cbranch_execz .LBB169_6438
; %bb.6437:
	v_cvt_i32_f32_e32 v1, v98
	flat_store_short v[2:3], v1
.LBB169_6438:
	s_or_b64 exec, exec, vcc
                                        ; implicit-def: $vgpr98
                                        ; implicit-def: $vgpr2_vgpr3
.LBB169_6439:
	s_andn2_saveexec_b64 vcc, s[54:55]
	s_cbranch_execz .LBB169_6445
; %bb.6440:
	v_mov_b32_e32 v1, 0
	v_cmp_gt_i16_sdwa s[54:55], v62, v1 src0_sel:BYTE_0 src1_sel:DWORD
	s_and_saveexec_b64 s[56:57], s[54:55]
	s_xor_b64 s[54:55], exec, s[56:57]
	s_cbranch_execz .LBB169_6442
; %bb.6441:
	v_cvt_i32_f32_e32 v1, v98
                                        ; implicit-def: $vgpr98
	flat_store_byte v[2:3], v1
                                        ; implicit-def: $vgpr2_vgpr3
.LBB169_6442:
	s_andn2_saveexec_b64 s[54:55], s[54:55]
	s_cbranch_execz .LBB169_6444
; %bb.6443:
	v_trunc_f32_e32 v1, v98
	s_mov_b32 s56, 0x2f800000
	v_mul_f32_e64 v4, |v1|, s56
	v_floor_f32_e32 v4, v4
	s_mov_b32 s56, 0xcf800000
	v_fma_f32 v4, v4, s56, |v1|
	v_cvt_u32_f32_e32 v4, v4
	v_ashrrev_i32_e32 v1, 31, v1
	v_xor_b32_e32 v4, v4, v1
	v_sub_u32_e32 v1, v4, v1
	flat_store_byte v[2:3], v1
.LBB169_6444:
	s_or_b64 exec, exec, s[54:55]
.LBB169_6445:
	s_or_b64 exec, exec, vcc
.LBB169_6446:
	s_or_b64 exec, exec, s[52:53]
	s_or_b64 s[4:5], s[4:5], exec
	s_or_b64 exec, exec, s[46:47]
	s_mov_b64 vcc, 0
	s_and_saveexec_b64 s[46:47], s[4:5]
	s_cbranch_execnz .LBB169_3938
	s_branch .LBB169_3939
.LBB169_6447:
	v_bfe_u32 v1, v118, 21, 1
	s_mov_b32 s58, 0x88fffff
	v_add3_u32 v1, v118, v1, s58
	s_mov_b64 s[56:57], exec
	v_lshrrev_b32_e32 v1, 21, v1
	s_or_saveexec_b64 s[58:59], vcc
                                        ; implicit-def: $sgpr60
	s_xor_b64 exec, exec, s[58:59]
	s_cbranch_execz .LBB169_5612
.LBB169_6448:
	s_mov_b32 s60, 0x42800000
	v_add_f32_e64 v1, |v118|, s60
	v_and_b32_e32 v1, 0xff, v1
	v_cmp_ne_u32_e32 vcc, 0, v1
	s_andn2_b64 s[56:57], s[56:57], exec
	s_and_b64 vcc, vcc, exec
	s_mov_b32 s60, 0
	s_or_b64 s[56:57], s[56:57], vcc
	s_or_b64 exec, exec, s[58:59]
	v_mov_b32_e32 v4, s60
	s_and_saveexec_b64 vcc, s[56:57]
	s_cbranch_execnz .LBB169_5613
	s_branch .LBB169_5614
.LBB169_6449:
	v_bfe_u32 v1, v116, 20, 1
	s_mov_b32 s58, 0x487ffff
	v_add3_u32 v1, v116, v1, s58
	s_mov_b64 s[56:57], exec
	v_lshrrev_b32_e32 v1, 20, v1
	s_or_saveexec_b64 s[58:59], vcc
                                        ; implicit-def: $sgpr60
	s_xor_b64 exec, exec, s[58:59]
	s_cbranch_execz .LBB169_5725
.LBB169_6450:
	s_mov_b32 s60, 0x46000000
	v_add_f32_e64 v1, |v116|, s60
	v_and_b32_e32 v1, 0xff, v1
	v_cmp_ne_u32_e32 vcc, 0, v1
	s_andn2_b64 s[56:57], s[56:57], exec
	s_and_b64 vcc, vcc, exec
	s_mov_b32 s60, 0
	s_or_b64 s[56:57], s[56:57], vcc
	s_or_b64 exec, exec, s[58:59]
	v_mov_b32_e32 v4, s60
	s_and_saveexec_b64 vcc, s[56:57]
	s_cbranch_execnz .LBB169_5726
	s_branch .LBB169_5727
.LBB169_6451:
	v_mov_b32_e32 v1, 25
	v_cmp_gt_i16_sdwa vcc, v62, v1 src0_sel:BYTE_0 src1_sel:DWORD
	s_mov_b64 s[54:55], s[46:47]
	s_and_saveexec_b64 s[56:57], vcc
	s_xor_b64 s[56:57], exec, s[56:57]
	s_cbranch_execz .LBB169_6487
; %bb.6452:
	v_mov_b32_e32 v1, 28
	v_cmp_gt_i16_sdwa vcc, v62, v1 src0_sel:BYTE_0 src1_sel:DWORD
	s_mov_b64 s[58:59], s[46:47]
	s_and_saveexec_b64 s[54:55], vcc
	s_xor_b64 s[54:55], exec, s[54:55]
	s_cbranch_execz .LBB169_6470
; %bb.6453:
	v_mov_b32_e32 v1, 43
	v_cmp_gt_i16_sdwa s[58:59], v62, v1 src0_sel:BYTE_0 src1_sel:DWORD
	s_mov_b64 vcc, s[46:47]
	s_and_saveexec_b64 s[60:61], s[58:59]
	s_xor_b64 s[58:59], exec, s[60:61]
	s_cbranch_execz .LBB169_6465
; %bb.6454:
	v_mov_b32_e32 v1, 45
	v_cmp_gt_i16_sdwa s[4:5], v62, v1 src0_sel:BYTE_0 src1_sel:DWORD
	s_mov_b64 s[60:61], 0
	s_mov_b64 s[62:63], s[46:47]
	s_and_saveexec_b64 vcc, s[4:5]
	s_xor_b64 s[4:5], exec, vcc
	s_cbranch_execz .LBB169_6458
; %bb.6455:
	v_mov_b32_e32 v1, 46
	v_cmp_eq_u16_sdwa s[64:65], v62, v1 src0_sel:BYTE_0 src1_sel:DWORD
	s_mov_b64 vcc, -1
	s_and_saveexec_b64 s[62:63], s[64:65]
	s_cbranch_execz .LBB169_6457
; %bb.6456:
	v_bfe_u32 v1, v96, 16, 1
	s_movk_i32 vcc_lo, 0x7fff
	v_add3_u32 v1, v96, v1, vcc_lo
	v_lshrrev_b32_e32 v1, 16, v1
	v_mov_b32_e32 v4, 0x7fc0
	v_cmp_o_f32_e32 vcc, v96, v96
	v_cndmask_b32_e32 v1, v4, v1, vcc
	s_mov_b64 s[60:61], exec
	flat_store_dword v[2:3], v1
	s_xor_b64 vcc, exec, -1
.LBB169_6457:
	s_or_b64 exec, exec, s[62:63]
	s_andn2_b64 s[62:63], s[46:47], exec
	s_and_b64 vcc, vcc, exec
	s_or_b64 s[62:63], s[62:63], vcc
	s_and_b64 s[60:61], s[60:61], exec
                                        ; implicit-def: $vgpr2_vgpr3
                                        ; implicit-def: $vgpr96
.LBB169_6458:
	s_andn2_saveexec_b64 s[64:65], s[4:5]
	s_cbranch_execz .LBB169_6464
; %bb.6459:
	v_mov_b32_e32 v1, 44
	v_cmp_eq_u16_sdwa s[68:69], v62, v1 src0_sel:BYTE_0 src1_sel:DWORD
	s_mov_b64 vcc, -1
	s_mov_b64 s[4:5], s[60:61]
	s_and_saveexec_b64 s[66:67], s[68:69]
	s_cbranch_execz .LBB169_6463
; %bb.6460:
	v_bfe_u32 v1, v96, 23, 8
	s_movk_i32 s4, 0xff
	v_cmp_ne_u32_e32 vcc, s4, v1
	v_mov_b32_e32 v4, 0xff
	s_and_saveexec_b64 s[68:69], vcc
; %bb.6461:
	s_mov_b32 s4, 0x3fffff
	v_and_b32_e32 v5, 0x400000, v96
	v_and_or_b32 v1, v96, s4, v1
	v_cmp_ne_u32_e32 vcc, 0, v5
	v_cmp_ne_u32_e64 s[4:5], 0, v1
	s_and_b64 s[4:5], vcc, s[4:5]
	v_lshrrev_b32_e32 v4, 23, v96
	v_cndmask_b32_e64 v1, 0, 1, s[4:5]
	v_add_u32_e32 v4, v4, v1
; %bb.6462:
	s_or_b64 exec, exec, s[68:69]
	s_xor_b64 vcc, exec, -1
	s_or_b64 s[4:5], s[60:61], exec
	flat_store_byte v[2:3], v4
.LBB169_6463:
	s_or_b64 exec, exec, s[66:67]
	s_andn2_b64 s[62:63], s[62:63], exec
	s_and_b64 vcc, vcc, exec
	s_or_b64 s[62:63], s[62:63], vcc
	s_andn2_b64 vcc, s[60:61], exec
	s_and_b64 s[4:5], s[4:5], exec
	s_or_b64 s[60:61], vcc, s[4:5]
.LBB169_6464:
	s_or_b64 exec, exec, s[64:65]
	s_andn2_b64 s[4:5], s[46:47], exec
	s_and_b64 vcc, s[62:63], exec
	s_or_b64 vcc, s[4:5], vcc
	s_and_b64 s[4:5], s[60:61], exec
                                        ; implicit-def: $vgpr96
                                        ; implicit-def: $vgpr2_vgpr3
.LBB169_6465:
	s_andn2_saveexec_b64 s[58:59], s[58:59]
	s_cbranch_execz .LBB169_6469
; %bb.6466:
	v_mov_b32_e32 v1, 29
	v_cmp_eq_u16_sdwa s[66:67], v62, v1 src0_sel:BYTE_0 src1_sel:DWORD
	s_mov_b64 s[64:65], -1
	s_mov_b64 s[62:63], s[4:5]
	s_and_saveexec_b64 s[60:61], s[66:67]
	s_cbranch_execz .LBB169_6468
; %bb.6467:
	v_trunc_f32_e32 v1, v96
	v_mul_f32_e32 v4, 0x2f800000, v1
	v_floor_f32_e32 v4, v4
	v_fmac_f32_e32 v1, 0xcf800000, v4
	v_cvt_u32_f32_e32 v5, v4
	v_cvt_u32_f32_e32 v4, v1
	s_xor_b64 s[64:65], exec, -1
	s_or_b64 s[62:63], s[4:5], exec
	flat_store_dwordx2 v[2:3], v[4:5]
.LBB169_6468:
	s_or_b64 exec, exec, s[60:61]
	s_andn2_b64 vcc, vcc, exec
	s_and_b64 s[60:61], s[64:65], exec
	s_or_b64 vcc, vcc, s[60:61]
	s_andn2_b64 s[4:5], s[4:5], exec
	s_and_b64 s[60:61], s[62:63], exec
	s_or_b64 s[4:5], s[4:5], s[60:61]
.LBB169_6469:
	s_or_b64 exec, exec, s[58:59]
	s_andn2_b64 s[58:59], s[46:47], exec
	s_and_b64 vcc, vcc, exec
	s_or_b64 s[58:59], s[58:59], vcc
	s_and_b64 s[4:5], s[4:5], exec
                                        ; implicit-def: $vgpr2_vgpr3
                                        ; implicit-def: $vgpr96
.LBB169_6470:
	s_andn2_saveexec_b64 s[54:55], s[54:55]
	s_cbranch_execz .LBB169_6486
; %bb.6471:
	v_mov_b32_e32 v1, 26
	v_cmp_gt_i16_sdwa vcc, v62, v1 src0_sel:BYTE_0 src1_sel:DWORD
	s_and_saveexec_b64 s[60:61], vcc
	s_xor_b64 vcc, exec, s[60:61]
	s_cbranch_execz .LBB169_6477
; %bb.6472:
	v_cvt_u32_f32_e32 v1, v96
	v_mov_b32_e32 v4, 27
	v_cmp_gt_i16_sdwa s[60:61], v62, v4 src0_sel:BYTE_0 src1_sel:DWORD
	s_and_saveexec_b64 s[62:63], s[60:61]
	s_xor_b64 s[60:61], exec, s[62:63]
	s_cbranch_execz .LBB169_6474
; %bb.6473:
	flat_store_dword v[2:3], v1
                                        ; implicit-def: $vgpr2_vgpr3
                                        ; implicit-def: $vgpr1
.LBB169_6474:
	s_andn2_saveexec_b64 s[60:61], s[60:61]
	s_cbranch_execz .LBB169_6476
; %bb.6475:
	flat_store_short v[2:3], v1
.LBB169_6476:
	s_or_b64 exec, exec, s[60:61]
                                        ; implicit-def: $vgpr2_vgpr3
                                        ; implicit-def: $vgpr96
.LBB169_6477:
	s_andn2_saveexec_b64 s[60:61], vcc
	s_cbranch_execz .LBB169_6485
; %bb.6478:
	v_and_b32_e32 v1, 0x7fffffff, v96
	s_mov_b32 vcc_lo, 0x43800000
	v_cmp_gt_u32_e32 vcc, vcc_lo, v1
	v_mov_b32_e32 v4, 0x80
	s_and_saveexec_b64 s[62:63], vcc
	s_cbranch_execz .LBB169_6484
; %bb.6479:
	s_mov_b32 vcc_lo, 0x3bffffff
	v_cmp_lt_u32_e32 vcc, vcc_lo, v1
	s_mov_b64 s[64:65], 0
                                        ; implicit-def: $vgpr1
	s_and_saveexec_b64 s[66:67], vcc
	s_xor_b64 vcc, exec, s[66:67]
	s_cbranch_execnz .LBB169_7205
; %bb.6480:
	s_or_saveexec_b64 s[66:67], vcc
                                        ; implicit-def: $sgpr68
	s_xor_b64 exec, exec, s[66:67]
	s_cbranch_execnz .LBB169_7206
.LBB169_6481:
	s_or_b64 exec, exec, s[66:67]
	v_mov_b32_e32 v4, s68
	s_and_saveexec_b64 vcc, s[64:65]
.LBB169_6482:
	v_lshrrev_b32_e32 v4, 24, v96
	s_movk_i32 s64, 0x80
	v_and_or_b32 v4, v4, s64, v1
.LBB169_6483:
	s_or_b64 exec, exec, vcc
.LBB169_6484:
	s_or_b64 exec, exec, s[62:63]
	flat_store_byte v[2:3], v4
.LBB169_6485:
	s_or_b64 exec, exec, s[60:61]
	s_or_b64 s[4:5], s[4:5], exec
.LBB169_6486:
	s_or_b64 exec, exec, s[54:55]
	s_andn2_b64 vcc, s[46:47], exec
	s_and_b64 s[54:55], s[58:59], exec
	s_or_b64 s[54:55], vcc, s[54:55]
	s_and_b64 s[4:5], s[4:5], exec
                                        ; implicit-def: $vgpr96
                                        ; implicit-def: $vgpr2_vgpr3
.LBB169_6487:
	s_andn2_saveexec_b64 s[56:57], s[56:57]
	s_cbranch_execz .LBB169_6531
; %bb.6488:
	v_mov_b32_e32 v1, 22
	v_cmp_gt_i16_sdwa vcc, v62, v1 src0_sel:BYTE_0 src1_sel:DWORD
	s_mov_b64 s[60:61], s[4:5]
	s_and_saveexec_b64 s[58:59], vcc
	s_xor_b64 s[58:59], exec, s[58:59]
	s_cbranch_execz .LBB169_6520
; %bb.6489:
	v_mov_b32_e32 v1, 23
	v_cmp_gt_i16_sdwa vcc, v62, v1 src0_sel:BYTE_0 src1_sel:DWORD
	s_and_saveexec_b64 s[60:61], vcc
	s_xor_b64 s[60:61], exec, s[60:61]
	s_cbranch_execz .LBB169_6509
; %bb.6490:
	v_mov_b32_e32 v1, 24
	v_cmp_gt_i16_sdwa vcc, v62, v1 src0_sel:BYTE_0 src1_sel:DWORD
	s_and_saveexec_b64 s[62:63], vcc
	s_xor_b64 s[62:63], exec, s[62:63]
	s_cbranch_execz .LBB169_6498
; %bb.6491:
	v_and_b32_e32 v1, 0x7fffffff, v96
	s_mov_b32 vcc_lo, 0x47800000
	v_cmp_gt_u32_e32 vcc, vcc_lo, v1
	v_mov_b32_e32 v4, 0x80
	s_and_saveexec_b64 s[64:65], vcc
	s_cbranch_execz .LBB169_6497
; %bb.6492:
	s_mov_b32 vcc_lo, 0x37ffffff
	v_cmp_lt_u32_e32 vcc, vcc_lo, v1
	s_mov_b64 s[66:67], 0
                                        ; implicit-def: $vgpr1
	s_and_saveexec_b64 s[68:69], vcc
	s_xor_b64 vcc, exec, s[68:69]
	s_cbranch_execnz .LBB169_7329
; %bb.6493:
	s_or_saveexec_b64 s[68:69], vcc
                                        ; implicit-def: $sgpr70
	s_xor_b64 exec, exec, s[68:69]
	s_cbranch_execnz .LBB169_7330
.LBB169_6494:
	s_or_b64 exec, exec, s[68:69]
	v_mov_b32_e32 v4, s70
	s_and_saveexec_b64 vcc, s[66:67]
.LBB169_6495:
	v_lshrrev_b32_e32 v4, 24, v96
	s_movk_i32 s66, 0x80
	v_and_or_b32 v4, v4, s66, v1
.LBB169_6496:
	s_or_b64 exec, exec, vcc
.LBB169_6497:
	s_or_b64 exec, exec, s[64:65]
	flat_store_byte v[2:3], v4
                                        ; implicit-def: $vgpr96
                                        ; implicit-def: $vgpr2_vgpr3
.LBB169_6498:
	s_andn2_saveexec_b64 s[62:63], s[62:63]
	s_cbranch_execz .LBB169_6508
; %bb.6499:
	v_and_b32_e32 v4, 0x7fffffff, v96
	s_mov_b32 vcc_lo, 0x43f00000
	v_cmp_gt_u32_e32 vcc, vcc_lo, v4
                                        ; implicit-def: $vgpr1
	s_and_saveexec_b64 s[64:65], vcc
	s_xor_b64 s[64:65], exec, s[64:65]
	s_cbranch_execz .LBB169_6505
; %bb.6500:
	s_mov_b32 vcc_lo, 0x3c7fffff
	v_cmp_lt_u32_e32 vcc, vcc_lo, v4
                                        ; implicit-def: $vgpr1
	s_and_saveexec_b64 s[66:67], vcc
	s_xor_b64 s[66:67], exec, s[66:67]
; %bb.6501:
	v_bfe_u32 v1, v96, 20, 1
	s_mov_b32 vcc_lo, 0x407ffff
	v_add3_u32 v1, v96, v1, vcc_lo
	v_lshrrev_b32_e32 v4, 20, v1
	v_and_b32_e32 v1, 0xff00000, v1
	s_mov_b32 vcc_lo, 0x7f00000
	v_mov_b32_e32 v5, 0x7e
	v_cmp_ne_u32_e32 vcc, vcc_lo, v1
	v_cndmask_b32_e32 v1, v5, v4, vcc
; %bb.6502:
	s_andn2_saveexec_b64 vcc, s[66:67]
; %bb.6503:
	s_mov_b32 s66, 0x46800000
	v_add_f32_e64 v1, |v96|, s66
; %bb.6504:
	s_or_b64 exec, exec, vcc
                                        ; implicit-def: $vgpr4
.LBB169_6505:
	s_andn2_saveexec_b64 s[64:65], s[64:65]
; %bb.6506:
	s_mov_b32 vcc_lo, 0x7f800000
	v_mov_b32_e32 v1, 0x7e
	v_mov_b32_e32 v5, 0x7f
	v_cmp_lt_u32_e32 vcc, vcc_lo, v4
	v_cndmask_b32_e32 v1, v1, v5, vcc
; %bb.6507:
	s_or_b64 exec, exec, s[64:65]
	v_lshrrev_b32_e32 v4, 24, v96
	s_movk_i32 vcc_lo, 0x80
	v_and_or_b32 v1, v4, vcc_lo, v1
	flat_store_byte v[2:3], v1
.LBB169_6508:
	s_or_b64 exec, exec, s[62:63]
                                        ; implicit-def: $vgpr96
                                        ; implicit-def: $vgpr2_vgpr3
.LBB169_6509:
	s_andn2_saveexec_b64 s[60:61], s[60:61]
	s_cbranch_execz .LBB169_6519
; %bb.6510:
	v_and_b32_e32 v4, 0x7fffffff, v96
	s_mov_b32 vcc_lo, 0x47800000
	v_cmp_gt_u32_e32 vcc, vcc_lo, v4
                                        ; implicit-def: $vgpr1
	s_and_saveexec_b64 s[62:63], vcc
	s_xor_b64 s[62:63], exec, s[62:63]
	s_cbranch_execz .LBB169_6516
; %bb.6511:
	s_mov_b32 vcc_lo, 0x387fffff
	v_cmp_lt_u32_e32 vcc, vcc_lo, v4
                                        ; implicit-def: $vgpr1
	s_and_saveexec_b64 s[64:65], vcc
	s_xor_b64 vcc, exec, s[64:65]
; %bb.6512:
	v_bfe_u32 v1, v96, 21, 1
	s_mov_b32 s64, 0x80fffff
	v_add3_u32 v1, v96, v1, s64
	v_lshrrev_b32_e32 v1, 21, v1
; %bb.6513:
	s_andn2_saveexec_b64 vcc, vcc
; %bb.6514:
	s_mov_b32 s64, 0x43000000
	v_add_f32_e64 v1, |v96|, s64
; %bb.6515:
	s_or_b64 exec, exec, vcc
                                        ; implicit-def: $vgpr4
.LBB169_6516:
	s_andn2_saveexec_b64 s[62:63], s[62:63]
; %bb.6517:
	s_mov_b32 vcc_lo, 0x7f800000
	v_mov_b32_e32 v1, 0x7c
	v_mov_b32_e32 v5, 0x7f
	v_cmp_lt_u32_e32 vcc, vcc_lo, v4
	v_cndmask_b32_e32 v1, v1, v5, vcc
; %bb.6518:
	s_or_b64 exec, exec, s[62:63]
	v_lshrrev_b32_e32 v4, 24, v96
	s_movk_i32 vcc_lo, 0x80
	v_and_or_b32 v1, v4, vcc_lo, v1
	flat_store_byte v[2:3], v1
.LBB169_6519:
	s_or_b64 exec, exec, s[60:61]
	s_or_b64 s[60:61], s[4:5], exec
                                        ; implicit-def: $vgpr96
                                        ; implicit-def: $vgpr2_vgpr3
.LBB169_6520:
	s_or_saveexec_b64 s[58:59], s[58:59]
	s_mov_b64 vcc, s[54:55]
	s_xor_b64 exec, exec, s[58:59]
	s_cbranch_execz .LBB169_6530
; %bb.6521:
	v_mov_b32_e32 v1, 14
	v_cmp_gt_i16_sdwa vcc, v62, v1 src0_sel:BYTE_0 src1_sel:DWORD
	s_mov_b64 s[62:63], s[60:61]
	s_mov_b64 s[64:65], s[54:55]
	s_and_saveexec_b64 s[66:67], vcc
	s_xor_b64 s[66:67], exec, s[66:67]
	s_cbranch_execz .LBB169_6525
; %bb.6522:
	v_mov_b32_e32 v1, 15
	v_cmp_eq_u16_sdwa s[68:69], v62, v1 src0_sel:BYTE_0 src1_sel:DWORD
	s_mov_b64 s[64:65], -1
	s_mov_b64 vcc, s[60:61]
	s_and_saveexec_b64 s[62:63], s[68:69]
	s_cbranch_execz .LBB169_6524
; %bb.6523:
	v_bfe_u32 v1, v96, 16, 1
	s_movk_i32 vcc_lo, 0x7fff
	v_add3_u32 v1, v96, v1, vcc_lo
	v_lshrrev_b32_e32 v1, 16, v1
	v_mov_b32_e32 v4, 0x7fc0
	v_cmp_o_f32_e32 vcc, v96, v96
	v_cndmask_b32_e32 v1, v4, v1, vcc
	flat_store_short v[2:3], v1
	s_xor_b64 s[64:65], exec, -1
	s_or_b64 vcc, s[60:61], exec
.LBB169_6524:
	s_or_b64 exec, exec, s[62:63]
	s_andn2_b64 s[62:63], s[54:55], exec
	s_and_b64 s[64:65], s[64:65], exec
	s_or_b64 s[64:65], s[62:63], s[64:65]
	s_andn2_b64 s[62:63], s[60:61], exec
	s_and_b64 vcc, vcc, exec
	s_or_b64 s[62:63], s[62:63], vcc
                                        ; implicit-def: $vgpr96
                                        ; implicit-def: $vgpr2_vgpr3
.LBB169_6525:
	s_andn2_saveexec_b64 s[66:67], s[66:67]
	s_cbranch_execz .LBB169_6529
; %bb.6526:
	v_mov_b32_e32 v1, 11
	v_cmp_eq_u16_sdwa s[72:73], v62, v1 src0_sel:BYTE_0 src1_sel:DWORD
	s_mov_b64 s[68:69], -1
	s_mov_b64 vcc, s[62:63]
	s_and_saveexec_b64 s[70:71], s[72:73]
	s_cbranch_execz .LBB169_6528
; %bb.6527:
	v_cmp_neq_f32_e32 vcc, 0, v96
	v_cndmask_b32_e64 v1, 0, 1, vcc
	flat_store_byte v[2:3], v1
	s_xor_b64 s[68:69], exec, -1
	s_or_b64 vcc, s[62:63], exec
.LBB169_6528:
	s_or_b64 exec, exec, s[70:71]
	s_andn2_b64 s[64:65], s[64:65], exec
	s_and_b64 s[68:69], s[68:69], exec
	s_andn2_b64 s[62:63], s[62:63], exec
	s_and_b64 vcc, vcc, exec
	s_or_b64 s[64:65], s[64:65], s[68:69]
	s_or_b64 s[62:63], s[62:63], vcc
.LBB169_6529:
	s_or_b64 exec, exec, s[66:67]
	s_andn2_b64 vcc, s[54:55], exec
	s_and_b64 s[64:65], s[64:65], exec
	s_andn2_b64 s[60:61], s[60:61], exec
	s_and_b64 s[62:63], s[62:63], exec
	s_or_b64 vcc, vcc, s[64:65]
	s_or_b64 s[60:61], s[60:61], s[62:63]
.LBB169_6530:
	s_or_b64 exec, exec, s[58:59]
	s_andn2_b64 s[54:55], s[54:55], exec
	s_and_b64 vcc, vcc, exec
	s_or_b64 s[54:55], s[54:55], vcc
	s_andn2_b64 s[4:5], s[4:5], exec
	s_and_b64 vcc, s[60:61], exec
	s_or_b64 s[4:5], s[4:5], vcc
.LBB169_6531:
	s_or_b64 exec, exec, s[56:57]
	s_andn2_b64 vcc, s[46:47], exec
	s_and_b64 s[54:55], s[54:55], exec
	s_or_b64 s[54:55], vcc, s[54:55]
	s_and_b64 s[4:5], s[4:5], exec
                                        ; implicit-def: $vgpr96
                                        ; implicit-def: $vgpr2_vgpr3
	s_andn2_saveexec_b64 s[50:51], s[50:51]
	s_cbranch_execz .LBB169_3944
.LBB169_6532:
	v_mov_b32_e32 v1, 4
	v_cmp_gt_i16_sdwa vcc, v62, v1 src0_sel:BYTE_0 src1_sel:DWORD
	s_and_saveexec_b64 s[56:57], vcc
	s_xor_b64 vcc, exec, s[56:57]
	s_cbranch_execz .LBB169_6554
; %bb.6533:
	v_mov_b32_e32 v1, 7
	v_cmp_gt_i16_sdwa s[56:57], v62, v1 src0_sel:BYTE_0 src1_sel:DWORD
	s_and_saveexec_b64 s[58:59], s[56:57]
	s_xor_b64 s[56:57], exec, s[58:59]
	s_cbranch_execz .LBB169_6543
; %bb.6534:
	v_mov_b32_e32 v1, 8
	v_cmp_gt_i16_sdwa s[58:59], v62, v1 src0_sel:BYTE_0 src1_sel:DWORD
	s_and_saveexec_b64 s[60:61], s[58:59]
	s_xor_b64 s[58:59], exec, s[60:61]
	s_cbranch_execz .LBB169_6540
; %bb.6535:
	v_mov_b32_e32 v1, 9
	v_cmp_gt_i16_sdwa s[60:61], v62, v1 src0_sel:BYTE_0 src1_sel:DWORD
	s_and_saveexec_b64 s[62:63], s[60:61]
	s_xor_b64 s[60:61], exec, s[62:63]
	s_cbranch_execz .LBB169_6537
; %bb.6536:
	v_mov_b32_e32 v6, 0
	v_cvt_f64_f32_e32 v[4:5], v96
	v_mov_b32_e32 v7, v6
	flat_store_dwordx4 v[2:3], v[4:7]
                                        ; implicit-def: $vgpr96
                                        ; implicit-def: $vgpr2_vgpr3
.LBB169_6537:
	s_andn2_saveexec_b64 s[60:61], s[60:61]
	s_cbranch_execz .LBB169_6539
; %bb.6538:
	v_mov_b32_e32 v97, 0
	flat_store_dwordx2 v[2:3], v[96:97]
.LBB169_6539:
	s_or_b64 exec, exec, s[60:61]
                                        ; implicit-def: $vgpr96
                                        ; implicit-def: $vgpr2_vgpr3
.LBB169_6540:
	s_andn2_saveexec_b64 s[58:59], s[58:59]
	s_cbranch_execz .LBB169_6542
; %bb.6541:
	v_cvt_f16_f32_e32 v1, v96
	flat_store_dword v[2:3], v1
.LBB169_6542:
	s_or_b64 exec, exec, s[58:59]
                                        ; implicit-def: $vgpr96
                                        ; implicit-def: $vgpr2_vgpr3
.LBB169_6543:
	s_andn2_saveexec_b64 s[56:57], s[56:57]
	s_cbranch_execz .LBB169_6553
; %bb.6544:
	v_mov_b32_e32 v1, 5
	v_cmp_gt_i16_sdwa s[58:59], v62, v1 src0_sel:BYTE_0 src1_sel:DWORD
	s_and_saveexec_b64 s[60:61], s[58:59]
	s_xor_b64 s[58:59], exec, s[60:61]
	s_cbranch_execz .LBB169_6550
; %bb.6545:
	v_mov_b32_e32 v1, 6
	v_cmp_gt_i16_sdwa s[60:61], v62, v1 src0_sel:BYTE_0 src1_sel:DWORD
	s_and_saveexec_b64 s[62:63], s[60:61]
	s_xor_b64 s[60:61], exec, s[62:63]
	s_cbranch_execz .LBB169_6547
; %bb.6546:
	v_cvt_f64_f32_e32 v[4:5], v96
	flat_store_dwordx2 v[2:3], v[4:5]
                                        ; implicit-def: $vgpr2_vgpr3
                                        ; implicit-def: $vgpr96
.LBB169_6547:
	s_andn2_saveexec_b64 s[60:61], s[60:61]
	s_cbranch_execz .LBB169_6549
; %bb.6548:
	flat_store_dword v[2:3], v96
.LBB169_6549:
	s_or_b64 exec, exec, s[60:61]
                                        ; implicit-def: $vgpr96
                                        ; implicit-def: $vgpr2_vgpr3
.LBB169_6550:
	s_andn2_saveexec_b64 s[58:59], s[58:59]
	s_cbranch_execz .LBB169_6552
; %bb.6551:
	v_cvt_f16_f32_e32 v1, v96
	flat_store_short v[2:3], v1
.LBB169_6552:
	s_or_b64 exec, exec, s[58:59]
.LBB169_6553:
	s_or_b64 exec, exec, s[56:57]
                                        ; implicit-def: $vgpr96
                                        ; implicit-def: $vgpr2_vgpr3
.LBB169_6554:
	s_andn2_saveexec_b64 s[56:57], vcc
	s_cbranch_execz .LBB169_6572
; %bb.6555:
	v_mov_b32_e32 v1, 1
	v_cmp_gt_i16_sdwa vcc, v62, v1 src0_sel:BYTE_0 src1_sel:DWORD
	s_and_saveexec_b64 s[58:59], vcc
	s_xor_b64 s[58:59], exec, s[58:59]
	s_cbranch_execz .LBB169_6565
; %bb.6556:
	v_mov_b32_e32 v1, 2
	v_cmp_gt_i16_sdwa vcc, v62, v1 src0_sel:BYTE_0 src1_sel:DWORD
	s_and_saveexec_b64 s[60:61], vcc
	s_xor_b64 s[60:61], exec, s[60:61]
	;; [unrolled: 6-line block ×3, first 2 shown]
	s_cbranch_execz .LBB169_6559
; %bb.6558:
	v_trunc_f32_e32 v1, v96
	s_mov_b32 s64, 0x2f800000
	v_mul_f32_e64 v4, |v1|, s64
	v_floor_f32_e32 v4, v4
	s_mov_b32 s64, 0xcf800000
	v_cvt_u32_f32_e32 v5, v4
	v_fma_f32 v4, v4, s64, |v1|
	v_cvt_u32_f32_e32 v4, v4
	v_ashrrev_i32_e32 v1, 31, v1
	v_xor_b32_e32 v5, v5, v1
                                        ; implicit-def: $vgpr96
	v_xor_b32_e32 v4, v4, v1
	v_sub_co_u32_e32 v4, vcc, v4, v1
	v_subb_co_u32_e32 v5, vcc, v5, v1, vcc
	flat_store_dwordx2 v[2:3], v[4:5]
                                        ; implicit-def: $vgpr2_vgpr3
.LBB169_6559:
	s_andn2_saveexec_b64 vcc, s[62:63]
	s_cbranch_execz .LBB169_6561
; %bb.6560:
	v_cvt_i32_f32_e32 v1, v96
	flat_store_dword v[2:3], v1
.LBB169_6561:
	s_or_b64 exec, exec, vcc
                                        ; implicit-def: $vgpr96
                                        ; implicit-def: $vgpr2_vgpr3
.LBB169_6562:
	s_andn2_saveexec_b64 vcc, s[60:61]
	s_cbranch_execz .LBB169_6564
; %bb.6563:
	v_cvt_i32_f32_e32 v1, v96
	flat_store_short v[2:3], v1
.LBB169_6564:
	s_or_b64 exec, exec, vcc
                                        ; implicit-def: $vgpr96
                                        ; implicit-def: $vgpr2_vgpr3
.LBB169_6565:
	s_andn2_saveexec_b64 vcc, s[58:59]
	s_cbranch_execz .LBB169_6571
; %bb.6566:
	v_mov_b32_e32 v1, 0
	v_cmp_gt_i16_sdwa s[58:59], v62, v1 src0_sel:BYTE_0 src1_sel:DWORD
	s_and_saveexec_b64 s[60:61], s[58:59]
	s_xor_b64 s[58:59], exec, s[60:61]
	s_cbranch_execz .LBB169_6568
; %bb.6567:
	v_cvt_i32_f32_e32 v1, v96
                                        ; implicit-def: $vgpr96
	flat_store_byte v[2:3], v1
                                        ; implicit-def: $vgpr2_vgpr3
.LBB169_6568:
	s_andn2_saveexec_b64 s[58:59], s[58:59]
	s_cbranch_execz .LBB169_6570
; %bb.6569:
	v_trunc_f32_e32 v1, v96
	s_mov_b32 s60, 0x2f800000
	v_mul_f32_e64 v4, |v1|, s60
	v_floor_f32_e32 v4, v4
	s_mov_b32 s60, 0xcf800000
	v_fma_f32 v4, v4, s60, |v1|
	v_cvt_u32_f32_e32 v4, v4
	v_ashrrev_i32_e32 v1, 31, v1
	v_xor_b32_e32 v4, v4, v1
	v_sub_u32_e32 v1, v4, v1
	flat_store_byte v[2:3], v1
.LBB169_6570:
	s_or_b64 exec, exec, s[58:59]
.LBB169_6571:
	s_or_b64 exec, exec, vcc
.LBB169_6572:
	s_or_b64 exec, exec, s[56:57]
	s_or_b64 s[4:5], s[4:5], exec
	s_or_b64 exec, exec, s[50:51]
	s_mov_b64 vcc, 0
	s_and_saveexec_b64 s[50:51], s[4:5]
	s_cbranch_execnz .LBB169_3945
	s_branch .LBB169_3946
.LBB169_6573:
	v_bfe_u32 v1, v116, 21, 1
	s_mov_b32 s60, 0x88fffff
	v_add3_u32 v1, v116, v1, s60
	s_mov_b64 s[58:59], exec
	v_lshrrev_b32_e32 v1, 21, v1
	s_or_saveexec_b64 s[60:61], vcc
                                        ; implicit-def: $sgpr62
	s_xor_b64 exec, exec, s[60:61]
	s_cbranch_execz .LBB169_5738
.LBB169_6574:
	s_mov_b32 s62, 0x42800000
	v_add_f32_e64 v1, |v116|, s62
	v_and_b32_e32 v1, 0xff, v1
	v_cmp_ne_u32_e32 vcc, 0, v1
	s_andn2_b64 s[58:59], s[58:59], exec
	s_and_b64 vcc, vcc, exec
	s_mov_b32 s62, 0
	s_or_b64 s[58:59], s[58:59], vcc
	s_or_b64 exec, exec, s[60:61]
	v_mov_b32_e32 v4, s62
	s_and_saveexec_b64 vcc, s[58:59]
	s_cbranch_execnz .LBB169_5739
	s_branch .LBB169_5740
.LBB169_6575:
	v_bfe_u32 v1, v114, 20, 1
	s_mov_b32 s58, 0x487ffff
	v_add3_u32 v1, v114, v1, s58
	s_mov_b64 s[56:57], exec
	v_lshrrev_b32_e32 v1, 20, v1
	s_or_saveexec_b64 s[58:59], vcc
                                        ; implicit-def: $sgpr60
	s_xor_b64 exec, exec, s[58:59]
	s_cbranch_execz .LBB169_5851
.LBB169_6576:
	s_mov_b32 s60, 0x46000000
	v_add_f32_e64 v1, |v114|, s60
	v_and_b32_e32 v1, 0xff, v1
	v_cmp_ne_u32_e32 vcc, 0, v1
	s_andn2_b64 s[56:57], s[56:57], exec
	s_and_b64 vcc, vcc, exec
	s_mov_b32 s60, 0
	s_or_b64 s[56:57], s[56:57], vcc
	s_or_b64 exec, exec, s[58:59]
	v_mov_b32_e32 v4, s60
	s_and_saveexec_b64 vcc, s[56:57]
	s_cbranch_execnz .LBB169_5852
	s_branch .LBB169_5853
.LBB169_6577:
	v_mov_b32_e32 v1, 25
	v_cmp_gt_i16_sdwa vcc, v62, v1 src0_sel:BYTE_0 src1_sel:DWORD
	s_mov_b64 s[58:59], s[50:51]
	s_and_saveexec_b64 s[60:61], vcc
	s_xor_b64 s[60:61], exec, s[60:61]
	s_cbranch_execz .LBB169_6613
; %bb.6578:
	v_mov_b32_e32 v1, 28
	v_cmp_gt_i16_sdwa vcc, v62, v1 src0_sel:BYTE_0 src1_sel:DWORD
	s_mov_b64 s[62:63], s[50:51]
	s_and_saveexec_b64 s[58:59], vcc
	s_xor_b64 s[58:59], exec, s[58:59]
	s_cbranch_execz .LBB169_6596
; %bb.6579:
	v_mov_b32_e32 v1, 43
	v_cmp_gt_i16_sdwa s[62:63], v62, v1 src0_sel:BYTE_0 src1_sel:DWORD
	s_mov_b64 vcc, s[50:51]
	s_and_saveexec_b64 s[64:65], s[62:63]
	s_xor_b64 s[62:63], exec, s[64:65]
	s_cbranch_execz .LBB169_6591
; %bb.6580:
	v_mov_b32_e32 v1, 45
	v_cmp_gt_i16_sdwa s[4:5], v62, v1 src0_sel:BYTE_0 src1_sel:DWORD
	s_mov_b64 s[64:65], 0
	s_mov_b64 s[66:67], s[50:51]
	s_and_saveexec_b64 vcc, s[4:5]
	s_xor_b64 s[4:5], exec, vcc
	s_cbranch_execz .LBB169_6584
; %bb.6581:
	v_mov_b32_e32 v1, 46
	v_cmp_eq_u16_sdwa s[68:69], v62, v1 src0_sel:BYTE_0 src1_sel:DWORD
	s_mov_b64 vcc, -1
	s_and_saveexec_b64 s[66:67], s[68:69]
	s_cbranch_execz .LBB169_6583
; %bb.6582:
	v_bfe_u32 v1, v86, 16, 1
	s_movk_i32 vcc_lo, 0x7fff
	v_add3_u32 v1, v86, v1, vcc_lo
	v_lshrrev_b32_e32 v1, 16, v1
	v_mov_b32_e32 v4, 0x7fc0
	v_cmp_o_f32_e32 vcc, v86, v86
	v_cndmask_b32_e32 v1, v4, v1, vcc
	s_mov_b64 s[64:65], exec
	flat_store_dword v[2:3], v1
	s_xor_b64 vcc, exec, -1
.LBB169_6583:
	s_or_b64 exec, exec, s[66:67]
	s_andn2_b64 s[66:67], s[50:51], exec
	s_and_b64 vcc, vcc, exec
	s_or_b64 s[66:67], s[66:67], vcc
	s_and_b64 s[64:65], s[64:65], exec
                                        ; implicit-def: $vgpr2_vgpr3
                                        ; implicit-def: $vgpr86
.LBB169_6584:
	s_andn2_saveexec_b64 s[68:69], s[4:5]
	s_cbranch_execz .LBB169_6590
; %bb.6585:
	v_mov_b32_e32 v1, 44
	v_cmp_eq_u16_sdwa s[72:73], v62, v1 src0_sel:BYTE_0 src1_sel:DWORD
	s_mov_b64 vcc, -1
	s_mov_b64 s[4:5], s[64:65]
	s_and_saveexec_b64 s[70:71], s[72:73]
	s_cbranch_execz .LBB169_6589
; %bb.6586:
	v_bfe_u32 v1, v86, 23, 8
	s_movk_i32 s4, 0xff
	v_cmp_ne_u32_e32 vcc, s4, v1
	v_mov_b32_e32 v4, 0xff
	s_and_saveexec_b64 s[72:73], vcc
; %bb.6587:
	s_mov_b32 s4, 0x3fffff
	v_and_b32_e32 v5, 0x400000, v86
	v_and_or_b32 v1, v86, s4, v1
	v_cmp_ne_u32_e32 vcc, 0, v5
	v_cmp_ne_u32_e64 s[4:5], 0, v1
	s_and_b64 s[4:5], vcc, s[4:5]
	v_lshrrev_b32_e32 v4, 23, v86
	v_cndmask_b32_e64 v1, 0, 1, s[4:5]
	v_add_u32_e32 v4, v4, v1
; %bb.6588:
	s_or_b64 exec, exec, s[72:73]
	s_xor_b64 vcc, exec, -1
	s_or_b64 s[4:5], s[64:65], exec
	flat_store_byte v[2:3], v4
.LBB169_6589:
	s_or_b64 exec, exec, s[70:71]
	s_andn2_b64 s[66:67], s[66:67], exec
	s_and_b64 vcc, vcc, exec
	s_or_b64 s[66:67], s[66:67], vcc
	s_andn2_b64 vcc, s[64:65], exec
	s_and_b64 s[4:5], s[4:5], exec
	s_or_b64 s[64:65], vcc, s[4:5]
.LBB169_6590:
	s_or_b64 exec, exec, s[68:69]
	s_andn2_b64 s[4:5], s[50:51], exec
	s_and_b64 vcc, s[66:67], exec
	s_or_b64 vcc, s[4:5], vcc
	s_and_b64 s[4:5], s[64:65], exec
                                        ; implicit-def: $vgpr86
                                        ; implicit-def: $vgpr2_vgpr3
.LBB169_6591:
	s_andn2_saveexec_b64 s[62:63], s[62:63]
	s_cbranch_execz .LBB169_6595
; %bb.6592:
	v_mov_b32_e32 v1, 29
	v_cmp_eq_u16_sdwa s[70:71], v62, v1 src0_sel:BYTE_0 src1_sel:DWORD
	s_mov_b64 s[68:69], -1
	s_mov_b64 s[66:67], s[4:5]
	s_and_saveexec_b64 s[64:65], s[70:71]
	s_cbranch_execz .LBB169_6594
; %bb.6593:
	v_trunc_f32_e32 v1, v86
	v_mul_f32_e32 v4, 0x2f800000, v1
	v_floor_f32_e32 v4, v4
	v_fmac_f32_e32 v1, 0xcf800000, v4
	v_cvt_u32_f32_e32 v5, v4
	v_cvt_u32_f32_e32 v4, v1
	s_xor_b64 s[68:69], exec, -1
	s_or_b64 s[66:67], s[4:5], exec
	flat_store_dwordx2 v[2:3], v[4:5]
.LBB169_6594:
	s_or_b64 exec, exec, s[64:65]
	s_andn2_b64 vcc, vcc, exec
	s_and_b64 s[64:65], s[68:69], exec
	s_or_b64 vcc, vcc, s[64:65]
	s_andn2_b64 s[4:5], s[4:5], exec
	s_and_b64 s[64:65], s[66:67], exec
	s_or_b64 s[4:5], s[4:5], s[64:65]
.LBB169_6595:
	s_or_b64 exec, exec, s[62:63]
	s_andn2_b64 s[62:63], s[50:51], exec
	s_and_b64 vcc, vcc, exec
	s_or_b64 s[62:63], s[62:63], vcc
	s_and_b64 s[4:5], s[4:5], exec
                                        ; implicit-def: $vgpr2_vgpr3
                                        ; implicit-def: $vgpr86
.LBB169_6596:
	s_andn2_saveexec_b64 s[58:59], s[58:59]
	s_cbranch_execz .LBB169_6612
; %bb.6597:
	v_mov_b32_e32 v1, 26
	v_cmp_gt_i16_sdwa vcc, v62, v1 src0_sel:BYTE_0 src1_sel:DWORD
	s_and_saveexec_b64 s[64:65], vcc
	s_xor_b64 vcc, exec, s[64:65]
	s_cbranch_execz .LBB169_6603
; %bb.6598:
	v_cvt_u32_f32_e32 v1, v86
	v_mov_b32_e32 v4, 27
	v_cmp_gt_i16_sdwa s[64:65], v62, v4 src0_sel:BYTE_0 src1_sel:DWORD
	s_and_saveexec_b64 s[66:67], s[64:65]
	s_xor_b64 s[64:65], exec, s[66:67]
	s_cbranch_execz .LBB169_6600
; %bb.6599:
	flat_store_dword v[2:3], v1
                                        ; implicit-def: $vgpr2_vgpr3
                                        ; implicit-def: $vgpr1
.LBB169_6600:
	s_andn2_saveexec_b64 s[64:65], s[64:65]
	s_cbranch_execz .LBB169_6602
; %bb.6601:
	flat_store_short v[2:3], v1
.LBB169_6602:
	s_or_b64 exec, exec, s[64:65]
                                        ; implicit-def: $vgpr2_vgpr3
                                        ; implicit-def: $vgpr86
.LBB169_6603:
	s_andn2_saveexec_b64 s[64:65], vcc
	s_cbranch_execz .LBB169_6611
; %bb.6604:
	v_and_b32_e32 v1, 0x7fffffff, v86
	s_mov_b32 vcc_lo, 0x43800000
	v_cmp_gt_u32_e32 vcc, vcc_lo, v1
	v_mov_b32_e32 v4, 0x80
	s_and_saveexec_b64 s[66:67], vcc
	s_cbranch_execz .LBB169_6610
; %bb.6605:
	s_mov_b32 vcc_lo, 0x3bffffff
	v_cmp_lt_u32_e32 vcc, vcc_lo, v1
	s_mov_b64 s[68:69], 0
                                        ; implicit-def: $vgpr1
	s_and_saveexec_b64 s[70:71], vcc
	s_xor_b64 vcc, exec, s[70:71]
	s_cbranch_execnz .LBB169_7331
; %bb.6606:
	s_or_saveexec_b64 s[70:71], vcc
                                        ; implicit-def: $sgpr72
	s_xor_b64 exec, exec, s[70:71]
	s_cbranch_execnz .LBB169_7332
.LBB169_6607:
	s_or_b64 exec, exec, s[70:71]
	v_mov_b32_e32 v4, s72
	s_and_saveexec_b64 vcc, s[68:69]
.LBB169_6608:
	v_lshrrev_b32_e32 v4, 24, v86
	s_movk_i32 s68, 0x80
	v_and_or_b32 v4, v4, s68, v1
.LBB169_6609:
	s_or_b64 exec, exec, vcc
.LBB169_6610:
	s_or_b64 exec, exec, s[66:67]
	flat_store_byte v[2:3], v4
.LBB169_6611:
	s_or_b64 exec, exec, s[64:65]
	s_or_b64 s[4:5], s[4:5], exec
.LBB169_6612:
	s_or_b64 exec, exec, s[58:59]
	s_andn2_b64 vcc, s[50:51], exec
	s_and_b64 s[58:59], s[62:63], exec
	s_or_b64 s[58:59], vcc, s[58:59]
	s_and_b64 s[4:5], s[4:5], exec
                                        ; implicit-def: $vgpr86
                                        ; implicit-def: $vgpr2_vgpr3
.LBB169_6613:
	s_andn2_saveexec_b64 s[60:61], s[60:61]
	s_cbranch_execz .LBB169_6657
; %bb.6614:
	v_mov_b32_e32 v1, 22
	v_cmp_gt_i16_sdwa vcc, v62, v1 src0_sel:BYTE_0 src1_sel:DWORD
	s_mov_b64 s[64:65], s[4:5]
	s_and_saveexec_b64 s[62:63], vcc
	s_xor_b64 s[62:63], exec, s[62:63]
	s_cbranch_execz .LBB169_6646
; %bb.6615:
	v_mov_b32_e32 v1, 23
	v_cmp_gt_i16_sdwa vcc, v62, v1 src0_sel:BYTE_0 src1_sel:DWORD
	s_and_saveexec_b64 s[64:65], vcc
	s_xor_b64 s[64:65], exec, s[64:65]
	s_cbranch_execz .LBB169_6635
; %bb.6616:
	v_mov_b32_e32 v1, 24
	v_cmp_gt_i16_sdwa vcc, v62, v1 src0_sel:BYTE_0 src1_sel:DWORD
	s_and_saveexec_b64 s[66:67], vcc
	s_xor_b64 s[66:67], exec, s[66:67]
	s_cbranch_execz .LBB169_6624
; %bb.6617:
	v_and_b32_e32 v1, 0x7fffffff, v86
	s_mov_b32 vcc_lo, 0x47800000
	v_cmp_gt_u32_e32 vcc, vcc_lo, v1
	v_mov_b32_e32 v4, 0x80
	s_and_saveexec_b64 s[68:69], vcc
	s_cbranch_execz .LBB169_6623
; %bb.6618:
	s_mov_b32 vcc_lo, 0x37ffffff
	v_cmp_lt_u32_e32 vcc, vcc_lo, v1
	s_mov_b64 s[70:71], 0
                                        ; implicit-def: $vgpr1
	s_and_saveexec_b64 s[72:73], vcc
	s_xor_b64 vcc, exec, s[72:73]
	s_cbranch_execnz .LBB169_7455
; %bb.6619:
	s_or_saveexec_b64 s[72:73], vcc
                                        ; implicit-def: $sgpr74
	s_xor_b64 exec, exec, s[72:73]
	s_cbranch_execnz .LBB169_7456
.LBB169_6620:
	s_or_b64 exec, exec, s[72:73]
	v_mov_b32_e32 v4, s74
	s_and_saveexec_b64 vcc, s[70:71]
.LBB169_6621:
	v_lshrrev_b32_e32 v4, 24, v86
	s_movk_i32 s70, 0x80
	v_and_or_b32 v4, v4, s70, v1
.LBB169_6622:
	s_or_b64 exec, exec, vcc
.LBB169_6623:
	s_or_b64 exec, exec, s[68:69]
	flat_store_byte v[2:3], v4
                                        ; implicit-def: $vgpr86
                                        ; implicit-def: $vgpr2_vgpr3
.LBB169_6624:
	s_andn2_saveexec_b64 s[66:67], s[66:67]
	s_cbranch_execz .LBB169_6634
; %bb.6625:
	v_and_b32_e32 v4, 0x7fffffff, v86
	s_mov_b32 vcc_lo, 0x43f00000
	v_cmp_gt_u32_e32 vcc, vcc_lo, v4
                                        ; implicit-def: $vgpr1
	s_and_saveexec_b64 s[68:69], vcc
	s_xor_b64 s[68:69], exec, s[68:69]
	s_cbranch_execz .LBB169_6631
; %bb.6626:
	s_mov_b32 vcc_lo, 0x3c7fffff
	v_cmp_lt_u32_e32 vcc, vcc_lo, v4
                                        ; implicit-def: $vgpr1
	s_and_saveexec_b64 s[70:71], vcc
	s_xor_b64 s[70:71], exec, s[70:71]
; %bb.6627:
	v_bfe_u32 v1, v86, 20, 1
	s_mov_b32 vcc_lo, 0x407ffff
	v_add3_u32 v1, v86, v1, vcc_lo
	v_lshrrev_b32_e32 v4, 20, v1
	v_and_b32_e32 v1, 0xff00000, v1
	s_mov_b32 vcc_lo, 0x7f00000
	v_mov_b32_e32 v5, 0x7e
	v_cmp_ne_u32_e32 vcc, vcc_lo, v1
	v_cndmask_b32_e32 v1, v5, v4, vcc
; %bb.6628:
	s_andn2_saveexec_b64 vcc, s[70:71]
; %bb.6629:
	s_mov_b32 s70, 0x46800000
	v_add_f32_e64 v1, |v86|, s70
; %bb.6630:
	s_or_b64 exec, exec, vcc
                                        ; implicit-def: $vgpr4
.LBB169_6631:
	s_andn2_saveexec_b64 s[68:69], s[68:69]
; %bb.6632:
	s_mov_b32 vcc_lo, 0x7f800000
	v_mov_b32_e32 v1, 0x7e
	v_mov_b32_e32 v5, 0x7f
	v_cmp_lt_u32_e32 vcc, vcc_lo, v4
	v_cndmask_b32_e32 v1, v1, v5, vcc
; %bb.6633:
	s_or_b64 exec, exec, s[68:69]
	v_lshrrev_b32_e32 v4, 24, v86
	s_movk_i32 vcc_lo, 0x80
	v_and_or_b32 v1, v4, vcc_lo, v1
	flat_store_byte v[2:3], v1
.LBB169_6634:
	s_or_b64 exec, exec, s[66:67]
                                        ; implicit-def: $vgpr86
                                        ; implicit-def: $vgpr2_vgpr3
.LBB169_6635:
	s_andn2_saveexec_b64 s[64:65], s[64:65]
	s_cbranch_execz .LBB169_6645
; %bb.6636:
	v_and_b32_e32 v4, 0x7fffffff, v86
	s_mov_b32 vcc_lo, 0x47800000
	v_cmp_gt_u32_e32 vcc, vcc_lo, v4
                                        ; implicit-def: $vgpr1
	s_and_saveexec_b64 s[66:67], vcc
	s_xor_b64 s[66:67], exec, s[66:67]
	s_cbranch_execz .LBB169_6642
; %bb.6637:
	s_mov_b32 vcc_lo, 0x387fffff
	v_cmp_lt_u32_e32 vcc, vcc_lo, v4
                                        ; implicit-def: $vgpr1
	s_and_saveexec_b64 s[68:69], vcc
	s_xor_b64 vcc, exec, s[68:69]
; %bb.6638:
	v_bfe_u32 v1, v86, 21, 1
	s_mov_b32 s68, 0x80fffff
	v_add3_u32 v1, v86, v1, s68
	v_lshrrev_b32_e32 v1, 21, v1
; %bb.6639:
	s_andn2_saveexec_b64 vcc, vcc
; %bb.6640:
	s_mov_b32 s68, 0x43000000
	v_add_f32_e64 v1, |v86|, s68
; %bb.6641:
	s_or_b64 exec, exec, vcc
                                        ; implicit-def: $vgpr4
.LBB169_6642:
	s_andn2_saveexec_b64 s[66:67], s[66:67]
; %bb.6643:
	s_mov_b32 vcc_lo, 0x7f800000
	v_mov_b32_e32 v1, 0x7c
	v_mov_b32_e32 v5, 0x7f
	v_cmp_lt_u32_e32 vcc, vcc_lo, v4
	v_cndmask_b32_e32 v1, v1, v5, vcc
; %bb.6644:
	s_or_b64 exec, exec, s[66:67]
	v_lshrrev_b32_e32 v4, 24, v86
	s_movk_i32 vcc_lo, 0x80
	v_and_or_b32 v1, v4, vcc_lo, v1
	flat_store_byte v[2:3], v1
.LBB169_6645:
	s_or_b64 exec, exec, s[64:65]
	s_or_b64 s[64:65], s[4:5], exec
                                        ; implicit-def: $vgpr86
                                        ; implicit-def: $vgpr2_vgpr3
.LBB169_6646:
	s_or_saveexec_b64 s[62:63], s[62:63]
	s_mov_b64 vcc, s[58:59]
	s_xor_b64 exec, exec, s[62:63]
	s_cbranch_execz .LBB169_6656
; %bb.6647:
	v_mov_b32_e32 v1, 14
	v_cmp_gt_i16_sdwa vcc, v62, v1 src0_sel:BYTE_0 src1_sel:DWORD
	s_mov_b64 s[66:67], s[64:65]
	s_mov_b64 s[68:69], s[58:59]
	s_and_saveexec_b64 s[70:71], vcc
	s_xor_b64 s[70:71], exec, s[70:71]
	s_cbranch_execz .LBB169_6651
; %bb.6648:
	v_mov_b32_e32 v1, 15
	v_cmp_eq_u16_sdwa s[72:73], v62, v1 src0_sel:BYTE_0 src1_sel:DWORD
	s_mov_b64 s[68:69], -1
	s_mov_b64 vcc, s[64:65]
	s_and_saveexec_b64 s[66:67], s[72:73]
	s_cbranch_execz .LBB169_6650
; %bb.6649:
	v_bfe_u32 v1, v86, 16, 1
	s_movk_i32 vcc_lo, 0x7fff
	v_add3_u32 v1, v86, v1, vcc_lo
	v_lshrrev_b32_e32 v1, 16, v1
	v_mov_b32_e32 v4, 0x7fc0
	v_cmp_o_f32_e32 vcc, v86, v86
	v_cndmask_b32_e32 v1, v4, v1, vcc
	flat_store_short v[2:3], v1
	s_xor_b64 s[68:69], exec, -1
	s_or_b64 vcc, s[64:65], exec
.LBB169_6650:
	s_or_b64 exec, exec, s[66:67]
	s_andn2_b64 s[66:67], s[58:59], exec
	s_and_b64 s[68:69], s[68:69], exec
	s_or_b64 s[68:69], s[66:67], s[68:69]
	s_andn2_b64 s[66:67], s[64:65], exec
	s_and_b64 vcc, vcc, exec
	s_or_b64 s[66:67], s[66:67], vcc
                                        ; implicit-def: $vgpr86
                                        ; implicit-def: $vgpr2_vgpr3
.LBB169_6651:
	s_andn2_saveexec_b64 s[70:71], s[70:71]
	s_cbranch_execz .LBB169_6655
; %bb.6652:
	v_mov_b32_e32 v1, 11
	v_cmp_eq_u16_sdwa s[76:77], v62, v1 src0_sel:BYTE_0 src1_sel:DWORD
	s_mov_b64 s[72:73], -1
	s_mov_b64 vcc, s[66:67]
	s_and_saveexec_b64 s[74:75], s[76:77]
	s_cbranch_execz .LBB169_6654
; %bb.6653:
	v_cmp_neq_f32_e32 vcc, 0, v86
	v_cndmask_b32_e64 v1, 0, 1, vcc
	flat_store_byte v[2:3], v1
	s_xor_b64 s[72:73], exec, -1
	s_or_b64 vcc, s[66:67], exec
.LBB169_6654:
	s_or_b64 exec, exec, s[74:75]
	s_andn2_b64 s[68:69], s[68:69], exec
	s_and_b64 s[72:73], s[72:73], exec
	s_andn2_b64 s[66:67], s[66:67], exec
	s_and_b64 vcc, vcc, exec
	s_or_b64 s[68:69], s[68:69], s[72:73]
	s_or_b64 s[66:67], s[66:67], vcc
.LBB169_6655:
	s_or_b64 exec, exec, s[70:71]
	s_andn2_b64 vcc, s[58:59], exec
	s_and_b64 s[68:69], s[68:69], exec
	s_andn2_b64 s[64:65], s[64:65], exec
	s_and_b64 s[66:67], s[66:67], exec
	s_or_b64 vcc, vcc, s[68:69]
	s_or_b64 s[64:65], s[64:65], s[66:67]
.LBB169_6656:
	s_or_b64 exec, exec, s[62:63]
	s_andn2_b64 s[58:59], s[58:59], exec
	s_and_b64 vcc, vcc, exec
	s_or_b64 s[58:59], s[58:59], vcc
	s_andn2_b64 s[4:5], s[4:5], exec
	s_and_b64 vcc, s[64:65], exec
	s_or_b64 s[4:5], s[4:5], vcc
.LBB169_6657:
	s_or_b64 exec, exec, s[60:61]
	s_andn2_b64 vcc, s[50:51], exec
	s_and_b64 s[58:59], s[58:59], exec
	s_or_b64 s[58:59], vcc, s[58:59]
	s_and_b64 s[4:5], s[4:5], exec
                                        ; implicit-def: $vgpr86
                                        ; implicit-def: $vgpr2_vgpr3
	s_andn2_saveexec_b64 s[54:55], s[54:55]
	s_cbranch_execz .LBB169_3951
.LBB169_6658:
	v_mov_b32_e32 v1, 4
	v_cmp_gt_i16_sdwa vcc, v62, v1 src0_sel:BYTE_0 src1_sel:DWORD
	s_and_saveexec_b64 s[60:61], vcc
	s_xor_b64 vcc, exec, s[60:61]
	s_cbranch_execz .LBB169_6680
; %bb.6659:
	v_mov_b32_e32 v1, 7
	v_cmp_gt_i16_sdwa s[60:61], v62, v1 src0_sel:BYTE_0 src1_sel:DWORD
	s_and_saveexec_b64 s[62:63], s[60:61]
	s_xor_b64 s[60:61], exec, s[62:63]
	s_cbranch_execz .LBB169_6669
; %bb.6660:
	v_mov_b32_e32 v1, 8
	v_cmp_gt_i16_sdwa s[62:63], v62, v1 src0_sel:BYTE_0 src1_sel:DWORD
	s_and_saveexec_b64 s[64:65], s[62:63]
	s_xor_b64 s[62:63], exec, s[64:65]
	;; [unrolled: 6-line block ×3, first 2 shown]
	s_cbranch_execz .LBB169_6663
; %bb.6662:
	v_mov_b32_e32 v6, 0
	v_cvt_f64_f32_e32 v[4:5], v86
	v_mov_b32_e32 v7, v6
	flat_store_dwordx4 v[2:3], v[4:7]
                                        ; implicit-def: $vgpr86
                                        ; implicit-def: $vgpr2_vgpr3
.LBB169_6663:
	s_andn2_saveexec_b64 s[64:65], s[64:65]
	s_cbranch_execz .LBB169_6665
; %bb.6664:
	v_mov_b32_e32 v87, 0
	flat_store_dwordx2 v[2:3], v[86:87]
.LBB169_6665:
	s_or_b64 exec, exec, s[64:65]
                                        ; implicit-def: $vgpr86
                                        ; implicit-def: $vgpr2_vgpr3
.LBB169_6666:
	s_andn2_saveexec_b64 s[62:63], s[62:63]
	s_cbranch_execz .LBB169_6668
; %bb.6667:
	v_cvt_f16_f32_e32 v1, v86
	flat_store_dword v[2:3], v1
.LBB169_6668:
	s_or_b64 exec, exec, s[62:63]
                                        ; implicit-def: $vgpr86
                                        ; implicit-def: $vgpr2_vgpr3
.LBB169_6669:
	s_andn2_saveexec_b64 s[60:61], s[60:61]
	s_cbranch_execz .LBB169_6679
; %bb.6670:
	v_mov_b32_e32 v1, 5
	v_cmp_gt_i16_sdwa s[62:63], v62, v1 src0_sel:BYTE_0 src1_sel:DWORD
	s_and_saveexec_b64 s[64:65], s[62:63]
	s_xor_b64 s[62:63], exec, s[64:65]
	s_cbranch_execz .LBB169_6676
; %bb.6671:
	v_mov_b32_e32 v1, 6
	v_cmp_gt_i16_sdwa s[64:65], v62, v1 src0_sel:BYTE_0 src1_sel:DWORD
	s_and_saveexec_b64 s[66:67], s[64:65]
	s_xor_b64 s[64:65], exec, s[66:67]
	s_cbranch_execz .LBB169_6673
; %bb.6672:
	v_cvt_f64_f32_e32 v[4:5], v86
	flat_store_dwordx2 v[2:3], v[4:5]
                                        ; implicit-def: $vgpr2_vgpr3
                                        ; implicit-def: $vgpr86
.LBB169_6673:
	s_andn2_saveexec_b64 s[64:65], s[64:65]
	s_cbranch_execz .LBB169_6675
; %bb.6674:
	flat_store_dword v[2:3], v86
.LBB169_6675:
	s_or_b64 exec, exec, s[64:65]
                                        ; implicit-def: $vgpr86
                                        ; implicit-def: $vgpr2_vgpr3
.LBB169_6676:
	s_andn2_saveexec_b64 s[62:63], s[62:63]
	s_cbranch_execz .LBB169_6678
; %bb.6677:
	v_cvt_f16_f32_e32 v1, v86
	flat_store_short v[2:3], v1
.LBB169_6678:
	s_or_b64 exec, exec, s[62:63]
.LBB169_6679:
	s_or_b64 exec, exec, s[60:61]
                                        ; implicit-def: $vgpr86
                                        ; implicit-def: $vgpr2_vgpr3
.LBB169_6680:
	s_andn2_saveexec_b64 s[60:61], vcc
	s_cbranch_execz .LBB169_6698
; %bb.6681:
	v_mov_b32_e32 v1, 1
	v_cmp_gt_i16_sdwa vcc, v62, v1 src0_sel:BYTE_0 src1_sel:DWORD
	s_and_saveexec_b64 s[62:63], vcc
	s_xor_b64 s[62:63], exec, s[62:63]
	s_cbranch_execz .LBB169_6691
; %bb.6682:
	v_mov_b32_e32 v1, 2
	v_cmp_gt_i16_sdwa vcc, v62, v1 src0_sel:BYTE_0 src1_sel:DWORD
	s_and_saveexec_b64 s[64:65], vcc
	s_xor_b64 s[64:65], exec, s[64:65]
	;; [unrolled: 6-line block ×3, first 2 shown]
	s_cbranch_execz .LBB169_6685
; %bb.6684:
	v_trunc_f32_e32 v1, v86
	s_mov_b32 s68, 0x2f800000
	v_mul_f32_e64 v4, |v1|, s68
	v_floor_f32_e32 v4, v4
	s_mov_b32 s68, 0xcf800000
	v_cvt_u32_f32_e32 v5, v4
	v_fma_f32 v4, v4, s68, |v1|
	v_cvt_u32_f32_e32 v4, v4
	v_ashrrev_i32_e32 v1, 31, v1
	v_xor_b32_e32 v5, v5, v1
                                        ; implicit-def: $vgpr86
	v_xor_b32_e32 v4, v4, v1
	v_sub_co_u32_e32 v4, vcc, v4, v1
	v_subb_co_u32_e32 v5, vcc, v5, v1, vcc
	flat_store_dwordx2 v[2:3], v[4:5]
                                        ; implicit-def: $vgpr2_vgpr3
.LBB169_6685:
	s_andn2_saveexec_b64 vcc, s[66:67]
	s_cbranch_execz .LBB169_6687
; %bb.6686:
	v_cvt_i32_f32_e32 v1, v86
	flat_store_dword v[2:3], v1
.LBB169_6687:
	s_or_b64 exec, exec, vcc
                                        ; implicit-def: $vgpr86
                                        ; implicit-def: $vgpr2_vgpr3
.LBB169_6688:
	s_andn2_saveexec_b64 vcc, s[64:65]
	s_cbranch_execz .LBB169_6690
; %bb.6689:
	v_cvt_i32_f32_e32 v1, v86
	flat_store_short v[2:3], v1
.LBB169_6690:
	s_or_b64 exec, exec, vcc
                                        ; implicit-def: $vgpr86
                                        ; implicit-def: $vgpr2_vgpr3
.LBB169_6691:
	s_andn2_saveexec_b64 vcc, s[62:63]
	s_cbranch_execz .LBB169_6697
; %bb.6692:
	v_mov_b32_e32 v1, 0
	v_cmp_gt_i16_sdwa s[62:63], v62, v1 src0_sel:BYTE_0 src1_sel:DWORD
	s_and_saveexec_b64 s[64:65], s[62:63]
	s_xor_b64 s[62:63], exec, s[64:65]
	s_cbranch_execz .LBB169_6694
; %bb.6693:
	v_cvt_i32_f32_e32 v1, v86
                                        ; implicit-def: $vgpr86
	flat_store_byte v[2:3], v1
                                        ; implicit-def: $vgpr2_vgpr3
.LBB169_6694:
	s_andn2_saveexec_b64 s[62:63], s[62:63]
	s_cbranch_execz .LBB169_6696
; %bb.6695:
	v_trunc_f32_e32 v1, v86
	s_mov_b32 s64, 0x2f800000
	v_mul_f32_e64 v4, |v1|, s64
	v_floor_f32_e32 v4, v4
	s_mov_b32 s64, 0xcf800000
	v_fma_f32 v4, v4, s64, |v1|
	v_cvt_u32_f32_e32 v4, v4
	v_ashrrev_i32_e32 v1, 31, v1
	v_xor_b32_e32 v4, v4, v1
	v_sub_u32_e32 v1, v4, v1
	flat_store_byte v[2:3], v1
.LBB169_6696:
	s_or_b64 exec, exec, s[62:63]
.LBB169_6697:
	s_or_b64 exec, exec, vcc
.LBB169_6698:
	s_or_b64 exec, exec, s[60:61]
	s_or_b64 s[4:5], s[4:5], exec
	s_or_b64 exec, exec, s[54:55]
	s_mov_b64 vcc, 0
	s_and_saveexec_b64 s[54:55], s[4:5]
	s_cbranch_execnz .LBB169_3952
	s_branch .LBB169_3953
.LBB169_6699:
	v_bfe_u32 v1, v114, 21, 1
	s_mov_b32 s60, 0x88fffff
	v_add3_u32 v1, v114, v1, s60
	s_mov_b64 s[58:59], exec
	v_lshrrev_b32_e32 v1, 21, v1
	s_or_saveexec_b64 s[60:61], vcc
                                        ; implicit-def: $sgpr62
	s_xor_b64 exec, exec, s[60:61]
	s_cbranch_execz .LBB169_5864
.LBB169_6700:
	s_mov_b32 s62, 0x42800000
	v_add_f32_e64 v1, |v114|, s62
	v_and_b32_e32 v1, 0xff, v1
	v_cmp_ne_u32_e32 vcc, 0, v1
	s_andn2_b64 s[58:59], s[58:59], exec
	s_and_b64 vcc, vcc, exec
	s_mov_b32 s62, 0
	s_or_b64 s[58:59], s[58:59], vcc
	s_or_b64 exec, exec, s[60:61]
	v_mov_b32_e32 v4, s62
	s_and_saveexec_b64 vcc, s[58:59]
	s_cbranch_execnz .LBB169_5865
	s_branch .LBB169_5866
.LBB169_6701:
	v_bfe_u32 v1, v112, 20, 1
	s_mov_b32 s58, 0x487ffff
	v_add3_u32 v1, v112, v1, s58
	s_mov_b64 s[56:57], exec
	v_lshrrev_b32_e32 v1, 20, v1
	s_or_saveexec_b64 s[58:59], vcc
                                        ; implicit-def: $sgpr60
	s_xor_b64 exec, exec, s[58:59]
	s_cbranch_execz .LBB169_5977
.LBB169_6702:
	s_mov_b32 s60, 0x46000000
	v_add_f32_e64 v1, |v112|, s60
	v_and_b32_e32 v1, 0xff, v1
	v_cmp_ne_u32_e32 vcc, 0, v1
	s_andn2_b64 s[56:57], s[56:57], exec
	s_and_b64 vcc, vcc, exec
	s_mov_b32 s60, 0
	s_or_b64 s[56:57], s[56:57], vcc
	s_or_b64 exec, exec, s[58:59]
	v_mov_b32_e32 v4, s60
	s_and_saveexec_b64 vcc, s[56:57]
	s_cbranch_execnz .LBB169_5978
	s_branch .LBB169_5979
.LBB169_6703:
	v_mov_b32_e32 v1, 25
	v_cmp_gt_i16_sdwa vcc, v62, v1 src0_sel:BYTE_0 src1_sel:DWORD
	s_mov_b64 s[62:63], s[54:55]
	s_and_saveexec_b64 s[64:65], vcc
	s_xor_b64 s[64:65], exec, s[64:65]
	s_cbranch_execz .LBB169_6739
; %bb.6704:
	v_mov_b32_e32 v1, 28
	v_cmp_gt_i16_sdwa vcc, v62, v1 src0_sel:BYTE_0 src1_sel:DWORD
	s_mov_b64 s[66:67], s[54:55]
	s_and_saveexec_b64 s[62:63], vcc
	s_xor_b64 s[62:63], exec, s[62:63]
	s_cbranch_execz .LBB169_6722
; %bb.6705:
	v_mov_b32_e32 v1, 43
	v_cmp_gt_i16_sdwa s[66:67], v62, v1 src0_sel:BYTE_0 src1_sel:DWORD
	s_mov_b64 vcc, s[54:55]
	s_and_saveexec_b64 s[68:69], s[66:67]
	s_xor_b64 s[66:67], exec, s[68:69]
	s_cbranch_execz .LBB169_6717
; %bb.6706:
	v_mov_b32_e32 v1, 45
	v_cmp_gt_i16_sdwa s[4:5], v62, v1 src0_sel:BYTE_0 src1_sel:DWORD
	s_mov_b64 s[68:69], 0
	s_mov_b64 s[70:71], s[54:55]
	s_and_saveexec_b64 vcc, s[4:5]
	s_xor_b64 s[4:5], exec, vcc
	s_cbranch_execz .LBB169_6710
; %bb.6707:
	v_mov_b32_e32 v1, 46
	v_cmp_eq_u16_sdwa s[72:73], v62, v1 src0_sel:BYTE_0 src1_sel:DWORD
	s_mov_b64 vcc, -1
	s_and_saveexec_b64 s[70:71], s[72:73]
	s_cbranch_execz .LBB169_6709
; %bb.6708:
	v_bfe_u32 v1, v84, 16, 1
	s_movk_i32 vcc_lo, 0x7fff
	v_add3_u32 v1, v84, v1, vcc_lo
	v_lshrrev_b32_e32 v1, 16, v1
	v_mov_b32_e32 v4, 0x7fc0
	v_cmp_o_f32_e32 vcc, v84, v84
	v_cndmask_b32_e32 v1, v4, v1, vcc
	s_mov_b64 s[68:69], exec
	flat_store_dword v[2:3], v1
	s_xor_b64 vcc, exec, -1
.LBB169_6709:
	s_or_b64 exec, exec, s[70:71]
	s_andn2_b64 s[70:71], s[54:55], exec
	s_and_b64 vcc, vcc, exec
	s_or_b64 s[70:71], s[70:71], vcc
	s_and_b64 s[68:69], s[68:69], exec
                                        ; implicit-def: $vgpr2_vgpr3
                                        ; implicit-def: $vgpr84
.LBB169_6710:
	s_andn2_saveexec_b64 s[72:73], s[4:5]
	s_cbranch_execz .LBB169_6716
; %bb.6711:
	v_mov_b32_e32 v1, 44
	v_cmp_eq_u16_sdwa s[76:77], v62, v1 src0_sel:BYTE_0 src1_sel:DWORD
	s_mov_b64 vcc, -1
	s_mov_b64 s[4:5], s[68:69]
	s_and_saveexec_b64 s[74:75], s[76:77]
	s_cbranch_execz .LBB169_6715
; %bb.6712:
	v_bfe_u32 v1, v84, 23, 8
	s_movk_i32 s4, 0xff
	v_cmp_ne_u32_e32 vcc, s4, v1
	v_mov_b32_e32 v4, 0xff
	s_and_saveexec_b64 s[76:77], vcc
; %bb.6713:
	s_mov_b32 s4, 0x3fffff
	v_and_b32_e32 v5, 0x400000, v84
	v_and_or_b32 v1, v84, s4, v1
	v_cmp_ne_u32_e32 vcc, 0, v5
	v_cmp_ne_u32_e64 s[4:5], 0, v1
	s_and_b64 s[4:5], vcc, s[4:5]
	v_lshrrev_b32_e32 v4, 23, v84
	v_cndmask_b32_e64 v1, 0, 1, s[4:5]
	v_add_u32_e32 v4, v4, v1
; %bb.6714:
	s_or_b64 exec, exec, s[76:77]
	s_xor_b64 vcc, exec, -1
	s_or_b64 s[4:5], s[68:69], exec
	flat_store_byte v[2:3], v4
.LBB169_6715:
	s_or_b64 exec, exec, s[74:75]
	s_andn2_b64 s[70:71], s[70:71], exec
	s_and_b64 vcc, vcc, exec
	s_or_b64 s[70:71], s[70:71], vcc
	s_andn2_b64 vcc, s[68:69], exec
	s_and_b64 s[4:5], s[4:5], exec
	s_or_b64 s[68:69], vcc, s[4:5]
.LBB169_6716:
	s_or_b64 exec, exec, s[72:73]
	s_andn2_b64 s[4:5], s[54:55], exec
	s_and_b64 vcc, s[70:71], exec
	s_or_b64 vcc, s[4:5], vcc
	s_and_b64 s[4:5], s[68:69], exec
                                        ; implicit-def: $vgpr84
                                        ; implicit-def: $vgpr2_vgpr3
.LBB169_6717:
	s_andn2_saveexec_b64 s[66:67], s[66:67]
	s_cbranch_execz .LBB169_6721
; %bb.6718:
	v_mov_b32_e32 v1, 29
	v_cmp_eq_u16_sdwa s[74:75], v62, v1 src0_sel:BYTE_0 src1_sel:DWORD
	s_mov_b64 s[72:73], -1
	s_mov_b64 s[70:71], s[4:5]
	s_and_saveexec_b64 s[68:69], s[74:75]
	s_cbranch_execz .LBB169_6720
; %bb.6719:
	v_trunc_f32_e32 v1, v84
	v_mul_f32_e32 v4, 0x2f800000, v1
	v_floor_f32_e32 v4, v4
	v_fmac_f32_e32 v1, 0xcf800000, v4
	v_cvt_u32_f32_e32 v5, v4
	v_cvt_u32_f32_e32 v4, v1
	s_xor_b64 s[72:73], exec, -1
	s_or_b64 s[70:71], s[4:5], exec
	flat_store_dwordx2 v[2:3], v[4:5]
.LBB169_6720:
	s_or_b64 exec, exec, s[68:69]
	s_andn2_b64 vcc, vcc, exec
	s_and_b64 s[68:69], s[72:73], exec
	s_or_b64 vcc, vcc, s[68:69]
	s_andn2_b64 s[4:5], s[4:5], exec
	s_and_b64 s[68:69], s[70:71], exec
	s_or_b64 s[4:5], s[4:5], s[68:69]
.LBB169_6721:
	s_or_b64 exec, exec, s[66:67]
	s_andn2_b64 s[66:67], s[54:55], exec
	s_and_b64 vcc, vcc, exec
	s_or_b64 s[66:67], s[66:67], vcc
	s_and_b64 s[4:5], s[4:5], exec
                                        ; implicit-def: $vgpr2_vgpr3
                                        ; implicit-def: $vgpr84
.LBB169_6722:
	s_andn2_saveexec_b64 s[62:63], s[62:63]
	s_cbranch_execz .LBB169_6738
; %bb.6723:
	v_mov_b32_e32 v1, 26
	v_cmp_gt_i16_sdwa vcc, v62, v1 src0_sel:BYTE_0 src1_sel:DWORD
	s_and_saveexec_b64 s[68:69], vcc
	s_xor_b64 vcc, exec, s[68:69]
	s_cbranch_execz .LBB169_6729
; %bb.6724:
	v_cvt_u32_f32_e32 v1, v84
	v_mov_b32_e32 v4, 27
	v_cmp_gt_i16_sdwa s[68:69], v62, v4 src0_sel:BYTE_0 src1_sel:DWORD
	s_and_saveexec_b64 s[70:71], s[68:69]
	s_xor_b64 s[68:69], exec, s[70:71]
	s_cbranch_execz .LBB169_6726
; %bb.6725:
	flat_store_dword v[2:3], v1
                                        ; implicit-def: $vgpr2_vgpr3
                                        ; implicit-def: $vgpr1
.LBB169_6726:
	s_andn2_saveexec_b64 s[68:69], s[68:69]
	s_cbranch_execz .LBB169_6728
; %bb.6727:
	flat_store_short v[2:3], v1
.LBB169_6728:
	s_or_b64 exec, exec, s[68:69]
                                        ; implicit-def: $vgpr2_vgpr3
                                        ; implicit-def: $vgpr84
.LBB169_6729:
	s_andn2_saveexec_b64 s[68:69], vcc
	s_cbranch_execz .LBB169_6737
; %bb.6730:
	v_and_b32_e32 v1, 0x7fffffff, v84
	s_mov_b32 vcc_lo, 0x43800000
	v_cmp_gt_u32_e32 vcc, vcc_lo, v1
	v_mov_b32_e32 v4, 0x80
	s_and_saveexec_b64 s[70:71], vcc
	s_cbranch_execz .LBB169_6736
; %bb.6731:
	s_mov_b32 vcc_lo, 0x3bffffff
	v_cmp_lt_u32_e32 vcc, vcc_lo, v1
	s_mov_b64 s[72:73], 0
                                        ; implicit-def: $vgpr1
	s_and_saveexec_b64 s[74:75], vcc
	s_xor_b64 vcc, exec, s[74:75]
	s_cbranch_execnz .LBB169_7457
; %bb.6732:
	s_or_saveexec_b64 s[74:75], vcc
                                        ; implicit-def: $sgpr76
	s_xor_b64 exec, exec, s[74:75]
	s_cbranch_execnz .LBB169_7458
.LBB169_6733:
	s_or_b64 exec, exec, s[74:75]
	v_mov_b32_e32 v4, s76
	s_and_saveexec_b64 vcc, s[72:73]
.LBB169_6734:
	v_lshrrev_b32_e32 v4, 24, v84
	s_movk_i32 s72, 0x80
	v_and_or_b32 v4, v4, s72, v1
.LBB169_6735:
	s_or_b64 exec, exec, vcc
.LBB169_6736:
	s_or_b64 exec, exec, s[70:71]
	flat_store_byte v[2:3], v4
.LBB169_6737:
	s_or_b64 exec, exec, s[68:69]
	s_or_b64 s[4:5], s[4:5], exec
.LBB169_6738:
	s_or_b64 exec, exec, s[62:63]
	s_andn2_b64 vcc, s[54:55], exec
	s_and_b64 s[62:63], s[66:67], exec
	s_or_b64 s[62:63], vcc, s[62:63]
	s_and_b64 s[4:5], s[4:5], exec
                                        ; implicit-def: $vgpr84
                                        ; implicit-def: $vgpr2_vgpr3
.LBB169_6739:
	s_andn2_saveexec_b64 s[64:65], s[64:65]
	s_cbranch_execz .LBB169_6783
; %bb.6740:
	v_mov_b32_e32 v1, 22
	v_cmp_gt_i16_sdwa vcc, v62, v1 src0_sel:BYTE_0 src1_sel:DWORD
	s_mov_b64 s[68:69], s[4:5]
	s_and_saveexec_b64 s[66:67], vcc
	s_xor_b64 s[66:67], exec, s[66:67]
	s_cbranch_execz .LBB169_6772
; %bb.6741:
	v_mov_b32_e32 v1, 23
	v_cmp_gt_i16_sdwa vcc, v62, v1 src0_sel:BYTE_0 src1_sel:DWORD
	s_and_saveexec_b64 s[68:69], vcc
	s_xor_b64 s[68:69], exec, s[68:69]
	s_cbranch_execz .LBB169_6761
; %bb.6742:
	v_mov_b32_e32 v1, 24
	v_cmp_gt_i16_sdwa vcc, v62, v1 src0_sel:BYTE_0 src1_sel:DWORD
	s_and_saveexec_b64 s[70:71], vcc
	s_xor_b64 s[70:71], exec, s[70:71]
	s_cbranch_execz .LBB169_6750
; %bb.6743:
	v_and_b32_e32 v1, 0x7fffffff, v84
	s_mov_b32 vcc_lo, 0x47800000
	v_cmp_gt_u32_e32 vcc, vcc_lo, v1
	v_mov_b32_e32 v4, 0x80
	s_and_saveexec_b64 s[72:73], vcc
	s_cbranch_execz .LBB169_6749
; %bb.6744:
	s_mov_b32 vcc_lo, 0x37ffffff
	v_cmp_lt_u32_e32 vcc, vcc_lo, v1
	s_mov_b64 s[74:75], 0
                                        ; implicit-def: $vgpr1
	s_and_saveexec_b64 s[76:77], vcc
	s_xor_b64 vcc, exec, s[76:77]
	s_cbranch_execnz .LBB169_7581
; %bb.6745:
	s_or_saveexec_b64 s[76:77], vcc
                                        ; implicit-def: $sgpr78
	s_xor_b64 exec, exec, s[76:77]
	s_cbranch_execnz .LBB169_7582
.LBB169_6746:
	s_or_b64 exec, exec, s[76:77]
	v_mov_b32_e32 v4, s78
	s_and_saveexec_b64 vcc, s[74:75]
.LBB169_6747:
	v_lshrrev_b32_e32 v4, 24, v84
	s_movk_i32 s74, 0x80
	v_and_or_b32 v4, v4, s74, v1
.LBB169_6748:
	s_or_b64 exec, exec, vcc
.LBB169_6749:
	s_or_b64 exec, exec, s[72:73]
	flat_store_byte v[2:3], v4
                                        ; implicit-def: $vgpr84
                                        ; implicit-def: $vgpr2_vgpr3
.LBB169_6750:
	s_andn2_saveexec_b64 s[70:71], s[70:71]
	s_cbranch_execz .LBB169_6760
; %bb.6751:
	v_and_b32_e32 v4, 0x7fffffff, v84
	s_mov_b32 vcc_lo, 0x43f00000
	v_cmp_gt_u32_e32 vcc, vcc_lo, v4
                                        ; implicit-def: $vgpr1
	s_and_saveexec_b64 s[72:73], vcc
	s_xor_b64 s[72:73], exec, s[72:73]
	s_cbranch_execz .LBB169_6757
; %bb.6752:
	s_mov_b32 vcc_lo, 0x3c7fffff
	v_cmp_lt_u32_e32 vcc, vcc_lo, v4
                                        ; implicit-def: $vgpr1
	s_and_saveexec_b64 s[74:75], vcc
	s_xor_b64 s[74:75], exec, s[74:75]
; %bb.6753:
	v_bfe_u32 v1, v84, 20, 1
	s_mov_b32 vcc_lo, 0x407ffff
	v_add3_u32 v1, v84, v1, vcc_lo
	v_lshrrev_b32_e32 v4, 20, v1
	v_and_b32_e32 v1, 0xff00000, v1
	s_mov_b32 vcc_lo, 0x7f00000
	v_mov_b32_e32 v5, 0x7e
	v_cmp_ne_u32_e32 vcc, vcc_lo, v1
	v_cndmask_b32_e32 v1, v5, v4, vcc
; %bb.6754:
	s_andn2_saveexec_b64 vcc, s[74:75]
; %bb.6755:
	s_mov_b32 s74, 0x46800000
	v_add_f32_e64 v1, |v84|, s74
; %bb.6756:
	s_or_b64 exec, exec, vcc
                                        ; implicit-def: $vgpr4
.LBB169_6757:
	s_andn2_saveexec_b64 s[72:73], s[72:73]
; %bb.6758:
	s_mov_b32 vcc_lo, 0x7f800000
	v_mov_b32_e32 v1, 0x7e
	v_mov_b32_e32 v5, 0x7f
	v_cmp_lt_u32_e32 vcc, vcc_lo, v4
	v_cndmask_b32_e32 v1, v1, v5, vcc
; %bb.6759:
	s_or_b64 exec, exec, s[72:73]
	v_lshrrev_b32_e32 v4, 24, v84
	s_movk_i32 vcc_lo, 0x80
	v_and_or_b32 v1, v4, vcc_lo, v1
	flat_store_byte v[2:3], v1
.LBB169_6760:
	s_or_b64 exec, exec, s[70:71]
                                        ; implicit-def: $vgpr84
                                        ; implicit-def: $vgpr2_vgpr3
.LBB169_6761:
	s_andn2_saveexec_b64 s[68:69], s[68:69]
	s_cbranch_execz .LBB169_6771
; %bb.6762:
	v_and_b32_e32 v4, 0x7fffffff, v84
	s_mov_b32 vcc_lo, 0x47800000
	v_cmp_gt_u32_e32 vcc, vcc_lo, v4
                                        ; implicit-def: $vgpr1
	s_and_saveexec_b64 s[70:71], vcc
	s_xor_b64 s[70:71], exec, s[70:71]
	s_cbranch_execz .LBB169_6768
; %bb.6763:
	s_mov_b32 vcc_lo, 0x387fffff
	v_cmp_lt_u32_e32 vcc, vcc_lo, v4
                                        ; implicit-def: $vgpr1
	s_and_saveexec_b64 s[72:73], vcc
	s_xor_b64 vcc, exec, s[72:73]
; %bb.6764:
	v_bfe_u32 v1, v84, 21, 1
	s_mov_b32 s72, 0x80fffff
	v_add3_u32 v1, v84, v1, s72
	v_lshrrev_b32_e32 v1, 21, v1
; %bb.6765:
	s_andn2_saveexec_b64 vcc, vcc
; %bb.6766:
	s_mov_b32 s72, 0x43000000
	v_add_f32_e64 v1, |v84|, s72
; %bb.6767:
	s_or_b64 exec, exec, vcc
                                        ; implicit-def: $vgpr4
.LBB169_6768:
	s_andn2_saveexec_b64 s[70:71], s[70:71]
; %bb.6769:
	s_mov_b32 vcc_lo, 0x7f800000
	v_mov_b32_e32 v1, 0x7c
	v_mov_b32_e32 v5, 0x7f
	v_cmp_lt_u32_e32 vcc, vcc_lo, v4
	v_cndmask_b32_e32 v1, v1, v5, vcc
; %bb.6770:
	s_or_b64 exec, exec, s[70:71]
	v_lshrrev_b32_e32 v4, 24, v84
	s_movk_i32 vcc_lo, 0x80
	v_and_or_b32 v1, v4, vcc_lo, v1
	flat_store_byte v[2:3], v1
.LBB169_6771:
	s_or_b64 exec, exec, s[68:69]
	s_or_b64 s[68:69], s[4:5], exec
                                        ; implicit-def: $vgpr84
                                        ; implicit-def: $vgpr2_vgpr3
.LBB169_6772:
	s_or_saveexec_b64 s[66:67], s[66:67]
	s_mov_b64 vcc, s[62:63]
	s_xor_b64 exec, exec, s[66:67]
	s_cbranch_execz .LBB169_6782
; %bb.6773:
	v_mov_b32_e32 v1, 14
	v_cmp_gt_i16_sdwa vcc, v62, v1 src0_sel:BYTE_0 src1_sel:DWORD
	s_mov_b64 s[70:71], s[68:69]
	s_mov_b64 s[72:73], s[62:63]
	s_and_saveexec_b64 s[74:75], vcc
	s_xor_b64 s[74:75], exec, s[74:75]
	s_cbranch_execz .LBB169_6777
; %bb.6774:
	v_mov_b32_e32 v1, 15
	v_cmp_eq_u16_sdwa s[76:77], v62, v1 src0_sel:BYTE_0 src1_sel:DWORD
	s_mov_b64 s[72:73], -1
	s_mov_b64 vcc, s[68:69]
	s_and_saveexec_b64 s[70:71], s[76:77]
	s_cbranch_execz .LBB169_6776
; %bb.6775:
	v_bfe_u32 v1, v84, 16, 1
	s_movk_i32 vcc_lo, 0x7fff
	v_add3_u32 v1, v84, v1, vcc_lo
	v_lshrrev_b32_e32 v1, 16, v1
	v_mov_b32_e32 v4, 0x7fc0
	v_cmp_o_f32_e32 vcc, v84, v84
	v_cndmask_b32_e32 v1, v4, v1, vcc
	flat_store_short v[2:3], v1
	s_xor_b64 s[72:73], exec, -1
	s_or_b64 vcc, s[68:69], exec
.LBB169_6776:
	s_or_b64 exec, exec, s[70:71]
	s_andn2_b64 s[70:71], s[62:63], exec
	s_and_b64 s[72:73], s[72:73], exec
	s_or_b64 s[72:73], s[70:71], s[72:73]
	s_andn2_b64 s[70:71], s[68:69], exec
	s_and_b64 vcc, vcc, exec
	s_or_b64 s[70:71], s[70:71], vcc
                                        ; implicit-def: $vgpr84
                                        ; implicit-def: $vgpr2_vgpr3
.LBB169_6777:
	s_andn2_saveexec_b64 s[74:75], s[74:75]
	s_cbranch_execz .LBB169_6781
; %bb.6778:
	v_mov_b32_e32 v1, 11
	v_cmp_eq_u16_sdwa s[80:81], v62, v1 src0_sel:BYTE_0 src1_sel:DWORD
	s_mov_b64 s[76:77], -1
	s_mov_b64 vcc, s[70:71]
	s_and_saveexec_b64 s[78:79], s[80:81]
	s_cbranch_execz .LBB169_6780
; %bb.6779:
	v_cmp_neq_f32_e32 vcc, 0, v84
	v_cndmask_b32_e64 v1, 0, 1, vcc
	flat_store_byte v[2:3], v1
	s_xor_b64 s[76:77], exec, -1
	s_or_b64 vcc, s[70:71], exec
.LBB169_6780:
	s_or_b64 exec, exec, s[78:79]
	s_andn2_b64 s[72:73], s[72:73], exec
	s_and_b64 s[76:77], s[76:77], exec
	s_andn2_b64 s[70:71], s[70:71], exec
	s_and_b64 vcc, vcc, exec
	s_or_b64 s[72:73], s[72:73], s[76:77]
	s_or_b64 s[70:71], s[70:71], vcc
.LBB169_6781:
	s_or_b64 exec, exec, s[74:75]
	s_andn2_b64 vcc, s[62:63], exec
	s_and_b64 s[72:73], s[72:73], exec
	s_andn2_b64 s[68:69], s[68:69], exec
	s_and_b64 s[70:71], s[70:71], exec
	s_or_b64 vcc, vcc, s[72:73]
	s_or_b64 s[68:69], s[68:69], s[70:71]
.LBB169_6782:
	s_or_b64 exec, exec, s[66:67]
	s_andn2_b64 s[62:63], s[62:63], exec
	s_and_b64 vcc, vcc, exec
	s_or_b64 s[62:63], s[62:63], vcc
	s_andn2_b64 s[4:5], s[4:5], exec
	s_and_b64 vcc, s[68:69], exec
	s_or_b64 s[4:5], s[4:5], vcc
.LBB169_6783:
	s_or_b64 exec, exec, s[64:65]
	s_andn2_b64 vcc, s[54:55], exec
	s_and_b64 s[62:63], s[62:63], exec
	s_or_b64 s[62:63], vcc, s[62:63]
	s_and_b64 s[4:5], s[4:5], exec
                                        ; implicit-def: $vgpr84
                                        ; implicit-def: $vgpr2_vgpr3
	s_andn2_saveexec_b64 s[58:59], s[58:59]
	s_cbranch_execz .LBB169_3958
.LBB169_6784:
	v_mov_b32_e32 v1, 4
	v_cmp_gt_i16_sdwa vcc, v62, v1 src0_sel:BYTE_0 src1_sel:DWORD
	s_and_saveexec_b64 s[64:65], vcc
	s_xor_b64 vcc, exec, s[64:65]
	s_cbranch_execz .LBB169_6806
; %bb.6785:
	v_mov_b32_e32 v1, 7
	v_cmp_gt_i16_sdwa s[64:65], v62, v1 src0_sel:BYTE_0 src1_sel:DWORD
	s_and_saveexec_b64 s[66:67], s[64:65]
	s_xor_b64 s[64:65], exec, s[66:67]
	s_cbranch_execz .LBB169_6795
; %bb.6786:
	v_mov_b32_e32 v1, 8
	v_cmp_gt_i16_sdwa s[66:67], v62, v1 src0_sel:BYTE_0 src1_sel:DWORD
	s_and_saveexec_b64 s[68:69], s[66:67]
	s_xor_b64 s[66:67], exec, s[68:69]
	;; [unrolled: 6-line block ×3, first 2 shown]
	s_cbranch_execz .LBB169_6789
; %bb.6788:
	v_mov_b32_e32 v6, 0
	v_cvt_f64_f32_e32 v[4:5], v84
	v_mov_b32_e32 v7, v6
	flat_store_dwordx4 v[2:3], v[4:7]
                                        ; implicit-def: $vgpr84
                                        ; implicit-def: $vgpr2_vgpr3
.LBB169_6789:
	s_andn2_saveexec_b64 s[68:69], s[68:69]
	s_cbranch_execz .LBB169_6791
; %bb.6790:
	v_mov_b32_e32 v85, 0
	flat_store_dwordx2 v[2:3], v[84:85]
.LBB169_6791:
	s_or_b64 exec, exec, s[68:69]
                                        ; implicit-def: $vgpr84
                                        ; implicit-def: $vgpr2_vgpr3
.LBB169_6792:
	s_andn2_saveexec_b64 s[66:67], s[66:67]
	s_cbranch_execz .LBB169_6794
; %bb.6793:
	v_cvt_f16_f32_e32 v1, v84
	flat_store_dword v[2:3], v1
.LBB169_6794:
	s_or_b64 exec, exec, s[66:67]
                                        ; implicit-def: $vgpr84
                                        ; implicit-def: $vgpr2_vgpr3
.LBB169_6795:
	s_andn2_saveexec_b64 s[64:65], s[64:65]
	s_cbranch_execz .LBB169_6805
; %bb.6796:
	v_mov_b32_e32 v1, 5
	v_cmp_gt_i16_sdwa s[66:67], v62, v1 src0_sel:BYTE_0 src1_sel:DWORD
	s_and_saveexec_b64 s[68:69], s[66:67]
	s_xor_b64 s[66:67], exec, s[68:69]
	s_cbranch_execz .LBB169_6802
; %bb.6797:
	v_mov_b32_e32 v1, 6
	v_cmp_gt_i16_sdwa s[68:69], v62, v1 src0_sel:BYTE_0 src1_sel:DWORD
	s_and_saveexec_b64 s[70:71], s[68:69]
	s_xor_b64 s[68:69], exec, s[70:71]
	s_cbranch_execz .LBB169_6799
; %bb.6798:
	v_cvt_f64_f32_e32 v[4:5], v84
	flat_store_dwordx2 v[2:3], v[4:5]
                                        ; implicit-def: $vgpr2_vgpr3
                                        ; implicit-def: $vgpr84
.LBB169_6799:
	s_andn2_saveexec_b64 s[68:69], s[68:69]
	s_cbranch_execz .LBB169_6801
; %bb.6800:
	flat_store_dword v[2:3], v84
.LBB169_6801:
	s_or_b64 exec, exec, s[68:69]
                                        ; implicit-def: $vgpr84
                                        ; implicit-def: $vgpr2_vgpr3
.LBB169_6802:
	s_andn2_saveexec_b64 s[66:67], s[66:67]
	s_cbranch_execz .LBB169_6804
; %bb.6803:
	v_cvt_f16_f32_e32 v1, v84
	flat_store_short v[2:3], v1
.LBB169_6804:
	s_or_b64 exec, exec, s[66:67]
.LBB169_6805:
	s_or_b64 exec, exec, s[64:65]
                                        ; implicit-def: $vgpr84
                                        ; implicit-def: $vgpr2_vgpr3
.LBB169_6806:
	s_andn2_saveexec_b64 s[64:65], vcc
	s_cbranch_execz .LBB169_6824
; %bb.6807:
	v_mov_b32_e32 v1, 1
	v_cmp_gt_i16_sdwa vcc, v62, v1 src0_sel:BYTE_0 src1_sel:DWORD
	s_and_saveexec_b64 s[66:67], vcc
	s_xor_b64 s[66:67], exec, s[66:67]
	s_cbranch_execz .LBB169_6817
; %bb.6808:
	v_mov_b32_e32 v1, 2
	v_cmp_gt_i16_sdwa vcc, v62, v1 src0_sel:BYTE_0 src1_sel:DWORD
	s_and_saveexec_b64 s[68:69], vcc
	s_xor_b64 s[68:69], exec, s[68:69]
	;; [unrolled: 6-line block ×3, first 2 shown]
	s_cbranch_execz .LBB169_6811
; %bb.6810:
	v_trunc_f32_e32 v1, v84
	s_mov_b32 s72, 0x2f800000
	v_mul_f32_e64 v4, |v1|, s72
	v_floor_f32_e32 v4, v4
	s_mov_b32 s72, 0xcf800000
	v_cvt_u32_f32_e32 v5, v4
	v_fma_f32 v4, v4, s72, |v1|
	v_cvt_u32_f32_e32 v4, v4
	v_ashrrev_i32_e32 v1, 31, v1
	v_xor_b32_e32 v5, v5, v1
                                        ; implicit-def: $vgpr84
	v_xor_b32_e32 v4, v4, v1
	v_sub_co_u32_e32 v4, vcc, v4, v1
	v_subb_co_u32_e32 v5, vcc, v5, v1, vcc
	flat_store_dwordx2 v[2:3], v[4:5]
                                        ; implicit-def: $vgpr2_vgpr3
.LBB169_6811:
	s_andn2_saveexec_b64 vcc, s[70:71]
	s_cbranch_execz .LBB169_6813
; %bb.6812:
	v_cvt_i32_f32_e32 v1, v84
	flat_store_dword v[2:3], v1
.LBB169_6813:
	s_or_b64 exec, exec, vcc
                                        ; implicit-def: $vgpr84
                                        ; implicit-def: $vgpr2_vgpr3
.LBB169_6814:
	s_andn2_saveexec_b64 vcc, s[68:69]
	s_cbranch_execz .LBB169_6816
; %bb.6815:
	v_cvt_i32_f32_e32 v1, v84
	flat_store_short v[2:3], v1
.LBB169_6816:
	s_or_b64 exec, exec, vcc
                                        ; implicit-def: $vgpr84
                                        ; implicit-def: $vgpr2_vgpr3
.LBB169_6817:
	s_andn2_saveexec_b64 vcc, s[66:67]
	s_cbranch_execz .LBB169_6823
; %bb.6818:
	v_mov_b32_e32 v1, 0
	v_cmp_gt_i16_sdwa s[66:67], v62, v1 src0_sel:BYTE_0 src1_sel:DWORD
	s_and_saveexec_b64 s[68:69], s[66:67]
	s_xor_b64 s[66:67], exec, s[68:69]
	s_cbranch_execz .LBB169_6820
; %bb.6819:
	v_cvt_i32_f32_e32 v1, v84
                                        ; implicit-def: $vgpr84
	flat_store_byte v[2:3], v1
                                        ; implicit-def: $vgpr2_vgpr3
.LBB169_6820:
	s_andn2_saveexec_b64 s[66:67], s[66:67]
	s_cbranch_execz .LBB169_6822
; %bb.6821:
	v_trunc_f32_e32 v1, v84
	s_mov_b32 s68, 0x2f800000
	v_mul_f32_e64 v4, |v1|, s68
	v_floor_f32_e32 v4, v4
	s_mov_b32 s68, 0xcf800000
	v_fma_f32 v4, v4, s68, |v1|
	v_cvt_u32_f32_e32 v4, v4
	v_ashrrev_i32_e32 v1, 31, v1
	v_xor_b32_e32 v4, v4, v1
	v_sub_u32_e32 v1, v4, v1
	flat_store_byte v[2:3], v1
.LBB169_6822:
	s_or_b64 exec, exec, s[66:67]
.LBB169_6823:
	s_or_b64 exec, exec, vcc
.LBB169_6824:
	s_or_b64 exec, exec, s[64:65]
	s_or_b64 s[4:5], s[4:5], exec
	s_or_b64 exec, exec, s[58:59]
	s_mov_b64 vcc, 0
	s_and_saveexec_b64 s[58:59], s[4:5]
	s_cbranch_execnz .LBB169_3959
	s_branch .LBB169_3960
.LBB169_6825:
	v_bfe_u32 v1, v112, 21, 1
	s_mov_b32 s60, 0x88fffff
	v_add3_u32 v1, v112, v1, s60
	s_mov_b64 s[58:59], exec
	v_lshrrev_b32_e32 v1, 21, v1
	s_or_saveexec_b64 s[60:61], vcc
                                        ; implicit-def: $sgpr62
	s_xor_b64 exec, exec, s[60:61]
	s_cbranch_execz .LBB169_5990
.LBB169_6826:
	s_mov_b32 s62, 0x42800000
	v_add_f32_e64 v1, |v112|, s62
	v_and_b32_e32 v1, 0xff, v1
	v_cmp_ne_u32_e32 vcc, 0, v1
	s_andn2_b64 s[58:59], s[58:59], exec
	s_and_b64 vcc, vcc, exec
	s_mov_b32 s62, 0
	s_or_b64 s[58:59], s[58:59], vcc
	s_or_b64 exec, exec, s[60:61]
	v_mov_b32_e32 v4, s62
	s_and_saveexec_b64 vcc, s[58:59]
	s_cbranch_execnz .LBB169_5991
	s_branch .LBB169_5992
.LBB169_6827:
	v_bfe_u32 v1, v102, 20, 1
	s_mov_b32 s58, 0x487ffff
	v_add3_u32 v1, v102, v1, s58
	s_mov_b64 s[56:57], exec
	v_lshrrev_b32_e32 v1, 20, v1
	s_or_saveexec_b64 s[58:59], vcc
                                        ; implicit-def: $sgpr60
	s_xor_b64 exec, exec, s[58:59]
	s_cbranch_execz .LBB169_6103
.LBB169_6828:
	s_mov_b32 s60, 0x46000000
	v_add_f32_e64 v1, |v102|, s60
	v_and_b32_e32 v1, 0xff, v1
	v_cmp_ne_u32_e32 vcc, 0, v1
	s_andn2_b64 s[56:57], s[56:57], exec
	s_and_b64 vcc, vcc, exec
	s_mov_b32 s60, 0
	s_or_b64 s[56:57], s[56:57], vcc
	s_or_b64 exec, exec, s[58:59]
	v_mov_b32_e32 v4, s60
	s_and_saveexec_b64 vcc, s[56:57]
	s_cbranch_execnz .LBB169_6104
	s_branch .LBB169_6105
.LBB169_6829:
	v_mov_b32_e32 v1, 25
	v_cmp_gt_i16_sdwa vcc, v62, v1 src0_sel:BYTE_0 src1_sel:DWORD
	s_mov_b64 s[66:67], s[58:59]
	s_and_saveexec_b64 s[68:69], vcc
	s_xor_b64 s[68:69], exec, s[68:69]
	s_cbranch_execz .LBB169_6865
; %bb.6830:
	v_mov_b32_e32 v1, 28
	v_cmp_gt_i16_sdwa vcc, v62, v1 src0_sel:BYTE_0 src1_sel:DWORD
	s_mov_b64 s[70:71], s[58:59]
	s_and_saveexec_b64 s[66:67], vcc
	s_xor_b64 s[66:67], exec, s[66:67]
	s_cbranch_execz .LBB169_6848
; %bb.6831:
	v_mov_b32_e32 v1, 43
	v_cmp_gt_i16_sdwa s[70:71], v62, v1 src0_sel:BYTE_0 src1_sel:DWORD
	s_mov_b64 vcc, s[58:59]
	s_and_saveexec_b64 s[72:73], s[70:71]
	s_xor_b64 s[70:71], exec, s[72:73]
	s_cbranch_execz .LBB169_6843
; %bb.6832:
	v_mov_b32_e32 v1, 45
	v_cmp_gt_i16_sdwa s[4:5], v62, v1 src0_sel:BYTE_0 src1_sel:DWORD
	s_mov_b64 s[72:73], 0
	s_mov_b64 s[74:75], s[58:59]
	s_and_saveexec_b64 vcc, s[4:5]
	s_xor_b64 s[4:5], exec, vcc
	s_cbranch_execz .LBB169_6836
; %bb.6833:
	v_mov_b32_e32 v1, 46
	v_cmp_eq_u16_sdwa s[76:77], v62, v1 src0_sel:BYTE_0 src1_sel:DWORD
	s_mov_b64 vcc, -1
	s_and_saveexec_b64 s[74:75], s[76:77]
	s_cbranch_execz .LBB169_6835
; %bb.6834:
	v_bfe_u32 v1, v82, 16, 1
	s_movk_i32 vcc_lo, 0x7fff
	v_add3_u32 v1, v82, v1, vcc_lo
	v_lshrrev_b32_e32 v1, 16, v1
	v_mov_b32_e32 v4, 0x7fc0
	v_cmp_o_f32_e32 vcc, v82, v82
	v_cndmask_b32_e32 v1, v4, v1, vcc
	s_mov_b64 s[72:73], exec
	flat_store_dword v[2:3], v1
	s_xor_b64 vcc, exec, -1
.LBB169_6835:
	s_or_b64 exec, exec, s[74:75]
	s_andn2_b64 s[74:75], s[58:59], exec
	s_and_b64 vcc, vcc, exec
	s_or_b64 s[74:75], s[74:75], vcc
	s_and_b64 s[72:73], s[72:73], exec
                                        ; implicit-def: $vgpr2_vgpr3
                                        ; implicit-def: $vgpr82
.LBB169_6836:
	s_andn2_saveexec_b64 s[76:77], s[4:5]
	s_cbranch_execz .LBB169_6842
; %bb.6837:
	v_mov_b32_e32 v1, 44
	v_cmp_eq_u16_sdwa s[80:81], v62, v1 src0_sel:BYTE_0 src1_sel:DWORD
	s_mov_b64 vcc, -1
	s_mov_b64 s[4:5], s[72:73]
	s_and_saveexec_b64 s[78:79], s[80:81]
	s_cbranch_execz .LBB169_6841
; %bb.6838:
	v_bfe_u32 v1, v82, 23, 8
	s_movk_i32 s4, 0xff
	v_cmp_ne_u32_e32 vcc, s4, v1
	v_mov_b32_e32 v4, 0xff
	s_and_saveexec_b64 s[80:81], vcc
; %bb.6839:
	s_mov_b32 s4, 0x3fffff
	v_and_b32_e32 v5, 0x400000, v82
	v_and_or_b32 v1, v82, s4, v1
	v_cmp_ne_u32_e32 vcc, 0, v5
	v_cmp_ne_u32_e64 s[4:5], 0, v1
	s_and_b64 s[4:5], vcc, s[4:5]
	v_lshrrev_b32_e32 v4, 23, v82
	v_cndmask_b32_e64 v1, 0, 1, s[4:5]
	v_add_u32_e32 v4, v4, v1
; %bb.6840:
	s_or_b64 exec, exec, s[80:81]
	s_xor_b64 vcc, exec, -1
	s_or_b64 s[4:5], s[72:73], exec
	flat_store_byte v[2:3], v4
.LBB169_6841:
	s_or_b64 exec, exec, s[78:79]
	s_andn2_b64 s[74:75], s[74:75], exec
	s_and_b64 vcc, vcc, exec
	s_or_b64 s[74:75], s[74:75], vcc
	s_andn2_b64 vcc, s[72:73], exec
	s_and_b64 s[4:5], s[4:5], exec
	s_or_b64 s[72:73], vcc, s[4:5]
.LBB169_6842:
	s_or_b64 exec, exec, s[76:77]
	s_andn2_b64 s[4:5], s[58:59], exec
	s_and_b64 vcc, s[74:75], exec
	s_or_b64 vcc, s[4:5], vcc
	s_and_b64 s[4:5], s[72:73], exec
                                        ; implicit-def: $vgpr82
                                        ; implicit-def: $vgpr2_vgpr3
.LBB169_6843:
	s_andn2_saveexec_b64 s[70:71], s[70:71]
	s_cbranch_execz .LBB169_6847
; %bb.6844:
	v_mov_b32_e32 v1, 29
	v_cmp_eq_u16_sdwa s[78:79], v62, v1 src0_sel:BYTE_0 src1_sel:DWORD
	s_mov_b64 s[76:77], -1
	s_mov_b64 s[74:75], s[4:5]
	s_and_saveexec_b64 s[72:73], s[78:79]
	s_cbranch_execz .LBB169_6846
; %bb.6845:
	v_trunc_f32_e32 v1, v82
	v_mul_f32_e32 v4, 0x2f800000, v1
	v_floor_f32_e32 v4, v4
	v_fmac_f32_e32 v1, 0xcf800000, v4
	v_cvt_u32_f32_e32 v5, v4
	v_cvt_u32_f32_e32 v4, v1
	s_xor_b64 s[76:77], exec, -1
	s_or_b64 s[74:75], s[4:5], exec
	flat_store_dwordx2 v[2:3], v[4:5]
.LBB169_6846:
	s_or_b64 exec, exec, s[72:73]
	s_andn2_b64 vcc, vcc, exec
	s_and_b64 s[72:73], s[76:77], exec
	s_or_b64 vcc, vcc, s[72:73]
	s_andn2_b64 s[4:5], s[4:5], exec
	s_and_b64 s[72:73], s[74:75], exec
	s_or_b64 s[4:5], s[4:5], s[72:73]
.LBB169_6847:
	s_or_b64 exec, exec, s[70:71]
	s_andn2_b64 s[70:71], s[58:59], exec
	s_and_b64 vcc, vcc, exec
	s_or_b64 s[70:71], s[70:71], vcc
	s_and_b64 s[4:5], s[4:5], exec
                                        ; implicit-def: $vgpr2_vgpr3
                                        ; implicit-def: $vgpr82
.LBB169_6848:
	s_andn2_saveexec_b64 s[66:67], s[66:67]
	s_cbranch_execz .LBB169_6864
; %bb.6849:
	v_mov_b32_e32 v1, 26
	v_cmp_gt_i16_sdwa vcc, v62, v1 src0_sel:BYTE_0 src1_sel:DWORD
	s_and_saveexec_b64 s[72:73], vcc
	s_xor_b64 vcc, exec, s[72:73]
	s_cbranch_execz .LBB169_6855
; %bb.6850:
	v_cvt_u32_f32_e32 v1, v82
	v_mov_b32_e32 v4, 27
	v_cmp_gt_i16_sdwa s[72:73], v62, v4 src0_sel:BYTE_0 src1_sel:DWORD
	s_and_saveexec_b64 s[74:75], s[72:73]
	s_xor_b64 s[72:73], exec, s[74:75]
	s_cbranch_execz .LBB169_6852
; %bb.6851:
	flat_store_dword v[2:3], v1
                                        ; implicit-def: $vgpr2_vgpr3
                                        ; implicit-def: $vgpr1
.LBB169_6852:
	s_andn2_saveexec_b64 s[72:73], s[72:73]
	s_cbranch_execz .LBB169_6854
; %bb.6853:
	flat_store_short v[2:3], v1
.LBB169_6854:
	s_or_b64 exec, exec, s[72:73]
                                        ; implicit-def: $vgpr2_vgpr3
                                        ; implicit-def: $vgpr82
.LBB169_6855:
	s_andn2_saveexec_b64 s[72:73], vcc
	s_cbranch_execz .LBB169_6863
; %bb.6856:
	v_and_b32_e32 v1, 0x7fffffff, v82
	s_mov_b32 vcc_lo, 0x43800000
	v_cmp_gt_u32_e32 vcc, vcc_lo, v1
	v_mov_b32_e32 v4, 0x80
	s_and_saveexec_b64 s[74:75], vcc
	s_cbranch_execz .LBB169_6862
; %bb.6857:
	s_mov_b32 vcc_lo, 0x3bffffff
	v_cmp_lt_u32_e32 vcc, vcc_lo, v1
	s_mov_b64 s[76:77], 0
                                        ; implicit-def: $vgpr1
	s_and_saveexec_b64 s[78:79], vcc
	s_xor_b64 vcc, exec, s[78:79]
	s_cbranch_execnz .LBB169_7583
; %bb.6858:
	s_or_saveexec_b64 s[78:79], vcc
                                        ; implicit-def: $sgpr80
	s_xor_b64 exec, exec, s[78:79]
	s_cbranch_execnz .LBB169_7584
.LBB169_6859:
	s_or_b64 exec, exec, s[78:79]
	v_mov_b32_e32 v4, s80
	s_and_saveexec_b64 vcc, s[76:77]
.LBB169_6860:
	v_lshrrev_b32_e32 v4, 24, v82
	s_movk_i32 s76, 0x80
	v_and_or_b32 v4, v4, s76, v1
.LBB169_6861:
	s_or_b64 exec, exec, vcc
.LBB169_6862:
	s_or_b64 exec, exec, s[74:75]
	flat_store_byte v[2:3], v4
.LBB169_6863:
	s_or_b64 exec, exec, s[72:73]
	s_or_b64 s[4:5], s[4:5], exec
.LBB169_6864:
	s_or_b64 exec, exec, s[66:67]
	s_andn2_b64 vcc, s[58:59], exec
	s_and_b64 s[66:67], s[70:71], exec
	s_or_b64 s[66:67], vcc, s[66:67]
	s_and_b64 s[4:5], s[4:5], exec
                                        ; implicit-def: $vgpr82
                                        ; implicit-def: $vgpr2_vgpr3
.LBB169_6865:
	s_andn2_saveexec_b64 s[68:69], s[68:69]
	s_cbranch_execz .LBB169_6909
; %bb.6866:
	v_mov_b32_e32 v1, 22
	v_cmp_gt_i16_sdwa vcc, v62, v1 src0_sel:BYTE_0 src1_sel:DWORD
	s_mov_b64 s[72:73], s[4:5]
	s_and_saveexec_b64 s[70:71], vcc
	s_xor_b64 s[70:71], exec, s[70:71]
	s_cbranch_execz .LBB169_6898
; %bb.6867:
	v_mov_b32_e32 v1, 23
	v_cmp_gt_i16_sdwa vcc, v62, v1 src0_sel:BYTE_0 src1_sel:DWORD
	s_and_saveexec_b64 s[72:73], vcc
	s_xor_b64 s[72:73], exec, s[72:73]
	s_cbranch_execz .LBB169_6887
; %bb.6868:
	v_mov_b32_e32 v1, 24
	v_cmp_gt_i16_sdwa vcc, v62, v1 src0_sel:BYTE_0 src1_sel:DWORD
	s_and_saveexec_b64 s[74:75], vcc
	s_xor_b64 s[74:75], exec, s[74:75]
	s_cbranch_execz .LBB169_6876
; %bb.6869:
	v_and_b32_e32 v1, 0x7fffffff, v82
	s_mov_b32 vcc_lo, 0x47800000
	v_cmp_gt_u32_e32 vcc, vcc_lo, v1
	v_mov_b32_e32 v4, 0x80
	s_and_saveexec_b64 s[76:77], vcc
	s_cbranch_execz .LBB169_6875
; %bb.6870:
	s_mov_b32 vcc_lo, 0x37ffffff
	v_cmp_lt_u32_e32 vcc, vcc_lo, v1
	s_mov_b64 s[78:79], 0
                                        ; implicit-def: $vgpr1
	s_and_saveexec_b64 s[80:81], vcc
	s_xor_b64 vcc, exec, s[80:81]
	s_cbranch_execnz .LBB169_7707
; %bb.6871:
	s_or_saveexec_b64 s[80:81], vcc
                                        ; implicit-def: $sgpr82
	s_xor_b64 exec, exec, s[80:81]
	s_cbranch_execnz .LBB169_7708
.LBB169_6872:
	s_or_b64 exec, exec, s[80:81]
	v_mov_b32_e32 v4, s82
	s_and_saveexec_b64 vcc, s[78:79]
.LBB169_6873:
	v_lshrrev_b32_e32 v4, 24, v82
	s_movk_i32 s78, 0x80
	v_and_or_b32 v4, v4, s78, v1
.LBB169_6874:
	s_or_b64 exec, exec, vcc
.LBB169_6875:
	s_or_b64 exec, exec, s[76:77]
	flat_store_byte v[2:3], v4
                                        ; implicit-def: $vgpr82
                                        ; implicit-def: $vgpr2_vgpr3
.LBB169_6876:
	s_andn2_saveexec_b64 s[74:75], s[74:75]
	s_cbranch_execz .LBB169_6886
; %bb.6877:
	v_and_b32_e32 v4, 0x7fffffff, v82
	s_mov_b32 vcc_lo, 0x43f00000
	v_cmp_gt_u32_e32 vcc, vcc_lo, v4
                                        ; implicit-def: $vgpr1
	s_and_saveexec_b64 s[76:77], vcc
	s_xor_b64 s[76:77], exec, s[76:77]
	s_cbranch_execz .LBB169_6883
; %bb.6878:
	s_mov_b32 vcc_lo, 0x3c7fffff
	v_cmp_lt_u32_e32 vcc, vcc_lo, v4
                                        ; implicit-def: $vgpr1
	s_and_saveexec_b64 s[78:79], vcc
	s_xor_b64 s[78:79], exec, s[78:79]
; %bb.6879:
	v_bfe_u32 v1, v82, 20, 1
	s_mov_b32 vcc_lo, 0x407ffff
	v_add3_u32 v1, v82, v1, vcc_lo
	v_lshrrev_b32_e32 v4, 20, v1
	v_and_b32_e32 v1, 0xff00000, v1
	s_mov_b32 vcc_lo, 0x7f00000
	v_mov_b32_e32 v5, 0x7e
	v_cmp_ne_u32_e32 vcc, vcc_lo, v1
	v_cndmask_b32_e32 v1, v5, v4, vcc
; %bb.6880:
	s_andn2_saveexec_b64 vcc, s[78:79]
; %bb.6881:
	s_mov_b32 s78, 0x46800000
	v_add_f32_e64 v1, |v82|, s78
; %bb.6882:
	s_or_b64 exec, exec, vcc
                                        ; implicit-def: $vgpr4
.LBB169_6883:
	s_andn2_saveexec_b64 s[76:77], s[76:77]
; %bb.6884:
	s_mov_b32 vcc_lo, 0x7f800000
	v_mov_b32_e32 v1, 0x7e
	v_mov_b32_e32 v5, 0x7f
	v_cmp_lt_u32_e32 vcc, vcc_lo, v4
	v_cndmask_b32_e32 v1, v1, v5, vcc
; %bb.6885:
	s_or_b64 exec, exec, s[76:77]
	v_lshrrev_b32_e32 v4, 24, v82
	s_movk_i32 vcc_lo, 0x80
	v_and_or_b32 v1, v4, vcc_lo, v1
	flat_store_byte v[2:3], v1
.LBB169_6886:
	s_or_b64 exec, exec, s[74:75]
                                        ; implicit-def: $vgpr82
                                        ; implicit-def: $vgpr2_vgpr3
.LBB169_6887:
	s_andn2_saveexec_b64 s[72:73], s[72:73]
	s_cbranch_execz .LBB169_6897
; %bb.6888:
	v_and_b32_e32 v4, 0x7fffffff, v82
	s_mov_b32 vcc_lo, 0x47800000
	v_cmp_gt_u32_e32 vcc, vcc_lo, v4
                                        ; implicit-def: $vgpr1
	s_and_saveexec_b64 s[74:75], vcc
	s_xor_b64 s[74:75], exec, s[74:75]
	s_cbranch_execz .LBB169_6894
; %bb.6889:
	s_mov_b32 vcc_lo, 0x387fffff
	v_cmp_lt_u32_e32 vcc, vcc_lo, v4
                                        ; implicit-def: $vgpr1
	s_and_saveexec_b64 s[76:77], vcc
	s_xor_b64 vcc, exec, s[76:77]
; %bb.6890:
	v_bfe_u32 v1, v82, 21, 1
	s_mov_b32 s76, 0x80fffff
	v_add3_u32 v1, v82, v1, s76
	v_lshrrev_b32_e32 v1, 21, v1
; %bb.6891:
	s_andn2_saveexec_b64 vcc, vcc
; %bb.6892:
	s_mov_b32 s76, 0x43000000
	v_add_f32_e64 v1, |v82|, s76
; %bb.6893:
	s_or_b64 exec, exec, vcc
                                        ; implicit-def: $vgpr4
.LBB169_6894:
	s_andn2_saveexec_b64 s[74:75], s[74:75]
; %bb.6895:
	s_mov_b32 vcc_lo, 0x7f800000
	v_mov_b32_e32 v1, 0x7c
	v_mov_b32_e32 v5, 0x7f
	v_cmp_lt_u32_e32 vcc, vcc_lo, v4
	v_cndmask_b32_e32 v1, v1, v5, vcc
; %bb.6896:
	s_or_b64 exec, exec, s[74:75]
	v_lshrrev_b32_e32 v4, 24, v82
	s_movk_i32 vcc_lo, 0x80
	v_and_or_b32 v1, v4, vcc_lo, v1
	flat_store_byte v[2:3], v1
.LBB169_6897:
	s_or_b64 exec, exec, s[72:73]
	s_or_b64 s[72:73], s[4:5], exec
                                        ; implicit-def: $vgpr82
                                        ; implicit-def: $vgpr2_vgpr3
.LBB169_6898:
	s_or_saveexec_b64 s[70:71], s[70:71]
	s_mov_b64 vcc, s[66:67]
	s_xor_b64 exec, exec, s[70:71]
	s_cbranch_execz .LBB169_6908
; %bb.6899:
	v_mov_b32_e32 v1, 14
	v_cmp_gt_i16_sdwa vcc, v62, v1 src0_sel:BYTE_0 src1_sel:DWORD
	s_mov_b64 s[74:75], s[72:73]
	s_mov_b64 s[76:77], s[66:67]
	s_and_saveexec_b64 s[78:79], vcc
	s_xor_b64 s[78:79], exec, s[78:79]
	s_cbranch_execz .LBB169_6903
; %bb.6900:
	v_mov_b32_e32 v1, 15
	v_cmp_eq_u16_sdwa s[80:81], v62, v1 src0_sel:BYTE_0 src1_sel:DWORD
	s_mov_b64 s[76:77], -1
	s_mov_b64 vcc, s[72:73]
	s_and_saveexec_b64 s[74:75], s[80:81]
	s_cbranch_execz .LBB169_6902
; %bb.6901:
	v_bfe_u32 v1, v82, 16, 1
	s_movk_i32 vcc_lo, 0x7fff
	v_add3_u32 v1, v82, v1, vcc_lo
	v_lshrrev_b32_e32 v1, 16, v1
	v_mov_b32_e32 v4, 0x7fc0
	v_cmp_o_f32_e32 vcc, v82, v82
	v_cndmask_b32_e32 v1, v4, v1, vcc
	flat_store_short v[2:3], v1
	s_xor_b64 s[76:77], exec, -1
	s_or_b64 vcc, s[72:73], exec
.LBB169_6902:
	s_or_b64 exec, exec, s[74:75]
	s_andn2_b64 s[74:75], s[66:67], exec
	s_and_b64 s[76:77], s[76:77], exec
	s_or_b64 s[76:77], s[74:75], s[76:77]
	s_andn2_b64 s[74:75], s[72:73], exec
	s_and_b64 vcc, vcc, exec
	s_or_b64 s[74:75], s[74:75], vcc
                                        ; implicit-def: $vgpr82
                                        ; implicit-def: $vgpr2_vgpr3
.LBB169_6903:
	s_andn2_saveexec_b64 s[78:79], s[78:79]
	s_cbranch_execz .LBB169_6907
; %bb.6904:
	v_mov_b32_e32 v1, 11
	v_cmp_eq_u16_sdwa s[84:85], v62, v1 src0_sel:BYTE_0 src1_sel:DWORD
	s_mov_b64 s[80:81], -1
	s_mov_b64 vcc, s[74:75]
	s_and_saveexec_b64 s[82:83], s[84:85]
	s_cbranch_execz .LBB169_6906
; %bb.6905:
	v_cmp_neq_f32_e32 vcc, 0, v82
	v_cndmask_b32_e64 v1, 0, 1, vcc
	flat_store_byte v[2:3], v1
	s_xor_b64 s[80:81], exec, -1
	s_or_b64 vcc, s[74:75], exec
.LBB169_6906:
	s_or_b64 exec, exec, s[82:83]
	s_andn2_b64 s[76:77], s[76:77], exec
	s_and_b64 s[80:81], s[80:81], exec
	s_andn2_b64 s[74:75], s[74:75], exec
	s_and_b64 vcc, vcc, exec
	s_or_b64 s[76:77], s[76:77], s[80:81]
	s_or_b64 s[74:75], s[74:75], vcc
.LBB169_6907:
	s_or_b64 exec, exec, s[78:79]
	s_andn2_b64 vcc, s[66:67], exec
	s_and_b64 s[76:77], s[76:77], exec
	s_andn2_b64 s[72:73], s[72:73], exec
	s_and_b64 s[74:75], s[74:75], exec
	s_or_b64 vcc, vcc, s[76:77]
	s_or_b64 s[72:73], s[72:73], s[74:75]
.LBB169_6908:
	s_or_b64 exec, exec, s[70:71]
	s_andn2_b64 s[66:67], s[66:67], exec
	s_and_b64 vcc, vcc, exec
	s_or_b64 s[66:67], s[66:67], vcc
	s_andn2_b64 s[4:5], s[4:5], exec
	s_and_b64 vcc, s[72:73], exec
	s_or_b64 s[4:5], s[4:5], vcc
.LBB169_6909:
	s_or_b64 exec, exec, s[68:69]
	s_andn2_b64 vcc, s[58:59], exec
	s_and_b64 s[66:67], s[66:67], exec
	s_or_b64 s[66:67], vcc, s[66:67]
	s_and_b64 s[4:5], s[4:5], exec
                                        ; implicit-def: $vgpr82
                                        ; implicit-def: $vgpr2_vgpr3
	s_andn2_saveexec_b64 s[62:63], s[62:63]
	s_cbranch_execz .LBB169_3965
.LBB169_6910:
	v_mov_b32_e32 v1, 4
	v_cmp_gt_i16_sdwa vcc, v62, v1 src0_sel:BYTE_0 src1_sel:DWORD
	s_and_saveexec_b64 s[68:69], vcc
	s_xor_b64 vcc, exec, s[68:69]
	s_cbranch_execz .LBB169_6932
; %bb.6911:
	v_mov_b32_e32 v1, 7
	v_cmp_gt_i16_sdwa s[68:69], v62, v1 src0_sel:BYTE_0 src1_sel:DWORD
	s_and_saveexec_b64 s[70:71], s[68:69]
	s_xor_b64 s[68:69], exec, s[70:71]
	s_cbranch_execz .LBB169_6921
; %bb.6912:
	v_mov_b32_e32 v1, 8
	v_cmp_gt_i16_sdwa s[70:71], v62, v1 src0_sel:BYTE_0 src1_sel:DWORD
	s_and_saveexec_b64 s[72:73], s[70:71]
	s_xor_b64 s[70:71], exec, s[72:73]
	;; [unrolled: 6-line block ×3, first 2 shown]
	s_cbranch_execz .LBB169_6915
; %bb.6914:
	v_mov_b32_e32 v6, 0
	v_cvt_f64_f32_e32 v[4:5], v82
	v_mov_b32_e32 v7, v6
	flat_store_dwordx4 v[2:3], v[4:7]
                                        ; implicit-def: $vgpr82
                                        ; implicit-def: $vgpr2_vgpr3
.LBB169_6915:
	s_andn2_saveexec_b64 s[72:73], s[72:73]
	s_cbranch_execz .LBB169_6917
; %bb.6916:
	v_mov_b32_e32 v83, 0
	flat_store_dwordx2 v[2:3], v[82:83]
.LBB169_6917:
	s_or_b64 exec, exec, s[72:73]
                                        ; implicit-def: $vgpr82
                                        ; implicit-def: $vgpr2_vgpr3
.LBB169_6918:
	s_andn2_saveexec_b64 s[70:71], s[70:71]
	s_cbranch_execz .LBB169_6920
; %bb.6919:
	v_cvt_f16_f32_e32 v1, v82
	flat_store_dword v[2:3], v1
.LBB169_6920:
	s_or_b64 exec, exec, s[70:71]
                                        ; implicit-def: $vgpr82
                                        ; implicit-def: $vgpr2_vgpr3
.LBB169_6921:
	s_andn2_saveexec_b64 s[68:69], s[68:69]
	s_cbranch_execz .LBB169_6931
; %bb.6922:
	v_mov_b32_e32 v1, 5
	v_cmp_gt_i16_sdwa s[70:71], v62, v1 src0_sel:BYTE_0 src1_sel:DWORD
	s_and_saveexec_b64 s[72:73], s[70:71]
	s_xor_b64 s[70:71], exec, s[72:73]
	s_cbranch_execz .LBB169_6928
; %bb.6923:
	v_mov_b32_e32 v1, 6
	v_cmp_gt_i16_sdwa s[72:73], v62, v1 src0_sel:BYTE_0 src1_sel:DWORD
	s_and_saveexec_b64 s[74:75], s[72:73]
	s_xor_b64 s[72:73], exec, s[74:75]
	s_cbranch_execz .LBB169_6925
; %bb.6924:
	v_cvt_f64_f32_e32 v[4:5], v82
	flat_store_dwordx2 v[2:3], v[4:5]
                                        ; implicit-def: $vgpr2_vgpr3
                                        ; implicit-def: $vgpr82
.LBB169_6925:
	s_andn2_saveexec_b64 s[72:73], s[72:73]
	s_cbranch_execz .LBB169_6927
; %bb.6926:
	flat_store_dword v[2:3], v82
.LBB169_6927:
	s_or_b64 exec, exec, s[72:73]
                                        ; implicit-def: $vgpr82
                                        ; implicit-def: $vgpr2_vgpr3
.LBB169_6928:
	s_andn2_saveexec_b64 s[70:71], s[70:71]
	s_cbranch_execz .LBB169_6930
; %bb.6929:
	v_cvt_f16_f32_e32 v1, v82
	flat_store_short v[2:3], v1
.LBB169_6930:
	s_or_b64 exec, exec, s[70:71]
.LBB169_6931:
	s_or_b64 exec, exec, s[68:69]
                                        ; implicit-def: $vgpr82
                                        ; implicit-def: $vgpr2_vgpr3
.LBB169_6932:
	s_andn2_saveexec_b64 s[68:69], vcc
	s_cbranch_execz .LBB169_6950
; %bb.6933:
	v_mov_b32_e32 v1, 1
	v_cmp_gt_i16_sdwa vcc, v62, v1 src0_sel:BYTE_0 src1_sel:DWORD
	s_and_saveexec_b64 s[70:71], vcc
	s_xor_b64 s[70:71], exec, s[70:71]
	s_cbranch_execz .LBB169_6943
; %bb.6934:
	v_mov_b32_e32 v1, 2
	v_cmp_gt_i16_sdwa vcc, v62, v1 src0_sel:BYTE_0 src1_sel:DWORD
	s_and_saveexec_b64 s[72:73], vcc
	s_xor_b64 s[72:73], exec, s[72:73]
	;; [unrolled: 6-line block ×3, first 2 shown]
	s_cbranch_execz .LBB169_6937
; %bb.6936:
	v_trunc_f32_e32 v1, v82
	s_mov_b32 s76, 0x2f800000
	v_mul_f32_e64 v4, |v1|, s76
	v_floor_f32_e32 v4, v4
	s_mov_b32 s76, 0xcf800000
	v_cvt_u32_f32_e32 v5, v4
	v_fma_f32 v4, v4, s76, |v1|
	v_cvt_u32_f32_e32 v4, v4
	v_ashrrev_i32_e32 v1, 31, v1
	v_xor_b32_e32 v5, v5, v1
                                        ; implicit-def: $vgpr82
	v_xor_b32_e32 v4, v4, v1
	v_sub_co_u32_e32 v4, vcc, v4, v1
	v_subb_co_u32_e32 v5, vcc, v5, v1, vcc
	flat_store_dwordx2 v[2:3], v[4:5]
                                        ; implicit-def: $vgpr2_vgpr3
.LBB169_6937:
	s_andn2_saveexec_b64 vcc, s[74:75]
	s_cbranch_execz .LBB169_6939
; %bb.6938:
	v_cvt_i32_f32_e32 v1, v82
	flat_store_dword v[2:3], v1
.LBB169_6939:
	s_or_b64 exec, exec, vcc
                                        ; implicit-def: $vgpr82
                                        ; implicit-def: $vgpr2_vgpr3
.LBB169_6940:
	s_andn2_saveexec_b64 vcc, s[72:73]
	s_cbranch_execz .LBB169_6942
; %bb.6941:
	v_cvt_i32_f32_e32 v1, v82
	flat_store_short v[2:3], v1
.LBB169_6942:
	s_or_b64 exec, exec, vcc
                                        ; implicit-def: $vgpr82
                                        ; implicit-def: $vgpr2_vgpr3
.LBB169_6943:
	s_andn2_saveexec_b64 vcc, s[70:71]
	s_cbranch_execz .LBB169_6949
; %bb.6944:
	v_mov_b32_e32 v1, 0
	v_cmp_gt_i16_sdwa s[70:71], v62, v1 src0_sel:BYTE_0 src1_sel:DWORD
	s_and_saveexec_b64 s[72:73], s[70:71]
	s_xor_b64 s[70:71], exec, s[72:73]
	s_cbranch_execz .LBB169_6946
; %bb.6945:
	v_cvt_i32_f32_e32 v1, v82
                                        ; implicit-def: $vgpr82
	flat_store_byte v[2:3], v1
                                        ; implicit-def: $vgpr2_vgpr3
.LBB169_6946:
	s_andn2_saveexec_b64 s[70:71], s[70:71]
	s_cbranch_execz .LBB169_6948
; %bb.6947:
	v_trunc_f32_e32 v1, v82
	s_mov_b32 s72, 0x2f800000
	v_mul_f32_e64 v4, |v1|, s72
	v_floor_f32_e32 v4, v4
	s_mov_b32 s72, 0xcf800000
	v_fma_f32 v4, v4, s72, |v1|
	v_cvt_u32_f32_e32 v4, v4
	v_ashrrev_i32_e32 v1, 31, v1
	v_xor_b32_e32 v4, v4, v1
	v_sub_u32_e32 v1, v4, v1
	flat_store_byte v[2:3], v1
.LBB169_6948:
	s_or_b64 exec, exec, s[70:71]
.LBB169_6949:
	s_or_b64 exec, exec, vcc
.LBB169_6950:
	s_or_b64 exec, exec, s[68:69]
	s_or_b64 s[4:5], s[4:5], exec
	s_or_b64 exec, exec, s[62:63]
	s_mov_b64 vcc, 0
	s_and_saveexec_b64 s[62:63], s[4:5]
	s_cbranch_execnz .LBB169_3966
	s_branch .LBB169_3967
.LBB169_6951:
	v_bfe_u32 v1, v102, 21, 1
	s_mov_b32 s60, 0x88fffff
	v_add3_u32 v1, v102, v1, s60
	s_mov_b64 s[58:59], exec
	v_lshrrev_b32_e32 v1, 21, v1
	s_or_saveexec_b64 s[60:61], vcc
                                        ; implicit-def: $sgpr62
	s_xor_b64 exec, exec, s[60:61]
	s_cbranch_execz .LBB169_6116
.LBB169_6952:
	s_mov_b32 s62, 0x42800000
	v_add_f32_e64 v1, |v102|, s62
	v_and_b32_e32 v1, 0xff, v1
	v_cmp_ne_u32_e32 vcc, 0, v1
	s_andn2_b64 s[58:59], s[58:59], exec
	s_and_b64 vcc, vcc, exec
	s_mov_b32 s62, 0
	s_or_b64 s[58:59], s[58:59], vcc
	s_or_b64 exec, exec, s[60:61]
	v_mov_b32_e32 v4, s62
	s_and_saveexec_b64 vcc, s[58:59]
	s_cbranch_execnz .LBB169_6117
	s_branch .LBB169_6118
.LBB169_6953:
	v_bfe_u32 v1, v100, 20, 1
	s_mov_b32 s58, 0x487ffff
	v_add3_u32 v1, v100, v1, s58
	s_mov_b64 s[56:57], exec
	v_lshrrev_b32_e32 v1, 20, v1
	s_or_saveexec_b64 s[58:59], vcc
                                        ; implicit-def: $sgpr60
	s_xor_b64 exec, exec, s[58:59]
	s_cbranch_execz .LBB169_6229
.LBB169_6954:
	s_mov_b32 s60, 0x46000000
	v_add_f32_e64 v1, |v100|, s60
	v_and_b32_e32 v1, 0xff, v1
	v_cmp_ne_u32_e32 vcc, 0, v1
	s_andn2_b64 s[56:57], s[56:57], exec
	s_and_b64 vcc, vcc, exec
	s_mov_b32 s60, 0
	s_or_b64 s[56:57], s[56:57], vcc
	s_or_b64 exec, exec, s[58:59]
	v_mov_b32_e32 v4, s60
	s_and_saveexec_b64 vcc, s[56:57]
	s_cbranch_execnz .LBB169_6230
	s_branch .LBB169_6231
.LBB169_6955:
	v_mov_b32_e32 v1, 25
	v_cmp_gt_i16_sdwa vcc, v62, v1 src0_sel:BYTE_0 src1_sel:DWORD
	s_mov_b64 s[70:71], s[62:63]
	s_and_saveexec_b64 s[72:73], vcc
	s_xor_b64 s[72:73], exec, s[72:73]
	s_cbranch_execz .LBB169_6991
; %bb.6956:
	v_mov_b32_e32 v1, 28
	v_cmp_gt_i16_sdwa vcc, v62, v1 src0_sel:BYTE_0 src1_sel:DWORD
	s_mov_b64 s[74:75], s[62:63]
	s_and_saveexec_b64 s[70:71], vcc
	s_xor_b64 s[70:71], exec, s[70:71]
	s_cbranch_execz .LBB169_6974
; %bb.6957:
	v_mov_b32_e32 v1, 43
	v_cmp_gt_i16_sdwa s[74:75], v62, v1 src0_sel:BYTE_0 src1_sel:DWORD
	s_mov_b64 vcc, s[62:63]
	s_and_saveexec_b64 s[76:77], s[74:75]
	s_xor_b64 s[74:75], exec, s[76:77]
	s_cbranch_execz .LBB169_6969
; %bb.6958:
	v_mov_b32_e32 v1, 45
	v_cmp_gt_i16_sdwa s[4:5], v62, v1 src0_sel:BYTE_0 src1_sel:DWORD
	s_mov_b64 s[76:77], 0
	s_mov_b64 s[78:79], s[62:63]
	s_and_saveexec_b64 vcc, s[4:5]
	s_xor_b64 s[4:5], exec, vcc
	s_cbranch_execz .LBB169_6962
; %bb.6959:
	v_mov_b32_e32 v1, 46
	v_cmp_eq_u16_sdwa s[80:81], v62, v1 src0_sel:BYTE_0 src1_sel:DWORD
	s_mov_b64 vcc, -1
	s_and_saveexec_b64 s[78:79], s[80:81]
	s_cbranch_execz .LBB169_6961
; %bb.6960:
	v_bfe_u32 v1, v80, 16, 1
	s_movk_i32 vcc_lo, 0x7fff
	v_add3_u32 v1, v80, v1, vcc_lo
	v_lshrrev_b32_e32 v1, 16, v1
	v_mov_b32_e32 v4, 0x7fc0
	v_cmp_o_f32_e32 vcc, v80, v80
	v_cndmask_b32_e32 v1, v4, v1, vcc
	s_mov_b64 s[76:77], exec
	flat_store_dword v[2:3], v1
	s_xor_b64 vcc, exec, -1
.LBB169_6961:
	s_or_b64 exec, exec, s[78:79]
	s_andn2_b64 s[78:79], s[62:63], exec
	s_and_b64 vcc, vcc, exec
	s_or_b64 s[78:79], s[78:79], vcc
	s_and_b64 s[76:77], s[76:77], exec
                                        ; implicit-def: $vgpr2_vgpr3
                                        ; implicit-def: $vgpr80
.LBB169_6962:
	s_andn2_saveexec_b64 s[80:81], s[4:5]
	s_cbranch_execz .LBB169_6968
; %bb.6963:
	v_mov_b32_e32 v1, 44
	v_cmp_eq_u16_sdwa s[84:85], v62, v1 src0_sel:BYTE_0 src1_sel:DWORD
	s_mov_b64 vcc, -1
	s_mov_b64 s[4:5], s[76:77]
	s_and_saveexec_b64 s[82:83], s[84:85]
	s_cbranch_execz .LBB169_6967
; %bb.6964:
	v_bfe_u32 v1, v80, 23, 8
	s_movk_i32 s4, 0xff
	v_cmp_ne_u32_e32 vcc, s4, v1
	v_mov_b32_e32 v4, 0xff
	s_and_saveexec_b64 s[84:85], vcc
; %bb.6965:
	s_mov_b32 s4, 0x3fffff
	v_and_b32_e32 v5, 0x400000, v80
	v_and_or_b32 v1, v80, s4, v1
	v_cmp_ne_u32_e32 vcc, 0, v5
	v_cmp_ne_u32_e64 s[4:5], 0, v1
	s_and_b64 s[4:5], vcc, s[4:5]
	v_lshrrev_b32_e32 v4, 23, v80
	v_cndmask_b32_e64 v1, 0, 1, s[4:5]
	v_add_u32_e32 v4, v4, v1
; %bb.6966:
	s_or_b64 exec, exec, s[84:85]
	s_xor_b64 vcc, exec, -1
	s_or_b64 s[4:5], s[76:77], exec
	flat_store_byte v[2:3], v4
.LBB169_6967:
	s_or_b64 exec, exec, s[82:83]
	s_andn2_b64 s[78:79], s[78:79], exec
	s_and_b64 vcc, vcc, exec
	s_or_b64 s[78:79], s[78:79], vcc
	s_andn2_b64 vcc, s[76:77], exec
	s_and_b64 s[4:5], s[4:5], exec
	s_or_b64 s[76:77], vcc, s[4:5]
.LBB169_6968:
	s_or_b64 exec, exec, s[80:81]
	s_andn2_b64 s[4:5], s[62:63], exec
	s_and_b64 vcc, s[78:79], exec
	s_or_b64 vcc, s[4:5], vcc
	s_and_b64 s[4:5], s[76:77], exec
                                        ; implicit-def: $vgpr80
                                        ; implicit-def: $vgpr2_vgpr3
.LBB169_6969:
	s_andn2_saveexec_b64 s[74:75], s[74:75]
	s_cbranch_execz .LBB169_6973
; %bb.6970:
	v_mov_b32_e32 v1, 29
	v_cmp_eq_u16_sdwa s[82:83], v62, v1 src0_sel:BYTE_0 src1_sel:DWORD
	s_mov_b64 s[80:81], -1
	s_mov_b64 s[78:79], s[4:5]
	s_and_saveexec_b64 s[76:77], s[82:83]
	s_cbranch_execz .LBB169_6972
; %bb.6971:
	v_trunc_f32_e32 v1, v80
	v_mul_f32_e32 v4, 0x2f800000, v1
	v_floor_f32_e32 v4, v4
	v_fmac_f32_e32 v1, 0xcf800000, v4
	v_cvt_u32_f32_e32 v5, v4
	v_cvt_u32_f32_e32 v4, v1
	s_xor_b64 s[80:81], exec, -1
	s_or_b64 s[78:79], s[4:5], exec
	flat_store_dwordx2 v[2:3], v[4:5]
.LBB169_6972:
	s_or_b64 exec, exec, s[76:77]
	s_andn2_b64 vcc, vcc, exec
	s_and_b64 s[76:77], s[80:81], exec
	s_or_b64 vcc, vcc, s[76:77]
	s_andn2_b64 s[4:5], s[4:5], exec
	s_and_b64 s[76:77], s[78:79], exec
	s_or_b64 s[4:5], s[4:5], s[76:77]
.LBB169_6973:
	s_or_b64 exec, exec, s[74:75]
	s_andn2_b64 s[74:75], s[62:63], exec
	s_and_b64 vcc, vcc, exec
	s_or_b64 s[74:75], s[74:75], vcc
	s_and_b64 s[4:5], s[4:5], exec
                                        ; implicit-def: $vgpr2_vgpr3
                                        ; implicit-def: $vgpr80
.LBB169_6974:
	s_andn2_saveexec_b64 s[70:71], s[70:71]
	s_cbranch_execz .LBB169_6990
; %bb.6975:
	v_mov_b32_e32 v1, 26
	v_cmp_gt_i16_sdwa vcc, v62, v1 src0_sel:BYTE_0 src1_sel:DWORD
	s_and_saveexec_b64 s[76:77], vcc
	s_xor_b64 vcc, exec, s[76:77]
	s_cbranch_execz .LBB169_6981
; %bb.6976:
	v_cvt_u32_f32_e32 v1, v80
	v_mov_b32_e32 v4, 27
	v_cmp_gt_i16_sdwa s[76:77], v62, v4 src0_sel:BYTE_0 src1_sel:DWORD
	s_and_saveexec_b64 s[78:79], s[76:77]
	s_xor_b64 s[76:77], exec, s[78:79]
	s_cbranch_execz .LBB169_6978
; %bb.6977:
	flat_store_dword v[2:3], v1
                                        ; implicit-def: $vgpr2_vgpr3
                                        ; implicit-def: $vgpr1
.LBB169_6978:
	s_andn2_saveexec_b64 s[76:77], s[76:77]
	s_cbranch_execz .LBB169_6980
; %bb.6979:
	flat_store_short v[2:3], v1
.LBB169_6980:
	s_or_b64 exec, exec, s[76:77]
                                        ; implicit-def: $vgpr2_vgpr3
                                        ; implicit-def: $vgpr80
.LBB169_6981:
	s_andn2_saveexec_b64 s[76:77], vcc
	s_cbranch_execz .LBB169_6989
; %bb.6982:
	v_and_b32_e32 v1, 0x7fffffff, v80
	s_mov_b32 vcc_lo, 0x43800000
	v_cmp_gt_u32_e32 vcc, vcc_lo, v1
	v_mov_b32_e32 v4, 0x80
	s_and_saveexec_b64 s[78:79], vcc
	s_cbranch_execz .LBB169_6988
; %bb.6983:
	s_mov_b32 vcc_lo, 0x3bffffff
	v_cmp_lt_u32_e32 vcc, vcc_lo, v1
	s_mov_b64 s[80:81], 0
                                        ; implicit-def: $vgpr1
	s_and_saveexec_b64 s[82:83], vcc
	s_xor_b64 vcc, exec, s[82:83]
	s_cbranch_execnz .LBB169_7709
; %bb.6984:
	s_or_saveexec_b64 s[82:83], vcc
                                        ; implicit-def: $sgpr84
	s_xor_b64 exec, exec, s[82:83]
	s_cbranch_execnz .LBB169_7710
.LBB169_6985:
	s_or_b64 exec, exec, s[82:83]
	v_mov_b32_e32 v4, s84
	s_and_saveexec_b64 vcc, s[80:81]
.LBB169_6986:
	v_lshrrev_b32_e32 v4, 24, v80
	s_movk_i32 s80, 0x80
	v_and_or_b32 v4, v4, s80, v1
.LBB169_6987:
	s_or_b64 exec, exec, vcc
.LBB169_6988:
	s_or_b64 exec, exec, s[78:79]
	flat_store_byte v[2:3], v4
.LBB169_6989:
	s_or_b64 exec, exec, s[76:77]
	s_or_b64 s[4:5], s[4:5], exec
.LBB169_6990:
	s_or_b64 exec, exec, s[70:71]
	s_andn2_b64 vcc, s[62:63], exec
	s_and_b64 s[70:71], s[74:75], exec
	s_or_b64 s[70:71], vcc, s[70:71]
	s_and_b64 s[4:5], s[4:5], exec
                                        ; implicit-def: $vgpr80
                                        ; implicit-def: $vgpr2_vgpr3
.LBB169_6991:
	s_andn2_saveexec_b64 s[72:73], s[72:73]
	s_cbranch_execz .LBB169_7035
; %bb.6992:
	v_mov_b32_e32 v1, 22
	v_cmp_gt_i16_sdwa vcc, v62, v1 src0_sel:BYTE_0 src1_sel:DWORD
	s_mov_b64 s[76:77], s[4:5]
	s_and_saveexec_b64 s[74:75], vcc
	s_xor_b64 s[74:75], exec, s[74:75]
	s_cbranch_execz .LBB169_7024
; %bb.6993:
	v_mov_b32_e32 v1, 23
	v_cmp_gt_i16_sdwa vcc, v62, v1 src0_sel:BYTE_0 src1_sel:DWORD
	s_and_saveexec_b64 s[76:77], vcc
	s_xor_b64 s[76:77], exec, s[76:77]
	s_cbranch_execz .LBB169_7013
; %bb.6994:
	v_mov_b32_e32 v1, 24
	v_cmp_gt_i16_sdwa vcc, v62, v1 src0_sel:BYTE_0 src1_sel:DWORD
	s_and_saveexec_b64 s[78:79], vcc
	s_xor_b64 s[78:79], exec, s[78:79]
	s_cbranch_execz .LBB169_7002
; %bb.6995:
	v_and_b32_e32 v1, 0x7fffffff, v80
	s_mov_b32 vcc_lo, 0x47800000
	v_cmp_gt_u32_e32 vcc, vcc_lo, v1
	v_mov_b32_e32 v4, 0x80
	s_and_saveexec_b64 s[80:81], vcc
	s_cbranch_execz .LBB169_7001
; %bb.6996:
	s_mov_b32 vcc_lo, 0x37ffffff
	v_cmp_lt_u32_e32 vcc, vcc_lo, v1
	s_mov_b64 s[82:83], 0
                                        ; implicit-def: $vgpr1
	s_and_saveexec_b64 s[84:85], vcc
	s_xor_b64 vcc, exec, s[84:85]
	s_cbranch_execnz .LBB169_7833
; %bb.6997:
	s_or_saveexec_b64 s[84:85], vcc
                                        ; implicit-def: $sgpr86
	s_xor_b64 exec, exec, s[84:85]
	s_cbranch_execnz .LBB169_7834
.LBB169_6998:
	s_or_b64 exec, exec, s[84:85]
	v_mov_b32_e32 v4, s86
	s_and_saveexec_b64 vcc, s[82:83]
.LBB169_6999:
	v_lshrrev_b32_e32 v4, 24, v80
	s_movk_i32 s82, 0x80
	v_and_or_b32 v4, v4, s82, v1
.LBB169_7000:
	s_or_b64 exec, exec, vcc
.LBB169_7001:
	s_or_b64 exec, exec, s[80:81]
	flat_store_byte v[2:3], v4
                                        ; implicit-def: $vgpr80
                                        ; implicit-def: $vgpr2_vgpr3
.LBB169_7002:
	s_andn2_saveexec_b64 s[78:79], s[78:79]
	s_cbranch_execz .LBB169_7012
; %bb.7003:
	v_and_b32_e32 v4, 0x7fffffff, v80
	s_mov_b32 vcc_lo, 0x43f00000
	v_cmp_gt_u32_e32 vcc, vcc_lo, v4
                                        ; implicit-def: $vgpr1
	s_and_saveexec_b64 s[80:81], vcc
	s_xor_b64 s[80:81], exec, s[80:81]
	s_cbranch_execz .LBB169_7009
; %bb.7004:
	s_mov_b32 vcc_lo, 0x3c7fffff
	v_cmp_lt_u32_e32 vcc, vcc_lo, v4
                                        ; implicit-def: $vgpr1
	s_and_saveexec_b64 s[82:83], vcc
	s_xor_b64 s[82:83], exec, s[82:83]
; %bb.7005:
	v_bfe_u32 v1, v80, 20, 1
	s_mov_b32 vcc_lo, 0x407ffff
	v_add3_u32 v1, v80, v1, vcc_lo
	v_lshrrev_b32_e32 v4, 20, v1
	v_and_b32_e32 v1, 0xff00000, v1
	s_mov_b32 vcc_lo, 0x7f00000
	v_mov_b32_e32 v5, 0x7e
	v_cmp_ne_u32_e32 vcc, vcc_lo, v1
	v_cndmask_b32_e32 v1, v5, v4, vcc
; %bb.7006:
	s_andn2_saveexec_b64 vcc, s[82:83]
; %bb.7007:
	s_mov_b32 s82, 0x46800000
	v_add_f32_e64 v1, |v80|, s82
; %bb.7008:
	s_or_b64 exec, exec, vcc
                                        ; implicit-def: $vgpr4
.LBB169_7009:
	s_andn2_saveexec_b64 s[80:81], s[80:81]
; %bb.7010:
	s_mov_b32 vcc_lo, 0x7f800000
	v_mov_b32_e32 v1, 0x7e
	v_mov_b32_e32 v5, 0x7f
	v_cmp_lt_u32_e32 vcc, vcc_lo, v4
	v_cndmask_b32_e32 v1, v1, v5, vcc
; %bb.7011:
	s_or_b64 exec, exec, s[80:81]
	v_lshrrev_b32_e32 v4, 24, v80
	s_movk_i32 vcc_lo, 0x80
	v_and_or_b32 v1, v4, vcc_lo, v1
	flat_store_byte v[2:3], v1
.LBB169_7012:
	s_or_b64 exec, exec, s[78:79]
                                        ; implicit-def: $vgpr80
                                        ; implicit-def: $vgpr2_vgpr3
.LBB169_7013:
	s_andn2_saveexec_b64 s[76:77], s[76:77]
	s_cbranch_execz .LBB169_7023
; %bb.7014:
	v_and_b32_e32 v4, 0x7fffffff, v80
	s_mov_b32 vcc_lo, 0x47800000
	v_cmp_gt_u32_e32 vcc, vcc_lo, v4
                                        ; implicit-def: $vgpr1
	s_and_saveexec_b64 s[78:79], vcc
	s_xor_b64 s[78:79], exec, s[78:79]
	s_cbranch_execz .LBB169_7020
; %bb.7015:
	s_mov_b32 vcc_lo, 0x387fffff
	v_cmp_lt_u32_e32 vcc, vcc_lo, v4
                                        ; implicit-def: $vgpr1
	s_and_saveexec_b64 s[80:81], vcc
	s_xor_b64 vcc, exec, s[80:81]
; %bb.7016:
	v_bfe_u32 v1, v80, 21, 1
	s_mov_b32 s80, 0x80fffff
	v_add3_u32 v1, v80, v1, s80
	v_lshrrev_b32_e32 v1, 21, v1
; %bb.7017:
	s_andn2_saveexec_b64 vcc, vcc
; %bb.7018:
	s_mov_b32 s80, 0x43000000
	v_add_f32_e64 v1, |v80|, s80
; %bb.7019:
	s_or_b64 exec, exec, vcc
                                        ; implicit-def: $vgpr4
.LBB169_7020:
	s_andn2_saveexec_b64 s[78:79], s[78:79]
; %bb.7021:
	s_mov_b32 vcc_lo, 0x7f800000
	v_mov_b32_e32 v1, 0x7c
	v_mov_b32_e32 v5, 0x7f
	v_cmp_lt_u32_e32 vcc, vcc_lo, v4
	v_cndmask_b32_e32 v1, v1, v5, vcc
; %bb.7022:
	s_or_b64 exec, exec, s[78:79]
	v_lshrrev_b32_e32 v4, 24, v80
	s_movk_i32 vcc_lo, 0x80
	v_and_or_b32 v1, v4, vcc_lo, v1
	flat_store_byte v[2:3], v1
.LBB169_7023:
	s_or_b64 exec, exec, s[76:77]
	s_or_b64 s[76:77], s[4:5], exec
                                        ; implicit-def: $vgpr80
                                        ; implicit-def: $vgpr2_vgpr3
.LBB169_7024:
	s_or_saveexec_b64 s[74:75], s[74:75]
	s_mov_b64 vcc, s[70:71]
	s_xor_b64 exec, exec, s[74:75]
	s_cbranch_execz .LBB169_7034
; %bb.7025:
	v_mov_b32_e32 v1, 14
	v_cmp_gt_i16_sdwa vcc, v62, v1 src0_sel:BYTE_0 src1_sel:DWORD
	s_mov_b64 s[78:79], s[76:77]
	s_mov_b64 s[80:81], s[70:71]
	s_and_saveexec_b64 s[82:83], vcc
	s_xor_b64 s[82:83], exec, s[82:83]
	s_cbranch_execz .LBB169_7029
; %bb.7026:
	v_mov_b32_e32 v1, 15
	v_cmp_eq_u16_sdwa s[84:85], v62, v1 src0_sel:BYTE_0 src1_sel:DWORD
	s_mov_b64 s[80:81], -1
	s_mov_b64 vcc, s[76:77]
	s_and_saveexec_b64 s[78:79], s[84:85]
	s_cbranch_execz .LBB169_7028
; %bb.7027:
	v_bfe_u32 v1, v80, 16, 1
	s_movk_i32 vcc_lo, 0x7fff
	v_add3_u32 v1, v80, v1, vcc_lo
	v_lshrrev_b32_e32 v1, 16, v1
	v_mov_b32_e32 v4, 0x7fc0
	v_cmp_o_f32_e32 vcc, v80, v80
	v_cndmask_b32_e32 v1, v4, v1, vcc
	flat_store_short v[2:3], v1
	s_xor_b64 s[80:81], exec, -1
	s_or_b64 vcc, s[76:77], exec
.LBB169_7028:
	s_or_b64 exec, exec, s[78:79]
	s_andn2_b64 s[78:79], s[70:71], exec
	s_and_b64 s[80:81], s[80:81], exec
	s_or_b64 s[80:81], s[78:79], s[80:81]
	s_andn2_b64 s[78:79], s[76:77], exec
	s_and_b64 vcc, vcc, exec
	s_or_b64 s[78:79], s[78:79], vcc
                                        ; implicit-def: $vgpr80
                                        ; implicit-def: $vgpr2_vgpr3
.LBB169_7029:
	s_andn2_saveexec_b64 s[82:83], s[82:83]
	s_cbranch_execz .LBB169_7033
; %bb.7030:
	v_mov_b32_e32 v1, 11
	v_cmp_eq_u16_sdwa s[88:89], v62, v1 src0_sel:BYTE_0 src1_sel:DWORD
	s_mov_b64 s[84:85], -1
	s_mov_b64 vcc, s[78:79]
	s_and_saveexec_b64 s[86:87], s[88:89]
	s_cbranch_execz .LBB169_7032
; %bb.7031:
	v_cmp_neq_f32_e32 vcc, 0, v80
	v_cndmask_b32_e64 v1, 0, 1, vcc
	flat_store_byte v[2:3], v1
	s_xor_b64 s[84:85], exec, -1
	s_or_b64 vcc, s[78:79], exec
.LBB169_7032:
	s_or_b64 exec, exec, s[86:87]
	s_andn2_b64 s[80:81], s[80:81], exec
	s_and_b64 s[84:85], s[84:85], exec
	s_andn2_b64 s[78:79], s[78:79], exec
	s_and_b64 vcc, vcc, exec
	s_or_b64 s[80:81], s[80:81], s[84:85]
	s_or_b64 s[78:79], s[78:79], vcc
.LBB169_7033:
	s_or_b64 exec, exec, s[82:83]
	s_andn2_b64 vcc, s[70:71], exec
	s_and_b64 s[80:81], s[80:81], exec
	s_andn2_b64 s[76:77], s[76:77], exec
	s_and_b64 s[78:79], s[78:79], exec
	s_or_b64 vcc, vcc, s[80:81]
	s_or_b64 s[76:77], s[76:77], s[78:79]
.LBB169_7034:
	s_or_b64 exec, exec, s[74:75]
	s_andn2_b64 s[70:71], s[70:71], exec
	s_and_b64 vcc, vcc, exec
	s_or_b64 s[70:71], s[70:71], vcc
	s_andn2_b64 s[4:5], s[4:5], exec
	s_and_b64 vcc, s[76:77], exec
	s_or_b64 s[4:5], s[4:5], vcc
.LBB169_7035:
	s_or_b64 exec, exec, s[72:73]
	s_andn2_b64 vcc, s[62:63], exec
	s_and_b64 s[70:71], s[70:71], exec
	s_or_b64 s[70:71], vcc, s[70:71]
	s_and_b64 s[4:5], s[4:5], exec
                                        ; implicit-def: $vgpr80
                                        ; implicit-def: $vgpr2_vgpr3
	s_andn2_saveexec_b64 s[66:67], s[66:67]
	s_cbranch_execz .LBB169_3972
.LBB169_7036:
	v_mov_b32_e32 v1, 4
	v_cmp_gt_i16_sdwa vcc, v62, v1 src0_sel:BYTE_0 src1_sel:DWORD
	s_and_saveexec_b64 s[72:73], vcc
	s_xor_b64 vcc, exec, s[72:73]
	s_cbranch_execz .LBB169_7058
; %bb.7037:
	v_mov_b32_e32 v1, 7
	v_cmp_gt_i16_sdwa s[72:73], v62, v1 src0_sel:BYTE_0 src1_sel:DWORD
	s_and_saveexec_b64 s[74:75], s[72:73]
	s_xor_b64 s[72:73], exec, s[74:75]
	s_cbranch_execz .LBB169_7047
; %bb.7038:
	v_mov_b32_e32 v1, 8
	v_cmp_gt_i16_sdwa s[74:75], v62, v1 src0_sel:BYTE_0 src1_sel:DWORD
	s_and_saveexec_b64 s[76:77], s[74:75]
	s_xor_b64 s[74:75], exec, s[76:77]
	;; [unrolled: 6-line block ×3, first 2 shown]
	s_cbranch_execz .LBB169_7041
; %bb.7040:
	v_mov_b32_e32 v6, 0
	v_cvt_f64_f32_e32 v[4:5], v80
	v_mov_b32_e32 v7, v6
	flat_store_dwordx4 v[2:3], v[4:7]
                                        ; implicit-def: $vgpr80
                                        ; implicit-def: $vgpr2_vgpr3
.LBB169_7041:
	s_andn2_saveexec_b64 s[76:77], s[76:77]
	s_cbranch_execz .LBB169_7043
; %bb.7042:
	v_mov_b32_e32 v81, 0
	flat_store_dwordx2 v[2:3], v[80:81]
.LBB169_7043:
	s_or_b64 exec, exec, s[76:77]
                                        ; implicit-def: $vgpr80
                                        ; implicit-def: $vgpr2_vgpr3
.LBB169_7044:
	s_andn2_saveexec_b64 s[74:75], s[74:75]
	s_cbranch_execz .LBB169_7046
; %bb.7045:
	v_cvt_f16_f32_e32 v1, v80
	flat_store_dword v[2:3], v1
.LBB169_7046:
	s_or_b64 exec, exec, s[74:75]
                                        ; implicit-def: $vgpr80
                                        ; implicit-def: $vgpr2_vgpr3
.LBB169_7047:
	s_andn2_saveexec_b64 s[72:73], s[72:73]
	s_cbranch_execz .LBB169_7057
; %bb.7048:
	v_mov_b32_e32 v1, 5
	v_cmp_gt_i16_sdwa s[74:75], v62, v1 src0_sel:BYTE_0 src1_sel:DWORD
	s_and_saveexec_b64 s[76:77], s[74:75]
	s_xor_b64 s[74:75], exec, s[76:77]
	s_cbranch_execz .LBB169_7054
; %bb.7049:
	v_mov_b32_e32 v1, 6
	v_cmp_gt_i16_sdwa s[76:77], v62, v1 src0_sel:BYTE_0 src1_sel:DWORD
	s_and_saveexec_b64 s[78:79], s[76:77]
	s_xor_b64 s[76:77], exec, s[78:79]
	s_cbranch_execz .LBB169_7051
; %bb.7050:
	v_cvt_f64_f32_e32 v[4:5], v80
	flat_store_dwordx2 v[2:3], v[4:5]
                                        ; implicit-def: $vgpr2_vgpr3
                                        ; implicit-def: $vgpr80
.LBB169_7051:
	s_andn2_saveexec_b64 s[76:77], s[76:77]
	s_cbranch_execz .LBB169_7053
; %bb.7052:
	flat_store_dword v[2:3], v80
.LBB169_7053:
	s_or_b64 exec, exec, s[76:77]
                                        ; implicit-def: $vgpr80
                                        ; implicit-def: $vgpr2_vgpr3
.LBB169_7054:
	s_andn2_saveexec_b64 s[74:75], s[74:75]
	s_cbranch_execz .LBB169_7056
; %bb.7055:
	v_cvt_f16_f32_e32 v1, v80
	flat_store_short v[2:3], v1
.LBB169_7056:
	s_or_b64 exec, exec, s[74:75]
.LBB169_7057:
	s_or_b64 exec, exec, s[72:73]
                                        ; implicit-def: $vgpr80
                                        ; implicit-def: $vgpr2_vgpr3
.LBB169_7058:
	s_andn2_saveexec_b64 s[72:73], vcc
	s_cbranch_execz .LBB169_7076
; %bb.7059:
	v_mov_b32_e32 v1, 1
	v_cmp_gt_i16_sdwa vcc, v62, v1 src0_sel:BYTE_0 src1_sel:DWORD
	s_and_saveexec_b64 s[74:75], vcc
	s_xor_b64 s[74:75], exec, s[74:75]
	s_cbranch_execz .LBB169_7069
; %bb.7060:
	v_mov_b32_e32 v1, 2
	v_cmp_gt_i16_sdwa vcc, v62, v1 src0_sel:BYTE_0 src1_sel:DWORD
	s_and_saveexec_b64 s[76:77], vcc
	s_xor_b64 s[76:77], exec, s[76:77]
	;; [unrolled: 6-line block ×3, first 2 shown]
	s_cbranch_execz .LBB169_7063
; %bb.7062:
	v_trunc_f32_e32 v1, v80
	s_mov_b32 s80, 0x2f800000
	v_mul_f32_e64 v4, |v1|, s80
	v_floor_f32_e32 v4, v4
	s_mov_b32 s80, 0xcf800000
	v_cvt_u32_f32_e32 v5, v4
	v_fma_f32 v4, v4, s80, |v1|
	v_cvt_u32_f32_e32 v4, v4
	v_ashrrev_i32_e32 v1, 31, v1
	v_xor_b32_e32 v5, v5, v1
                                        ; implicit-def: $vgpr80
	v_xor_b32_e32 v4, v4, v1
	v_sub_co_u32_e32 v4, vcc, v4, v1
	v_subb_co_u32_e32 v5, vcc, v5, v1, vcc
	flat_store_dwordx2 v[2:3], v[4:5]
                                        ; implicit-def: $vgpr2_vgpr3
.LBB169_7063:
	s_andn2_saveexec_b64 vcc, s[78:79]
	s_cbranch_execz .LBB169_7065
; %bb.7064:
	v_cvt_i32_f32_e32 v1, v80
	flat_store_dword v[2:3], v1
.LBB169_7065:
	s_or_b64 exec, exec, vcc
                                        ; implicit-def: $vgpr80
                                        ; implicit-def: $vgpr2_vgpr3
.LBB169_7066:
	s_andn2_saveexec_b64 vcc, s[76:77]
	s_cbranch_execz .LBB169_7068
; %bb.7067:
	v_cvt_i32_f32_e32 v1, v80
	flat_store_short v[2:3], v1
.LBB169_7068:
	s_or_b64 exec, exec, vcc
                                        ; implicit-def: $vgpr80
                                        ; implicit-def: $vgpr2_vgpr3
.LBB169_7069:
	s_andn2_saveexec_b64 vcc, s[74:75]
	s_cbranch_execz .LBB169_7075
; %bb.7070:
	v_mov_b32_e32 v1, 0
	v_cmp_gt_i16_sdwa s[74:75], v62, v1 src0_sel:BYTE_0 src1_sel:DWORD
	s_and_saveexec_b64 s[76:77], s[74:75]
	s_xor_b64 s[74:75], exec, s[76:77]
	s_cbranch_execz .LBB169_7072
; %bb.7071:
	v_cvt_i32_f32_e32 v1, v80
                                        ; implicit-def: $vgpr80
	flat_store_byte v[2:3], v1
                                        ; implicit-def: $vgpr2_vgpr3
.LBB169_7072:
	s_andn2_saveexec_b64 s[74:75], s[74:75]
	s_cbranch_execz .LBB169_7074
; %bb.7073:
	v_trunc_f32_e32 v1, v80
	s_mov_b32 s76, 0x2f800000
	v_mul_f32_e64 v4, |v1|, s76
	v_floor_f32_e32 v4, v4
	s_mov_b32 s76, 0xcf800000
	v_fma_f32 v4, v4, s76, |v1|
	v_cvt_u32_f32_e32 v4, v4
	v_ashrrev_i32_e32 v1, 31, v1
	v_xor_b32_e32 v4, v4, v1
	v_sub_u32_e32 v1, v4, v1
	flat_store_byte v[2:3], v1
.LBB169_7074:
	s_or_b64 exec, exec, s[74:75]
.LBB169_7075:
	s_or_b64 exec, exec, vcc
.LBB169_7076:
	s_or_b64 exec, exec, s[72:73]
	s_or_b64 s[4:5], s[4:5], exec
	s_or_b64 exec, exec, s[66:67]
	s_mov_b64 vcc, 0
	s_and_saveexec_b64 s[66:67], s[4:5]
	s_cbranch_execnz .LBB169_3973
	s_branch .LBB169_3974
.LBB169_7077:
	v_bfe_u32 v1, v100, 21, 1
	s_mov_b32 s60, 0x88fffff
	v_add3_u32 v1, v100, v1, s60
	s_mov_b64 s[58:59], exec
	v_lshrrev_b32_e32 v1, 21, v1
	s_or_saveexec_b64 s[60:61], vcc
                                        ; implicit-def: $sgpr62
	s_xor_b64 exec, exec, s[60:61]
	s_cbranch_execz .LBB169_6242
.LBB169_7078:
	s_mov_b32 s62, 0x42800000
	v_add_f32_e64 v1, |v100|, s62
	v_and_b32_e32 v1, 0xff, v1
	v_cmp_ne_u32_e32 vcc, 0, v1
	s_andn2_b64 s[58:59], s[58:59], exec
	s_and_b64 vcc, vcc, exec
	s_mov_b32 s62, 0
	s_or_b64 s[58:59], s[58:59], vcc
	s_or_b64 exec, exec, s[60:61]
	v_mov_b32_e32 v4, s62
	s_and_saveexec_b64 vcc, s[58:59]
	s_cbranch_execnz .LBB169_6243
	s_branch .LBB169_6244
.LBB169_7079:
	v_bfe_u32 v1, v98, 20, 1
	s_mov_b32 s62, 0x487ffff
	v_add3_u32 v1, v98, v1, s62
	s_mov_b64 s[60:61], exec
	v_lshrrev_b32_e32 v1, 20, v1
	s_or_saveexec_b64 s[62:63], vcc
                                        ; implicit-def: $sgpr64
	s_xor_b64 exec, exec, s[62:63]
	s_cbranch_execz .LBB169_6355
.LBB169_7080:
	s_mov_b32 s64, 0x46000000
	v_add_f32_e64 v1, |v98|, s64
	v_and_b32_e32 v1, 0xff, v1
	v_cmp_ne_u32_e32 vcc, 0, v1
	s_andn2_b64 s[60:61], s[60:61], exec
	s_and_b64 vcc, vcc, exec
	s_mov_b32 s64, 0
	s_or_b64 s[60:61], s[60:61], vcc
	s_or_b64 exec, exec, s[62:63]
	v_mov_b32_e32 v4, s64
	s_and_saveexec_b64 vcc, s[60:61]
	s_cbranch_execnz .LBB169_6356
	s_branch .LBB169_6357
.LBB169_7081:
	v_mov_b32_e32 v1, 25
	v_cmp_gt_i16_sdwa vcc, v62, v1 src0_sel:BYTE_0 src1_sel:DWORD
	s_mov_b64 s[74:75], s[66:67]
	s_and_saveexec_b64 s[76:77], vcc
	s_xor_b64 s[76:77], exec, s[76:77]
	s_cbranch_execz .LBB169_7117
; %bb.7082:
	v_mov_b32_e32 v1, 28
	v_cmp_gt_i16_sdwa vcc, v62, v1 src0_sel:BYTE_0 src1_sel:DWORD
	s_mov_b64 s[78:79], s[66:67]
	s_and_saveexec_b64 s[74:75], vcc
	s_xor_b64 s[74:75], exec, s[74:75]
	s_cbranch_execz .LBB169_7100
; %bb.7083:
	v_mov_b32_e32 v1, 43
	v_cmp_gt_i16_sdwa s[78:79], v62, v1 src0_sel:BYTE_0 src1_sel:DWORD
	s_mov_b64 vcc, s[66:67]
	s_and_saveexec_b64 s[80:81], s[78:79]
	s_xor_b64 s[78:79], exec, s[80:81]
	s_cbranch_execz .LBB169_7095
; %bb.7084:
	v_mov_b32_e32 v1, 45
	v_cmp_gt_i16_sdwa s[4:5], v62, v1 src0_sel:BYTE_0 src1_sel:DWORD
	s_mov_b64 s[80:81], 0
	s_mov_b64 s[82:83], s[66:67]
	s_and_saveexec_b64 vcc, s[4:5]
	s_xor_b64 s[4:5], exec, vcc
	s_cbranch_execz .LBB169_7088
; %bb.7085:
	v_mov_b32_e32 v1, 46
	v_cmp_eq_u16_sdwa s[84:85], v62, v1 src0_sel:BYTE_0 src1_sel:DWORD
	s_mov_b64 vcc, -1
	s_and_saveexec_b64 s[82:83], s[84:85]
	s_cbranch_execz .LBB169_7087
; %bb.7086:
	v_bfe_u32 v1, v70, 16, 1
	s_movk_i32 vcc_lo, 0x7fff
	v_add3_u32 v1, v70, v1, vcc_lo
	v_lshrrev_b32_e32 v1, 16, v1
	v_mov_b32_e32 v4, 0x7fc0
	v_cmp_o_f32_e32 vcc, v70, v70
	v_cndmask_b32_e32 v1, v4, v1, vcc
	s_mov_b64 s[80:81], exec
	flat_store_dword v[2:3], v1
	s_xor_b64 vcc, exec, -1
.LBB169_7087:
	s_or_b64 exec, exec, s[82:83]
	s_andn2_b64 s[82:83], s[66:67], exec
	s_and_b64 vcc, vcc, exec
	s_or_b64 s[82:83], s[82:83], vcc
	s_and_b64 s[80:81], s[80:81], exec
                                        ; implicit-def: $vgpr2_vgpr3
                                        ; implicit-def: $vgpr70
.LBB169_7088:
	s_andn2_saveexec_b64 s[84:85], s[4:5]
	s_cbranch_execz .LBB169_7094
; %bb.7089:
	v_mov_b32_e32 v1, 44
	v_cmp_eq_u16_sdwa s[88:89], v62, v1 src0_sel:BYTE_0 src1_sel:DWORD
	s_mov_b64 vcc, -1
	s_mov_b64 s[4:5], s[80:81]
	s_and_saveexec_b64 s[86:87], s[88:89]
	s_cbranch_execz .LBB169_7093
; %bb.7090:
	v_bfe_u32 v1, v70, 23, 8
	s_movk_i32 s4, 0xff
	v_cmp_ne_u32_e32 vcc, s4, v1
	v_mov_b32_e32 v4, 0xff
	s_and_saveexec_b64 s[88:89], vcc
; %bb.7091:
	s_mov_b32 s4, 0x3fffff
	v_and_b32_e32 v5, 0x400000, v70
	v_and_or_b32 v1, v70, s4, v1
	v_cmp_ne_u32_e32 vcc, 0, v5
	v_cmp_ne_u32_e64 s[4:5], 0, v1
	s_and_b64 s[4:5], vcc, s[4:5]
	v_lshrrev_b32_e32 v4, 23, v70
	v_cndmask_b32_e64 v1, 0, 1, s[4:5]
	v_add_u32_e32 v4, v4, v1
; %bb.7092:
	s_or_b64 exec, exec, s[88:89]
	s_xor_b64 vcc, exec, -1
	s_or_b64 s[4:5], s[80:81], exec
	flat_store_byte v[2:3], v4
.LBB169_7093:
	s_or_b64 exec, exec, s[86:87]
	s_andn2_b64 s[82:83], s[82:83], exec
	s_and_b64 vcc, vcc, exec
	s_or_b64 s[82:83], s[82:83], vcc
	s_andn2_b64 vcc, s[80:81], exec
	s_and_b64 s[4:5], s[4:5], exec
	s_or_b64 s[80:81], vcc, s[4:5]
.LBB169_7094:
	s_or_b64 exec, exec, s[84:85]
	s_andn2_b64 s[4:5], s[66:67], exec
	s_and_b64 vcc, s[82:83], exec
	s_or_b64 vcc, s[4:5], vcc
	s_and_b64 s[4:5], s[80:81], exec
                                        ; implicit-def: $vgpr70
                                        ; implicit-def: $vgpr2_vgpr3
.LBB169_7095:
	s_andn2_saveexec_b64 s[78:79], s[78:79]
	s_cbranch_execz .LBB169_7099
; %bb.7096:
	v_mov_b32_e32 v1, 29
	v_cmp_eq_u16_sdwa s[86:87], v62, v1 src0_sel:BYTE_0 src1_sel:DWORD
	s_mov_b64 s[84:85], -1
	s_mov_b64 s[82:83], s[4:5]
	s_and_saveexec_b64 s[80:81], s[86:87]
	s_cbranch_execz .LBB169_7098
; %bb.7097:
	v_trunc_f32_e32 v1, v70
	v_mul_f32_e32 v4, 0x2f800000, v1
	v_floor_f32_e32 v4, v4
	v_fmac_f32_e32 v1, 0xcf800000, v4
	v_cvt_u32_f32_e32 v5, v4
	v_cvt_u32_f32_e32 v4, v1
	s_xor_b64 s[84:85], exec, -1
	s_or_b64 s[82:83], s[4:5], exec
	flat_store_dwordx2 v[2:3], v[4:5]
.LBB169_7098:
	s_or_b64 exec, exec, s[80:81]
	s_andn2_b64 vcc, vcc, exec
	s_and_b64 s[80:81], s[84:85], exec
	s_or_b64 vcc, vcc, s[80:81]
	s_andn2_b64 s[4:5], s[4:5], exec
	s_and_b64 s[80:81], s[82:83], exec
	s_or_b64 s[4:5], s[4:5], s[80:81]
.LBB169_7099:
	s_or_b64 exec, exec, s[78:79]
	s_andn2_b64 s[78:79], s[66:67], exec
	s_and_b64 vcc, vcc, exec
	s_or_b64 s[78:79], s[78:79], vcc
	s_and_b64 s[4:5], s[4:5], exec
                                        ; implicit-def: $vgpr2_vgpr3
                                        ; implicit-def: $vgpr70
.LBB169_7100:
	s_andn2_saveexec_b64 s[74:75], s[74:75]
	s_cbranch_execz .LBB169_7116
; %bb.7101:
	v_mov_b32_e32 v1, 26
	v_cmp_gt_i16_sdwa vcc, v62, v1 src0_sel:BYTE_0 src1_sel:DWORD
	s_and_saveexec_b64 s[80:81], vcc
	s_xor_b64 vcc, exec, s[80:81]
	s_cbranch_execz .LBB169_7107
; %bb.7102:
	v_cvt_u32_f32_e32 v1, v70
	v_mov_b32_e32 v4, 27
	v_cmp_gt_i16_sdwa s[80:81], v62, v4 src0_sel:BYTE_0 src1_sel:DWORD
	s_and_saveexec_b64 s[82:83], s[80:81]
	s_xor_b64 s[80:81], exec, s[82:83]
	s_cbranch_execz .LBB169_7104
; %bb.7103:
	flat_store_dword v[2:3], v1
                                        ; implicit-def: $vgpr2_vgpr3
                                        ; implicit-def: $vgpr1
.LBB169_7104:
	s_andn2_saveexec_b64 s[80:81], s[80:81]
	s_cbranch_execz .LBB169_7106
; %bb.7105:
	flat_store_short v[2:3], v1
.LBB169_7106:
	s_or_b64 exec, exec, s[80:81]
                                        ; implicit-def: $vgpr2_vgpr3
                                        ; implicit-def: $vgpr70
.LBB169_7107:
	s_andn2_saveexec_b64 s[80:81], vcc
	s_cbranch_execz .LBB169_7115
; %bb.7108:
	v_and_b32_e32 v1, 0x7fffffff, v70
	s_mov_b32 vcc_lo, 0x43800000
	v_cmp_gt_u32_e32 vcc, vcc_lo, v1
	v_mov_b32_e32 v4, 0x80
	s_and_saveexec_b64 s[82:83], vcc
	s_cbranch_execz .LBB169_7114
; %bb.7109:
	s_mov_b32 vcc_lo, 0x3bffffff
	v_cmp_lt_u32_e32 vcc, vcc_lo, v1
	s_mov_b64 s[84:85], 0
                                        ; implicit-def: $vgpr1
	s_and_saveexec_b64 s[86:87], vcc
	s_xor_b64 vcc, exec, s[86:87]
	s_cbranch_execnz .LBB169_7835
; %bb.7110:
	s_or_saveexec_b64 s[86:87], vcc
                                        ; implicit-def: $sgpr88
	s_xor_b64 exec, exec, s[86:87]
	s_cbranch_execnz .LBB169_7836
.LBB169_7111:
	s_or_b64 exec, exec, s[86:87]
	v_mov_b32_e32 v4, s88
	s_and_saveexec_b64 vcc, s[84:85]
.LBB169_7112:
	v_lshrrev_b32_e32 v4, 24, v70
	s_movk_i32 s84, 0x80
	v_and_or_b32 v4, v4, s84, v1
.LBB169_7113:
	s_or_b64 exec, exec, vcc
.LBB169_7114:
	s_or_b64 exec, exec, s[82:83]
	flat_store_byte v[2:3], v4
.LBB169_7115:
	s_or_b64 exec, exec, s[80:81]
	s_or_b64 s[4:5], s[4:5], exec
.LBB169_7116:
	s_or_b64 exec, exec, s[74:75]
	s_andn2_b64 vcc, s[66:67], exec
	s_and_b64 s[74:75], s[78:79], exec
	s_or_b64 s[74:75], vcc, s[74:75]
	s_and_b64 s[4:5], s[4:5], exec
                                        ; implicit-def: $vgpr70
                                        ; implicit-def: $vgpr2_vgpr3
.LBB169_7117:
	s_andn2_saveexec_b64 s[76:77], s[76:77]
	s_cbranch_execz .LBB169_7161
; %bb.7118:
	v_mov_b32_e32 v1, 22
	v_cmp_gt_i16_sdwa vcc, v62, v1 src0_sel:BYTE_0 src1_sel:DWORD
	s_mov_b64 s[80:81], s[4:5]
	s_and_saveexec_b64 s[78:79], vcc
	s_xor_b64 s[78:79], exec, s[78:79]
	s_cbranch_execz .LBB169_7150
; %bb.7119:
	v_mov_b32_e32 v1, 23
	v_cmp_gt_i16_sdwa vcc, v62, v1 src0_sel:BYTE_0 src1_sel:DWORD
	s_and_saveexec_b64 s[80:81], vcc
	s_xor_b64 s[80:81], exec, s[80:81]
	s_cbranch_execz .LBB169_7139
; %bb.7120:
	v_mov_b32_e32 v1, 24
	v_cmp_gt_i16_sdwa vcc, v62, v1 src0_sel:BYTE_0 src1_sel:DWORD
	s_and_saveexec_b64 s[82:83], vcc
	s_xor_b64 s[82:83], exec, s[82:83]
	s_cbranch_execz .LBB169_7128
; %bb.7121:
	v_and_b32_e32 v1, 0x7fffffff, v70
	s_mov_b32 vcc_lo, 0x47800000
	v_cmp_gt_u32_e32 vcc, vcc_lo, v1
	v_mov_b32_e32 v4, 0x80
	s_and_saveexec_b64 s[84:85], vcc
	s_cbranch_execz .LBB169_7127
; %bb.7122:
	s_mov_b32 vcc_lo, 0x37ffffff
	v_cmp_lt_u32_e32 vcc, vcc_lo, v1
	s_mov_b64 s[86:87], 0
                                        ; implicit-def: $vgpr1
	s_and_saveexec_b64 s[88:89], vcc
	s_xor_b64 vcc, exec, s[88:89]
	s_cbranch_execnz .LBB169_7837
; %bb.7123:
	s_or_saveexec_b64 s[88:89], vcc
                                        ; implicit-def: $sgpr90
	s_xor_b64 exec, exec, s[88:89]
	s_cbranch_execnz .LBB169_7838
.LBB169_7124:
	s_or_b64 exec, exec, s[88:89]
	v_mov_b32_e32 v4, s90
	s_and_saveexec_b64 vcc, s[86:87]
.LBB169_7125:
	v_lshrrev_b32_e32 v4, 24, v70
	s_movk_i32 s86, 0x80
	v_and_or_b32 v4, v4, s86, v1
.LBB169_7126:
	s_or_b64 exec, exec, vcc
.LBB169_7127:
	s_or_b64 exec, exec, s[84:85]
	flat_store_byte v[2:3], v4
                                        ; implicit-def: $vgpr70
                                        ; implicit-def: $vgpr2_vgpr3
.LBB169_7128:
	s_andn2_saveexec_b64 s[82:83], s[82:83]
	s_cbranch_execz .LBB169_7138
; %bb.7129:
	v_and_b32_e32 v4, 0x7fffffff, v70
	s_mov_b32 vcc_lo, 0x43f00000
	v_cmp_gt_u32_e32 vcc, vcc_lo, v4
                                        ; implicit-def: $vgpr1
	s_and_saveexec_b64 s[84:85], vcc
	s_xor_b64 s[84:85], exec, s[84:85]
	s_cbranch_execz .LBB169_7135
; %bb.7130:
	s_mov_b32 vcc_lo, 0x3c7fffff
	v_cmp_lt_u32_e32 vcc, vcc_lo, v4
                                        ; implicit-def: $vgpr1
	s_and_saveexec_b64 s[86:87], vcc
	s_xor_b64 s[86:87], exec, s[86:87]
; %bb.7131:
	v_bfe_u32 v1, v70, 20, 1
	s_mov_b32 vcc_lo, 0x407ffff
	v_add3_u32 v1, v70, v1, vcc_lo
	v_lshrrev_b32_e32 v4, 20, v1
	v_and_b32_e32 v1, 0xff00000, v1
	s_mov_b32 vcc_lo, 0x7f00000
	v_mov_b32_e32 v5, 0x7e
	v_cmp_ne_u32_e32 vcc, vcc_lo, v1
	v_cndmask_b32_e32 v1, v5, v4, vcc
; %bb.7132:
	s_andn2_saveexec_b64 vcc, s[86:87]
; %bb.7133:
	s_mov_b32 s86, 0x46800000
	v_add_f32_e64 v1, |v70|, s86
; %bb.7134:
	s_or_b64 exec, exec, vcc
                                        ; implicit-def: $vgpr4
.LBB169_7135:
	s_andn2_saveexec_b64 s[84:85], s[84:85]
; %bb.7136:
	s_mov_b32 vcc_lo, 0x7f800000
	v_mov_b32_e32 v1, 0x7e
	v_mov_b32_e32 v5, 0x7f
	v_cmp_lt_u32_e32 vcc, vcc_lo, v4
	v_cndmask_b32_e32 v1, v1, v5, vcc
; %bb.7137:
	s_or_b64 exec, exec, s[84:85]
	v_lshrrev_b32_e32 v4, 24, v70
	s_movk_i32 vcc_lo, 0x80
	v_and_or_b32 v1, v4, vcc_lo, v1
	flat_store_byte v[2:3], v1
.LBB169_7138:
	s_or_b64 exec, exec, s[82:83]
                                        ; implicit-def: $vgpr70
                                        ; implicit-def: $vgpr2_vgpr3
.LBB169_7139:
	s_andn2_saveexec_b64 s[80:81], s[80:81]
	s_cbranch_execz .LBB169_7149
; %bb.7140:
	v_and_b32_e32 v4, 0x7fffffff, v70
	s_mov_b32 vcc_lo, 0x47800000
	v_cmp_gt_u32_e32 vcc, vcc_lo, v4
                                        ; implicit-def: $vgpr1
	s_and_saveexec_b64 s[82:83], vcc
	s_xor_b64 s[82:83], exec, s[82:83]
	s_cbranch_execz .LBB169_7146
; %bb.7141:
	s_mov_b32 vcc_lo, 0x387fffff
	v_cmp_lt_u32_e32 vcc, vcc_lo, v4
                                        ; implicit-def: $vgpr1
	s_and_saveexec_b64 s[84:85], vcc
	s_xor_b64 vcc, exec, s[84:85]
; %bb.7142:
	v_bfe_u32 v1, v70, 21, 1
	s_mov_b32 s84, 0x80fffff
	v_add3_u32 v1, v70, v1, s84
	v_lshrrev_b32_e32 v1, 21, v1
; %bb.7143:
	s_andn2_saveexec_b64 vcc, vcc
; %bb.7144:
	s_mov_b32 s84, 0x43000000
	v_add_f32_e64 v1, |v70|, s84
; %bb.7145:
	s_or_b64 exec, exec, vcc
                                        ; implicit-def: $vgpr4
.LBB169_7146:
	s_andn2_saveexec_b64 s[82:83], s[82:83]
; %bb.7147:
	s_mov_b32 vcc_lo, 0x7f800000
	v_mov_b32_e32 v1, 0x7c
	v_mov_b32_e32 v5, 0x7f
	v_cmp_lt_u32_e32 vcc, vcc_lo, v4
	v_cndmask_b32_e32 v1, v1, v5, vcc
; %bb.7148:
	s_or_b64 exec, exec, s[82:83]
	v_lshrrev_b32_e32 v4, 24, v70
	s_movk_i32 vcc_lo, 0x80
	v_and_or_b32 v1, v4, vcc_lo, v1
	flat_store_byte v[2:3], v1
.LBB169_7149:
	s_or_b64 exec, exec, s[80:81]
	s_or_b64 s[80:81], s[4:5], exec
                                        ; implicit-def: $vgpr70
                                        ; implicit-def: $vgpr2_vgpr3
.LBB169_7150:
	s_or_saveexec_b64 s[78:79], s[78:79]
	s_mov_b64 vcc, s[74:75]
	s_xor_b64 exec, exec, s[78:79]
	s_cbranch_execz .LBB169_7160
; %bb.7151:
	v_mov_b32_e32 v1, 14
	v_cmp_gt_i16_sdwa vcc, v62, v1 src0_sel:BYTE_0 src1_sel:DWORD
	s_mov_b64 s[82:83], s[80:81]
	s_mov_b64 s[84:85], s[74:75]
	s_and_saveexec_b64 s[86:87], vcc
	s_xor_b64 s[86:87], exec, s[86:87]
	s_cbranch_execz .LBB169_7155
; %bb.7152:
	v_mov_b32_e32 v1, 15
	v_cmp_eq_u16_sdwa s[88:89], v62, v1 src0_sel:BYTE_0 src1_sel:DWORD
	s_mov_b64 s[84:85], -1
	s_mov_b64 vcc, s[80:81]
	s_and_saveexec_b64 s[82:83], s[88:89]
	s_cbranch_execz .LBB169_7154
; %bb.7153:
	v_bfe_u32 v1, v70, 16, 1
	s_movk_i32 vcc_lo, 0x7fff
	v_add3_u32 v1, v70, v1, vcc_lo
	v_lshrrev_b32_e32 v1, 16, v1
	v_mov_b32_e32 v4, 0x7fc0
	v_cmp_o_f32_e32 vcc, v70, v70
	v_cndmask_b32_e32 v1, v4, v1, vcc
	flat_store_short v[2:3], v1
	s_xor_b64 s[84:85], exec, -1
	s_or_b64 vcc, s[80:81], exec
.LBB169_7154:
	s_or_b64 exec, exec, s[82:83]
	s_andn2_b64 s[82:83], s[74:75], exec
	s_and_b64 s[84:85], s[84:85], exec
	s_or_b64 s[84:85], s[82:83], s[84:85]
	s_andn2_b64 s[82:83], s[80:81], exec
	s_and_b64 vcc, vcc, exec
	s_or_b64 s[82:83], s[82:83], vcc
                                        ; implicit-def: $vgpr70
                                        ; implicit-def: $vgpr2_vgpr3
.LBB169_7155:
	s_andn2_saveexec_b64 s[86:87], s[86:87]
	s_cbranch_execz .LBB169_7159
; %bb.7156:
	v_mov_b32_e32 v1, 11
	v_cmp_eq_u16_sdwa s[92:93], v62, v1 src0_sel:BYTE_0 src1_sel:DWORD
	s_mov_b64 s[88:89], -1
	s_mov_b64 vcc, s[82:83]
	s_and_saveexec_b64 s[90:91], s[92:93]
	s_cbranch_execz .LBB169_7158
; %bb.7157:
	v_cmp_neq_f32_e32 vcc, 0, v70
	v_cndmask_b32_e64 v1, 0, 1, vcc
	flat_store_byte v[2:3], v1
	s_xor_b64 s[88:89], exec, -1
	s_or_b64 vcc, s[82:83], exec
.LBB169_7158:
	s_or_b64 exec, exec, s[90:91]
	s_andn2_b64 s[84:85], s[84:85], exec
	s_and_b64 s[88:89], s[88:89], exec
	s_andn2_b64 s[82:83], s[82:83], exec
	s_and_b64 vcc, vcc, exec
	s_or_b64 s[84:85], s[84:85], s[88:89]
	s_or_b64 s[82:83], s[82:83], vcc
.LBB169_7159:
	s_or_b64 exec, exec, s[86:87]
	s_andn2_b64 vcc, s[74:75], exec
	s_and_b64 s[84:85], s[84:85], exec
	s_andn2_b64 s[80:81], s[80:81], exec
	s_and_b64 s[82:83], s[82:83], exec
	s_or_b64 vcc, vcc, s[84:85]
	s_or_b64 s[80:81], s[80:81], s[82:83]
.LBB169_7160:
	s_or_b64 exec, exec, s[78:79]
	s_andn2_b64 s[74:75], s[74:75], exec
	s_and_b64 vcc, vcc, exec
	s_or_b64 s[74:75], s[74:75], vcc
	s_andn2_b64 s[4:5], s[4:5], exec
	s_and_b64 vcc, s[80:81], exec
	s_or_b64 s[4:5], s[4:5], vcc
.LBB169_7161:
	s_or_b64 exec, exec, s[76:77]
	s_andn2_b64 vcc, s[66:67], exec
	s_and_b64 s[74:75], s[74:75], exec
	s_or_b64 s[74:75], vcc, s[74:75]
	s_and_b64 s[4:5], s[4:5], exec
                                        ; implicit-def: $vgpr70
                                        ; implicit-def: $vgpr2_vgpr3
	s_andn2_saveexec_b64 s[70:71], s[70:71]
	s_cbranch_execz .LBB169_3979
.LBB169_7162:
	v_mov_b32_e32 v1, 4
	v_cmp_gt_i16_sdwa vcc, v62, v1 src0_sel:BYTE_0 src1_sel:DWORD
	s_and_saveexec_b64 s[76:77], vcc
	s_xor_b64 vcc, exec, s[76:77]
	s_cbranch_execz .LBB169_7184
; %bb.7163:
	v_mov_b32_e32 v1, 7
	v_cmp_gt_i16_sdwa s[76:77], v62, v1 src0_sel:BYTE_0 src1_sel:DWORD
	s_and_saveexec_b64 s[78:79], s[76:77]
	s_xor_b64 s[76:77], exec, s[78:79]
	s_cbranch_execz .LBB169_7173
; %bb.7164:
	v_mov_b32_e32 v1, 8
	v_cmp_gt_i16_sdwa s[78:79], v62, v1 src0_sel:BYTE_0 src1_sel:DWORD
	s_and_saveexec_b64 s[80:81], s[78:79]
	s_xor_b64 s[78:79], exec, s[80:81]
	s_cbranch_execz .LBB169_7170
; %bb.7165:
	v_mov_b32_e32 v1, 9
	v_cmp_gt_i16_sdwa s[80:81], v62, v1 src0_sel:BYTE_0 src1_sel:DWORD
	s_and_saveexec_b64 s[82:83], s[80:81]
	s_xor_b64 s[80:81], exec, s[82:83]
	s_cbranch_execz .LBB169_7167
; %bb.7166:
	v_mov_b32_e32 v6, 0
	v_cvt_f64_f32_e32 v[4:5], v70
	v_mov_b32_e32 v7, v6
	flat_store_dwordx4 v[2:3], v[4:7]
                                        ; implicit-def: $vgpr70
                                        ; implicit-def: $vgpr2_vgpr3
.LBB169_7167:
	s_andn2_saveexec_b64 s[80:81], s[80:81]
	s_cbranch_execz .LBB169_7169
; %bb.7168:
	v_mov_b32_e32 v71, 0
	flat_store_dwordx2 v[2:3], v[70:71]
.LBB169_7169:
	s_or_b64 exec, exec, s[80:81]
                                        ; implicit-def: $vgpr70
                                        ; implicit-def: $vgpr2_vgpr3
.LBB169_7170:
	s_andn2_saveexec_b64 s[78:79], s[78:79]
	s_cbranch_execz .LBB169_7172
; %bb.7171:
	v_cvt_f16_f32_e32 v1, v70
	flat_store_dword v[2:3], v1
.LBB169_7172:
	s_or_b64 exec, exec, s[78:79]
                                        ; implicit-def: $vgpr70
                                        ; implicit-def: $vgpr2_vgpr3
.LBB169_7173:
	s_andn2_saveexec_b64 s[76:77], s[76:77]
	s_cbranch_execz .LBB169_7183
; %bb.7174:
	v_mov_b32_e32 v1, 5
	v_cmp_gt_i16_sdwa s[78:79], v62, v1 src0_sel:BYTE_0 src1_sel:DWORD
	s_and_saveexec_b64 s[80:81], s[78:79]
	s_xor_b64 s[78:79], exec, s[80:81]
	s_cbranch_execz .LBB169_7180
; %bb.7175:
	v_mov_b32_e32 v1, 6
	v_cmp_gt_i16_sdwa s[80:81], v62, v1 src0_sel:BYTE_0 src1_sel:DWORD
	s_and_saveexec_b64 s[82:83], s[80:81]
	s_xor_b64 s[80:81], exec, s[82:83]
	s_cbranch_execz .LBB169_7177
; %bb.7176:
	v_cvt_f64_f32_e32 v[4:5], v70
	flat_store_dwordx2 v[2:3], v[4:5]
                                        ; implicit-def: $vgpr2_vgpr3
                                        ; implicit-def: $vgpr70
.LBB169_7177:
	s_andn2_saveexec_b64 s[80:81], s[80:81]
	s_cbranch_execz .LBB169_7179
; %bb.7178:
	flat_store_dword v[2:3], v70
.LBB169_7179:
	s_or_b64 exec, exec, s[80:81]
                                        ; implicit-def: $vgpr70
                                        ; implicit-def: $vgpr2_vgpr3
.LBB169_7180:
	s_andn2_saveexec_b64 s[78:79], s[78:79]
	s_cbranch_execz .LBB169_7182
; %bb.7181:
	v_cvt_f16_f32_e32 v1, v70
	flat_store_short v[2:3], v1
.LBB169_7182:
	s_or_b64 exec, exec, s[78:79]
.LBB169_7183:
	s_or_b64 exec, exec, s[76:77]
                                        ; implicit-def: $vgpr70
                                        ; implicit-def: $vgpr2_vgpr3
.LBB169_7184:
	s_andn2_saveexec_b64 s[76:77], vcc
	s_cbranch_execz .LBB169_7202
; %bb.7185:
	v_mov_b32_e32 v1, 1
	v_cmp_gt_i16_sdwa vcc, v62, v1 src0_sel:BYTE_0 src1_sel:DWORD
	s_and_saveexec_b64 s[78:79], vcc
	s_xor_b64 s[78:79], exec, s[78:79]
	s_cbranch_execz .LBB169_7195
; %bb.7186:
	v_mov_b32_e32 v1, 2
	v_cmp_gt_i16_sdwa vcc, v62, v1 src0_sel:BYTE_0 src1_sel:DWORD
	s_and_saveexec_b64 s[80:81], vcc
	s_xor_b64 s[80:81], exec, s[80:81]
	;; [unrolled: 6-line block ×3, first 2 shown]
	s_cbranch_execz .LBB169_7189
; %bb.7188:
	v_trunc_f32_e32 v1, v70
	s_mov_b32 s84, 0x2f800000
	v_mul_f32_e64 v4, |v1|, s84
	v_floor_f32_e32 v4, v4
	s_mov_b32 s84, 0xcf800000
	v_cvt_u32_f32_e32 v5, v4
	v_fma_f32 v4, v4, s84, |v1|
	v_cvt_u32_f32_e32 v4, v4
	v_ashrrev_i32_e32 v1, 31, v1
	v_xor_b32_e32 v5, v5, v1
                                        ; implicit-def: $vgpr70
	v_xor_b32_e32 v4, v4, v1
	v_sub_co_u32_e32 v4, vcc, v4, v1
	v_subb_co_u32_e32 v5, vcc, v5, v1, vcc
	flat_store_dwordx2 v[2:3], v[4:5]
                                        ; implicit-def: $vgpr2_vgpr3
.LBB169_7189:
	s_andn2_saveexec_b64 vcc, s[82:83]
	s_cbranch_execz .LBB169_7191
; %bb.7190:
	v_cvt_i32_f32_e32 v1, v70
	flat_store_dword v[2:3], v1
.LBB169_7191:
	s_or_b64 exec, exec, vcc
                                        ; implicit-def: $vgpr70
                                        ; implicit-def: $vgpr2_vgpr3
.LBB169_7192:
	s_andn2_saveexec_b64 vcc, s[80:81]
	s_cbranch_execz .LBB169_7194
; %bb.7193:
	v_cvt_i32_f32_e32 v1, v70
	flat_store_short v[2:3], v1
.LBB169_7194:
	s_or_b64 exec, exec, vcc
                                        ; implicit-def: $vgpr70
                                        ; implicit-def: $vgpr2_vgpr3
.LBB169_7195:
	s_andn2_saveexec_b64 vcc, s[78:79]
	s_cbranch_execz .LBB169_7201
; %bb.7196:
	v_mov_b32_e32 v1, 0
	v_cmp_gt_i16_sdwa s[78:79], v62, v1 src0_sel:BYTE_0 src1_sel:DWORD
	s_and_saveexec_b64 s[80:81], s[78:79]
	s_xor_b64 s[78:79], exec, s[80:81]
	s_cbranch_execz .LBB169_7198
; %bb.7197:
	v_cvt_i32_f32_e32 v1, v70
                                        ; implicit-def: $vgpr70
	flat_store_byte v[2:3], v1
                                        ; implicit-def: $vgpr2_vgpr3
.LBB169_7198:
	s_andn2_saveexec_b64 s[78:79], s[78:79]
	s_cbranch_execz .LBB169_7200
; %bb.7199:
	v_trunc_f32_e32 v1, v70
	s_mov_b32 s80, 0x2f800000
	v_mul_f32_e64 v4, |v1|, s80
	v_floor_f32_e32 v4, v4
	s_mov_b32 s80, 0xcf800000
	v_fma_f32 v4, v4, s80, |v1|
	v_cvt_u32_f32_e32 v4, v4
	v_ashrrev_i32_e32 v1, 31, v1
	v_xor_b32_e32 v4, v4, v1
	v_sub_u32_e32 v1, v4, v1
	flat_store_byte v[2:3], v1
.LBB169_7200:
	s_or_b64 exec, exec, s[78:79]
.LBB169_7201:
	s_or_b64 exec, exec, vcc
.LBB169_7202:
	s_or_b64 exec, exec, s[76:77]
	s_or_b64 s[4:5], s[4:5], exec
	s_or_b64 exec, exec, s[70:71]
	s_mov_b64 vcc, 0
	s_and_saveexec_b64 s[70:71], s[4:5]
	s_cbranch_execnz .LBB169_3980
	s_branch .LBB169_3981
.LBB169_7203:
	v_bfe_u32 v1, v98, 21, 1
	s_mov_b32 s64, 0x88fffff
	v_add3_u32 v1, v98, v1, s64
	s_mov_b64 s[62:63], exec
	v_lshrrev_b32_e32 v1, 21, v1
	s_or_saveexec_b64 s[64:65], vcc
                                        ; implicit-def: $sgpr66
	s_xor_b64 exec, exec, s[64:65]
	s_cbranch_execz .LBB169_6368
.LBB169_7204:
	s_mov_b32 s66, 0x42800000
	v_add_f32_e64 v1, |v98|, s66
	v_and_b32_e32 v1, 0xff, v1
	v_cmp_ne_u32_e32 vcc, 0, v1
	s_andn2_b64 s[62:63], s[62:63], exec
	s_and_b64 vcc, vcc, exec
	s_mov_b32 s66, 0
	s_or_b64 s[62:63], s[62:63], vcc
	s_or_b64 exec, exec, s[64:65]
	v_mov_b32_e32 v4, s66
	s_and_saveexec_b64 vcc, s[62:63]
	s_cbranch_execnz .LBB169_6369
	s_branch .LBB169_6370
.LBB169_7205:
	v_bfe_u32 v1, v96, 20, 1
	s_mov_b32 s66, 0x487ffff
	v_add3_u32 v1, v96, v1, s66
	s_mov_b64 s[64:65], exec
	v_lshrrev_b32_e32 v1, 20, v1
	s_or_saveexec_b64 s[66:67], vcc
                                        ; implicit-def: $sgpr68
	s_xor_b64 exec, exec, s[66:67]
	s_cbranch_execz .LBB169_6481
.LBB169_7206:
	s_mov_b32 s68, 0x46000000
	v_add_f32_e64 v1, |v96|, s68
	v_and_b32_e32 v1, 0xff, v1
	v_cmp_ne_u32_e32 vcc, 0, v1
	s_andn2_b64 s[64:65], s[64:65], exec
	s_and_b64 vcc, vcc, exec
	s_mov_b32 s68, 0
	s_or_b64 s[64:65], s[64:65], vcc
	s_or_b64 exec, exec, s[66:67]
	v_mov_b32_e32 v4, s68
	s_and_saveexec_b64 vcc, s[64:65]
	s_cbranch_execnz .LBB169_6482
	s_branch .LBB169_6483
.LBB169_7207:
	v_mov_b32_e32 v1, 25
	v_cmp_gt_i16_sdwa vcc, v62, v1 src0_sel:BYTE_0 src1_sel:DWORD
	s_mov_b64 s[78:79], s[70:71]
	s_and_saveexec_b64 s[80:81], vcc
	s_xor_b64 s[80:81], exec, s[80:81]
	s_cbranch_execz .LBB169_7243
; %bb.7208:
	v_mov_b32_e32 v1, 28
	v_cmp_gt_i16_sdwa vcc, v62, v1 src0_sel:BYTE_0 src1_sel:DWORD
	s_mov_b64 s[82:83], s[70:71]
	s_and_saveexec_b64 s[78:79], vcc
	s_xor_b64 s[78:79], exec, s[78:79]
	s_cbranch_execz .LBB169_7226
; %bb.7209:
	v_mov_b32_e32 v1, 43
	v_cmp_gt_i16_sdwa s[82:83], v62, v1 src0_sel:BYTE_0 src1_sel:DWORD
	s_mov_b64 vcc, s[70:71]
	s_and_saveexec_b64 s[84:85], s[82:83]
	s_xor_b64 s[82:83], exec, s[84:85]
	s_cbranch_execz .LBB169_7221
; %bb.7210:
	v_mov_b32_e32 v1, 45
	v_cmp_gt_i16_sdwa s[4:5], v62, v1 src0_sel:BYTE_0 src1_sel:DWORD
	s_mov_b64 s[84:85], 0
	s_mov_b64 s[86:87], s[70:71]
	s_and_saveexec_b64 vcc, s[4:5]
	s_xor_b64 s[4:5], exec, vcc
	s_cbranch_execz .LBB169_7214
; %bb.7211:
	v_mov_b32_e32 v1, 46
	v_cmp_eq_u16_sdwa s[88:89], v62, v1 src0_sel:BYTE_0 src1_sel:DWORD
	s_mov_b64 vcc, -1
	s_and_saveexec_b64 s[86:87], s[88:89]
	s_cbranch_execz .LBB169_7213
; %bb.7212:
	v_bfe_u32 v1, v68, 16, 1
	s_movk_i32 vcc_lo, 0x7fff
	v_add3_u32 v1, v68, v1, vcc_lo
	v_lshrrev_b32_e32 v1, 16, v1
	v_mov_b32_e32 v4, 0x7fc0
	v_cmp_o_f32_e32 vcc, v68, v68
	v_cndmask_b32_e32 v1, v4, v1, vcc
	s_mov_b64 s[84:85], exec
	flat_store_dword v[2:3], v1
	s_xor_b64 vcc, exec, -1
.LBB169_7213:
	s_or_b64 exec, exec, s[86:87]
	s_andn2_b64 s[86:87], s[70:71], exec
	s_and_b64 vcc, vcc, exec
	s_or_b64 s[86:87], s[86:87], vcc
	s_and_b64 s[84:85], s[84:85], exec
                                        ; implicit-def: $vgpr2_vgpr3
                                        ; implicit-def: $vgpr68
.LBB169_7214:
	s_andn2_saveexec_b64 s[88:89], s[4:5]
	s_cbranch_execz .LBB169_7220
; %bb.7215:
	v_mov_b32_e32 v1, 44
	v_cmp_eq_u16_sdwa s[92:93], v62, v1 src0_sel:BYTE_0 src1_sel:DWORD
	s_mov_b64 vcc, -1
	s_mov_b64 s[4:5], s[84:85]
	s_and_saveexec_b64 s[90:91], s[92:93]
	s_cbranch_execz .LBB169_7219
; %bb.7216:
	v_bfe_u32 v1, v68, 23, 8
	s_movk_i32 s4, 0xff
	v_cmp_ne_u32_e32 vcc, s4, v1
	v_mov_b32_e32 v4, 0xff
	s_and_saveexec_b64 s[92:93], vcc
; %bb.7217:
	s_mov_b32 s4, 0x3fffff
	v_and_b32_e32 v5, 0x400000, v68
	v_and_or_b32 v1, v68, s4, v1
	v_cmp_ne_u32_e32 vcc, 0, v5
	v_cmp_ne_u32_e64 s[4:5], 0, v1
	s_and_b64 s[4:5], vcc, s[4:5]
	v_lshrrev_b32_e32 v4, 23, v68
	v_cndmask_b32_e64 v1, 0, 1, s[4:5]
	v_add_u32_e32 v4, v4, v1
; %bb.7218:
	s_or_b64 exec, exec, s[92:93]
	s_xor_b64 vcc, exec, -1
	s_or_b64 s[4:5], s[84:85], exec
	flat_store_byte v[2:3], v4
.LBB169_7219:
	s_or_b64 exec, exec, s[90:91]
	s_andn2_b64 s[86:87], s[86:87], exec
	s_and_b64 vcc, vcc, exec
	s_or_b64 s[86:87], s[86:87], vcc
	s_andn2_b64 vcc, s[84:85], exec
	s_and_b64 s[4:5], s[4:5], exec
	s_or_b64 s[84:85], vcc, s[4:5]
.LBB169_7220:
	s_or_b64 exec, exec, s[88:89]
	s_andn2_b64 s[4:5], s[70:71], exec
	s_and_b64 vcc, s[86:87], exec
	s_or_b64 vcc, s[4:5], vcc
	s_and_b64 s[4:5], s[84:85], exec
                                        ; implicit-def: $vgpr68
                                        ; implicit-def: $vgpr2_vgpr3
.LBB169_7221:
	s_andn2_saveexec_b64 s[82:83], s[82:83]
	s_cbranch_execz .LBB169_7225
; %bb.7222:
	v_mov_b32_e32 v1, 29
	v_cmp_eq_u16_sdwa s[90:91], v62, v1 src0_sel:BYTE_0 src1_sel:DWORD
	s_mov_b64 s[88:89], -1
	s_mov_b64 s[86:87], s[4:5]
	s_and_saveexec_b64 s[84:85], s[90:91]
	s_cbranch_execz .LBB169_7224
; %bb.7223:
	v_trunc_f32_e32 v1, v68
	v_mul_f32_e32 v4, 0x2f800000, v1
	v_floor_f32_e32 v4, v4
	v_fmac_f32_e32 v1, 0xcf800000, v4
	v_cvt_u32_f32_e32 v5, v4
	v_cvt_u32_f32_e32 v4, v1
	s_xor_b64 s[88:89], exec, -1
	s_or_b64 s[86:87], s[4:5], exec
	flat_store_dwordx2 v[2:3], v[4:5]
.LBB169_7224:
	s_or_b64 exec, exec, s[84:85]
	s_andn2_b64 vcc, vcc, exec
	s_and_b64 s[84:85], s[88:89], exec
	s_or_b64 vcc, vcc, s[84:85]
	s_andn2_b64 s[4:5], s[4:5], exec
	s_and_b64 s[84:85], s[86:87], exec
	s_or_b64 s[4:5], s[4:5], s[84:85]
.LBB169_7225:
	s_or_b64 exec, exec, s[82:83]
	s_andn2_b64 s[82:83], s[70:71], exec
	s_and_b64 vcc, vcc, exec
	s_or_b64 s[82:83], s[82:83], vcc
	s_and_b64 s[4:5], s[4:5], exec
                                        ; implicit-def: $vgpr2_vgpr3
                                        ; implicit-def: $vgpr68
.LBB169_7226:
	s_andn2_saveexec_b64 s[78:79], s[78:79]
	s_cbranch_execz .LBB169_7242
; %bb.7227:
	v_mov_b32_e32 v1, 26
	v_cmp_gt_i16_sdwa vcc, v62, v1 src0_sel:BYTE_0 src1_sel:DWORD
	s_and_saveexec_b64 s[84:85], vcc
	s_xor_b64 vcc, exec, s[84:85]
	s_cbranch_execz .LBB169_7233
; %bb.7228:
	v_cvt_u32_f32_e32 v1, v68
	v_mov_b32_e32 v4, 27
	v_cmp_gt_i16_sdwa s[84:85], v62, v4 src0_sel:BYTE_0 src1_sel:DWORD
	s_and_saveexec_b64 s[86:87], s[84:85]
	s_xor_b64 s[84:85], exec, s[86:87]
	s_cbranch_execz .LBB169_7230
; %bb.7229:
	flat_store_dword v[2:3], v1
                                        ; implicit-def: $vgpr2_vgpr3
                                        ; implicit-def: $vgpr1
.LBB169_7230:
	s_andn2_saveexec_b64 s[84:85], s[84:85]
	s_cbranch_execz .LBB169_7232
; %bb.7231:
	flat_store_short v[2:3], v1
.LBB169_7232:
	s_or_b64 exec, exec, s[84:85]
                                        ; implicit-def: $vgpr2_vgpr3
                                        ; implicit-def: $vgpr68
.LBB169_7233:
	s_andn2_saveexec_b64 s[84:85], vcc
	s_cbranch_execz .LBB169_7241
; %bb.7234:
	v_and_b32_e32 v1, 0x7fffffff, v68
	s_mov_b32 vcc_lo, 0x43800000
	v_cmp_gt_u32_e32 vcc, vcc_lo, v1
	v_mov_b32_e32 v4, 0x80
	s_and_saveexec_b64 s[86:87], vcc
	s_cbranch_execz .LBB169_7240
; %bb.7235:
	s_mov_b32 vcc_lo, 0x3bffffff
	v_cmp_lt_u32_e32 vcc, vcc_lo, v1
	s_mov_b64 s[88:89], 0
                                        ; implicit-def: $vgpr1
	s_and_saveexec_b64 s[90:91], vcc
	s_xor_b64 vcc, exec, s[90:91]
	s_cbranch_execnz .LBB169_7839
; %bb.7236:
	s_or_saveexec_b64 s[90:91], vcc
                                        ; implicit-def: $sgpr92
	s_xor_b64 exec, exec, s[90:91]
	s_cbranch_execnz .LBB169_7840
.LBB169_7237:
	s_or_b64 exec, exec, s[90:91]
	v_mov_b32_e32 v4, s92
	s_and_saveexec_b64 vcc, s[88:89]
.LBB169_7238:
	v_lshrrev_b32_e32 v4, 24, v68
	s_movk_i32 s88, 0x80
	v_and_or_b32 v4, v4, s88, v1
.LBB169_7239:
	s_or_b64 exec, exec, vcc
.LBB169_7240:
	s_or_b64 exec, exec, s[86:87]
	flat_store_byte v[2:3], v4
.LBB169_7241:
	s_or_b64 exec, exec, s[84:85]
	s_or_b64 s[4:5], s[4:5], exec
.LBB169_7242:
	s_or_b64 exec, exec, s[78:79]
	s_andn2_b64 vcc, s[70:71], exec
	s_and_b64 s[78:79], s[82:83], exec
	s_or_b64 s[78:79], vcc, s[78:79]
	s_and_b64 s[4:5], s[4:5], exec
                                        ; implicit-def: $vgpr68
                                        ; implicit-def: $vgpr2_vgpr3
.LBB169_7243:
	s_andn2_saveexec_b64 s[80:81], s[80:81]
	s_cbranch_execz .LBB169_7287
; %bb.7244:
	v_mov_b32_e32 v1, 22
	v_cmp_gt_i16_sdwa vcc, v62, v1 src0_sel:BYTE_0 src1_sel:DWORD
	s_mov_b64 s[84:85], s[4:5]
	s_and_saveexec_b64 s[82:83], vcc
	s_xor_b64 s[82:83], exec, s[82:83]
	s_cbranch_execz .LBB169_7276
; %bb.7245:
	v_mov_b32_e32 v1, 23
	v_cmp_gt_i16_sdwa vcc, v62, v1 src0_sel:BYTE_0 src1_sel:DWORD
	s_and_saveexec_b64 s[84:85], vcc
	s_xor_b64 s[84:85], exec, s[84:85]
	s_cbranch_execz .LBB169_7265
; %bb.7246:
	v_mov_b32_e32 v1, 24
	v_cmp_gt_i16_sdwa vcc, v62, v1 src0_sel:BYTE_0 src1_sel:DWORD
	s_and_saveexec_b64 s[86:87], vcc
	s_xor_b64 s[86:87], exec, s[86:87]
	s_cbranch_execz .LBB169_7254
; %bb.7247:
	v_and_b32_e32 v1, 0x7fffffff, v68
	s_mov_b32 vcc_lo, 0x47800000
	v_cmp_gt_u32_e32 vcc, vcc_lo, v1
	v_mov_b32_e32 v4, 0x80
	s_and_saveexec_b64 s[88:89], vcc
	s_cbranch_execz .LBB169_7253
; %bb.7248:
	s_mov_b32 vcc_lo, 0x37ffffff
	v_cmp_lt_u32_e32 vcc, vcc_lo, v1
	s_mov_b64 s[90:91], 0
                                        ; implicit-def: $vgpr1
	s_and_saveexec_b64 s[92:93], vcc
	s_xor_b64 vcc, exec, s[92:93]
	s_cbranch_execnz .LBB169_7841
; %bb.7249:
	s_or_saveexec_b64 s[92:93], vcc
                                        ; implicit-def: $sgpr94
	s_xor_b64 exec, exec, s[92:93]
	s_cbranch_execnz .LBB169_7842
.LBB169_7250:
	s_or_b64 exec, exec, s[92:93]
	v_mov_b32_e32 v4, s94
	s_and_saveexec_b64 vcc, s[90:91]
.LBB169_7251:
	v_lshrrev_b32_e32 v4, 24, v68
	s_movk_i32 s90, 0x80
	v_and_or_b32 v4, v4, s90, v1
.LBB169_7252:
	s_or_b64 exec, exec, vcc
.LBB169_7253:
	s_or_b64 exec, exec, s[88:89]
	flat_store_byte v[2:3], v4
                                        ; implicit-def: $vgpr68
                                        ; implicit-def: $vgpr2_vgpr3
.LBB169_7254:
	s_andn2_saveexec_b64 s[86:87], s[86:87]
	s_cbranch_execz .LBB169_7264
; %bb.7255:
	v_and_b32_e32 v4, 0x7fffffff, v68
	s_mov_b32 vcc_lo, 0x43f00000
	v_cmp_gt_u32_e32 vcc, vcc_lo, v4
                                        ; implicit-def: $vgpr1
	s_and_saveexec_b64 s[88:89], vcc
	s_xor_b64 s[88:89], exec, s[88:89]
	s_cbranch_execz .LBB169_7261
; %bb.7256:
	s_mov_b32 vcc_lo, 0x3c7fffff
	v_cmp_lt_u32_e32 vcc, vcc_lo, v4
                                        ; implicit-def: $vgpr1
	s_and_saveexec_b64 s[90:91], vcc
	s_xor_b64 s[90:91], exec, s[90:91]
; %bb.7257:
	v_bfe_u32 v1, v68, 20, 1
	s_mov_b32 vcc_lo, 0x407ffff
	v_add3_u32 v1, v68, v1, vcc_lo
	v_lshrrev_b32_e32 v4, 20, v1
	v_and_b32_e32 v1, 0xff00000, v1
	s_mov_b32 vcc_lo, 0x7f00000
	v_mov_b32_e32 v5, 0x7e
	v_cmp_ne_u32_e32 vcc, vcc_lo, v1
	v_cndmask_b32_e32 v1, v5, v4, vcc
; %bb.7258:
	s_andn2_saveexec_b64 vcc, s[90:91]
; %bb.7259:
	s_mov_b32 s90, 0x46800000
	v_add_f32_e64 v1, |v68|, s90
; %bb.7260:
	s_or_b64 exec, exec, vcc
                                        ; implicit-def: $vgpr4
.LBB169_7261:
	s_andn2_saveexec_b64 s[88:89], s[88:89]
; %bb.7262:
	s_mov_b32 vcc_lo, 0x7f800000
	v_mov_b32_e32 v1, 0x7e
	v_mov_b32_e32 v5, 0x7f
	v_cmp_lt_u32_e32 vcc, vcc_lo, v4
	v_cndmask_b32_e32 v1, v1, v5, vcc
; %bb.7263:
	s_or_b64 exec, exec, s[88:89]
	v_lshrrev_b32_e32 v4, 24, v68
	s_movk_i32 vcc_lo, 0x80
	v_and_or_b32 v1, v4, vcc_lo, v1
	flat_store_byte v[2:3], v1
.LBB169_7264:
	s_or_b64 exec, exec, s[86:87]
                                        ; implicit-def: $vgpr68
                                        ; implicit-def: $vgpr2_vgpr3
.LBB169_7265:
	s_andn2_saveexec_b64 s[84:85], s[84:85]
	s_cbranch_execz .LBB169_7275
; %bb.7266:
	v_and_b32_e32 v4, 0x7fffffff, v68
	s_mov_b32 vcc_lo, 0x47800000
	v_cmp_gt_u32_e32 vcc, vcc_lo, v4
                                        ; implicit-def: $vgpr1
	s_and_saveexec_b64 s[86:87], vcc
	s_xor_b64 s[86:87], exec, s[86:87]
	s_cbranch_execz .LBB169_7272
; %bb.7267:
	s_mov_b32 vcc_lo, 0x387fffff
	v_cmp_lt_u32_e32 vcc, vcc_lo, v4
                                        ; implicit-def: $vgpr1
	s_and_saveexec_b64 s[88:89], vcc
	s_xor_b64 vcc, exec, s[88:89]
; %bb.7268:
	v_bfe_u32 v1, v68, 21, 1
	s_mov_b32 s88, 0x80fffff
	v_add3_u32 v1, v68, v1, s88
	v_lshrrev_b32_e32 v1, 21, v1
; %bb.7269:
	s_andn2_saveexec_b64 vcc, vcc
; %bb.7270:
	s_mov_b32 s88, 0x43000000
	v_add_f32_e64 v1, |v68|, s88
; %bb.7271:
	s_or_b64 exec, exec, vcc
                                        ; implicit-def: $vgpr4
.LBB169_7272:
	s_andn2_saveexec_b64 s[86:87], s[86:87]
; %bb.7273:
	s_mov_b32 vcc_lo, 0x7f800000
	v_mov_b32_e32 v1, 0x7c
	v_mov_b32_e32 v5, 0x7f
	v_cmp_lt_u32_e32 vcc, vcc_lo, v4
	v_cndmask_b32_e32 v1, v1, v5, vcc
; %bb.7274:
	s_or_b64 exec, exec, s[86:87]
	v_lshrrev_b32_e32 v4, 24, v68
	s_movk_i32 vcc_lo, 0x80
	v_and_or_b32 v1, v4, vcc_lo, v1
	flat_store_byte v[2:3], v1
.LBB169_7275:
	s_or_b64 exec, exec, s[84:85]
	s_or_b64 s[84:85], s[4:5], exec
                                        ; implicit-def: $vgpr68
                                        ; implicit-def: $vgpr2_vgpr3
.LBB169_7276:
	s_or_saveexec_b64 s[82:83], s[82:83]
	s_mov_b64 vcc, s[78:79]
	s_xor_b64 exec, exec, s[82:83]
	s_cbranch_execz .LBB169_7286
; %bb.7277:
	v_mov_b32_e32 v1, 14
	v_cmp_gt_i16_sdwa vcc, v62, v1 src0_sel:BYTE_0 src1_sel:DWORD
	s_mov_b64 s[86:87], s[84:85]
	s_mov_b64 s[88:89], s[78:79]
	s_and_saveexec_b64 s[90:91], vcc
	s_xor_b64 s[90:91], exec, s[90:91]
	s_cbranch_execz .LBB169_7281
; %bb.7278:
	v_mov_b32_e32 v1, 15
	v_cmp_eq_u16_sdwa s[92:93], v62, v1 src0_sel:BYTE_0 src1_sel:DWORD
	s_mov_b64 s[88:89], -1
	s_mov_b64 vcc, s[84:85]
	s_and_saveexec_b64 s[86:87], s[92:93]
	s_cbranch_execz .LBB169_7280
; %bb.7279:
	v_bfe_u32 v1, v68, 16, 1
	s_movk_i32 vcc_lo, 0x7fff
	v_add3_u32 v1, v68, v1, vcc_lo
	v_lshrrev_b32_e32 v1, 16, v1
	v_mov_b32_e32 v4, 0x7fc0
	v_cmp_o_f32_e32 vcc, v68, v68
	v_cndmask_b32_e32 v1, v4, v1, vcc
	flat_store_short v[2:3], v1
	s_xor_b64 s[88:89], exec, -1
	s_or_b64 vcc, s[84:85], exec
.LBB169_7280:
	s_or_b64 exec, exec, s[86:87]
	s_andn2_b64 s[86:87], s[78:79], exec
	s_and_b64 s[88:89], s[88:89], exec
	s_or_b64 s[88:89], s[86:87], s[88:89]
	s_andn2_b64 s[86:87], s[84:85], exec
	s_and_b64 vcc, vcc, exec
	s_or_b64 s[86:87], s[86:87], vcc
                                        ; implicit-def: $vgpr68
                                        ; implicit-def: $vgpr2_vgpr3
.LBB169_7281:
	s_andn2_saveexec_b64 s[90:91], s[90:91]
	s_cbranch_execz .LBB169_7285
; %bb.7282:
	v_mov_b32_e32 v1, 11
	v_cmp_eq_u16_sdwa s[96:97], v62, v1 src0_sel:BYTE_0 src1_sel:DWORD
	s_mov_b64 s[92:93], -1
	s_mov_b64 vcc, s[86:87]
	s_and_saveexec_b64 s[94:95], s[96:97]
	s_cbranch_execz .LBB169_7284
; %bb.7283:
	v_cmp_neq_f32_e32 vcc, 0, v68
	v_cndmask_b32_e64 v1, 0, 1, vcc
	flat_store_byte v[2:3], v1
	s_xor_b64 s[92:93], exec, -1
	s_or_b64 vcc, s[86:87], exec
.LBB169_7284:
	s_or_b64 exec, exec, s[94:95]
	s_andn2_b64 s[88:89], s[88:89], exec
	s_and_b64 s[92:93], s[92:93], exec
	s_andn2_b64 s[86:87], s[86:87], exec
	s_and_b64 vcc, vcc, exec
	s_or_b64 s[88:89], s[88:89], s[92:93]
	s_or_b64 s[86:87], s[86:87], vcc
.LBB169_7285:
	s_or_b64 exec, exec, s[90:91]
	s_andn2_b64 vcc, s[78:79], exec
	s_and_b64 s[88:89], s[88:89], exec
	s_andn2_b64 s[84:85], s[84:85], exec
	s_and_b64 s[86:87], s[86:87], exec
	s_or_b64 vcc, vcc, s[88:89]
	s_or_b64 s[84:85], s[84:85], s[86:87]
.LBB169_7286:
	s_or_b64 exec, exec, s[82:83]
	s_andn2_b64 s[78:79], s[78:79], exec
	s_and_b64 vcc, vcc, exec
	s_or_b64 s[78:79], s[78:79], vcc
	s_andn2_b64 s[4:5], s[4:5], exec
	s_and_b64 vcc, s[84:85], exec
	s_or_b64 s[4:5], s[4:5], vcc
.LBB169_7287:
	s_or_b64 exec, exec, s[80:81]
	s_andn2_b64 vcc, s[70:71], exec
	s_and_b64 s[78:79], s[78:79], exec
	s_or_b64 s[78:79], vcc, s[78:79]
	s_and_b64 s[4:5], s[4:5], exec
                                        ; implicit-def: $vgpr68
                                        ; implicit-def: $vgpr2_vgpr3
	s_andn2_saveexec_b64 s[74:75], s[74:75]
	s_cbranch_execz .LBB169_3986
.LBB169_7288:
	v_mov_b32_e32 v1, 4
	v_cmp_gt_i16_sdwa vcc, v62, v1 src0_sel:BYTE_0 src1_sel:DWORD
	s_and_saveexec_b64 s[80:81], vcc
	s_xor_b64 vcc, exec, s[80:81]
	s_cbranch_execz .LBB169_7310
; %bb.7289:
	v_mov_b32_e32 v1, 7
	v_cmp_gt_i16_sdwa s[80:81], v62, v1 src0_sel:BYTE_0 src1_sel:DWORD
	s_and_saveexec_b64 s[82:83], s[80:81]
	s_xor_b64 s[80:81], exec, s[82:83]
	s_cbranch_execz .LBB169_7299
; %bb.7290:
	v_mov_b32_e32 v1, 8
	v_cmp_gt_i16_sdwa s[82:83], v62, v1 src0_sel:BYTE_0 src1_sel:DWORD
	s_and_saveexec_b64 s[84:85], s[82:83]
	s_xor_b64 s[82:83], exec, s[84:85]
	;; [unrolled: 6-line block ×3, first 2 shown]
	s_cbranch_execz .LBB169_7293
; %bb.7292:
	v_mov_b32_e32 v6, 0
	v_cvt_f64_f32_e32 v[4:5], v68
	v_mov_b32_e32 v7, v6
	flat_store_dwordx4 v[2:3], v[4:7]
                                        ; implicit-def: $vgpr68
                                        ; implicit-def: $vgpr2_vgpr3
.LBB169_7293:
	s_andn2_saveexec_b64 s[84:85], s[84:85]
	s_cbranch_execz .LBB169_7295
; %bb.7294:
	v_mov_b32_e32 v69, 0
	flat_store_dwordx2 v[2:3], v[68:69]
.LBB169_7295:
	s_or_b64 exec, exec, s[84:85]
                                        ; implicit-def: $vgpr68
                                        ; implicit-def: $vgpr2_vgpr3
.LBB169_7296:
	s_andn2_saveexec_b64 s[82:83], s[82:83]
	s_cbranch_execz .LBB169_7298
; %bb.7297:
	v_cvt_f16_f32_e32 v1, v68
	flat_store_dword v[2:3], v1
.LBB169_7298:
	s_or_b64 exec, exec, s[82:83]
                                        ; implicit-def: $vgpr68
                                        ; implicit-def: $vgpr2_vgpr3
.LBB169_7299:
	s_andn2_saveexec_b64 s[80:81], s[80:81]
	s_cbranch_execz .LBB169_7309
; %bb.7300:
	v_mov_b32_e32 v1, 5
	v_cmp_gt_i16_sdwa s[82:83], v62, v1 src0_sel:BYTE_0 src1_sel:DWORD
	s_and_saveexec_b64 s[84:85], s[82:83]
	s_xor_b64 s[82:83], exec, s[84:85]
	s_cbranch_execz .LBB169_7306
; %bb.7301:
	v_mov_b32_e32 v1, 6
	v_cmp_gt_i16_sdwa s[84:85], v62, v1 src0_sel:BYTE_0 src1_sel:DWORD
	s_and_saveexec_b64 s[86:87], s[84:85]
	s_xor_b64 s[84:85], exec, s[86:87]
	s_cbranch_execz .LBB169_7303
; %bb.7302:
	v_cvt_f64_f32_e32 v[4:5], v68
	flat_store_dwordx2 v[2:3], v[4:5]
                                        ; implicit-def: $vgpr2_vgpr3
                                        ; implicit-def: $vgpr68
.LBB169_7303:
	s_andn2_saveexec_b64 s[84:85], s[84:85]
	s_cbranch_execz .LBB169_7305
; %bb.7304:
	flat_store_dword v[2:3], v68
.LBB169_7305:
	s_or_b64 exec, exec, s[84:85]
                                        ; implicit-def: $vgpr68
                                        ; implicit-def: $vgpr2_vgpr3
.LBB169_7306:
	s_andn2_saveexec_b64 s[82:83], s[82:83]
	s_cbranch_execz .LBB169_7308
; %bb.7307:
	v_cvt_f16_f32_e32 v1, v68
	flat_store_short v[2:3], v1
.LBB169_7308:
	s_or_b64 exec, exec, s[82:83]
.LBB169_7309:
	s_or_b64 exec, exec, s[80:81]
                                        ; implicit-def: $vgpr68
                                        ; implicit-def: $vgpr2_vgpr3
.LBB169_7310:
	s_andn2_saveexec_b64 s[80:81], vcc
	s_cbranch_execz .LBB169_7328
; %bb.7311:
	v_mov_b32_e32 v1, 1
	v_cmp_gt_i16_sdwa vcc, v62, v1 src0_sel:BYTE_0 src1_sel:DWORD
	s_and_saveexec_b64 s[82:83], vcc
	s_xor_b64 s[82:83], exec, s[82:83]
	s_cbranch_execz .LBB169_7321
; %bb.7312:
	v_mov_b32_e32 v1, 2
	v_cmp_gt_i16_sdwa vcc, v62, v1 src0_sel:BYTE_0 src1_sel:DWORD
	s_and_saveexec_b64 s[84:85], vcc
	s_xor_b64 s[84:85], exec, s[84:85]
	;; [unrolled: 6-line block ×3, first 2 shown]
	s_cbranch_execz .LBB169_7315
; %bb.7314:
	v_trunc_f32_e32 v1, v68
	s_mov_b32 s88, 0x2f800000
	v_mul_f32_e64 v4, |v1|, s88
	v_floor_f32_e32 v4, v4
	s_mov_b32 s88, 0xcf800000
	v_cvt_u32_f32_e32 v5, v4
	v_fma_f32 v4, v4, s88, |v1|
	v_cvt_u32_f32_e32 v4, v4
	v_ashrrev_i32_e32 v1, 31, v1
	v_xor_b32_e32 v5, v5, v1
                                        ; implicit-def: $vgpr68
	v_xor_b32_e32 v4, v4, v1
	v_sub_co_u32_e32 v4, vcc, v4, v1
	v_subb_co_u32_e32 v5, vcc, v5, v1, vcc
	flat_store_dwordx2 v[2:3], v[4:5]
                                        ; implicit-def: $vgpr2_vgpr3
.LBB169_7315:
	s_andn2_saveexec_b64 vcc, s[86:87]
	s_cbranch_execz .LBB169_7317
; %bb.7316:
	v_cvt_i32_f32_e32 v1, v68
	flat_store_dword v[2:3], v1
.LBB169_7317:
	s_or_b64 exec, exec, vcc
                                        ; implicit-def: $vgpr68
                                        ; implicit-def: $vgpr2_vgpr3
.LBB169_7318:
	s_andn2_saveexec_b64 vcc, s[84:85]
	s_cbranch_execz .LBB169_7320
; %bb.7319:
	v_cvt_i32_f32_e32 v1, v68
	flat_store_short v[2:3], v1
.LBB169_7320:
	s_or_b64 exec, exec, vcc
                                        ; implicit-def: $vgpr68
                                        ; implicit-def: $vgpr2_vgpr3
.LBB169_7321:
	s_andn2_saveexec_b64 vcc, s[82:83]
	s_cbranch_execz .LBB169_7327
; %bb.7322:
	v_mov_b32_e32 v1, 0
	v_cmp_gt_i16_sdwa s[82:83], v62, v1 src0_sel:BYTE_0 src1_sel:DWORD
	s_and_saveexec_b64 s[84:85], s[82:83]
	s_xor_b64 s[82:83], exec, s[84:85]
	s_cbranch_execz .LBB169_7324
; %bb.7323:
	v_cvt_i32_f32_e32 v1, v68
                                        ; implicit-def: $vgpr68
	flat_store_byte v[2:3], v1
                                        ; implicit-def: $vgpr2_vgpr3
.LBB169_7324:
	s_andn2_saveexec_b64 s[82:83], s[82:83]
	s_cbranch_execz .LBB169_7326
; %bb.7325:
	v_trunc_f32_e32 v1, v68
	s_mov_b32 s84, 0x2f800000
	v_mul_f32_e64 v4, |v1|, s84
	v_floor_f32_e32 v4, v4
	s_mov_b32 s84, 0xcf800000
	v_fma_f32 v4, v4, s84, |v1|
	v_cvt_u32_f32_e32 v4, v4
	v_ashrrev_i32_e32 v1, 31, v1
	v_xor_b32_e32 v4, v4, v1
	v_sub_u32_e32 v1, v4, v1
	flat_store_byte v[2:3], v1
.LBB169_7326:
	s_or_b64 exec, exec, s[82:83]
.LBB169_7327:
	s_or_b64 exec, exec, vcc
.LBB169_7328:
	s_or_b64 exec, exec, s[80:81]
	s_or_b64 s[4:5], s[4:5], exec
	s_or_b64 exec, exec, s[74:75]
	s_mov_b64 vcc, 0
	s_and_saveexec_b64 s[74:75], s[4:5]
	s_cbranch_execnz .LBB169_3987
	s_branch .LBB169_3988
.LBB169_7329:
	v_bfe_u32 v1, v96, 21, 1
	s_mov_b32 s68, 0x88fffff
	v_add3_u32 v1, v96, v1, s68
	s_mov_b64 s[66:67], exec
	v_lshrrev_b32_e32 v1, 21, v1
	s_or_saveexec_b64 s[68:69], vcc
                                        ; implicit-def: $sgpr70
	s_xor_b64 exec, exec, s[68:69]
	s_cbranch_execz .LBB169_6494
.LBB169_7330:
	s_mov_b32 s70, 0x42800000
	v_add_f32_e64 v1, |v96|, s70
	v_and_b32_e32 v1, 0xff, v1
	v_cmp_ne_u32_e32 vcc, 0, v1
	s_andn2_b64 s[66:67], s[66:67], exec
	s_and_b64 vcc, vcc, exec
	s_mov_b32 s70, 0
	s_or_b64 s[66:67], s[66:67], vcc
	s_or_b64 exec, exec, s[68:69]
	v_mov_b32_e32 v4, s70
	s_and_saveexec_b64 vcc, s[66:67]
	s_cbranch_execnz .LBB169_6495
	s_branch .LBB169_6496
.LBB169_7331:
	v_bfe_u32 v1, v86, 20, 1
	s_mov_b32 s70, 0x487ffff
	v_add3_u32 v1, v86, v1, s70
	s_mov_b64 s[68:69], exec
	v_lshrrev_b32_e32 v1, 20, v1
	s_or_saveexec_b64 s[70:71], vcc
                                        ; implicit-def: $sgpr72
	s_xor_b64 exec, exec, s[70:71]
	s_cbranch_execz .LBB169_6607
.LBB169_7332:
	s_mov_b32 s72, 0x46000000
	v_add_f32_e64 v1, |v86|, s72
	v_and_b32_e32 v1, 0xff, v1
	v_cmp_ne_u32_e32 vcc, 0, v1
	s_andn2_b64 s[68:69], s[68:69], exec
	s_and_b64 vcc, vcc, exec
	s_mov_b32 s72, 0
	s_or_b64 s[68:69], s[68:69], vcc
	s_or_b64 exec, exec, s[70:71]
	v_mov_b32_e32 v4, s72
	s_and_saveexec_b64 vcc, s[68:69]
	s_cbranch_execnz .LBB169_6608
	s_branch .LBB169_6609
.LBB169_7333:
	v_mov_b32_e32 v1, 25
	v_readlane_b32 s82, v77, 10
	v_cmp_gt_i16_sdwa vcc, v62, v1 src0_sel:BYTE_0 src1_sel:DWORD
	v_readlane_b32 s83, v77, 11
	s_and_saveexec_b64 s[76:77], vcc
	s_xor_b64 s[84:85], exec, s[76:77]
	s_cbranch_execz .LBB169_7369
; %bb.7334:
	v_mov_b32_e32 v1, 28
	v_readlane_b32 s86, v77, 10
	v_cmp_gt_i16_sdwa vcc, v62, v1 src0_sel:BYTE_0 src1_sel:DWORD
	v_readlane_b32 s87, v77, 11
	s_and_saveexec_b64 s[76:77], vcc
	s_xor_b64 s[82:83], exec, s[76:77]
	s_cbranch_execz .LBB169_7352
; %bb.7335:
	v_mov_b32_e32 v1, 43
	v_readlane_b32 vcc_lo, v77, 10
	v_cmp_gt_i16_sdwa s[76:77], v62, v1 src0_sel:BYTE_0 src1_sel:DWORD
	v_readlane_b32 vcc_hi, v77, 11
	s_and_saveexec_b64 s[86:87], s[76:77]
	s_xor_b64 s[86:87], exec, s[86:87]
	s_cbranch_execz .LBB169_7347
; %bb.7336:
	v_mov_b32_e32 v1, 45
	v_readlane_b32 s90, v77, 10
	v_cmp_gt_i16_sdwa s[4:5], v62, v1 src0_sel:BYTE_0 src1_sel:DWORD
	s_mov_b64 s[88:89], 0
	v_readlane_b32 s91, v77, 11
	s_and_saveexec_b64 vcc, s[4:5]
	s_xor_b64 s[4:5], exec, vcc
	s_cbranch_execz .LBB169_7340
; %bb.7337:
	v_mov_b32_e32 v1, 46
	v_cmp_eq_u16_sdwa s[76:77], v62, v1 src0_sel:BYTE_0 src1_sel:DWORD
	s_mov_b64 vcc, -1
	s_and_saveexec_b64 s[90:91], s[76:77]
	s_cbranch_execz .LBB169_7339
; %bb.7338:
	v_bfe_u32 v1, v66, 16, 1
	s_movk_i32 vcc_lo, 0x7fff
	v_add3_u32 v1, v66, v1, vcc_lo
	v_lshrrev_b32_e32 v1, 16, v1
	v_mov_b32_e32 v4, 0x7fc0
	v_cmp_o_f32_e32 vcc, v66, v66
	v_cndmask_b32_e32 v1, v4, v1, vcc
	s_mov_b64 s[88:89], exec
	flat_store_dword v[2:3], v1
	s_xor_b64 vcc, exec, -1
.LBB169_7339:
	s_or_b64 exec, exec, s[90:91]
	v_readlane_b32 s74, v77, 10
	v_readlane_b32 s75, v77, 11
	s_andn2_b64 s[76:77], s[74:75], exec
	s_and_b64 vcc, vcc, exec
	s_or_b64 s[90:91], s[76:77], vcc
	s_and_b64 s[88:89], s[88:89], exec
                                        ; implicit-def: $vgpr2_vgpr3
                                        ; implicit-def: $vgpr66
.LBB169_7340:
	s_andn2_saveexec_b64 s[92:93], s[4:5]
	s_cbranch_execz .LBB169_7346
; %bb.7341:
	v_mov_b32_e32 v1, 44
	v_cmp_eq_u16_sdwa s[76:77], v62, v1 src0_sel:BYTE_0 src1_sel:DWORD
	s_mov_b64 vcc, -1
	s_mov_b64 s[4:5], s[88:89]
	s_and_saveexec_b64 s[94:95], s[76:77]
	s_cbranch_execz .LBB169_7345
; %bb.7342:
	v_bfe_u32 v1, v66, 23, 8
	s_movk_i32 s4, 0xff
	v_cmp_ne_u32_e32 vcc, s4, v1
	v_mov_b32_e32 v4, 0xff
	s_and_saveexec_b64 s[96:97], vcc
; %bb.7343:
	s_mov_b32 s4, 0x3fffff
	v_and_b32_e32 v5, 0x400000, v66
	v_and_or_b32 v1, v66, s4, v1
	v_cmp_ne_u32_e32 vcc, 0, v5
	v_cmp_ne_u32_e64 s[4:5], 0, v1
	s_and_b64 s[4:5], vcc, s[4:5]
	v_lshrrev_b32_e32 v4, 23, v66
	v_cndmask_b32_e64 v1, 0, 1, s[4:5]
	v_add_u32_e32 v4, v4, v1
; %bb.7344:
	s_or_b64 exec, exec, s[96:97]
	s_xor_b64 vcc, exec, -1
	s_or_b64 s[4:5], s[88:89], exec
	flat_store_byte v[2:3], v4
.LBB169_7345:
	s_or_b64 exec, exec, s[94:95]
	s_andn2_b64 s[74:75], s[90:91], exec
	s_and_b64 vcc, vcc, exec
	s_or_b64 s[90:91], s[74:75], vcc
	s_andn2_b64 vcc, s[88:89], exec
	s_and_b64 s[4:5], s[4:5], exec
	s_or_b64 s[88:89], vcc, s[4:5]
.LBB169_7346:
	s_or_b64 exec, exec, s[92:93]
	v_readlane_b32 s4, v77, 10
	v_readlane_b32 s5, v77, 11
	s_andn2_b64 s[4:5], s[4:5], exec
	s_and_b64 vcc, s[90:91], exec
	s_or_b64 vcc, s[4:5], vcc
	s_and_b64 s[4:5], s[88:89], exec
                                        ; implicit-def: $vgpr66
                                        ; implicit-def: $vgpr2_vgpr3
.LBB169_7347:
	s_andn2_saveexec_b64 s[86:87], s[86:87]
	s_cbranch_execz .LBB169_7351
; %bb.7348:
	v_mov_b32_e32 v1, 29
	v_cmp_eq_u16_sdwa s[76:77], v62, v1 src0_sel:BYTE_0 src1_sel:DWORD
	s_mov_b64 s[92:93], -1
	s_mov_b64 s[90:91], s[4:5]
	s_and_saveexec_b64 s[88:89], s[76:77]
	s_cbranch_execz .LBB169_7350
; %bb.7349:
	v_trunc_f32_e32 v1, v66
	v_mul_f32_e32 v4, 0x2f800000, v1
	v_floor_f32_e32 v4, v4
	v_fmac_f32_e32 v1, 0xcf800000, v4
	v_cvt_u32_f32_e32 v5, v4
	v_cvt_u32_f32_e32 v4, v1
	s_xor_b64 s[92:93], exec, -1
	s_or_b64 s[90:91], s[4:5], exec
	flat_store_dwordx2 v[2:3], v[4:5]
.LBB169_7350:
	s_or_b64 exec, exec, s[88:89]
	s_andn2_b64 vcc, vcc, exec
	s_and_b64 s[76:77], s[92:93], exec
	s_or_b64 vcc, vcc, s[76:77]
	s_andn2_b64 s[4:5], s[4:5], exec
	s_and_b64 s[76:77], s[90:91], exec
	s_or_b64 s[4:5], s[4:5], s[76:77]
.LBB169_7351:
	s_or_b64 exec, exec, s[86:87]
	v_readlane_b32 s74, v77, 10
	v_readlane_b32 s75, v77, 11
	s_andn2_b64 s[74:75], s[74:75], exec
	s_and_b64 vcc, vcc, exec
	s_or_b64 s[86:87], s[74:75], vcc
	s_and_b64 s[4:5], s[4:5], exec
                                        ; implicit-def: $vgpr2_vgpr3
                                        ; implicit-def: $vgpr66
.LBB169_7352:
	s_andn2_saveexec_b64 s[82:83], s[82:83]
	s_cbranch_execz .LBB169_7368
; %bb.7353:
	v_mov_b32_e32 v1, 26
	v_cmp_gt_i16_sdwa vcc, v62, v1 src0_sel:BYTE_0 src1_sel:DWORD
	s_and_saveexec_b64 s[76:77], vcc
	s_xor_b64 vcc, exec, s[76:77]
	s_cbranch_execz .LBB169_7359
; %bb.7354:
	v_cvt_u32_f32_e32 v1, v66
	v_mov_b32_e32 v4, 27
	v_cmp_gt_i16_sdwa s[76:77], v62, v4 src0_sel:BYTE_0 src1_sel:DWORD
	s_and_saveexec_b64 s[88:89], s[76:77]
	s_xor_b64 s[76:77], exec, s[88:89]
	s_cbranch_execz .LBB169_7356
; %bb.7355:
	flat_store_dword v[2:3], v1
                                        ; implicit-def: $vgpr2_vgpr3
                                        ; implicit-def: $vgpr1
.LBB169_7356:
	s_andn2_saveexec_b64 s[76:77], s[76:77]
	s_cbranch_execz .LBB169_7358
; %bb.7357:
	flat_store_short v[2:3], v1
.LBB169_7358:
	s_or_b64 exec, exec, s[76:77]
                                        ; implicit-def: $vgpr2_vgpr3
                                        ; implicit-def: $vgpr66
.LBB169_7359:
	s_andn2_saveexec_b64 s[88:89], vcc
	s_cbranch_execz .LBB169_7367
; %bb.7360:
	v_and_b32_e32 v1, 0x7fffffff, v66
	s_mov_b32 vcc_lo, 0x43800000
	v_cmp_gt_u32_e32 vcc, vcc_lo, v1
	v_mov_b32_e32 v4, 0x80
	s_and_saveexec_b64 s[90:91], vcc
	s_cbranch_execz .LBB169_7366
; %bb.7361:
	s_mov_b32 vcc_lo, 0x3bffffff
	v_cmp_lt_u32_e32 vcc, vcc_lo, v1
	s_mov_b64 s[92:93], 0
                                        ; implicit-def: $vgpr1
	s_and_saveexec_b64 s[74:75], vcc
	s_xor_b64 vcc, exec, s[74:75]
	s_cbranch_execnz .LBB169_7843
; %bb.7362:
	s_or_saveexec_b64 s[94:95], vcc
                                        ; implicit-def: $sgpr76
	s_xor_b64 exec, exec, s[94:95]
	s_cbranch_execnz .LBB169_7844
.LBB169_7363:
	s_or_b64 exec, exec, s[94:95]
	v_mov_b32_e32 v4, s76
	s_and_saveexec_b64 vcc, s[92:93]
.LBB169_7364:
	v_lshrrev_b32_e32 v4, 24, v66
	s_movk_i32 s74, 0x80
	v_and_or_b32 v4, v4, s74, v1
.LBB169_7365:
	s_or_b64 exec, exec, vcc
.LBB169_7366:
	s_or_b64 exec, exec, s[90:91]
	flat_store_byte v[2:3], v4
.LBB169_7367:
	s_or_b64 exec, exec, s[88:89]
	s_or_b64 s[4:5], s[4:5], exec
.LBB169_7368:
	s_or_b64 exec, exec, s[82:83]
	v_readlane_b32 vcc_lo, v77, 10
	v_readlane_b32 vcc_hi, v77, 11
	s_andn2_b64 vcc, vcc, exec
	s_and_b64 s[76:77], s[86:87], exec
	s_or_b64 s[82:83], vcc, s[76:77]
	s_and_b64 s[4:5], s[4:5], exec
                                        ; implicit-def: $vgpr66
                                        ; implicit-def: $vgpr2_vgpr3
.LBB169_7369:
	s_andn2_saveexec_b64 s[84:85], s[84:85]
	s_cbranch_execz .LBB169_7413
; %bb.7370:
	v_mov_b32_e32 v1, 22
	v_cmp_gt_i16_sdwa vcc, v62, v1 src0_sel:BYTE_0 src1_sel:DWORD
	s_mov_b64 s[88:89], s[4:5]
	s_and_saveexec_b64 s[76:77], vcc
	s_xor_b64 s[86:87], exec, s[76:77]
	s_cbranch_execz .LBB169_7402
; %bb.7371:
	v_mov_b32_e32 v1, 23
	v_cmp_gt_i16_sdwa vcc, v62, v1 src0_sel:BYTE_0 src1_sel:DWORD
	s_and_saveexec_b64 s[76:77], vcc
	s_xor_b64 s[88:89], exec, s[76:77]
	s_cbranch_execz .LBB169_7391
; %bb.7372:
	v_mov_b32_e32 v1, 24
	v_cmp_gt_i16_sdwa vcc, v62, v1 src0_sel:BYTE_0 src1_sel:DWORD
	s_and_saveexec_b64 s[76:77], vcc
	s_xor_b64 s[90:91], exec, s[76:77]
	s_cbranch_execz .LBB169_7380
; %bb.7373:
	v_and_b32_e32 v1, 0x7fffffff, v66
	s_mov_b32 vcc_lo, 0x47800000
	v_cmp_gt_u32_e32 vcc, vcc_lo, v1
	v_mov_b32_e32 v4, 0x80
	s_and_saveexec_b64 s[92:93], vcc
	s_cbranch_execz .LBB169_7379
; %bb.7374:
	s_mov_b32 vcc_lo, 0x37ffffff
	v_cmp_lt_u32_e32 vcc, vcc_lo, v1
	s_mov_b64 s[94:95], 0
                                        ; implicit-def: $vgpr1
	s_and_saveexec_b64 s[74:75], vcc
	s_xor_b64 vcc, exec, s[74:75]
	s_cbranch_execnz .LBB169_7845
; %bb.7375:
	s_or_saveexec_b64 s[96:97], vcc
                                        ; implicit-def: $sgpr76
	s_xor_b64 exec, exec, s[96:97]
	s_cbranch_execnz .LBB169_7846
.LBB169_7376:
	s_or_b64 exec, exec, s[96:97]
	v_mov_b32_e32 v4, s76
	s_and_saveexec_b64 vcc, s[94:95]
.LBB169_7377:
	v_lshrrev_b32_e32 v4, 24, v66
	s_movk_i32 s74, 0x80
	v_and_or_b32 v4, v4, s74, v1
.LBB169_7378:
	s_or_b64 exec, exec, vcc
.LBB169_7379:
	s_or_b64 exec, exec, s[92:93]
	flat_store_byte v[2:3], v4
                                        ; implicit-def: $vgpr66
                                        ; implicit-def: $vgpr2_vgpr3
.LBB169_7380:
	s_andn2_saveexec_b64 s[90:91], s[90:91]
	s_cbranch_execz .LBB169_7390
; %bb.7381:
	v_and_b32_e32 v4, 0x7fffffff, v66
	s_mov_b32 vcc_lo, 0x43f00000
	v_cmp_gt_u32_e32 vcc, vcc_lo, v4
                                        ; implicit-def: $vgpr1
	s_and_saveexec_b64 s[74:75], vcc
	s_xor_b64 s[92:93], exec, s[74:75]
	s_cbranch_execz .LBB169_7387
; %bb.7382:
	s_mov_b32 vcc_lo, 0x3c7fffff
	v_cmp_lt_u32_e32 vcc, vcc_lo, v4
                                        ; implicit-def: $vgpr1
	s_and_saveexec_b64 s[74:75], vcc
	s_xor_b64 s[94:95], exec, s[74:75]
; %bb.7383:
	v_bfe_u32 v1, v66, 20, 1
	s_mov_b32 vcc_lo, 0x407ffff
	v_add3_u32 v1, v66, v1, vcc_lo
	v_lshrrev_b32_e32 v4, 20, v1
	v_and_b32_e32 v1, 0xff00000, v1
	s_mov_b32 vcc_lo, 0x7f00000
	v_mov_b32_e32 v5, 0x7e
	v_cmp_ne_u32_e32 vcc, vcc_lo, v1
	v_cndmask_b32_e32 v1, v5, v4, vcc
; %bb.7384:
	s_andn2_saveexec_b64 vcc, s[94:95]
; %bb.7385:
	s_mov_b32 s74, 0x46800000
	v_add_f32_e64 v1, |v66|, s74
; %bb.7386:
	s_or_b64 exec, exec, vcc
                                        ; implicit-def: $vgpr4
.LBB169_7387:
	s_andn2_saveexec_b64 s[92:93], s[92:93]
; %bb.7388:
	s_mov_b32 vcc_lo, 0x7f800000
	v_mov_b32_e32 v1, 0x7e
	v_mov_b32_e32 v5, 0x7f
	v_cmp_lt_u32_e32 vcc, vcc_lo, v4
	v_cndmask_b32_e32 v1, v1, v5, vcc
; %bb.7389:
	s_or_b64 exec, exec, s[92:93]
	v_lshrrev_b32_e32 v4, 24, v66
	s_movk_i32 vcc_lo, 0x80
	v_and_or_b32 v1, v4, vcc_lo, v1
	flat_store_byte v[2:3], v1
.LBB169_7390:
	s_or_b64 exec, exec, s[90:91]
                                        ; implicit-def: $vgpr66
                                        ; implicit-def: $vgpr2_vgpr3
.LBB169_7391:
	s_andn2_saveexec_b64 s[88:89], s[88:89]
	s_cbranch_execz .LBB169_7401
; %bb.7392:
	v_and_b32_e32 v4, 0x7fffffff, v66
	s_mov_b32 vcc_lo, 0x47800000
	v_cmp_gt_u32_e32 vcc, vcc_lo, v4
                                        ; implicit-def: $vgpr1
	s_and_saveexec_b64 s[74:75], vcc
	s_xor_b64 s[90:91], exec, s[74:75]
	s_cbranch_execz .LBB169_7398
; %bb.7393:
	s_mov_b32 vcc_lo, 0x387fffff
	v_cmp_lt_u32_e32 vcc, vcc_lo, v4
                                        ; implicit-def: $vgpr1
	s_and_saveexec_b64 s[74:75], vcc
	s_xor_b64 vcc, exec, s[74:75]
; %bb.7394:
	v_bfe_u32 v1, v66, 21, 1
	s_mov_b32 s74, 0x80fffff
	v_add3_u32 v1, v66, v1, s74
	v_lshrrev_b32_e32 v1, 21, v1
; %bb.7395:
	s_andn2_saveexec_b64 vcc, vcc
; %bb.7396:
	s_mov_b32 s74, 0x43000000
	v_add_f32_e64 v1, |v66|, s74
; %bb.7397:
	s_or_b64 exec, exec, vcc
                                        ; implicit-def: $vgpr4
.LBB169_7398:
	s_andn2_saveexec_b64 s[90:91], s[90:91]
; %bb.7399:
	s_mov_b32 vcc_lo, 0x7f800000
	v_mov_b32_e32 v1, 0x7c
	v_mov_b32_e32 v5, 0x7f
	v_cmp_lt_u32_e32 vcc, vcc_lo, v4
	v_cndmask_b32_e32 v1, v1, v5, vcc
; %bb.7400:
	s_or_b64 exec, exec, s[90:91]
	v_lshrrev_b32_e32 v4, 24, v66
	s_movk_i32 vcc_lo, 0x80
	v_and_or_b32 v1, v4, vcc_lo, v1
	flat_store_byte v[2:3], v1
.LBB169_7401:
	s_or_b64 exec, exec, s[88:89]
	s_or_b64 s[88:89], s[4:5], exec
                                        ; implicit-def: $vgpr66
                                        ; implicit-def: $vgpr2_vgpr3
.LBB169_7402:
	s_or_saveexec_b64 s[86:87], s[86:87]
	s_mov_b64 vcc, s[82:83]
	s_xor_b64 exec, exec, s[86:87]
	s_cbranch_execz .LBB169_7412
; %bb.7403:
	v_mov_b32_e32 v1, 14
	v_cmp_gt_i16_sdwa vcc, v62, v1 src0_sel:BYTE_0 src1_sel:DWORD
	s_mov_b64 s[90:91], s[88:89]
	s_mov_b64 s[92:93], s[82:83]
	s_and_saveexec_b64 s[76:77], vcc
	s_xor_b64 s[94:95], exec, s[76:77]
	s_cbranch_execz .LBB169_7407
; %bb.7404:
	v_mov_b32_e32 v1, 15
	v_cmp_eq_u16_sdwa s[76:77], v62, v1 src0_sel:BYTE_0 src1_sel:DWORD
	s_mov_b64 s[92:93], -1
	s_mov_b64 vcc, s[88:89]
	s_and_saveexec_b64 s[90:91], s[76:77]
	s_cbranch_execz .LBB169_7406
; %bb.7405:
	v_bfe_u32 v1, v66, 16, 1
	s_movk_i32 vcc_lo, 0x7fff
	v_add3_u32 v1, v66, v1, vcc_lo
	v_lshrrev_b32_e32 v1, 16, v1
	v_mov_b32_e32 v4, 0x7fc0
	v_cmp_o_f32_e32 vcc, v66, v66
	v_cndmask_b32_e32 v1, v4, v1, vcc
	flat_store_short v[2:3], v1
	s_xor_b64 s[92:93], exec, -1
	s_or_b64 vcc, s[88:89], exec
.LBB169_7406:
	s_or_b64 exec, exec, s[90:91]
	s_andn2_b64 s[76:77], s[82:83], exec
	s_and_b64 s[90:91], s[92:93], exec
	s_or_b64 s[92:93], s[76:77], s[90:91]
	s_andn2_b64 s[76:77], s[88:89], exec
	s_and_b64 vcc, vcc, exec
	s_or_b64 s[90:91], s[76:77], vcc
                                        ; implicit-def: $vgpr66
                                        ; implicit-def: $vgpr2_vgpr3
.LBB169_7407:
	s_andn2_saveexec_b64 s[94:95], s[94:95]
	s_cbranch_execz .LBB169_7411
; %bb.7408:
	v_mov_b32_e32 v1, 11
	v_cmp_eq_u16_sdwa s[74:75], v62, v1 src0_sel:BYTE_0 src1_sel:DWORD
	s_mov_b64 s[96:97], -1
	s_mov_b64 vcc, s[90:91]
	s_and_saveexec_b64 s[76:77], s[74:75]
	s_cbranch_execz .LBB169_7410
; %bb.7409:
	v_cmp_neq_f32_e32 vcc, 0, v66
	v_cndmask_b32_e64 v1, 0, 1, vcc
	flat_store_byte v[2:3], v1
	s_xor_b64 s[96:97], exec, -1
	s_or_b64 vcc, s[90:91], exec
.LBB169_7410:
	s_or_b64 exec, exec, s[76:77]
	s_andn2_b64 s[74:75], s[92:93], exec
	s_and_b64 s[76:77], s[96:97], exec
	s_or_b64 s[92:93], s[74:75], s[76:77]
	s_andn2_b64 s[74:75], s[90:91], exec
	s_and_b64 vcc, vcc, exec
	s_or_b64 s[90:91], s[74:75], vcc
.LBB169_7411:
	s_or_b64 exec, exec, s[94:95]
	s_andn2_b64 vcc, s[82:83], exec
	s_and_b64 s[74:75], s[92:93], exec
	s_or_b64 vcc, vcc, s[74:75]
	s_andn2_b64 s[74:75], s[88:89], exec
	s_and_b64 s[76:77], s[90:91], exec
	s_or_b64 s[88:89], s[74:75], s[76:77]
.LBB169_7412:
	s_or_b64 exec, exec, s[86:87]
	s_andn2_b64 s[76:77], s[82:83], exec
	s_and_b64 vcc, vcc, exec
	s_or_b64 s[82:83], s[76:77], vcc
	s_andn2_b64 s[4:5], s[4:5], exec
	s_and_b64 vcc, s[88:89], exec
	s_or_b64 s[4:5], s[4:5], vcc
.LBB169_7413:
	s_or_b64 exec, exec, s[84:85]
	v_readlane_b32 vcc_lo, v77, 10
	v_readlane_b32 vcc_hi, v77, 11
	s_andn2_b64 vcc, vcc, exec
	s_and_b64 s[76:77], s[82:83], exec
	s_or_b64 s[82:83], vcc, s[76:77]
	s_and_b64 s[4:5], s[4:5], exec
                                        ; implicit-def: $vgpr66
                                        ; implicit-def: $vgpr2_vgpr3
	s_andn2_saveexec_b64 s[78:79], s[78:79]
	s_cbranch_execz .LBB169_3993
.LBB169_7414:
	v_mov_b32_e32 v1, 4
	v_cmp_gt_i16_sdwa vcc, v62, v1 src0_sel:BYTE_0 src1_sel:DWORD
	s_and_saveexec_b64 s[74:75], vcc
	s_xor_b64 vcc, exec, s[74:75]
	s_cbranch_execz .LBB169_7436
; %bb.7415:
	v_mov_b32_e32 v1, 7
	v_cmp_gt_i16_sdwa s[74:75], v62, v1 src0_sel:BYTE_0 src1_sel:DWORD
	s_and_saveexec_b64 s[76:77], s[74:75]
	s_xor_b64 s[84:85], exec, s[76:77]
	s_cbranch_execz .LBB169_7425
; %bb.7416:
	v_mov_b32_e32 v1, 8
	v_cmp_gt_i16_sdwa s[74:75], v62, v1 src0_sel:BYTE_0 src1_sel:DWORD
	s_and_saveexec_b64 s[76:77], s[74:75]
	s_xor_b64 s[86:87], exec, s[76:77]
	;; [unrolled: 6-line block ×3, first 2 shown]
	s_cbranch_execz .LBB169_7419
; %bb.7418:
	v_mov_b32_e32 v6, 0
	v_cvt_f64_f32_e32 v[4:5], v66
	v_mov_b32_e32 v7, v6
	flat_store_dwordx4 v[2:3], v[4:7]
                                        ; implicit-def: $vgpr66
                                        ; implicit-def: $vgpr2_vgpr3
.LBB169_7419:
	s_andn2_saveexec_b64 s[76:77], s[88:89]
	s_cbranch_execz .LBB169_7421
; %bb.7420:
	v_mov_b32_e32 v67, 0
	flat_store_dwordx2 v[2:3], v[66:67]
.LBB169_7421:
	s_or_b64 exec, exec, s[76:77]
                                        ; implicit-def: $vgpr66
                                        ; implicit-def: $vgpr2_vgpr3
.LBB169_7422:
	s_andn2_saveexec_b64 s[76:77], s[86:87]
	s_cbranch_execz .LBB169_7424
; %bb.7423:
	v_cvt_f16_f32_e32 v1, v66
	flat_store_dword v[2:3], v1
.LBB169_7424:
	s_or_b64 exec, exec, s[76:77]
                                        ; implicit-def: $vgpr66
                                        ; implicit-def: $vgpr2_vgpr3
.LBB169_7425:
	s_andn2_saveexec_b64 s[84:85], s[84:85]
	s_cbranch_execz .LBB169_7435
; %bb.7426:
	v_mov_b32_e32 v1, 5
	v_cmp_gt_i16_sdwa s[74:75], v62, v1 src0_sel:BYTE_0 src1_sel:DWORD
	s_and_saveexec_b64 s[76:77], s[74:75]
	s_xor_b64 s[86:87], exec, s[76:77]
	s_cbranch_execz .LBB169_7432
; %bb.7427:
	v_mov_b32_e32 v1, 6
	v_cmp_gt_i16_sdwa s[74:75], v62, v1 src0_sel:BYTE_0 src1_sel:DWORD
	s_and_saveexec_b64 s[76:77], s[74:75]
	s_xor_b64 s[76:77], exec, s[76:77]
	s_cbranch_execz .LBB169_7429
; %bb.7428:
	v_cvt_f64_f32_e32 v[4:5], v66
	flat_store_dwordx2 v[2:3], v[4:5]
                                        ; implicit-def: $vgpr2_vgpr3
                                        ; implicit-def: $vgpr66
.LBB169_7429:
	s_andn2_saveexec_b64 s[76:77], s[76:77]
	s_cbranch_execz .LBB169_7431
; %bb.7430:
	flat_store_dword v[2:3], v66
.LBB169_7431:
	s_or_b64 exec, exec, s[76:77]
                                        ; implicit-def: $vgpr66
                                        ; implicit-def: $vgpr2_vgpr3
.LBB169_7432:
	s_andn2_saveexec_b64 s[76:77], s[86:87]
	s_cbranch_execz .LBB169_7434
; %bb.7433:
	v_cvt_f16_f32_e32 v1, v66
	flat_store_short v[2:3], v1
.LBB169_7434:
	s_or_b64 exec, exec, s[76:77]
.LBB169_7435:
	s_or_b64 exec, exec, s[84:85]
                                        ; implicit-def: $vgpr66
                                        ; implicit-def: $vgpr2_vgpr3
.LBB169_7436:
	s_andn2_saveexec_b64 s[84:85], vcc
	s_cbranch_execz .LBB169_7454
; %bb.7437:
	v_mov_b32_e32 v1, 1
	v_cmp_gt_i16_sdwa vcc, v62, v1 src0_sel:BYTE_0 src1_sel:DWORD
	s_and_saveexec_b64 s[74:75], vcc
	s_xor_b64 s[86:87], exec, s[74:75]
	s_cbranch_execz .LBB169_7447
; %bb.7438:
	v_mov_b32_e32 v1, 2
	v_cmp_gt_i16_sdwa vcc, v62, v1 src0_sel:BYTE_0 src1_sel:DWORD
	s_and_saveexec_b64 s[74:75], vcc
	s_xor_b64 s[88:89], exec, s[74:75]
	;; [unrolled: 6-line block ×3, first 2 shown]
	s_cbranch_execz .LBB169_7441
; %bb.7440:
	v_trunc_f32_e32 v1, v66
	s_mov_b32 s74, 0x2f800000
	v_mul_f32_e64 v4, |v1|, s74
	v_floor_f32_e32 v4, v4
	s_mov_b32 s74, 0xcf800000
	v_cvt_u32_f32_e32 v5, v4
	v_fma_f32 v4, v4, s74, |v1|
	v_cvt_u32_f32_e32 v4, v4
	v_ashrrev_i32_e32 v1, 31, v1
	v_xor_b32_e32 v5, v5, v1
                                        ; implicit-def: $vgpr66
	v_xor_b32_e32 v4, v4, v1
	v_sub_co_u32_e32 v4, vcc, v4, v1
	v_subb_co_u32_e32 v5, vcc, v5, v1, vcc
	flat_store_dwordx2 v[2:3], v[4:5]
                                        ; implicit-def: $vgpr2_vgpr3
.LBB169_7441:
	s_andn2_saveexec_b64 vcc, s[90:91]
	s_cbranch_execz .LBB169_7443
; %bb.7442:
	v_cvt_i32_f32_e32 v1, v66
	flat_store_dword v[2:3], v1
.LBB169_7443:
	s_or_b64 exec, exec, vcc
                                        ; implicit-def: $vgpr66
                                        ; implicit-def: $vgpr2_vgpr3
.LBB169_7444:
	s_andn2_saveexec_b64 vcc, s[88:89]
	s_cbranch_execz .LBB169_7446
; %bb.7445:
	v_cvt_i32_f32_e32 v1, v66
	flat_store_short v[2:3], v1
.LBB169_7446:
	s_or_b64 exec, exec, vcc
                                        ; implicit-def: $vgpr66
                                        ; implicit-def: $vgpr2_vgpr3
.LBB169_7447:
	s_andn2_saveexec_b64 vcc, s[86:87]
	s_cbranch_execz .LBB169_7453
; %bb.7448:
	v_mov_b32_e32 v1, 0
	v_cmp_gt_i16_sdwa s[74:75], v62, v1 src0_sel:BYTE_0 src1_sel:DWORD
	s_and_saveexec_b64 s[76:77], s[74:75]
	s_xor_b64 s[76:77], exec, s[76:77]
	s_cbranch_execz .LBB169_7450
; %bb.7449:
	v_cvt_i32_f32_e32 v1, v66
                                        ; implicit-def: $vgpr66
	flat_store_byte v[2:3], v1
                                        ; implicit-def: $vgpr2_vgpr3
.LBB169_7450:
	s_andn2_saveexec_b64 s[86:87], s[76:77]
	s_cbranch_execz .LBB169_7452
; %bb.7451:
	v_trunc_f32_e32 v1, v66
	s_mov_b32 s74, 0x2f800000
	v_mul_f32_e64 v4, |v1|, s74
	v_floor_f32_e32 v4, v4
	s_mov_b32 s74, 0xcf800000
	v_fma_f32 v4, v4, s74, |v1|
	v_cvt_u32_f32_e32 v4, v4
	v_ashrrev_i32_e32 v1, 31, v1
	v_xor_b32_e32 v4, v4, v1
	v_sub_u32_e32 v1, v4, v1
	flat_store_byte v[2:3], v1
.LBB169_7452:
	s_or_b64 exec, exec, s[86:87]
.LBB169_7453:
	s_or_b64 exec, exec, vcc
.LBB169_7454:
	s_or_b64 exec, exec, s[84:85]
	s_or_b64 s[4:5], s[4:5], exec
	s_or_b64 exec, exec, s[78:79]
	s_mov_b64 vcc, 0
	s_and_saveexec_b64 s[76:77], s[4:5]
	s_cbranch_execnz .LBB169_3994
	s_branch .LBB169_3995
.LBB169_7455:
	v_bfe_u32 v1, v86, 21, 1
	s_mov_b32 s72, 0x88fffff
	v_add3_u32 v1, v86, v1, s72
	s_mov_b64 s[70:71], exec
	v_lshrrev_b32_e32 v1, 21, v1
	s_or_saveexec_b64 s[72:73], vcc
                                        ; implicit-def: $sgpr74
	s_xor_b64 exec, exec, s[72:73]
	s_cbranch_execz .LBB169_6620
.LBB169_7456:
	s_mov_b32 s74, 0x42800000
	v_add_f32_e64 v1, |v86|, s74
	v_and_b32_e32 v1, 0xff, v1
	v_cmp_ne_u32_e32 vcc, 0, v1
	s_andn2_b64 s[70:71], s[70:71], exec
	s_and_b64 vcc, vcc, exec
	s_mov_b32 s74, 0
	s_or_b64 s[70:71], s[70:71], vcc
	s_or_b64 exec, exec, s[72:73]
	v_mov_b32_e32 v4, s74
	s_and_saveexec_b64 vcc, s[70:71]
	s_cbranch_execnz .LBB169_6621
	s_branch .LBB169_6622
.LBB169_7457:
	v_bfe_u32 v1, v84, 20, 1
	s_mov_b32 s74, 0x487ffff
	v_add3_u32 v1, v84, v1, s74
	s_mov_b64 s[72:73], exec
	v_lshrrev_b32_e32 v1, 20, v1
	s_or_saveexec_b64 s[74:75], vcc
                                        ; implicit-def: $sgpr76
	s_xor_b64 exec, exec, s[74:75]
	s_cbranch_execz .LBB169_6733
.LBB169_7458:
	s_mov_b32 s76, 0x46000000
	v_add_f32_e64 v1, |v84|, s76
	v_and_b32_e32 v1, 0xff, v1
	v_cmp_ne_u32_e32 vcc, 0, v1
	s_andn2_b64 s[72:73], s[72:73], exec
	s_and_b64 vcc, vcc, exec
	s_mov_b32 s76, 0
	s_or_b64 s[72:73], s[72:73], vcc
	s_or_b64 exec, exec, s[74:75]
	v_mov_b32_e32 v4, s76
	s_and_saveexec_b64 vcc, s[72:73]
	s_cbranch_execnz .LBB169_6734
	s_branch .LBB169_6735
.LBB169_7459:
	v_mov_b32_e32 v1, 25
	v_readlane_b32 s86, v77, 14
	v_cmp_gt_i16_sdwa vcc, v62, v1 src0_sel:BYTE_0 src1_sel:DWORD
	v_readlane_b32 s87, v77, 15
	s_and_saveexec_b64 s[74:75], vcc
	s_xor_b64 s[88:89], exec, s[74:75]
	s_cbranch_execz .LBB169_7495
; %bb.7460:
	v_mov_b32_e32 v1, 28
	v_readlane_b32 s90, v77, 14
	v_cmp_gt_i16_sdwa vcc, v62, v1 src0_sel:BYTE_0 src1_sel:DWORD
	v_readlane_b32 s91, v77, 15
	s_and_saveexec_b64 s[74:75], vcc
	s_xor_b64 s[86:87], exec, s[74:75]
	s_cbranch_execz .LBB169_7478
; %bb.7461:
	v_mov_b32_e32 v1, 43
	v_readlane_b32 vcc_lo, v77, 14
	v_cmp_gt_i16_sdwa s[74:75], v62, v1 src0_sel:BYTE_0 src1_sel:DWORD
	v_readlane_b32 vcc_hi, v77, 15
	s_and_saveexec_b64 s[76:77], s[74:75]
	s_xor_b64 s[90:91], exec, s[76:77]
	s_cbranch_execz .LBB169_7473
; %bb.7462:
	v_mov_b32_e32 v1, 45
	v_readlane_b32 s94, v77, 14
	v_cmp_gt_i16_sdwa s[4:5], v62, v1 src0_sel:BYTE_0 src1_sel:DWORD
	s_mov_b64 s[92:93], 0
	v_readlane_b32 s95, v77, 15
	s_and_saveexec_b64 vcc, s[4:5]
	s_xor_b64 s[4:5], exec, vcc
	s_cbranch_execz .LBB169_7466
; %bb.7463:
	v_mov_b32_e32 v1, 46
	v_cmp_eq_u16_sdwa s[74:75], v62, v1 src0_sel:BYTE_0 src1_sel:DWORD
	s_mov_b64 vcc, -1
	s_and_saveexec_b64 s[92:93], s[74:75]
	s_cbranch_execz .LBB169_7465
; %bb.7464:
	v_bfe_u32 v1, v64, 16, 1
	s_movk_i32 vcc_lo, 0x7fff
	v_add3_u32 v1, v64, v1, vcc_lo
	v_lshrrev_b32_e32 v1, 16, v1
	v_mov_b32_e32 v4, 0x7fc0
	v_cmp_o_f32_e32 vcc, v64, v64
	v_cndmask_b32_e32 v1, v4, v1, vcc
	s_mov_b64 s[80:81], exec
	flat_store_dword v[2:3], v1
	s_xor_b64 vcc, exec, -1
.LBB169_7465:
	s_or_b64 exec, exec, s[92:93]
	v_readlane_b32 s74, v77, 14
	v_readlane_b32 s75, v77, 15
	s_andn2_b64 s[74:75], s[74:75], exec
	s_and_b64 vcc, vcc, exec
	s_or_b64 s[94:95], s[74:75], vcc
	s_and_b64 s[92:93], s[80:81], exec
                                        ; implicit-def: $vgpr2_vgpr3
                                        ; implicit-def: $vgpr64
.LBB169_7466:
	s_andn2_saveexec_b64 s[96:97], s[4:5]
	s_cbranch_execz .LBB169_7472
; %bb.7467:
	v_mov_b32_e32 v1, 44
	v_cmp_eq_u16_sdwa s[74:75], v62, v1 src0_sel:BYTE_0 src1_sel:DWORD
	s_mov_b64 vcc, -1
	s_mov_b64 s[4:5], s[92:93]
	s_and_saveexec_b64 s[80:81], s[74:75]
	s_cbranch_execz .LBB169_7471
; %bb.7468:
	v_bfe_u32 v1, v64, 23, 8
	s_movk_i32 s4, 0xff
	v_cmp_ne_u32_e32 vcc, s4, v1
	v_mov_b32_e32 v4, 0xff
	s_and_saveexec_b64 s[74:75], vcc
; %bb.7469:
	s_mov_b32 s4, 0x3fffff
	v_and_b32_e32 v5, 0x400000, v64
	v_and_or_b32 v1, v64, s4, v1
	v_cmp_ne_u32_e32 vcc, 0, v5
	v_cmp_ne_u32_e64 s[4:5], 0, v1
	s_and_b64 s[4:5], vcc, s[4:5]
	v_lshrrev_b32_e32 v4, 23, v64
	v_cndmask_b32_e64 v1, 0, 1, s[4:5]
	v_add_u32_e32 v4, v4, v1
; %bb.7470:
	s_or_b64 exec, exec, s[74:75]
	s_xor_b64 vcc, exec, -1
	s_or_b64 s[4:5], s[92:93], exec
	flat_store_byte v[2:3], v4
.LBB169_7471:
	s_or_b64 exec, exec, s[80:81]
	s_andn2_b64 s[74:75], s[94:95], exec
	s_and_b64 vcc, vcc, exec
	s_or_b64 s[94:95], s[74:75], vcc
	s_andn2_b64 vcc, s[92:93], exec
	s_and_b64 s[4:5], s[4:5], exec
	s_or_b64 s[92:93], vcc, s[4:5]
.LBB169_7472:
	s_or_b64 exec, exec, s[96:97]
	v_readlane_b32 s4, v77, 14
	v_readlane_b32 s5, v77, 15
	s_andn2_b64 s[4:5], s[4:5], exec
	s_and_b64 vcc, s[94:95], exec
	s_or_b64 vcc, s[4:5], vcc
	s_and_b64 s[4:5], s[92:93], exec
                                        ; implicit-def: $vgpr64
                                        ; implicit-def: $vgpr2_vgpr3
.LBB169_7473:
	s_andn2_saveexec_b64 s[90:91], s[90:91]
	s_cbranch_execz .LBB169_7477
; %bb.7474:
	v_mov_b32_e32 v1, 29
	v_cmp_eq_u16_sdwa s[74:75], v62, v1 src0_sel:BYTE_0 src1_sel:DWORD
	s_mov_b64 s[94:95], -1
	s_mov_b64 s[92:93], s[4:5]
	s_and_saveexec_b64 s[80:81], s[74:75]
	s_cbranch_execz .LBB169_7476
; %bb.7475:
	v_trunc_f32_e32 v1, v64
	v_mul_f32_e32 v4, 0x2f800000, v1
	v_floor_f32_e32 v4, v4
	v_fmac_f32_e32 v1, 0xcf800000, v4
	v_cvt_u32_f32_e32 v5, v4
	v_cvt_u32_f32_e32 v4, v1
	s_xor_b64 s[94:95], exec, -1
	s_or_b64 s[92:93], s[4:5], exec
	flat_store_dwordx2 v[2:3], v[4:5]
.LBB169_7476:
	s_or_b64 exec, exec, s[80:81]
	s_andn2_b64 vcc, vcc, exec
	s_and_b64 s[74:75], s[94:95], exec
	s_or_b64 vcc, vcc, s[74:75]
	s_andn2_b64 s[4:5], s[4:5], exec
	s_and_b64 s[74:75], s[92:93], exec
	s_or_b64 s[4:5], s[4:5], s[74:75]
.LBB169_7477:
	s_or_b64 exec, exec, s[90:91]
	v_readlane_b32 s74, v77, 14
	v_readlane_b32 s75, v77, 15
	s_andn2_b64 s[74:75], s[74:75], exec
	s_and_b64 vcc, vcc, exec
	s_or_b64 s[90:91], s[74:75], vcc
	s_and_b64 s[4:5], s[4:5], exec
                                        ; implicit-def: $vgpr2_vgpr3
                                        ; implicit-def: $vgpr64
.LBB169_7478:
	s_andn2_saveexec_b64 s[86:87], s[86:87]
	s_cbranch_execz .LBB169_7494
; %bb.7479:
	v_mov_b32_e32 v1, 26
	v_cmp_gt_i16_sdwa vcc, v62, v1 src0_sel:BYTE_0 src1_sel:DWORD
	s_and_saveexec_b64 s[74:75], vcc
	s_xor_b64 vcc, exec, s[74:75]
	s_cbranch_execz .LBB169_7485
; %bb.7480:
	v_cvt_u32_f32_e32 v1, v64
	v_mov_b32_e32 v4, 27
	v_cmp_gt_i16_sdwa s[74:75], v62, v4 src0_sel:BYTE_0 src1_sel:DWORD
	s_and_saveexec_b64 s[76:77], s[74:75]
	s_xor_b64 s[76:77], exec, s[76:77]
	s_cbranch_execz .LBB169_7482
; %bb.7481:
	flat_store_dword v[2:3], v1
                                        ; implicit-def: $vgpr2_vgpr3
                                        ; implicit-def: $vgpr1
.LBB169_7482:
	s_andn2_saveexec_b64 s[76:77], s[76:77]
	s_cbranch_execz .LBB169_7484
; %bb.7483:
	flat_store_short v[2:3], v1
.LBB169_7484:
	s_or_b64 exec, exec, s[76:77]
                                        ; implicit-def: $vgpr2_vgpr3
                                        ; implicit-def: $vgpr64
.LBB169_7485:
	s_andn2_saveexec_b64 s[92:93], vcc
	s_cbranch_execz .LBB169_7493
; %bb.7486:
	v_and_b32_e32 v1, 0x7fffffff, v64
	s_mov_b32 vcc_lo, 0x43800000
	v_cmp_gt_u32_e32 vcc, vcc_lo, v1
	v_mov_b32_e32 v4, 0x80
	s_and_saveexec_b64 s[94:95], vcc
	s_cbranch_execz .LBB169_7492
; %bb.7487:
	s_mov_b32 vcc_lo, 0x3bffffff
	v_cmp_lt_u32_e32 vcc, vcc_lo, v1
	s_mov_b64 s[96:97], 0
                                        ; implicit-def: $vgpr1
	s_and_saveexec_b64 s[74:75], vcc
	s_xor_b64 vcc, exec, s[74:75]
	s_cbranch_execnz .LBB169_7847
; %bb.7488:
	s_or_saveexec_b64 s[80:81], vcc
                                        ; implicit-def: $sgpr76
	s_xor_b64 exec, exec, s[80:81]
	s_cbranch_execnz .LBB169_7848
.LBB169_7489:
	s_or_b64 exec, exec, s[80:81]
	v_mov_b32_e32 v4, s76
	s_and_saveexec_b64 vcc, s[96:97]
.LBB169_7490:
	v_lshrrev_b32_e32 v4, 24, v64
	s_movk_i32 s74, 0x80
	v_and_or_b32 v4, v4, s74, v1
.LBB169_7491:
	s_or_b64 exec, exec, vcc
.LBB169_7492:
	s_or_b64 exec, exec, s[94:95]
	flat_store_byte v[2:3], v4
.LBB169_7493:
	s_or_b64 exec, exec, s[92:93]
	s_or_b64 s[4:5], s[4:5], exec
.LBB169_7494:
	s_or_b64 exec, exec, s[86:87]
	v_readlane_b32 vcc_lo, v77, 14
	v_readlane_b32 vcc_hi, v77, 15
	s_andn2_b64 vcc, vcc, exec
	s_and_b64 s[74:75], s[90:91], exec
	s_or_b64 s[86:87], vcc, s[74:75]
	s_and_b64 s[4:5], s[4:5], exec
                                        ; implicit-def: $vgpr64
                                        ; implicit-def: $vgpr2_vgpr3
.LBB169_7495:
	s_andn2_saveexec_b64 s[88:89], s[88:89]
	s_cbranch_execz .LBB169_7539
; %bb.7496:
	v_mov_b32_e32 v1, 22
	v_cmp_gt_i16_sdwa vcc, v62, v1 src0_sel:BYTE_0 src1_sel:DWORD
	s_mov_b64 s[92:93], s[4:5]
	s_and_saveexec_b64 s[74:75], vcc
	s_xor_b64 s[90:91], exec, s[74:75]
	s_cbranch_execz .LBB169_7528
; %bb.7497:
	v_mov_b32_e32 v1, 23
	v_cmp_gt_i16_sdwa vcc, v62, v1 src0_sel:BYTE_0 src1_sel:DWORD
	s_and_saveexec_b64 s[74:75], vcc
	s_xor_b64 s[92:93], exec, s[74:75]
	s_cbranch_execz .LBB169_7517
; %bb.7498:
	v_mov_b32_e32 v1, 24
	v_cmp_gt_i16_sdwa vcc, v62, v1 src0_sel:BYTE_0 src1_sel:DWORD
	s_and_saveexec_b64 s[74:75], vcc
	s_xor_b64 s[94:95], exec, s[74:75]
	s_cbranch_execz .LBB169_7506
; %bb.7499:
	v_and_b32_e32 v1, 0x7fffffff, v64
	s_mov_b32 vcc_lo, 0x47800000
	v_cmp_gt_u32_e32 vcc, vcc_lo, v1
	v_mov_b32_e32 v4, 0x80
	s_and_saveexec_b64 s[96:97], vcc
	s_cbranch_execz .LBB169_7505
; %bb.7500:
	s_mov_b32 vcc_lo, 0x37ffffff
	v_cmp_lt_u32_e32 vcc, vcc_lo, v1
	s_mov_b64 s[78:79], 0
                                        ; implicit-def: $vgpr1
	s_and_saveexec_b64 s[74:75], vcc
	s_xor_b64 vcc, exec, s[74:75]
	s_cbranch_execnz .LBB169_7849
; %bb.7501:
	s_or_saveexec_b64 s[80:81], vcc
                                        ; implicit-def: $sgpr76
	s_xor_b64 exec, exec, s[80:81]
	s_cbranch_execnz .LBB169_7850
.LBB169_7502:
	s_or_b64 exec, exec, s[80:81]
	v_mov_b32_e32 v4, s76
	s_and_saveexec_b64 vcc, s[78:79]
.LBB169_7503:
	v_lshrrev_b32_e32 v4, 24, v64
	s_movk_i32 s74, 0x80
	v_and_or_b32 v4, v4, s74, v1
.LBB169_7504:
	s_or_b64 exec, exec, vcc
.LBB169_7505:
	s_or_b64 exec, exec, s[96:97]
	flat_store_byte v[2:3], v4
                                        ; implicit-def: $vgpr64
                                        ; implicit-def: $vgpr2_vgpr3
.LBB169_7506:
	s_andn2_saveexec_b64 s[94:95], s[94:95]
	s_cbranch_execz .LBB169_7516
; %bb.7507:
	v_and_b32_e32 v4, 0x7fffffff, v64
	s_mov_b32 vcc_lo, 0x43f00000
	v_cmp_gt_u32_e32 vcc, vcc_lo, v4
                                        ; implicit-def: $vgpr1
	s_and_saveexec_b64 s[74:75], vcc
	s_xor_b64 s[80:81], exec, s[74:75]
	s_cbranch_execz .LBB169_7513
; %bb.7508:
	s_mov_b32 vcc_lo, 0x3c7fffff
	v_cmp_lt_u32_e32 vcc, vcc_lo, v4
                                        ; implicit-def: $vgpr1
	s_and_saveexec_b64 s[74:75], vcc
	s_xor_b64 s[78:79], exec, s[74:75]
; %bb.7509:
	v_bfe_u32 v1, v64, 20, 1
	s_mov_b32 vcc_lo, 0x407ffff
	v_add3_u32 v1, v64, v1, vcc_lo
	v_lshrrev_b32_e32 v4, 20, v1
	v_and_b32_e32 v1, 0xff00000, v1
	s_mov_b32 vcc_lo, 0x7f00000
	v_mov_b32_e32 v5, 0x7e
	v_cmp_ne_u32_e32 vcc, vcc_lo, v1
	v_cndmask_b32_e32 v1, v5, v4, vcc
; %bb.7510:
	s_andn2_saveexec_b64 vcc, s[78:79]
; %bb.7511:
	s_mov_b32 s74, 0x46800000
	v_add_f32_e64 v1, |v64|, s74
; %bb.7512:
	s_or_b64 exec, exec, vcc
                                        ; implicit-def: $vgpr4
.LBB169_7513:
	s_andn2_saveexec_b64 s[80:81], s[80:81]
; %bb.7514:
	s_mov_b32 vcc_lo, 0x7f800000
	v_mov_b32_e32 v1, 0x7e
	v_mov_b32_e32 v5, 0x7f
	v_cmp_lt_u32_e32 vcc, vcc_lo, v4
	v_cndmask_b32_e32 v1, v1, v5, vcc
; %bb.7515:
	s_or_b64 exec, exec, s[80:81]
	v_lshrrev_b32_e32 v4, 24, v64
	s_movk_i32 vcc_lo, 0x80
	v_and_or_b32 v1, v4, vcc_lo, v1
	flat_store_byte v[2:3], v1
.LBB169_7516:
	s_or_b64 exec, exec, s[94:95]
                                        ; implicit-def: $vgpr64
                                        ; implicit-def: $vgpr2_vgpr3
.LBB169_7517:
	s_andn2_saveexec_b64 s[92:93], s[92:93]
	s_cbranch_execz .LBB169_7527
; %bb.7518:
	v_and_b32_e32 v4, 0x7fffffff, v64
	s_mov_b32 vcc_lo, 0x47800000
	v_cmp_gt_u32_e32 vcc, vcc_lo, v4
                                        ; implicit-def: $vgpr1
	s_and_saveexec_b64 s[74:75], vcc
	s_xor_b64 s[80:81], exec, s[74:75]
	s_cbranch_execz .LBB169_7524
; %bb.7519:
	s_mov_b32 vcc_lo, 0x387fffff
	v_cmp_lt_u32_e32 vcc, vcc_lo, v4
                                        ; implicit-def: $vgpr1
	s_and_saveexec_b64 s[74:75], vcc
	s_xor_b64 vcc, exec, s[74:75]
; %bb.7520:
	v_bfe_u32 v1, v64, 21, 1
	s_mov_b32 s74, 0x80fffff
	v_add3_u32 v1, v64, v1, s74
	v_lshrrev_b32_e32 v1, 21, v1
; %bb.7521:
	s_andn2_saveexec_b64 vcc, vcc
; %bb.7522:
	s_mov_b32 s74, 0x43000000
	v_add_f32_e64 v1, |v64|, s74
; %bb.7523:
	s_or_b64 exec, exec, vcc
                                        ; implicit-def: $vgpr4
.LBB169_7524:
	s_andn2_saveexec_b64 s[80:81], s[80:81]
; %bb.7525:
	s_mov_b32 vcc_lo, 0x7f800000
	v_mov_b32_e32 v1, 0x7c
	v_mov_b32_e32 v5, 0x7f
	v_cmp_lt_u32_e32 vcc, vcc_lo, v4
	v_cndmask_b32_e32 v1, v1, v5, vcc
; %bb.7526:
	s_or_b64 exec, exec, s[80:81]
	v_lshrrev_b32_e32 v4, 24, v64
	s_movk_i32 vcc_lo, 0x80
	v_and_or_b32 v1, v4, vcc_lo, v1
	flat_store_byte v[2:3], v1
.LBB169_7527:
	s_or_b64 exec, exec, s[92:93]
	s_or_b64 s[92:93], s[4:5], exec
                                        ; implicit-def: $vgpr64
                                        ; implicit-def: $vgpr2_vgpr3
.LBB169_7528:
	s_or_saveexec_b64 s[90:91], s[90:91]
	s_mov_b64 vcc, s[86:87]
	s_xor_b64 exec, exec, s[90:91]
	s_cbranch_execz .LBB169_7538
; %bb.7529:
	v_mov_b32_e32 v1, 14
	v_cmp_gt_i16_sdwa vcc, v62, v1 src0_sel:BYTE_0 src1_sel:DWORD
	s_mov_b64 s[94:95], s[92:93]
	s_mov_b64 s[96:97], s[86:87]
	s_and_saveexec_b64 s[74:75], vcc
	s_xor_b64 s[80:81], exec, s[74:75]
	s_cbranch_execz .LBB169_7533
; %bb.7530:
	v_mov_b32_e32 v1, 15
	v_cmp_eq_u16_sdwa s[74:75], v62, v1 src0_sel:BYTE_0 src1_sel:DWORD
	s_mov_b64 s[96:97], -1
	s_mov_b64 vcc, s[92:93]
	s_and_saveexec_b64 s[94:95], s[74:75]
	s_cbranch_execz .LBB169_7532
; %bb.7531:
	v_bfe_u32 v1, v64, 16, 1
	s_movk_i32 vcc_lo, 0x7fff
	v_add3_u32 v1, v64, v1, vcc_lo
	v_lshrrev_b32_e32 v1, 16, v1
	v_mov_b32_e32 v4, 0x7fc0
	v_cmp_o_f32_e32 vcc, v64, v64
	v_cndmask_b32_e32 v1, v4, v1, vcc
	flat_store_short v[2:3], v1
	s_xor_b64 s[96:97], exec, -1
	s_or_b64 vcc, s[92:93], exec
.LBB169_7532:
	s_or_b64 exec, exec, s[94:95]
	s_andn2_b64 s[74:75], s[86:87], exec
	s_and_b64 s[76:77], s[96:97], exec
	s_or_b64 s[96:97], s[74:75], s[76:77]
	s_andn2_b64 s[74:75], s[92:93], exec
	s_and_b64 vcc, vcc, exec
	s_or_b64 s[94:95], s[74:75], vcc
                                        ; implicit-def: $vgpr64
                                        ; implicit-def: $vgpr2_vgpr3
.LBB169_7533:
	s_andn2_saveexec_b64 s[80:81], s[80:81]
	s_cbranch_execz .LBB169_7537
; %bb.7534:
	v_mov_b32_e32 v1, 11
	v_cmp_eq_u16_sdwa s[74:75], v62, v1 src0_sel:BYTE_0 src1_sel:DWORD
	s_mov_b64 s[78:79], -1
	s_mov_b64 vcc, s[94:95]
	s_and_saveexec_b64 s[76:77], s[74:75]
	s_cbranch_execz .LBB169_7536
; %bb.7535:
	v_cmp_neq_f32_e32 vcc, 0, v64
	v_cndmask_b32_e64 v1, 0, 1, vcc
	flat_store_byte v[2:3], v1
	s_xor_b64 s[78:79], exec, -1
	s_or_b64 vcc, s[94:95], exec
.LBB169_7536:
	s_or_b64 exec, exec, s[76:77]
	s_andn2_b64 s[74:75], s[96:97], exec
	s_and_b64 s[76:77], s[78:79], exec
	s_or_b64 s[96:97], s[74:75], s[76:77]
	s_andn2_b64 s[74:75], s[94:95], exec
	s_and_b64 vcc, vcc, exec
	s_or_b64 s[94:95], s[74:75], vcc
.LBB169_7537:
	s_or_b64 exec, exec, s[80:81]
	s_andn2_b64 vcc, s[86:87], exec
	s_and_b64 s[74:75], s[96:97], exec
	s_or_b64 vcc, vcc, s[74:75]
	s_andn2_b64 s[74:75], s[92:93], exec
	s_and_b64 s[76:77], s[94:95], exec
	s_or_b64 s[92:93], s[74:75], s[76:77]
.LBB169_7538:
	s_or_b64 exec, exec, s[90:91]
	s_andn2_b64 s[74:75], s[86:87], exec
	s_and_b64 vcc, vcc, exec
	s_or_b64 s[86:87], s[74:75], vcc
	s_andn2_b64 s[4:5], s[4:5], exec
	s_and_b64 vcc, s[92:93], exec
	s_or_b64 s[4:5], s[4:5], vcc
.LBB169_7539:
	s_or_b64 exec, exec, s[88:89]
	v_readlane_b32 vcc_lo, v77, 14
	v_readlane_b32 vcc_hi, v77, 15
	s_andn2_b64 vcc, vcc, exec
	s_and_b64 s[74:75], s[86:87], exec
	s_or_b64 s[86:87], vcc, s[74:75]
	s_and_b64 s[4:5], s[4:5], exec
                                        ; implicit-def: $vgpr64
                                        ; implicit-def: $vgpr2_vgpr3
	s_andn2_saveexec_b64 s[82:83], s[82:83]
	s_cbranch_execz .LBB169_4000
.LBB169_7540:
	v_mov_b32_e32 v1, 4
	v_cmp_gt_i16_sdwa vcc, v62, v1 src0_sel:BYTE_0 src1_sel:DWORD
	s_and_saveexec_b64 s[74:75], vcc
	s_xor_b64 vcc, exec, s[74:75]
	s_cbranch_execz .LBB169_7562
; %bb.7541:
	v_mov_b32_e32 v1, 7
	v_cmp_gt_i16_sdwa s[74:75], v62, v1 src0_sel:BYTE_0 src1_sel:DWORD
	s_and_saveexec_b64 s[76:77], s[74:75]
	s_xor_b64 s[88:89], exec, s[76:77]
	s_cbranch_execz .LBB169_7551
; %bb.7542:
	v_mov_b32_e32 v1, 8
	v_cmp_gt_i16_sdwa s[74:75], v62, v1 src0_sel:BYTE_0 src1_sel:DWORD
	s_and_saveexec_b64 s[76:77], s[74:75]
	s_xor_b64 s[90:91], exec, s[76:77]
	s_cbranch_execz .LBB169_7548
; %bb.7543:
	v_mov_b32_e32 v1, 9
	v_cmp_gt_i16_sdwa s[74:75], v62, v1 src0_sel:BYTE_0 src1_sel:DWORD
	s_and_saveexec_b64 s[76:77], s[74:75]
	s_xor_b64 s[78:79], exec, s[76:77]
	s_cbranch_execz .LBB169_7545
; %bb.7544:
	v_mov_b32_e32 v6, 0
	v_cvt_f64_f32_e32 v[4:5], v64
	v_mov_b32_e32 v7, v6
	flat_store_dwordx4 v[2:3], v[4:7]
                                        ; implicit-def: $vgpr64
                                        ; implicit-def: $vgpr2_vgpr3
.LBB169_7545:
	s_andn2_saveexec_b64 s[76:77], s[78:79]
	s_cbranch_execz .LBB169_7547
; %bb.7546:
	v_mov_b32_e32 v65, 0
	flat_store_dwordx2 v[2:3], v[64:65]
.LBB169_7547:
	s_or_b64 exec, exec, s[76:77]
                                        ; implicit-def: $vgpr64
                                        ; implicit-def: $vgpr2_vgpr3
.LBB169_7548:
	s_andn2_saveexec_b64 s[76:77], s[90:91]
	s_cbranch_execz .LBB169_7550
; %bb.7549:
	v_cvt_f16_f32_e32 v1, v64
	flat_store_dword v[2:3], v1
.LBB169_7550:
	s_or_b64 exec, exec, s[76:77]
                                        ; implicit-def: $vgpr64
                                        ; implicit-def: $vgpr2_vgpr3
.LBB169_7551:
	s_andn2_saveexec_b64 s[88:89], s[88:89]
	s_cbranch_execz .LBB169_7561
; %bb.7552:
	v_mov_b32_e32 v1, 5
	v_cmp_gt_i16_sdwa s[74:75], v62, v1 src0_sel:BYTE_0 src1_sel:DWORD
	s_and_saveexec_b64 s[76:77], s[74:75]
	s_xor_b64 s[80:81], exec, s[76:77]
	s_cbranch_execz .LBB169_7558
; %bb.7553:
	v_mov_b32_e32 v1, 6
	v_cmp_gt_i16_sdwa s[74:75], v62, v1 src0_sel:BYTE_0 src1_sel:DWORD
	s_and_saveexec_b64 s[76:77], s[74:75]
	s_xor_b64 s[76:77], exec, s[76:77]
	s_cbranch_execz .LBB169_7555
; %bb.7554:
	v_cvt_f64_f32_e32 v[4:5], v64
	flat_store_dwordx2 v[2:3], v[4:5]
                                        ; implicit-def: $vgpr2_vgpr3
                                        ; implicit-def: $vgpr64
.LBB169_7555:
	s_andn2_saveexec_b64 s[76:77], s[76:77]
	s_cbranch_execz .LBB169_7557
; %bb.7556:
	flat_store_dword v[2:3], v64
.LBB169_7557:
	s_or_b64 exec, exec, s[76:77]
                                        ; implicit-def: $vgpr64
                                        ; implicit-def: $vgpr2_vgpr3
.LBB169_7558:
	s_andn2_saveexec_b64 s[76:77], s[80:81]
	s_cbranch_execz .LBB169_7560
; %bb.7559:
	v_cvt_f16_f32_e32 v1, v64
	flat_store_short v[2:3], v1
.LBB169_7560:
	s_or_b64 exec, exec, s[76:77]
.LBB169_7561:
	s_or_b64 exec, exec, s[88:89]
                                        ; implicit-def: $vgpr64
                                        ; implicit-def: $vgpr2_vgpr3
.LBB169_7562:
	s_andn2_saveexec_b64 s[88:89], vcc
	s_cbranch_execz .LBB169_7580
; %bb.7563:
	v_mov_b32_e32 v1, 1
	v_cmp_gt_i16_sdwa vcc, v62, v1 src0_sel:BYTE_0 src1_sel:DWORD
	s_and_saveexec_b64 s[74:75], vcc
	s_xor_b64 s[90:91], exec, s[74:75]
	s_cbranch_execz .LBB169_7573
; %bb.7564:
	v_mov_b32_e32 v1, 2
	v_cmp_gt_i16_sdwa vcc, v62, v1 src0_sel:BYTE_0 src1_sel:DWORD
	s_and_saveexec_b64 s[74:75], vcc
	s_xor_b64 s[92:93], exec, s[74:75]
	;; [unrolled: 6-line block ×3, first 2 shown]
	s_cbranch_execz .LBB169_7567
; %bb.7566:
	v_trunc_f32_e32 v1, v64
	s_mov_b32 s74, 0x2f800000
	v_mul_f32_e64 v4, |v1|, s74
	v_floor_f32_e32 v4, v4
	s_mov_b32 s74, 0xcf800000
	v_cvt_u32_f32_e32 v5, v4
	v_fma_f32 v4, v4, s74, |v1|
	v_cvt_u32_f32_e32 v4, v4
	v_ashrrev_i32_e32 v1, 31, v1
	v_xor_b32_e32 v5, v5, v1
                                        ; implicit-def: $vgpr64
	v_xor_b32_e32 v4, v4, v1
	v_sub_co_u32_e32 v4, vcc, v4, v1
	v_subb_co_u32_e32 v5, vcc, v5, v1, vcc
	flat_store_dwordx2 v[2:3], v[4:5]
                                        ; implicit-def: $vgpr2_vgpr3
.LBB169_7567:
	s_andn2_saveexec_b64 vcc, s[80:81]
	s_cbranch_execz .LBB169_7569
; %bb.7568:
	v_cvt_i32_f32_e32 v1, v64
	flat_store_dword v[2:3], v1
.LBB169_7569:
	s_or_b64 exec, exec, vcc
                                        ; implicit-def: $vgpr64
                                        ; implicit-def: $vgpr2_vgpr3
.LBB169_7570:
	s_andn2_saveexec_b64 vcc, s[92:93]
	s_cbranch_execz .LBB169_7572
; %bb.7571:
	v_cvt_i32_f32_e32 v1, v64
	flat_store_short v[2:3], v1
.LBB169_7572:
	s_or_b64 exec, exec, vcc
                                        ; implicit-def: $vgpr64
                                        ; implicit-def: $vgpr2_vgpr3
.LBB169_7573:
	s_andn2_saveexec_b64 vcc, s[90:91]
	s_cbranch_execz .LBB169_7579
; %bb.7574:
	v_mov_b32_e32 v1, 0
	v_cmp_gt_i16_sdwa s[74:75], v62, v1 src0_sel:BYTE_0 src1_sel:DWORD
	s_and_saveexec_b64 s[76:77], s[74:75]
	s_xor_b64 s[76:77], exec, s[76:77]
	s_cbranch_execz .LBB169_7576
; %bb.7575:
	v_cvt_i32_f32_e32 v1, v64
                                        ; implicit-def: $vgpr64
	flat_store_byte v[2:3], v1
                                        ; implicit-def: $vgpr2_vgpr3
.LBB169_7576:
	s_andn2_saveexec_b64 s[80:81], s[76:77]
	s_cbranch_execz .LBB169_7578
; %bb.7577:
	v_trunc_f32_e32 v1, v64
	s_mov_b32 s74, 0x2f800000
	v_mul_f32_e64 v4, |v1|, s74
	v_floor_f32_e32 v4, v4
	s_mov_b32 s74, 0xcf800000
	v_fma_f32 v4, v4, s74, |v1|
	v_cvt_u32_f32_e32 v4, v4
	v_ashrrev_i32_e32 v1, 31, v1
	v_xor_b32_e32 v4, v4, v1
	v_sub_u32_e32 v1, v4, v1
	flat_store_byte v[2:3], v1
.LBB169_7578:
	s_or_b64 exec, exec, s[80:81]
.LBB169_7579:
	s_or_b64 exec, exec, vcc
.LBB169_7580:
	s_or_b64 exec, exec, s[88:89]
	s_or_b64 s[4:5], s[4:5], exec
	s_or_b64 exec, exec, s[82:83]
	s_mov_b64 vcc, 0
	s_and_saveexec_b64 s[76:77], s[4:5]
	s_cbranch_execnz .LBB169_4001
	s_branch .LBB169_4002
.LBB169_7581:
	v_bfe_u32 v1, v84, 21, 1
	s_mov_b32 s76, 0x88fffff
	v_add3_u32 v1, v84, v1, s76
	s_mov_b64 s[74:75], exec
	v_lshrrev_b32_e32 v1, 21, v1
	s_or_saveexec_b64 s[76:77], vcc
                                        ; implicit-def: $sgpr78
	s_xor_b64 exec, exec, s[76:77]
	s_cbranch_execz .LBB169_6746
.LBB169_7582:
	s_mov_b32 s78, 0x42800000
	v_add_f32_e64 v1, |v84|, s78
	v_and_b32_e32 v1, 0xff, v1
	v_cmp_ne_u32_e32 vcc, 0, v1
	s_andn2_b64 s[74:75], s[74:75], exec
	s_and_b64 vcc, vcc, exec
	s_mov_b32 s78, 0
	s_or_b64 s[74:75], s[74:75], vcc
	s_or_b64 exec, exec, s[76:77]
	v_mov_b32_e32 v4, s78
	s_and_saveexec_b64 vcc, s[74:75]
	s_cbranch_execnz .LBB169_6747
	s_branch .LBB169_6748
.LBB169_7583:
	v_bfe_u32 v1, v82, 20, 1
	s_mov_b32 s78, 0x487ffff
	v_add3_u32 v1, v82, v1, s78
	s_mov_b64 s[76:77], exec
	v_lshrrev_b32_e32 v1, 20, v1
	s_or_saveexec_b64 s[78:79], vcc
                                        ; implicit-def: $sgpr80
	s_xor_b64 exec, exec, s[78:79]
	s_cbranch_execz .LBB169_6859
.LBB169_7584:
	s_mov_b32 s80, 0x46000000
	v_add_f32_e64 v1, |v82|, s80
	v_and_b32_e32 v1, 0xff, v1
	v_cmp_ne_u32_e32 vcc, 0, v1
	s_andn2_b64 s[76:77], s[76:77], exec
	s_and_b64 vcc, vcc, exec
	s_mov_b32 s80, 0
	s_or_b64 s[76:77], s[76:77], vcc
	s_or_b64 exec, exec, s[78:79]
	v_mov_b32_e32 v4, s80
	s_and_saveexec_b64 vcc, s[76:77]
	s_cbranch_execnz .LBB169_6860
	s_branch .LBB169_6861
.LBB169_7585:
	v_mov_b32_e32 v1, 25
	v_readlane_b32 s82, v77, 18
	v_cmp_gt_i16_sdwa vcc, v62, v1 src0_sel:BYTE_0 src1_sel:DWORD
	v_readlane_b32 s83, v77, 19
	s_and_saveexec_b64 s[74:75], vcc
	s_xor_b64 s[92:93], exec, s[74:75]
	s_cbranch_execz .LBB169_7621
; %bb.7586:
	v_mov_b32_e32 v1, 28
	v_readlane_b32 s94, v77, 18
	v_cmp_gt_i16_sdwa vcc, v62, v1 src0_sel:BYTE_0 src1_sel:DWORD
	v_readlane_b32 s95, v77, 19
	s_and_saveexec_b64 s[74:75], vcc
	s_xor_b64 s[90:91], exec, s[74:75]
	s_cbranch_execz .LBB169_7604
; %bb.7587:
	v_mov_b32_e32 v1, 43
	v_readlane_b32 vcc_lo, v77, 18
	v_cmp_gt_i16_sdwa s[74:75], v62, v1 src0_sel:BYTE_0 src1_sel:DWORD
	v_readlane_b32 vcc_hi, v77, 19
	s_and_saveexec_b64 s[76:77], s[74:75]
	s_xor_b64 s[76:77], exec, s[76:77]
	s_cbranch_execz .LBB169_7599
; %bb.7588:
	v_mov_b32_e32 v1, 45
	v_readlane_b32 s84, v77, 18
	v_cmp_gt_i16_sdwa s[4:5], v62, v1 src0_sel:BYTE_0 src1_sel:DWORD
	s_mov_b64 s[96:97], 0
	v_readlane_b32 s85, v77, 19
	s_and_saveexec_b64 vcc, s[4:5]
	s_xor_b64 s[4:5], exec, vcc
	s_cbranch_execz .LBB169_7592
; %bb.7589:
	v_mov_b32_e32 v1, 46
	v_cmp_eq_u16_sdwa s[74:75], v62, v1 src0_sel:BYTE_0 src1_sel:DWORD
	s_mov_b64 vcc, -1
	s_and_saveexec_b64 s[82:83], s[74:75]
	s_cbranch_execz .LBB169_7591
; %bb.7590:
	s_waitcnt vmcnt(0) lgkmcnt(0)
	v_bfe_u32 v1, v54, 16, 1
	s_movk_i32 vcc_lo, 0x7fff
	v_add3_u32 v1, v54, v1, vcc_lo
	v_lshrrev_b32_e32 v1, 16, v1
	v_mov_b32_e32 v4, 0x7fc0
	v_cmp_o_f32_e32 vcc, v54, v54
	v_cndmask_b32_e32 v1, v4, v1, vcc
	s_mov_b64 s[80:81], exec
	flat_store_dword v[2:3], v1
	s_xor_b64 vcc, exec, -1
.LBB169_7591:
	s_or_b64 exec, exec, s[82:83]
	v_readlane_b32 s74, v77, 18
	v_readlane_b32 s75, v77, 19
	s_andn2_b64 s[74:75], s[74:75], exec
	s_and_b64 vcc, vcc, exec
	s_or_b64 s[84:85], s[74:75], vcc
	s_and_b64 s[96:97], s[80:81], exec
                                        ; implicit-def: $vgpr2_vgpr3
                                        ; implicit-def: $vgpr54
.LBB169_7592:
	s_andn2_saveexec_b64 s[94:95], s[4:5]
	s_cbranch_execz .LBB169_7598
; %bb.7593:
	v_mov_b32_e32 v1, 44
	v_cmp_eq_u16_sdwa s[74:75], v62, v1 src0_sel:BYTE_0 src1_sel:DWORD
	s_mov_b64 vcc, -1
	s_mov_b64 s[4:5], s[96:97]
	s_and_saveexec_b64 s[80:81], s[74:75]
	s_cbranch_execz .LBB169_7597
; %bb.7594:
	s_waitcnt vmcnt(0) lgkmcnt(0)
	v_bfe_u32 v1, v54, 23, 8
	s_movk_i32 s4, 0xff
	v_cmp_ne_u32_e32 vcc, s4, v1
	v_mov_b32_e32 v4, 0xff
	s_and_saveexec_b64 s[82:83], vcc
; %bb.7595:
	s_mov_b32 s4, 0x3fffff
	v_and_b32_e32 v5, 0x400000, v54
	v_and_or_b32 v1, v54, s4, v1
	v_cmp_ne_u32_e32 vcc, 0, v5
	v_cmp_ne_u32_e64 s[4:5], 0, v1
	s_and_b64 s[4:5], vcc, s[4:5]
	v_lshrrev_b32_e32 v4, 23, v54
	v_cndmask_b32_e64 v1, 0, 1, s[4:5]
	v_add_u32_e32 v4, v4, v1
; %bb.7596:
	s_or_b64 exec, exec, s[82:83]
	s_xor_b64 vcc, exec, -1
	s_or_b64 s[4:5], s[96:97], exec
	flat_store_byte v[2:3], v4
.LBB169_7597:
	s_or_b64 exec, exec, s[80:81]
	s_andn2_b64 s[74:75], s[84:85], exec
	s_and_b64 vcc, vcc, exec
	s_or_b64 s[84:85], s[74:75], vcc
	s_andn2_b64 vcc, s[96:97], exec
	s_and_b64 s[4:5], s[4:5], exec
	s_or_b64 s[96:97], vcc, s[4:5]
.LBB169_7598:
	s_or_b64 exec, exec, s[94:95]
	v_readlane_b32 s4, v77, 18
	v_readlane_b32 s5, v77, 19
	s_andn2_b64 s[4:5], s[4:5], exec
	s_and_b64 vcc, s[84:85], exec
	s_or_b64 vcc, s[4:5], vcc
	s_and_b64 s[4:5], s[96:97], exec
                                        ; implicit-def: $vgpr54
                                        ; implicit-def: $vgpr2_vgpr3
.LBB169_7599:
	s_andn2_saveexec_b64 s[82:83], s[76:77]
	s_cbranch_execz .LBB169_7603
; %bb.7600:
	v_mov_b32_e32 v1, 29
	v_cmp_eq_u16_sdwa s[74:75], v62, v1 src0_sel:BYTE_0 src1_sel:DWORD
	s_mov_b64 s[94:95], -1
	s_mov_b64 s[84:85], s[4:5]
	s_and_saveexec_b64 s[80:81], s[74:75]
	s_cbranch_execz .LBB169_7602
; %bb.7601:
	s_waitcnt vmcnt(0) lgkmcnt(0)
	v_trunc_f32_e32 v1, v54
	v_mul_f32_e32 v4, 0x2f800000, v1
	v_floor_f32_e32 v4, v4
	v_fmac_f32_e32 v1, 0xcf800000, v4
	v_cvt_u32_f32_e32 v5, v4
	v_cvt_u32_f32_e32 v4, v1
	s_xor_b64 s[94:95], exec, -1
	s_or_b64 s[84:85], s[4:5], exec
	flat_store_dwordx2 v[2:3], v[4:5]
.LBB169_7602:
	s_or_b64 exec, exec, s[80:81]
	s_andn2_b64 vcc, vcc, exec
	s_and_b64 s[74:75], s[94:95], exec
	s_or_b64 vcc, vcc, s[74:75]
	s_andn2_b64 s[4:5], s[4:5], exec
	s_and_b64 s[74:75], s[84:85], exec
	s_or_b64 s[4:5], s[4:5], s[74:75]
.LBB169_7603:
	s_or_b64 exec, exec, s[82:83]
	v_readlane_b32 s74, v77, 18
	v_readlane_b32 s75, v77, 19
	s_andn2_b64 s[74:75], s[74:75], exec
	s_and_b64 vcc, vcc, exec
	s_or_b64 s[94:95], s[74:75], vcc
	s_and_b64 s[4:5], s[4:5], exec
                                        ; implicit-def: $vgpr2_vgpr3
                                        ; implicit-def: $vgpr54
.LBB169_7604:
	s_andn2_saveexec_b64 s[90:91], s[90:91]
	s_cbranch_execz .LBB169_7620
; %bb.7605:
	v_mov_b32_e32 v1, 26
	v_cmp_gt_i16_sdwa vcc, v62, v1 src0_sel:BYTE_0 src1_sel:DWORD
	s_and_saveexec_b64 s[74:75], vcc
	s_xor_b64 vcc, exec, s[74:75]
	s_cbranch_execz .LBB169_7611
; %bb.7606:
	s_waitcnt vmcnt(0) lgkmcnt(0)
	v_cvt_u32_f32_e32 v1, v54
	v_mov_b32_e32 v4, 27
	v_cmp_gt_i16_sdwa s[74:75], v62, v4 src0_sel:BYTE_0 src1_sel:DWORD
	s_and_saveexec_b64 s[76:77], s[74:75]
	s_xor_b64 s[76:77], exec, s[76:77]
	s_cbranch_execz .LBB169_7608
; %bb.7607:
	flat_store_dword v[2:3], v1
                                        ; implicit-def: $vgpr2_vgpr3
                                        ; implicit-def: $vgpr1
.LBB169_7608:
	s_andn2_saveexec_b64 s[76:77], s[76:77]
	s_cbranch_execz .LBB169_7610
; %bb.7609:
	flat_store_short v[2:3], v1
.LBB169_7610:
	s_or_b64 exec, exec, s[76:77]
                                        ; implicit-def: $vgpr2_vgpr3
                                        ; implicit-def: $vgpr54
.LBB169_7611:
	s_andn2_saveexec_b64 s[96:97], vcc
	s_cbranch_execz .LBB169_7619
; %bb.7612:
	s_waitcnt vmcnt(0) lgkmcnt(0)
	v_and_b32_e32 v1, 0x7fffffff, v54
	s_mov_b32 vcc_lo, 0x43800000
	v_cmp_gt_u32_e32 vcc, vcc_lo, v1
	v_mov_b32_e32 v4, 0x80
	s_and_saveexec_b64 s[84:85], vcc
	s_cbranch_execz .LBB169_7618
; %bb.7613:
	s_mov_b32 vcc_lo, 0x3bffffff
	v_cmp_lt_u32_e32 vcc, vcc_lo, v1
	s_mov_b64 s[82:83], 0
                                        ; implicit-def: $vgpr1
	s_and_saveexec_b64 s[74:75], vcc
	s_xor_b64 vcc, exec, s[74:75]
	s_cbranch_execnz .LBB169_7851
; %bb.7614:
	s_or_saveexec_b64 s[80:81], vcc
                                        ; implicit-def: $sgpr76
	s_xor_b64 exec, exec, s[80:81]
	s_cbranch_execnz .LBB169_7852
.LBB169_7615:
	s_or_b64 exec, exec, s[80:81]
	v_mov_b32_e32 v4, s76
	s_and_saveexec_b64 vcc, s[82:83]
.LBB169_7616:
	v_lshrrev_b32_e32 v4, 24, v54
	s_movk_i32 s74, 0x80
	v_and_or_b32 v4, v4, s74, v1
.LBB169_7617:
	s_or_b64 exec, exec, vcc
.LBB169_7618:
	s_or_b64 exec, exec, s[84:85]
	flat_store_byte v[2:3], v4
.LBB169_7619:
	s_or_b64 exec, exec, s[96:97]
	s_or_b64 s[4:5], s[4:5], exec
.LBB169_7620:
	s_or_b64 exec, exec, s[90:91]
	v_readlane_b32 vcc_lo, v77, 18
	v_readlane_b32 vcc_hi, v77, 19
	s_andn2_b64 vcc, vcc, exec
	s_and_b64 s[74:75], s[94:95], exec
	s_or_b64 s[82:83], vcc, s[74:75]
	s_and_b64 s[4:5], s[4:5], exec
                                        ; implicit-def: $vgpr54
                                        ; implicit-def: $vgpr2_vgpr3
.LBB169_7621:
	s_andn2_saveexec_b64 s[92:93], s[92:93]
	s_cbranch_execz .LBB169_7665
; %bb.7622:
	v_mov_b32_e32 v1, 22
	v_cmp_gt_i16_sdwa vcc, v62, v1 src0_sel:BYTE_0 src1_sel:DWORD
	s_mov_b64 s[96:97], s[4:5]
	s_and_saveexec_b64 s[74:75], vcc
	s_xor_b64 s[94:95], exec, s[74:75]
	s_cbranch_execz .LBB169_7654
; %bb.7623:
	v_mov_b32_e32 v1, 23
	v_cmp_gt_i16_sdwa vcc, v62, v1 src0_sel:BYTE_0 src1_sel:DWORD
	s_and_saveexec_b64 s[74:75], vcc
	s_xor_b64 s[96:97], exec, s[74:75]
	s_cbranch_execz .LBB169_7643
; %bb.7624:
	v_mov_b32_e32 v1, 24
	v_cmp_gt_i16_sdwa vcc, v62, v1 src0_sel:BYTE_0 src1_sel:DWORD
	s_and_saveexec_b64 s[74:75], vcc
	s_xor_b64 s[84:85], exec, s[74:75]
	s_cbranch_execz .LBB169_7632
; %bb.7625:
	s_waitcnt vmcnt(0) lgkmcnt(0)
	v_and_b32_e32 v1, 0x7fffffff, v54
	s_mov_b32 vcc_lo, 0x47800000
	v_cmp_gt_u32_e32 vcc, vcc_lo, v1
	v_mov_b32_e32 v4, 0x80
	s_and_saveexec_b64 s[78:79], vcc
	s_cbranch_execz .LBB169_7631
; %bb.7626:
	s_mov_b32 vcc_lo, 0x37ffffff
	v_cmp_lt_u32_e32 vcc, vcc_lo, v1
	s_mov_b64 s[90:91], 0
                                        ; implicit-def: $vgpr1
	s_and_saveexec_b64 s[74:75], vcc
	s_xor_b64 vcc, exec, s[74:75]
	s_cbranch_execnz .LBB169_7853
; %bb.7627:
	s_or_saveexec_b64 s[80:81], vcc
                                        ; implicit-def: $sgpr76
	s_xor_b64 exec, exec, s[80:81]
	s_cbranch_execnz .LBB169_7854
.LBB169_7628:
	s_or_b64 exec, exec, s[80:81]
	v_mov_b32_e32 v4, s76
	s_and_saveexec_b64 vcc, s[90:91]
.LBB169_7629:
	v_lshrrev_b32_e32 v4, 24, v54
	s_movk_i32 s74, 0x80
	v_and_or_b32 v4, v4, s74, v1
.LBB169_7630:
	s_or_b64 exec, exec, vcc
.LBB169_7631:
	s_or_b64 exec, exec, s[78:79]
	flat_store_byte v[2:3], v4
                                        ; implicit-def: $vgpr54
                                        ; implicit-def: $vgpr2_vgpr3
.LBB169_7632:
	s_andn2_saveexec_b64 s[84:85], s[84:85]
	s_cbranch_execz .LBB169_7642
; %bb.7633:
	s_waitcnt vmcnt(0) lgkmcnt(0)
	v_and_b32_e32 v4, 0x7fffffff, v54
	s_mov_b32 vcc_lo, 0x43f00000
	v_cmp_gt_u32_e32 vcc, vcc_lo, v4
                                        ; implicit-def: $vgpr1
	s_and_saveexec_b64 s[74:75], vcc
	s_xor_b64 s[80:81], exec, s[74:75]
	s_cbranch_execz .LBB169_7639
; %bb.7634:
	s_mov_b32 vcc_lo, 0x3c7fffff
	v_cmp_lt_u32_e32 vcc, vcc_lo, v4
                                        ; implicit-def: $vgpr1
	s_and_saveexec_b64 s[74:75], vcc
	s_xor_b64 s[78:79], exec, s[74:75]
; %bb.7635:
	v_bfe_u32 v1, v54, 20, 1
	s_mov_b32 vcc_lo, 0x407ffff
	v_add3_u32 v1, v54, v1, vcc_lo
	v_lshrrev_b32_e32 v4, 20, v1
	v_and_b32_e32 v1, 0xff00000, v1
	s_mov_b32 vcc_lo, 0x7f00000
	v_mov_b32_e32 v5, 0x7e
	v_cmp_ne_u32_e32 vcc, vcc_lo, v1
	v_cndmask_b32_e32 v1, v5, v4, vcc
; %bb.7636:
	s_andn2_saveexec_b64 vcc, s[78:79]
; %bb.7637:
	s_mov_b32 s74, 0x46800000
	v_add_f32_e64 v1, |v54|, s74
; %bb.7638:
	s_or_b64 exec, exec, vcc
                                        ; implicit-def: $vgpr4
.LBB169_7639:
	s_andn2_saveexec_b64 s[80:81], s[80:81]
; %bb.7640:
	s_mov_b32 vcc_lo, 0x7f800000
	v_mov_b32_e32 v1, 0x7e
	v_mov_b32_e32 v5, 0x7f
	v_cmp_lt_u32_e32 vcc, vcc_lo, v4
	v_cndmask_b32_e32 v1, v1, v5, vcc
; %bb.7641:
	s_or_b64 exec, exec, s[80:81]
	v_lshrrev_b32_e32 v4, 24, v54
	s_movk_i32 vcc_lo, 0x80
	v_and_or_b32 v1, v4, vcc_lo, v1
	flat_store_byte v[2:3], v1
.LBB169_7642:
	s_or_b64 exec, exec, s[84:85]
                                        ; implicit-def: $vgpr54
                                        ; implicit-def: $vgpr2_vgpr3
.LBB169_7643:
	s_andn2_saveexec_b64 s[84:85], s[96:97]
	s_cbranch_execz .LBB169_7653
; %bb.7644:
	s_waitcnt vmcnt(0) lgkmcnt(0)
	v_and_b32_e32 v4, 0x7fffffff, v54
	s_mov_b32 vcc_lo, 0x47800000
	v_cmp_gt_u32_e32 vcc, vcc_lo, v4
                                        ; implicit-def: $vgpr1
	s_and_saveexec_b64 s[74:75], vcc
	s_xor_b64 s[80:81], exec, s[74:75]
	s_cbranch_execz .LBB169_7650
; %bb.7645:
	s_mov_b32 vcc_lo, 0x387fffff
	v_cmp_lt_u32_e32 vcc, vcc_lo, v4
                                        ; implicit-def: $vgpr1
	s_and_saveexec_b64 s[74:75], vcc
	s_xor_b64 vcc, exec, s[74:75]
; %bb.7646:
	v_bfe_u32 v1, v54, 21, 1
	s_mov_b32 s74, 0x80fffff
	v_add3_u32 v1, v54, v1, s74
	v_lshrrev_b32_e32 v1, 21, v1
; %bb.7647:
	s_andn2_saveexec_b64 vcc, vcc
; %bb.7648:
	s_mov_b32 s74, 0x43000000
	v_add_f32_e64 v1, |v54|, s74
; %bb.7649:
	s_or_b64 exec, exec, vcc
                                        ; implicit-def: $vgpr4
.LBB169_7650:
	s_andn2_saveexec_b64 s[80:81], s[80:81]
; %bb.7651:
	s_mov_b32 vcc_lo, 0x7f800000
	v_mov_b32_e32 v1, 0x7c
	v_mov_b32_e32 v5, 0x7f
	v_cmp_lt_u32_e32 vcc, vcc_lo, v4
	v_cndmask_b32_e32 v1, v1, v5, vcc
; %bb.7652:
	s_or_b64 exec, exec, s[80:81]
	v_lshrrev_b32_e32 v4, 24, v54
	s_movk_i32 vcc_lo, 0x80
	v_and_or_b32 v1, v4, vcc_lo, v1
	flat_store_byte v[2:3], v1
.LBB169_7653:
	s_or_b64 exec, exec, s[84:85]
	s_or_b64 s[96:97], s[4:5], exec
                                        ; implicit-def: $vgpr54
                                        ; implicit-def: $vgpr2_vgpr3
.LBB169_7654:
	s_or_saveexec_b64 s[94:95], s[94:95]
	s_mov_b64 vcc, s[82:83]
	s_xor_b64 exec, exec, s[94:95]
	s_cbranch_execz .LBB169_7664
; %bb.7655:
	v_mov_b32_e32 v1, 14
	v_cmp_gt_i16_sdwa vcc, v62, v1 src0_sel:BYTE_0 src1_sel:DWORD
	s_mov_b64 s[84:85], s[96:97]
	s_mov_b64 s[90:91], s[82:83]
	s_and_saveexec_b64 s[74:75], vcc
	s_xor_b64 s[80:81], exec, s[74:75]
	s_cbranch_execz .LBB169_7659
; %bb.7656:
	v_mov_b32_e32 v1, 15
	v_cmp_eq_u16_sdwa s[74:75], v62, v1 src0_sel:BYTE_0 src1_sel:DWORD
	s_mov_b64 s[78:79], -1
	s_mov_b64 vcc, s[96:97]
	s_and_saveexec_b64 s[84:85], s[74:75]
	s_cbranch_execz .LBB169_7658
; %bb.7657:
	s_waitcnt vmcnt(0) lgkmcnt(0)
	v_bfe_u32 v1, v54, 16, 1
	s_movk_i32 vcc_lo, 0x7fff
	v_add3_u32 v1, v54, v1, vcc_lo
	v_lshrrev_b32_e32 v1, 16, v1
	v_mov_b32_e32 v4, 0x7fc0
	v_cmp_o_f32_e32 vcc, v54, v54
	v_cndmask_b32_e32 v1, v4, v1, vcc
	flat_store_short v[2:3], v1
	s_xor_b64 s[78:79], exec, -1
	s_or_b64 vcc, s[96:97], exec
.LBB169_7658:
	s_or_b64 exec, exec, s[84:85]
	s_andn2_b64 s[74:75], s[82:83], exec
	s_and_b64 s[76:77], s[78:79], exec
	s_or_b64 s[90:91], s[74:75], s[76:77]
	s_andn2_b64 s[74:75], s[96:97], exec
	s_and_b64 vcc, vcc, exec
	s_or_b64 s[84:85], s[74:75], vcc
                                        ; implicit-def: $vgpr54
                                        ; implicit-def: $vgpr2_vgpr3
.LBB169_7659:
	s_andn2_saveexec_b64 s[80:81], s[80:81]
	s_cbranch_execz .LBB169_7663
; %bb.7660:
	v_mov_b32_e32 v1, 11
	v_cmp_eq_u16_sdwa s[74:75], v62, v1 src0_sel:BYTE_0 src1_sel:DWORD
	s_mov_b64 s[78:79], -1
	s_mov_b64 vcc, s[84:85]
	s_and_saveexec_b64 s[76:77], s[74:75]
	s_cbranch_execz .LBB169_7662
; %bb.7661:
	s_waitcnt vmcnt(0) lgkmcnt(0)
	v_cmp_neq_f32_e32 vcc, 0, v54
	v_cndmask_b32_e64 v1, 0, 1, vcc
	flat_store_byte v[2:3], v1
	s_xor_b64 s[78:79], exec, -1
	s_or_b64 vcc, s[84:85], exec
.LBB169_7662:
	s_or_b64 exec, exec, s[76:77]
	s_andn2_b64 s[74:75], s[90:91], exec
	s_and_b64 s[76:77], s[78:79], exec
	s_or_b64 s[90:91], s[74:75], s[76:77]
	s_andn2_b64 s[74:75], s[84:85], exec
	s_and_b64 vcc, vcc, exec
	s_or_b64 s[84:85], s[74:75], vcc
.LBB169_7663:
	s_or_b64 exec, exec, s[80:81]
	s_andn2_b64 vcc, s[82:83], exec
	s_and_b64 s[74:75], s[90:91], exec
	s_or_b64 vcc, vcc, s[74:75]
	s_andn2_b64 s[74:75], s[96:97], exec
	s_and_b64 s[76:77], s[84:85], exec
	s_or_b64 s[96:97], s[74:75], s[76:77]
.LBB169_7664:
	s_or_b64 exec, exec, s[94:95]
	s_andn2_b64 s[74:75], s[82:83], exec
	s_and_b64 vcc, vcc, exec
	s_or_b64 s[82:83], s[74:75], vcc
	s_andn2_b64 s[4:5], s[4:5], exec
	s_and_b64 vcc, s[96:97], exec
	s_or_b64 s[4:5], s[4:5], vcc
.LBB169_7665:
	s_or_b64 exec, exec, s[92:93]
	v_readlane_b32 vcc_lo, v77, 18
	v_readlane_b32 vcc_hi, v77, 19
	s_andn2_b64 vcc, vcc, exec
	s_and_b64 s[74:75], s[82:83], exec
	s_or_b64 s[90:91], vcc, s[74:75]
	s_and_b64 s[4:5], s[4:5], exec
                                        ; implicit-def: $vgpr54
                                        ; implicit-def: $vgpr2_vgpr3
	s_andn2_saveexec_b64 s[86:87], s[86:87]
	s_cbranch_execz .LBB169_4007
.LBB169_7666:
	v_mov_b32_e32 v1, 4
	v_cmp_gt_i16_sdwa vcc, v62, v1 src0_sel:BYTE_0 src1_sel:DWORD
	s_and_saveexec_b64 s[74:75], vcc
	s_xor_b64 vcc, exec, s[74:75]
	s_cbranch_execz .LBB169_7688
; %bb.7667:
	v_mov_b32_e32 v1, 7
	v_cmp_gt_i16_sdwa s[74:75], v62, v1 src0_sel:BYTE_0 src1_sel:DWORD
	s_and_saveexec_b64 s[76:77], s[74:75]
	s_xor_b64 s[84:85], exec, s[76:77]
	s_cbranch_execz .LBB169_7677
; %bb.7668:
	v_mov_b32_e32 v1, 8
	v_cmp_gt_i16_sdwa s[74:75], v62, v1 src0_sel:BYTE_0 src1_sel:DWORD
	s_and_saveexec_b64 s[76:77], s[74:75]
	s_xor_b64 s[82:83], exec, s[76:77]
	;; [unrolled: 6-line block ×3, first 2 shown]
	s_cbranch_execz .LBB169_7671
; %bb.7670:
	v_mov_b32_e32 v6, 0
	s_waitcnt vmcnt(0) lgkmcnt(0)
	v_cvt_f64_f32_e32 v[4:5], v54
	v_mov_b32_e32 v7, v6
	flat_store_dwordx4 v[2:3], v[4:7]
                                        ; implicit-def: $vgpr54
                                        ; implicit-def: $vgpr2_vgpr3
.LBB169_7671:
	s_andn2_saveexec_b64 s[76:77], s[78:79]
	s_cbranch_execz .LBB169_7673
; %bb.7672:
	v_mov_b32_e32 v55, 0
	s_waitcnt vmcnt(0) lgkmcnt(0)
	flat_store_dwordx2 v[2:3], v[54:55]
.LBB169_7673:
	s_or_b64 exec, exec, s[76:77]
                                        ; implicit-def: $vgpr54
                                        ; implicit-def: $vgpr2_vgpr3
.LBB169_7674:
	s_andn2_saveexec_b64 s[76:77], s[82:83]
	s_cbranch_execz .LBB169_7676
; %bb.7675:
	s_waitcnt vmcnt(0) lgkmcnt(0)
	v_cvt_f16_f32_e32 v1, v54
	flat_store_dword v[2:3], v1
.LBB169_7676:
	s_or_b64 exec, exec, s[76:77]
                                        ; implicit-def: $vgpr54
                                        ; implicit-def: $vgpr2_vgpr3
.LBB169_7677:
	s_andn2_saveexec_b64 s[82:83], s[84:85]
	s_cbranch_execz .LBB169_7687
; %bb.7678:
	v_mov_b32_e32 v1, 5
	v_cmp_gt_i16_sdwa s[74:75], v62, v1 src0_sel:BYTE_0 src1_sel:DWORD
	s_and_saveexec_b64 s[76:77], s[74:75]
	s_xor_b64 s[80:81], exec, s[76:77]
	s_cbranch_execz .LBB169_7684
; %bb.7679:
	v_mov_b32_e32 v1, 6
	v_cmp_gt_i16_sdwa s[74:75], v62, v1 src0_sel:BYTE_0 src1_sel:DWORD
	s_and_saveexec_b64 s[76:77], s[74:75]
	s_xor_b64 s[76:77], exec, s[76:77]
	s_cbranch_execz .LBB169_7681
; %bb.7680:
	s_waitcnt vmcnt(0) lgkmcnt(0)
	v_cvt_f64_f32_e32 v[4:5], v54
	flat_store_dwordx2 v[2:3], v[4:5]
                                        ; implicit-def: $vgpr2_vgpr3
                                        ; implicit-def: $vgpr54
.LBB169_7681:
	s_andn2_saveexec_b64 s[76:77], s[76:77]
	s_cbranch_execz .LBB169_7683
; %bb.7682:
	s_waitcnt vmcnt(0) lgkmcnt(0)
	flat_store_dword v[2:3], v54
.LBB169_7683:
	s_or_b64 exec, exec, s[76:77]
                                        ; implicit-def: $vgpr54
                                        ; implicit-def: $vgpr2_vgpr3
.LBB169_7684:
	s_andn2_saveexec_b64 s[76:77], s[80:81]
	s_cbranch_execz .LBB169_7686
; %bb.7685:
	s_waitcnt vmcnt(0) lgkmcnt(0)
	v_cvt_f16_f32_e32 v1, v54
	flat_store_short v[2:3], v1
.LBB169_7686:
	s_or_b64 exec, exec, s[76:77]
.LBB169_7687:
	s_or_b64 exec, exec, s[82:83]
                                        ; implicit-def: $vgpr54
                                        ; implicit-def: $vgpr2_vgpr3
.LBB169_7688:
	s_andn2_saveexec_b64 s[92:93], vcc
	s_cbranch_execz .LBB169_7706
; %bb.7689:
	v_mov_b32_e32 v1, 1
	v_cmp_gt_i16_sdwa vcc, v62, v1 src0_sel:BYTE_0 src1_sel:DWORD
	s_and_saveexec_b64 s[74:75], vcc
	s_xor_b64 s[84:85], exec, s[74:75]
	s_cbranch_execz .LBB169_7699
; %bb.7690:
	v_mov_b32_e32 v1, 2
	v_cmp_gt_i16_sdwa vcc, v62, v1 src0_sel:BYTE_0 src1_sel:DWORD
	s_and_saveexec_b64 s[74:75], vcc
	s_xor_b64 s[82:83], exec, s[74:75]
	;; [unrolled: 6-line block ×3, first 2 shown]
	s_cbranch_execz .LBB169_7693
; %bb.7692:
	s_waitcnt vmcnt(0) lgkmcnt(0)
	v_trunc_f32_e32 v1, v54
	s_mov_b32 s74, 0x2f800000
	v_mul_f32_e64 v4, |v1|, s74
	v_floor_f32_e32 v4, v4
	s_mov_b32 s74, 0xcf800000
	v_cvt_u32_f32_e32 v5, v4
	v_fma_f32 v4, v4, s74, |v1|
	v_cvt_u32_f32_e32 v4, v4
	v_ashrrev_i32_e32 v1, 31, v1
	v_xor_b32_e32 v5, v5, v1
                                        ; implicit-def: $vgpr54
	v_xor_b32_e32 v4, v4, v1
	v_sub_co_u32_e32 v4, vcc, v4, v1
	v_subb_co_u32_e32 v5, vcc, v5, v1, vcc
	flat_store_dwordx2 v[2:3], v[4:5]
                                        ; implicit-def: $vgpr2_vgpr3
.LBB169_7693:
	s_andn2_saveexec_b64 vcc, s[80:81]
	s_cbranch_execz .LBB169_7695
; %bb.7694:
	s_waitcnt vmcnt(0) lgkmcnt(0)
	v_cvt_i32_f32_e32 v1, v54
	flat_store_dword v[2:3], v1
.LBB169_7695:
	s_or_b64 exec, exec, vcc
                                        ; implicit-def: $vgpr54
                                        ; implicit-def: $vgpr2_vgpr3
.LBB169_7696:
	s_andn2_saveexec_b64 vcc, s[82:83]
	s_cbranch_execz .LBB169_7698
; %bb.7697:
	s_waitcnt vmcnt(0) lgkmcnt(0)
	v_cvt_i32_f32_e32 v1, v54
	flat_store_short v[2:3], v1
.LBB169_7698:
	s_or_b64 exec, exec, vcc
                                        ; implicit-def: $vgpr54
                                        ; implicit-def: $vgpr2_vgpr3
.LBB169_7699:
	s_andn2_saveexec_b64 vcc, s[84:85]
	s_cbranch_execz .LBB169_7705
; %bb.7700:
	v_mov_b32_e32 v1, 0
	v_cmp_gt_i16_sdwa s[74:75], v62, v1 src0_sel:BYTE_0 src1_sel:DWORD
	s_and_saveexec_b64 s[76:77], s[74:75]
	s_xor_b64 s[76:77], exec, s[76:77]
	s_cbranch_execz .LBB169_7702
; %bb.7701:
	s_waitcnt vmcnt(0) lgkmcnt(0)
	v_cvt_i32_f32_e32 v1, v54
                                        ; implicit-def: $vgpr54
	flat_store_byte v[2:3], v1
                                        ; implicit-def: $vgpr2_vgpr3
.LBB169_7702:
	s_andn2_saveexec_b64 s[80:81], s[76:77]
	s_cbranch_execz .LBB169_7704
; %bb.7703:
	s_waitcnt vmcnt(0) lgkmcnt(0)
	v_trunc_f32_e32 v1, v54
	s_mov_b32 s74, 0x2f800000
	v_mul_f32_e64 v4, |v1|, s74
	v_floor_f32_e32 v4, v4
	s_mov_b32 s74, 0xcf800000
	v_fma_f32 v4, v4, s74, |v1|
	v_cvt_u32_f32_e32 v4, v4
	v_ashrrev_i32_e32 v1, 31, v1
	v_xor_b32_e32 v4, v4, v1
	v_sub_u32_e32 v1, v4, v1
	flat_store_byte v[2:3], v1
.LBB169_7704:
	s_or_b64 exec, exec, s[80:81]
.LBB169_7705:
	s_or_b64 exec, exec, vcc
.LBB169_7706:
	s_or_b64 exec, exec, s[92:93]
	s_or_b64 s[4:5], s[4:5], exec
	s_or_b64 exec, exec, s[86:87]
	s_mov_b64 vcc, 0
	s_and_saveexec_b64 s[76:77], s[4:5]
	s_cbranch_execnz .LBB169_4008
	s_branch .LBB169_4009
.LBB169_7707:
	v_bfe_u32 v1, v82, 21, 1
	s_mov_b32 s80, 0x88fffff
	v_add3_u32 v1, v82, v1, s80
	s_mov_b64 s[78:79], exec
	v_lshrrev_b32_e32 v1, 21, v1
	s_or_saveexec_b64 s[80:81], vcc
                                        ; implicit-def: $sgpr82
	s_xor_b64 exec, exec, s[80:81]
	s_cbranch_execz .LBB169_6872
.LBB169_7708:
	s_mov_b32 s82, 0x42800000
	v_add_f32_e64 v1, |v82|, s82
	v_and_b32_e32 v1, 0xff, v1
	v_cmp_ne_u32_e32 vcc, 0, v1
	s_andn2_b64 s[78:79], s[78:79], exec
	s_and_b64 vcc, vcc, exec
	s_mov_b32 s82, 0
	s_or_b64 s[78:79], s[78:79], vcc
	s_or_b64 exec, exec, s[80:81]
	v_mov_b32_e32 v4, s82
	s_and_saveexec_b64 vcc, s[78:79]
	s_cbranch_execnz .LBB169_6873
	s_branch .LBB169_6874
.LBB169_7709:
	v_bfe_u32 v1, v80, 20, 1
	s_mov_b32 s82, 0x487ffff
	v_add3_u32 v1, v80, v1, s82
	s_mov_b64 s[80:81], exec
	v_lshrrev_b32_e32 v1, 20, v1
	s_or_saveexec_b64 s[82:83], vcc
                                        ; implicit-def: $sgpr84
	s_xor_b64 exec, exec, s[82:83]
	s_cbranch_execz .LBB169_6985
.LBB169_7710:
	s_mov_b32 s84, 0x46000000
	v_add_f32_e64 v1, |v80|, s84
	v_and_b32_e32 v1, 0xff, v1
	v_cmp_ne_u32_e32 vcc, 0, v1
	s_andn2_b64 s[80:81], s[80:81], exec
	s_and_b64 vcc, vcc, exec
	s_mov_b32 s84, 0
	s_or_b64 s[80:81], s[80:81], vcc
	s_or_b64 exec, exec, s[82:83]
	v_mov_b32_e32 v4, s84
	s_and_saveexec_b64 vcc, s[80:81]
	s_cbranch_execnz .LBB169_6986
	s_branch .LBB169_6987
.LBB169_7711:
	v_mov_b32_e32 v1, 25
	v_readlane_b32 s94, v77, 22
	v_cmp_gt_i16_sdwa s[4:5], v62, v1 src0_sel:BYTE_0 src1_sel:DWORD
	s_mov_b64 s[88:89], 0
	v_readlane_b32 s95, v77, 23
	s_and_saveexec_b64 vcc, s[4:5]
	s_xor_b64 s[96:97], exec, vcc
	s_cbranch_execz .LBB169_7747
; %bb.7712:
	v_mov_b32_e32 v1, 28
	v_readlane_b32 s94, v77, 22
	v_cmp_gt_i16_sdwa vcc, v62, v1 src0_sel:BYTE_0 src1_sel:DWORD
	s_mov_b64 s[4:5], 0
	v_readlane_b32 s95, v77, 23
	s_and_saveexec_b64 s[74:75], vcc
	s_xor_b64 s[88:89], exec, s[74:75]
	s_cbranch_execz .LBB169_7730
; %bb.7713:
	v_mov_b32_e32 v1, 43
	v_readlane_b32 vcc_lo, v77, 22
	v_cmp_gt_i16_sdwa s[74:75], v62, v1 src0_sel:BYTE_0 src1_sel:DWORD
	v_readlane_b32 vcc_hi, v77, 23
	s_and_saveexec_b64 s[76:77], s[74:75]
	s_xor_b64 s[76:77], exec, s[76:77]
	s_cbranch_execz .LBB169_7725
; %bb.7714:
	v_mov_b32_e32 v1, 45
	v_readlane_b32 s84, v77, 22
	v_cmp_gt_i16_sdwa s[4:5], v62, v1 src0_sel:BYTE_0 src1_sel:DWORD
	s_mov_b64 s[86:87], 0
	v_readlane_b32 s85, v77, 23
	s_and_saveexec_b64 vcc, s[4:5]
	s_xor_b64 s[4:5], exec, vcc
	s_cbranch_execz .LBB169_7718
; %bb.7715:
	v_mov_b32_e32 v1, 46
	v_cmp_eq_u16_sdwa s[74:75], v62, v1 src0_sel:BYTE_0 src1_sel:DWORD
	s_mov_b64 vcc, -1
	s_and_saveexec_b64 s[82:83], s[74:75]
	s_cbranch_execz .LBB169_7717
; %bb.7716:
	s_waitcnt vmcnt(0) lgkmcnt(0)
	v_bfe_u32 v1, v52, 16, 1
	s_movk_i32 vcc_lo, 0x7fff
	v_add3_u32 v1, v52, v1, vcc_lo
	v_lshrrev_b32_e32 v1, 16, v1
	v_mov_b32_e32 v4, 0x7fc0
	v_cmp_o_f32_e32 vcc, v52, v52
	v_cndmask_b32_e32 v1, v4, v1, vcc
	s_mov_b64 s[80:81], exec
	flat_store_dword v[2:3], v1
	s_xor_b64 vcc, exec, -1
.LBB169_7717:
	s_or_b64 exec, exec, s[82:83]
	v_readlane_b32 s74, v77, 22
	v_readlane_b32 s75, v77, 23
	s_andn2_b64 s[74:75], s[74:75], exec
	s_and_b64 vcc, vcc, exec
	s_or_b64 s[84:85], s[74:75], vcc
	s_and_b64 s[86:87], s[80:81], exec
                                        ; implicit-def: $vgpr2_vgpr3
                                        ; implicit-def: $vgpr52
.LBB169_7718:
	s_andn2_saveexec_b64 s[94:95], s[4:5]
	s_cbranch_execz .LBB169_7724
; %bb.7719:
	v_mov_b32_e32 v1, 44
	v_cmp_eq_u16_sdwa s[74:75], v62, v1 src0_sel:BYTE_0 src1_sel:DWORD
	s_mov_b64 vcc, -1
	s_mov_b64 s[4:5], s[86:87]
	s_and_saveexec_b64 s[80:81], s[74:75]
	s_cbranch_execz .LBB169_7723
; %bb.7720:
	s_waitcnt vmcnt(0) lgkmcnt(0)
	v_bfe_u32 v1, v52, 23, 8
	s_movk_i32 s4, 0xff
	v_cmp_ne_u32_e32 vcc, s4, v1
	v_mov_b32_e32 v4, 0xff
	s_and_saveexec_b64 s[82:83], vcc
; %bb.7721:
	s_mov_b32 s4, 0x3fffff
	v_and_b32_e32 v5, 0x400000, v52
	v_and_or_b32 v1, v52, s4, v1
	v_cmp_ne_u32_e32 vcc, 0, v5
	v_cmp_ne_u32_e64 s[4:5], 0, v1
	s_and_b64 s[4:5], vcc, s[4:5]
	v_lshrrev_b32_e32 v4, 23, v52
	v_cndmask_b32_e64 v1, 0, 1, s[4:5]
	v_add_u32_e32 v4, v4, v1
; %bb.7722:
	s_or_b64 exec, exec, s[82:83]
	s_xor_b64 vcc, exec, -1
	s_or_b64 s[4:5], s[86:87], exec
	flat_store_byte v[2:3], v4
.LBB169_7723:
	s_or_b64 exec, exec, s[80:81]
	s_andn2_b64 s[74:75], s[84:85], exec
	s_and_b64 vcc, vcc, exec
	s_or_b64 s[84:85], s[74:75], vcc
	s_andn2_b64 vcc, s[86:87], exec
	s_and_b64 s[4:5], s[4:5], exec
	s_or_b64 s[86:87], vcc, s[4:5]
.LBB169_7724:
	s_or_b64 exec, exec, s[94:95]
	v_readlane_b32 s4, v77, 22
	v_readlane_b32 s5, v77, 23
	s_andn2_b64 s[4:5], s[4:5], exec
	s_and_b64 vcc, s[84:85], exec
	s_or_b64 vcc, s[4:5], vcc
	s_and_b64 s[4:5], s[86:87], exec
                                        ; implicit-def: $vgpr52
                                        ; implicit-def: $vgpr2_vgpr3
.LBB169_7725:
	s_andn2_saveexec_b64 s[82:83], s[76:77]
	s_cbranch_execz .LBB169_7729
; %bb.7726:
	v_mov_b32_e32 v1, 29
	v_cmp_eq_u16_sdwa s[74:75], v62, v1 src0_sel:BYTE_0 src1_sel:DWORD
	s_mov_b64 s[86:87], -1
	s_mov_b64 s[84:85], s[4:5]
	s_and_saveexec_b64 s[80:81], s[74:75]
	s_cbranch_execz .LBB169_7728
; %bb.7727:
	s_waitcnt vmcnt(0) lgkmcnt(0)
	v_trunc_f32_e32 v1, v52
	v_mul_f32_e32 v4, 0x2f800000, v1
	v_floor_f32_e32 v4, v4
	v_fmac_f32_e32 v1, 0xcf800000, v4
	v_cvt_u32_f32_e32 v5, v4
	v_cvt_u32_f32_e32 v4, v1
	s_xor_b64 s[86:87], exec, -1
	s_or_b64 s[84:85], s[4:5], exec
	flat_store_dwordx2 v[2:3], v[4:5]
.LBB169_7728:
	s_or_b64 exec, exec, s[80:81]
	s_andn2_b64 vcc, vcc, exec
	s_and_b64 s[74:75], s[86:87], exec
	s_or_b64 vcc, vcc, s[74:75]
	s_andn2_b64 s[4:5], s[4:5], exec
	s_and_b64 s[74:75], s[84:85], exec
	s_or_b64 s[4:5], s[4:5], s[74:75]
.LBB169_7729:
	s_or_b64 exec, exec, s[82:83]
	v_readlane_b32 s74, v77, 22
	v_readlane_b32 s75, v77, 23
	s_andn2_b64 s[74:75], s[74:75], exec
	s_and_b64 vcc, vcc, exec
	s_or_b64 s[94:95], s[74:75], vcc
	s_and_b64 s[4:5], s[4:5], exec
                                        ; implicit-def: $vgpr2_vgpr3
                                        ; implicit-def: $vgpr52
.LBB169_7730:
	s_andn2_saveexec_b64 s[88:89], s[88:89]
	s_cbranch_execz .LBB169_7746
; %bb.7731:
	v_mov_b32_e32 v1, 26
	v_cmp_gt_i16_sdwa vcc, v62, v1 src0_sel:BYTE_0 src1_sel:DWORD
	s_and_saveexec_b64 s[74:75], vcc
	s_xor_b64 vcc, exec, s[74:75]
	s_cbranch_execz .LBB169_7737
; %bb.7732:
	s_waitcnt vmcnt(0) lgkmcnt(0)
	v_cvt_u32_f32_e32 v1, v52
	v_mov_b32_e32 v4, 27
	v_cmp_gt_i16_sdwa s[74:75], v62, v4 src0_sel:BYTE_0 src1_sel:DWORD
	s_and_saveexec_b64 s[76:77], s[74:75]
	s_xor_b64 s[76:77], exec, s[76:77]
	s_cbranch_execz .LBB169_7734
; %bb.7733:
	flat_store_dword v[2:3], v1
                                        ; implicit-def: $vgpr2_vgpr3
                                        ; implicit-def: $vgpr1
.LBB169_7734:
	s_andn2_saveexec_b64 s[76:77], s[76:77]
	s_cbranch_execz .LBB169_7736
; %bb.7735:
	flat_store_short v[2:3], v1
.LBB169_7736:
	s_or_b64 exec, exec, s[76:77]
                                        ; implicit-def: $vgpr2_vgpr3
                                        ; implicit-def: $vgpr52
.LBB169_7737:
	s_andn2_saveexec_b64 s[86:87], vcc
	s_cbranch_execz .LBB169_7745
; %bb.7738:
	s_waitcnt vmcnt(0) lgkmcnt(0)
	v_and_b32_e32 v1, 0x7fffffff, v52
	s_mov_b32 vcc_lo, 0x43800000
	v_cmp_gt_u32_e32 vcc, vcc_lo, v1
	v_mov_b32_e32 v4, 0x80
	s_and_saveexec_b64 s[84:85], vcc
	s_cbranch_execz .LBB169_7744
; %bb.7739:
	s_mov_b32 vcc_lo, 0x3bffffff
	v_cmp_lt_u32_e32 vcc, vcc_lo, v1
	s_mov_b64 s[82:83], 0
                                        ; implicit-def: $vgpr1
	s_and_saveexec_b64 s[74:75], vcc
	s_xor_b64 vcc, exec, s[74:75]
	s_cbranch_execnz .LBB169_7855
; %bb.7740:
	s_or_saveexec_b64 s[80:81], vcc
                                        ; implicit-def: $sgpr76
	s_xor_b64 exec, exec, s[80:81]
	s_cbranch_execnz .LBB169_7856
.LBB169_7741:
	s_or_b64 exec, exec, s[80:81]
	v_mov_b32_e32 v4, s76
	s_and_saveexec_b64 vcc, s[82:83]
.LBB169_7742:
	v_lshrrev_b32_e32 v4, 24, v52
	s_movk_i32 s74, 0x80
	v_and_or_b32 v4, v4, s74, v1
.LBB169_7743:
	s_or_b64 exec, exec, vcc
.LBB169_7744:
	s_or_b64 exec, exec, s[84:85]
	flat_store_byte v[2:3], v4
.LBB169_7745:
	s_or_b64 exec, exec, s[86:87]
	s_or_b64 s[4:5], s[4:5], exec
.LBB169_7746:
	s_or_b64 exec, exec, s[88:89]
	v_readlane_b32 vcc_lo, v77, 22
	v_readlane_b32 vcc_hi, v77, 23
	s_andn2_b64 vcc, vcc, exec
	s_and_b64 s[74:75], s[94:95], exec
	s_or_b64 s[94:95], vcc, s[74:75]
	s_and_b64 s[88:89], s[4:5], exec
                                        ; implicit-def: $vgpr52
                                        ; implicit-def: $vgpr2_vgpr3
.LBB169_7747:
	s_andn2_saveexec_b64 s[96:97], s[96:97]
	s_cbranch_execz .LBB169_7791
; %bb.7748:
	v_mov_b32_e32 v1, 22
	v_cmp_gt_i16_sdwa vcc, v62, v1 src0_sel:BYTE_0 src1_sel:DWORD
	s_mov_b64 s[4:5], s[88:89]
	s_and_saveexec_b64 s[74:75], vcc
	s_xor_b64 s[86:87], exec, s[74:75]
	s_cbranch_execz .LBB169_7780
; %bb.7749:
	v_mov_b32_e32 v1, 23
	v_cmp_gt_i16_sdwa s[4:5], v62, v1 src0_sel:BYTE_0 src1_sel:DWORD
	s_and_saveexec_b64 vcc, s[4:5]
	s_xor_b64 vcc, exec, vcc
	v_writelane_b32 v77, vcc_lo, 28
	v_writelane_b32 v77, vcc_hi, 29
	s_cbranch_execz .LBB169_7769
; %bb.7750:
	v_mov_b32_e32 v1, 24
	v_cmp_gt_i16_sdwa s[4:5], v62, v1 src0_sel:BYTE_0 src1_sel:DWORD
	s_and_saveexec_b64 vcc, s[4:5]
	s_xor_b64 s[4:5], exec, vcc
	s_cbranch_execz .LBB169_7758
; %bb.7751:
	s_waitcnt vmcnt(0) lgkmcnt(0)
	v_and_b32_e32 v1, 0x7fffffff, v52
	s_mov_b32 vcc_lo, 0x47800000
	v_cmp_gt_u32_e32 vcc, vcc_lo, v1
	v_mov_b32_e32 v4, 0x80
	s_and_saveexec_b64 s[84:85], vcc
	s_cbranch_execz .LBB169_7757
; %bb.7752:
	s_mov_b32 vcc_lo, 0x37ffffff
	v_cmp_lt_u32_e32 vcc, vcc_lo, v1
	s_mov_b64 s[82:83], 0
                                        ; implicit-def: $vgpr1
	s_and_saveexec_b64 s[74:75], vcc
	s_xor_b64 vcc, exec, s[74:75]
	s_cbranch_execnz .LBB169_7981
; %bb.7753:
	s_or_saveexec_b64 s[80:81], vcc
                                        ; implicit-def: $sgpr76
	s_xor_b64 exec, exec, s[80:81]
	s_cbranch_execnz .LBB169_7982
.LBB169_7754:
	s_or_b64 exec, exec, s[80:81]
	v_mov_b32_e32 v4, s76
	s_and_saveexec_b64 vcc, s[82:83]
.LBB169_7755:
	v_lshrrev_b32_e32 v4, 24, v52
	s_movk_i32 s74, 0x80
	v_and_or_b32 v4, v4, s74, v1
.LBB169_7756:
	s_or_b64 exec, exec, vcc
.LBB169_7757:
	s_or_b64 exec, exec, s[84:85]
	flat_store_byte v[2:3], v4
                                        ; implicit-def: $vgpr52
                                        ; implicit-def: $vgpr2_vgpr3
.LBB169_7758:
	s_andn2_saveexec_b64 s[4:5], s[4:5]
	s_cbranch_execz .LBB169_7768
; %bb.7759:
	s_waitcnt vmcnt(0) lgkmcnt(0)
	v_and_b32_e32 v4, 0x7fffffff, v52
	s_mov_b32 vcc_lo, 0x43f00000
	v_cmp_gt_u32_e32 vcc, vcc_lo, v4
                                        ; implicit-def: $vgpr1
	s_and_saveexec_b64 s[74:75], vcc
	s_xor_b64 s[80:81], exec, s[74:75]
	s_cbranch_execz .LBB169_7765
; %bb.7760:
	s_mov_b32 vcc_lo, 0x3c7fffff
	v_cmp_lt_u32_e32 vcc, vcc_lo, v4
                                        ; implicit-def: $vgpr1
	s_and_saveexec_b64 s[74:75], vcc
	s_xor_b64 s[78:79], exec, s[74:75]
; %bb.7761:
	v_bfe_u32 v1, v52, 20, 1
	s_mov_b32 vcc_lo, 0x407ffff
	v_add3_u32 v1, v52, v1, vcc_lo
	v_lshrrev_b32_e32 v4, 20, v1
	v_and_b32_e32 v1, 0xff00000, v1
	s_mov_b32 vcc_lo, 0x7f00000
	v_mov_b32_e32 v5, 0x7e
	v_cmp_ne_u32_e32 vcc, vcc_lo, v1
	v_cndmask_b32_e32 v1, v5, v4, vcc
; %bb.7762:
	s_andn2_saveexec_b64 vcc, s[78:79]
; %bb.7763:
	s_mov_b32 s74, 0x46800000
	v_add_f32_e64 v1, |v52|, s74
; %bb.7764:
	s_or_b64 exec, exec, vcc
                                        ; implicit-def: $vgpr4
.LBB169_7765:
	s_andn2_saveexec_b64 s[80:81], s[80:81]
; %bb.7766:
	s_mov_b32 vcc_lo, 0x7f800000
	v_mov_b32_e32 v1, 0x7e
	v_mov_b32_e32 v5, 0x7f
	v_cmp_lt_u32_e32 vcc, vcc_lo, v4
	v_cndmask_b32_e32 v1, v1, v5, vcc
; %bb.7767:
	s_or_b64 exec, exec, s[80:81]
	v_lshrrev_b32_e32 v4, 24, v52
	s_movk_i32 vcc_lo, 0x80
	v_and_or_b32 v1, v4, vcc_lo, v1
	flat_store_byte v[2:3], v1
.LBB169_7768:
	s_or_b64 exec, exec, s[4:5]
                                        ; implicit-def: $vgpr52
                                        ; implicit-def: $vgpr2_vgpr3
.LBB169_7769:
	v_readlane_b32 s4, v77, 28
	v_readlane_b32 s5, v77, 29
	s_andn2_saveexec_b64 s[4:5], s[4:5]
	s_cbranch_execz .LBB169_7779
; %bb.7770:
	s_waitcnt vmcnt(0) lgkmcnt(0)
	v_and_b32_e32 v4, 0x7fffffff, v52
	s_mov_b32 vcc_lo, 0x47800000
	v_cmp_gt_u32_e32 vcc, vcc_lo, v4
                                        ; implicit-def: $vgpr1
	s_and_saveexec_b64 s[74:75], vcc
	s_xor_b64 s[80:81], exec, s[74:75]
	s_cbranch_execz .LBB169_7776
; %bb.7771:
	s_mov_b32 vcc_lo, 0x387fffff
	v_cmp_lt_u32_e32 vcc, vcc_lo, v4
                                        ; implicit-def: $vgpr1
	s_and_saveexec_b64 s[74:75], vcc
	s_xor_b64 vcc, exec, s[74:75]
; %bb.7772:
	v_bfe_u32 v1, v52, 21, 1
	s_mov_b32 s74, 0x80fffff
	v_add3_u32 v1, v52, v1, s74
	v_lshrrev_b32_e32 v1, 21, v1
; %bb.7773:
	s_andn2_saveexec_b64 vcc, vcc
; %bb.7774:
	s_mov_b32 s74, 0x43000000
	v_add_f32_e64 v1, |v52|, s74
; %bb.7775:
	s_or_b64 exec, exec, vcc
                                        ; implicit-def: $vgpr4
.LBB169_7776:
	s_andn2_saveexec_b64 s[80:81], s[80:81]
; %bb.7777:
	s_mov_b32 vcc_lo, 0x7f800000
	v_mov_b32_e32 v1, 0x7c
	v_mov_b32_e32 v5, 0x7f
	v_cmp_lt_u32_e32 vcc, vcc_lo, v4
	v_cndmask_b32_e32 v1, v1, v5, vcc
; %bb.7778:
	s_or_b64 exec, exec, s[80:81]
	v_lshrrev_b32_e32 v4, 24, v52
	s_movk_i32 vcc_lo, 0x80
	v_and_or_b32 v1, v4, vcc_lo, v1
	flat_store_byte v[2:3], v1
.LBB169_7779:
	s_or_b64 exec, exec, s[4:5]
	s_or_b64 s[4:5], s[88:89], exec
                                        ; implicit-def: $vgpr52
                                        ; implicit-def: $vgpr2_vgpr3
.LBB169_7780:
	s_or_saveexec_b64 s[86:87], s[86:87]
	s_mov_b64 vcc, s[94:95]
	s_xor_b64 exec, exec, s[86:87]
	s_cbranch_execz .LBB169_7790
; %bb.7781:
	v_mov_b32_e32 v1, 14
	v_cmp_gt_i16_sdwa vcc, v62, v1 src0_sel:BYTE_0 src1_sel:DWORD
	s_mov_b64 s[84:85], s[4:5]
	s_mov_b64 s[82:83], s[94:95]
	s_and_saveexec_b64 s[74:75], vcc
	s_xor_b64 s[80:81], exec, s[74:75]
	s_cbranch_execz .LBB169_7785
; %bb.7782:
	v_mov_b32_e32 v1, 15
	v_cmp_eq_u16_sdwa s[74:75], v62, v1 src0_sel:BYTE_0 src1_sel:DWORD
	s_mov_b64 s[78:79], -1
	s_mov_b64 vcc, s[4:5]
	s_and_saveexec_b64 s[82:83], s[74:75]
	s_cbranch_execz .LBB169_7784
; %bb.7783:
	s_waitcnt vmcnt(0) lgkmcnt(0)
	v_bfe_u32 v1, v52, 16, 1
	s_movk_i32 vcc_lo, 0x7fff
	v_add3_u32 v1, v52, v1, vcc_lo
	v_lshrrev_b32_e32 v1, 16, v1
	v_mov_b32_e32 v4, 0x7fc0
	v_cmp_o_f32_e32 vcc, v52, v52
	v_cndmask_b32_e32 v1, v4, v1, vcc
	flat_store_short v[2:3], v1
	s_xor_b64 s[78:79], exec, -1
	s_or_b64 vcc, s[4:5], exec
.LBB169_7784:
	s_or_b64 exec, exec, s[82:83]
	s_andn2_b64 s[74:75], s[94:95], exec
	s_and_b64 s[76:77], s[78:79], exec
	s_or_b64 s[82:83], s[74:75], s[76:77]
	s_andn2_b64 s[74:75], s[4:5], exec
	s_and_b64 vcc, vcc, exec
	s_or_b64 s[84:85], s[74:75], vcc
                                        ; implicit-def: $vgpr52
                                        ; implicit-def: $vgpr2_vgpr3
.LBB169_7785:
	s_andn2_saveexec_b64 s[80:81], s[80:81]
	s_cbranch_execz .LBB169_7789
; %bb.7786:
	v_mov_b32_e32 v1, 11
	v_cmp_eq_u16_sdwa s[74:75], v62, v1 src0_sel:BYTE_0 src1_sel:DWORD
	s_mov_b64 s[78:79], -1
	s_mov_b64 vcc, s[84:85]
	s_and_saveexec_b64 s[76:77], s[74:75]
	s_cbranch_execz .LBB169_7788
; %bb.7787:
	s_waitcnt vmcnt(0) lgkmcnt(0)
	v_cmp_neq_f32_e32 vcc, 0, v52
	v_cndmask_b32_e64 v1, 0, 1, vcc
	flat_store_byte v[2:3], v1
	s_xor_b64 s[78:79], exec, -1
	s_or_b64 vcc, s[84:85], exec
.LBB169_7788:
	s_or_b64 exec, exec, s[76:77]
	s_andn2_b64 s[74:75], s[82:83], exec
	s_and_b64 s[76:77], s[78:79], exec
	s_or_b64 s[82:83], s[74:75], s[76:77]
	s_andn2_b64 s[74:75], s[84:85], exec
	s_and_b64 vcc, vcc, exec
	s_or_b64 s[84:85], s[74:75], vcc
.LBB169_7789:
	s_or_b64 exec, exec, s[80:81]
	s_andn2_b64 vcc, s[94:95], exec
	s_and_b64 s[74:75], s[82:83], exec
	s_or_b64 vcc, vcc, s[74:75]
	s_andn2_b64 s[4:5], s[4:5], exec
	s_and_b64 s[74:75], s[84:85], exec
	s_or_b64 s[4:5], s[4:5], s[74:75]
.LBB169_7790:
	s_or_b64 exec, exec, s[86:87]
	s_andn2_b64 s[74:75], s[94:95], exec
	s_and_b64 vcc, vcc, exec
	s_or_b64 s[94:95], s[74:75], vcc
	s_andn2_b64 vcc, s[88:89], exec
	s_and_b64 s[4:5], s[4:5], exec
	s_or_b64 s[88:89], vcc, s[4:5]
.LBB169_7791:
	s_or_b64 exec, exec, s[96:97]
	v_readlane_b32 s4, v77, 22
	v_readlane_b32 s5, v77, 23
	s_andn2_b64 s[4:5], s[4:5], exec
	s_and_b64 vcc, s[94:95], exec
	s_or_b64 s[94:95], s[4:5], vcc
	s_and_b64 s[4:5], s[88:89], exec
                                        ; implicit-def: $vgpr52
                                        ; implicit-def: $vgpr2_vgpr3
	s_andn2_saveexec_b64 s[90:91], s[90:91]
	s_cbranch_execz .LBB169_4014
.LBB169_7792:
	v_mov_b32_e32 v1, 4
	v_cmp_gt_i16_sdwa vcc, v62, v1 src0_sel:BYTE_0 src1_sel:DWORD
	s_and_saveexec_b64 s[74:75], vcc
	s_xor_b64 vcc, exec, s[74:75]
	s_cbranch_execz .LBB169_7814
; %bb.7793:
	v_mov_b32_e32 v1, 7
	v_cmp_gt_i16_sdwa s[74:75], v62, v1 src0_sel:BYTE_0 src1_sel:DWORD
	s_and_saveexec_b64 s[76:77], s[74:75]
	s_xor_b64 s[84:85], exec, s[76:77]
	s_cbranch_execz .LBB169_7803
; %bb.7794:
	v_mov_b32_e32 v1, 8
	v_cmp_gt_i16_sdwa s[74:75], v62, v1 src0_sel:BYTE_0 src1_sel:DWORD
	s_and_saveexec_b64 s[76:77], s[74:75]
	s_xor_b64 s[82:83], exec, s[76:77]
	;; [unrolled: 6-line block ×3, first 2 shown]
	s_cbranch_execz .LBB169_7797
; %bb.7796:
	v_mov_b32_e32 v6, 0
	s_waitcnt vmcnt(0) lgkmcnt(0)
	v_cvt_f64_f32_e32 v[4:5], v52
	v_mov_b32_e32 v7, v6
	flat_store_dwordx4 v[2:3], v[4:7]
                                        ; implicit-def: $vgpr52
                                        ; implicit-def: $vgpr2_vgpr3
.LBB169_7797:
	s_andn2_saveexec_b64 s[76:77], s[78:79]
	s_cbranch_execz .LBB169_7799
; %bb.7798:
	s_waitcnt vmcnt(0) lgkmcnt(0)
	v_mov_b32_e32 v53, 0
	flat_store_dwordx2 v[2:3], v[52:53]
.LBB169_7799:
	s_or_b64 exec, exec, s[76:77]
                                        ; implicit-def: $vgpr52
                                        ; implicit-def: $vgpr2_vgpr3
.LBB169_7800:
	s_andn2_saveexec_b64 s[76:77], s[82:83]
	s_cbranch_execz .LBB169_7802
; %bb.7801:
	s_waitcnt vmcnt(0) lgkmcnt(0)
	v_cvt_f16_f32_e32 v1, v52
	flat_store_dword v[2:3], v1
.LBB169_7802:
	s_or_b64 exec, exec, s[76:77]
                                        ; implicit-def: $vgpr52
                                        ; implicit-def: $vgpr2_vgpr3
.LBB169_7803:
	s_andn2_saveexec_b64 s[82:83], s[84:85]
	s_cbranch_execz .LBB169_7813
; %bb.7804:
	v_mov_b32_e32 v1, 5
	v_cmp_gt_i16_sdwa s[74:75], v62, v1 src0_sel:BYTE_0 src1_sel:DWORD
	s_and_saveexec_b64 s[76:77], s[74:75]
	s_xor_b64 s[80:81], exec, s[76:77]
	s_cbranch_execz .LBB169_7810
; %bb.7805:
	v_mov_b32_e32 v1, 6
	v_cmp_gt_i16_sdwa s[74:75], v62, v1 src0_sel:BYTE_0 src1_sel:DWORD
	s_and_saveexec_b64 s[76:77], s[74:75]
	s_xor_b64 s[76:77], exec, s[76:77]
	s_cbranch_execz .LBB169_7807
; %bb.7806:
	s_waitcnt vmcnt(0) lgkmcnt(0)
	v_cvt_f64_f32_e32 v[4:5], v52
	flat_store_dwordx2 v[2:3], v[4:5]
                                        ; implicit-def: $vgpr2_vgpr3
                                        ; implicit-def: $vgpr52
.LBB169_7807:
	s_andn2_saveexec_b64 s[76:77], s[76:77]
	s_cbranch_execz .LBB169_7809
; %bb.7808:
	s_waitcnt vmcnt(0) lgkmcnt(0)
	flat_store_dword v[2:3], v52
.LBB169_7809:
	s_or_b64 exec, exec, s[76:77]
                                        ; implicit-def: $vgpr52
                                        ; implicit-def: $vgpr2_vgpr3
.LBB169_7810:
	s_andn2_saveexec_b64 s[76:77], s[80:81]
	s_cbranch_execz .LBB169_7812
; %bb.7811:
	s_waitcnt vmcnt(0) lgkmcnt(0)
	v_cvt_f16_f32_e32 v1, v52
	flat_store_short v[2:3], v1
.LBB169_7812:
	s_or_b64 exec, exec, s[76:77]
.LBB169_7813:
	s_or_b64 exec, exec, s[82:83]
                                        ; implicit-def: $vgpr52
                                        ; implicit-def: $vgpr2_vgpr3
.LBB169_7814:
	s_andn2_saveexec_b64 s[88:89], vcc
	s_cbranch_execz .LBB169_7832
; %bb.7815:
	v_mov_b32_e32 v1, 1
	v_cmp_gt_i16_sdwa vcc, v62, v1 src0_sel:BYTE_0 src1_sel:DWORD
	s_and_saveexec_b64 s[74:75], vcc
	s_xor_b64 s[84:85], exec, s[74:75]
	s_cbranch_execz .LBB169_7825
; %bb.7816:
	v_mov_b32_e32 v1, 2
	v_cmp_gt_i16_sdwa vcc, v62, v1 src0_sel:BYTE_0 src1_sel:DWORD
	s_and_saveexec_b64 s[74:75], vcc
	s_xor_b64 s[82:83], exec, s[74:75]
	;; [unrolled: 6-line block ×3, first 2 shown]
	s_cbranch_execz .LBB169_7819
; %bb.7818:
	s_waitcnt vmcnt(0) lgkmcnt(0)
	v_trunc_f32_e32 v1, v52
	s_mov_b32 s74, 0x2f800000
	v_mul_f32_e64 v4, |v1|, s74
	v_floor_f32_e32 v4, v4
	s_mov_b32 s74, 0xcf800000
	v_cvt_u32_f32_e32 v5, v4
	v_fma_f32 v4, v4, s74, |v1|
	v_cvt_u32_f32_e32 v4, v4
	v_ashrrev_i32_e32 v1, 31, v1
	v_xor_b32_e32 v5, v5, v1
                                        ; implicit-def: $vgpr52
	v_xor_b32_e32 v4, v4, v1
	v_sub_co_u32_e32 v4, vcc, v4, v1
	v_subb_co_u32_e32 v5, vcc, v5, v1, vcc
	flat_store_dwordx2 v[2:3], v[4:5]
                                        ; implicit-def: $vgpr2_vgpr3
.LBB169_7819:
	s_andn2_saveexec_b64 vcc, s[80:81]
	s_cbranch_execz .LBB169_7821
; %bb.7820:
	s_waitcnt vmcnt(0) lgkmcnt(0)
	v_cvt_i32_f32_e32 v1, v52
	flat_store_dword v[2:3], v1
.LBB169_7821:
	s_or_b64 exec, exec, vcc
                                        ; implicit-def: $vgpr52
                                        ; implicit-def: $vgpr2_vgpr3
.LBB169_7822:
	s_andn2_saveexec_b64 vcc, s[82:83]
	s_cbranch_execz .LBB169_7824
; %bb.7823:
	s_waitcnt vmcnt(0) lgkmcnt(0)
	v_cvt_i32_f32_e32 v1, v52
	flat_store_short v[2:3], v1
.LBB169_7824:
	s_or_b64 exec, exec, vcc
                                        ; implicit-def: $vgpr52
                                        ; implicit-def: $vgpr2_vgpr3
.LBB169_7825:
	s_andn2_saveexec_b64 vcc, s[84:85]
	s_cbranch_execz .LBB169_7831
; %bb.7826:
	v_mov_b32_e32 v1, 0
	v_cmp_gt_i16_sdwa s[74:75], v62, v1 src0_sel:BYTE_0 src1_sel:DWORD
	s_and_saveexec_b64 s[76:77], s[74:75]
	s_xor_b64 s[76:77], exec, s[76:77]
	s_cbranch_execz .LBB169_7828
; %bb.7827:
	s_waitcnt vmcnt(0) lgkmcnt(0)
	v_cvt_i32_f32_e32 v1, v52
                                        ; implicit-def: $vgpr52
	flat_store_byte v[2:3], v1
                                        ; implicit-def: $vgpr2_vgpr3
.LBB169_7828:
	s_andn2_saveexec_b64 s[80:81], s[76:77]
	s_cbranch_execz .LBB169_7830
; %bb.7829:
	s_waitcnt vmcnt(0) lgkmcnt(0)
	v_trunc_f32_e32 v1, v52
	s_mov_b32 s74, 0x2f800000
	v_mul_f32_e64 v4, |v1|, s74
	v_floor_f32_e32 v4, v4
	s_mov_b32 s74, 0xcf800000
	v_fma_f32 v4, v4, s74, |v1|
	v_cvt_u32_f32_e32 v4, v4
	v_ashrrev_i32_e32 v1, 31, v1
	v_xor_b32_e32 v4, v4, v1
	v_sub_u32_e32 v1, v4, v1
	flat_store_byte v[2:3], v1
.LBB169_7830:
	s_or_b64 exec, exec, s[80:81]
.LBB169_7831:
	s_or_b64 exec, exec, vcc
.LBB169_7832:
	s_or_b64 exec, exec, s[88:89]
	s_or_b64 s[4:5], s[4:5], exec
	s_or_b64 exec, exec, s[90:91]
	s_mov_b64 vcc, 0
	s_and_saveexec_b64 s[76:77], s[4:5]
	s_cbranch_execnz .LBB169_4015
	s_branch .LBB169_4016
.LBB169_7833:
	v_bfe_u32 v1, v80, 21, 1
	s_mov_b32 s84, 0x88fffff
	v_add3_u32 v1, v80, v1, s84
	s_mov_b64 s[82:83], exec
	v_lshrrev_b32_e32 v1, 21, v1
	s_or_saveexec_b64 s[84:85], vcc
                                        ; implicit-def: $sgpr86
	s_xor_b64 exec, exec, s[84:85]
	s_cbranch_execz .LBB169_6998
.LBB169_7834:
	s_mov_b32 s86, 0x42800000
	v_add_f32_e64 v1, |v80|, s86
	v_and_b32_e32 v1, 0xff, v1
	v_cmp_ne_u32_e32 vcc, 0, v1
	s_andn2_b64 s[82:83], s[82:83], exec
	s_and_b64 vcc, vcc, exec
	s_mov_b32 s86, 0
	s_or_b64 s[82:83], s[82:83], vcc
	s_or_b64 exec, exec, s[84:85]
	v_mov_b32_e32 v4, s86
	s_and_saveexec_b64 vcc, s[82:83]
	s_cbranch_execnz .LBB169_6999
	s_branch .LBB169_7000
.LBB169_7835:
	v_bfe_u32 v1, v70, 20, 1
	s_mov_b32 s86, 0x487ffff
	v_add3_u32 v1, v70, v1, s86
	s_mov_b64 s[84:85], exec
	v_lshrrev_b32_e32 v1, 20, v1
	s_or_saveexec_b64 s[86:87], vcc
                                        ; implicit-def: $sgpr88
	s_xor_b64 exec, exec, s[86:87]
	s_cbranch_execz .LBB169_7111
.LBB169_7836:
	s_mov_b32 s88, 0x46000000
	v_add_f32_e64 v1, |v70|, s88
	v_and_b32_e32 v1, 0xff, v1
	v_cmp_ne_u32_e32 vcc, 0, v1
	s_andn2_b64 s[84:85], s[84:85], exec
	s_and_b64 vcc, vcc, exec
	s_mov_b32 s88, 0
	s_or_b64 s[84:85], s[84:85], vcc
	s_or_b64 exec, exec, s[86:87]
	v_mov_b32_e32 v4, s88
	s_and_saveexec_b64 vcc, s[84:85]
	s_cbranch_execnz .LBB169_7112
	s_branch .LBB169_7113
.LBB169_7837:
	v_bfe_u32 v1, v70, 21, 1
	s_mov_b32 s88, 0x88fffff
	v_add3_u32 v1, v70, v1, s88
	s_mov_b64 s[86:87], exec
	v_lshrrev_b32_e32 v1, 21, v1
	s_or_saveexec_b64 s[88:89], vcc
                                        ; implicit-def: $sgpr90
	s_xor_b64 exec, exec, s[88:89]
	s_cbranch_execz .LBB169_7124
.LBB169_7838:
	s_mov_b32 s90, 0x42800000
	v_add_f32_e64 v1, |v70|, s90
	v_and_b32_e32 v1, 0xff, v1
	v_cmp_ne_u32_e32 vcc, 0, v1
	s_andn2_b64 s[86:87], s[86:87], exec
	s_and_b64 vcc, vcc, exec
	s_mov_b32 s90, 0
	s_or_b64 s[86:87], s[86:87], vcc
	s_or_b64 exec, exec, s[88:89]
	v_mov_b32_e32 v4, s90
	s_and_saveexec_b64 vcc, s[86:87]
	s_cbranch_execnz .LBB169_7125
	s_branch .LBB169_7126
.LBB169_7839:
	v_bfe_u32 v1, v68, 20, 1
	s_mov_b32 s90, 0x487ffff
	v_add3_u32 v1, v68, v1, s90
	s_mov_b64 s[88:89], exec
	v_lshrrev_b32_e32 v1, 20, v1
	s_or_saveexec_b64 s[90:91], vcc
                                        ; implicit-def: $sgpr92
	s_xor_b64 exec, exec, s[90:91]
	s_cbranch_execz .LBB169_7237
.LBB169_7840:
	s_mov_b32 s92, 0x46000000
	v_add_f32_e64 v1, |v68|, s92
	v_and_b32_e32 v1, 0xff, v1
	v_cmp_ne_u32_e32 vcc, 0, v1
	s_andn2_b64 s[88:89], s[88:89], exec
	s_and_b64 vcc, vcc, exec
	s_mov_b32 s92, 0
	s_or_b64 s[88:89], s[88:89], vcc
	s_or_b64 exec, exec, s[90:91]
	v_mov_b32_e32 v4, s92
	s_and_saveexec_b64 vcc, s[88:89]
	s_cbranch_execnz .LBB169_7238
	s_branch .LBB169_7239
.LBB169_7841:
	v_bfe_u32 v1, v68, 21, 1
	s_mov_b32 s92, 0x88fffff
	v_add3_u32 v1, v68, v1, s92
	s_mov_b64 s[90:91], exec
	v_lshrrev_b32_e32 v1, 21, v1
	s_or_saveexec_b64 s[92:93], vcc
                                        ; implicit-def: $sgpr94
	s_xor_b64 exec, exec, s[92:93]
	s_cbranch_execz .LBB169_7250
.LBB169_7842:
	s_mov_b32 s94, 0x42800000
	v_add_f32_e64 v1, |v68|, s94
	v_and_b32_e32 v1, 0xff, v1
	v_cmp_ne_u32_e32 vcc, 0, v1
	s_andn2_b64 s[90:91], s[90:91], exec
	s_and_b64 vcc, vcc, exec
	s_mov_b32 s94, 0
	s_or_b64 s[90:91], s[90:91], vcc
	s_or_b64 exec, exec, s[92:93]
	v_mov_b32_e32 v4, s94
	s_and_saveexec_b64 vcc, s[90:91]
	s_cbranch_execnz .LBB169_7251
	s_branch .LBB169_7252
.LBB169_7843:
	v_bfe_u32 v1, v66, 20, 1
	s_mov_b32 s74, 0x487ffff
	v_add3_u32 v1, v66, v1, s74
	s_mov_b64 s[92:93], exec
	v_lshrrev_b32_e32 v1, 20, v1
	s_or_saveexec_b64 s[94:95], vcc
                                        ; implicit-def: $sgpr76
	s_xor_b64 exec, exec, s[94:95]
	s_cbranch_execz .LBB169_7363
.LBB169_7844:
	s_mov_b32 s74, 0x46000000
	v_add_f32_e64 v1, |v66|, s74
	v_and_b32_e32 v1, 0xff, v1
	v_cmp_ne_u32_e32 vcc, 0, v1
	s_andn2_b64 s[74:75], s[92:93], exec
	s_and_b64 vcc, vcc, exec
	s_mov_b32 s76, 0
	s_or_b64 s[92:93], s[74:75], vcc
	s_or_b64 exec, exec, s[94:95]
	v_mov_b32_e32 v4, s76
	s_and_saveexec_b64 vcc, s[92:93]
	s_cbranch_execnz .LBB169_7364
	s_branch .LBB169_7365
.LBB169_7845:
	v_bfe_u32 v1, v66, 21, 1
	s_mov_b32 s74, 0x88fffff
	v_add3_u32 v1, v66, v1, s74
	s_mov_b64 s[94:95], exec
	v_lshrrev_b32_e32 v1, 21, v1
	s_or_saveexec_b64 s[96:97], vcc
                                        ; implicit-def: $sgpr76
	s_xor_b64 exec, exec, s[96:97]
	s_cbranch_execz .LBB169_7376
.LBB169_7846:
	s_mov_b32 s74, 0x42800000
	v_add_f32_e64 v1, |v66|, s74
	v_and_b32_e32 v1, 0xff, v1
	v_cmp_ne_u32_e32 vcc, 0, v1
	s_andn2_b64 s[74:75], s[94:95], exec
	s_and_b64 vcc, vcc, exec
	s_mov_b32 s76, 0
	s_or_b64 s[94:95], s[74:75], vcc
	s_or_b64 exec, exec, s[96:97]
	v_mov_b32_e32 v4, s76
	s_and_saveexec_b64 vcc, s[94:95]
	s_cbranch_execnz .LBB169_7377
	s_branch .LBB169_7378
.LBB169_7847:
	v_bfe_u32 v1, v64, 20, 1
	s_mov_b32 s74, 0x487ffff
	v_add3_u32 v1, v64, v1, s74
	s_mov_b64 s[96:97], exec
	v_lshrrev_b32_e32 v1, 20, v1
	s_or_saveexec_b64 s[80:81], vcc
                                        ; implicit-def: $sgpr76
	s_xor_b64 exec, exec, s[80:81]
	s_cbranch_execz .LBB169_7489
.LBB169_7848:
	s_mov_b32 s74, 0x46000000
	v_add_f32_e64 v1, |v64|, s74
	v_and_b32_e32 v1, 0xff, v1
	v_cmp_ne_u32_e32 vcc, 0, v1
	s_andn2_b64 s[74:75], s[96:97], exec
	s_and_b64 vcc, vcc, exec
	s_mov_b32 s76, 0
	s_or_b64 s[96:97], s[74:75], vcc
	s_or_b64 exec, exec, s[80:81]
	v_mov_b32_e32 v4, s76
	s_and_saveexec_b64 vcc, s[96:97]
	s_cbranch_execnz .LBB169_7490
	s_branch .LBB169_7491
.LBB169_7849:
	v_bfe_u32 v1, v64, 21, 1
	s_mov_b32 s74, 0x88fffff
	v_add3_u32 v1, v64, v1, s74
	s_mov_b64 s[78:79], exec
	v_lshrrev_b32_e32 v1, 21, v1
	s_or_saveexec_b64 s[80:81], vcc
                                        ; implicit-def: $sgpr76
	s_xor_b64 exec, exec, s[80:81]
	s_cbranch_execz .LBB169_7502
.LBB169_7850:
	s_mov_b32 s74, 0x42800000
	v_add_f32_e64 v1, |v64|, s74
	v_and_b32_e32 v1, 0xff, v1
	v_cmp_ne_u32_e32 vcc, 0, v1
	s_andn2_b64 s[74:75], s[78:79], exec
	s_and_b64 vcc, vcc, exec
	s_mov_b32 s76, 0
	s_or_b64 s[78:79], s[74:75], vcc
	s_or_b64 exec, exec, s[80:81]
	v_mov_b32_e32 v4, s76
	s_and_saveexec_b64 vcc, s[78:79]
	s_cbranch_execnz .LBB169_7503
	s_branch .LBB169_7504
.LBB169_7851:
	v_bfe_u32 v1, v54, 20, 1
	s_mov_b32 s74, 0x487ffff
	v_add3_u32 v1, v54, v1, s74
	s_mov_b64 s[82:83], exec
	v_lshrrev_b32_e32 v1, 20, v1
	s_or_saveexec_b64 s[80:81], vcc
                                        ; implicit-def: $sgpr76
	s_xor_b64 exec, exec, s[80:81]
	s_cbranch_execz .LBB169_7615
.LBB169_7852:
	s_mov_b32 s74, 0x46000000
	v_add_f32_e64 v1, |v54|, s74
	v_and_b32_e32 v1, 0xff, v1
	v_cmp_ne_u32_e32 vcc, 0, v1
	s_andn2_b64 s[74:75], s[82:83], exec
	s_and_b64 vcc, vcc, exec
	s_mov_b32 s76, 0
	s_or_b64 s[82:83], s[74:75], vcc
	s_or_b64 exec, exec, s[80:81]
	v_mov_b32_e32 v4, s76
	s_and_saveexec_b64 vcc, s[82:83]
	s_cbranch_execnz .LBB169_7616
	s_branch .LBB169_7617
.LBB169_7853:
	v_bfe_u32 v1, v54, 21, 1
	s_mov_b32 s74, 0x88fffff
	v_add3_u32 v1, v54, v1, s74
	s_mov_b64 s[90:91], exec
	v_lshrrev_b32_e32 v1, 21, v1
	s_or_saveexec_b64 s[80:81], vcc
                                        ; implicit-def: $sgpr76
	s_xor_b64 exec, exec, s[80:81]
	s_cbranch_execz .LBB169_7628
.LBB169_7854:
	s_mov_b32 s74, 0x42800000
	v_add_f32_e64 v1, |v54|, s74
	v_and_b32_e32 v1, 0xff, v1
	v_cmp_ne_u32_e32 vcc, 0, v1
	s_andn2_b64 s[74:75], s[90:91], exec
	s_and_b64 vcc, vcc, exec
	s_mov_b32 s76, 0
	s_or_b64 s[90:91], s[74:75], vcc
	s_or_b64 exec, exec, s[80:81]
	v_mov_b32_e32 v4, s76
	s_and_saveexec_b64 vcc, s[90:91]
	s_cbranch_execnz .LBB169_7629
	s_branch .LBB169_7630
.LBB169_7855:
	v_bfe_u32 v1, v52, 20, 1
	s_mov_b32 s74, 0x487ffff
	v_add3_u32 v1, v52, v1, s74
	s_mov_b64 s[82:83], exec
	v_lshrrev_b32_e32 v1, 20, v1
	s_or_saveexec_b64 s[80:81], vcc
                                        ; implicit-def: $sgpr76
	s_xor_b64 exec, exec, s[80:81]
	s_cbranch_execz .LBB169_7741
.LBB169_7856:
	s_mov_b32 s74, 0x46000000
	v_add_f32_e64 v1, |v52|, s74
	v_and_b32_e32 v1, 0xff, v1
	v_cmp_ne_u32_e32 vcc, 0, v1
	s_andn2_b64 s[74:75], s[82:83], exec
	s_and_b64 vcc, vcc, exec
	s_mov_b32 s76, 0
	s_or_b64 s[82:83], s[74:75], vcc
	s_or_b64 exec, exec, s[80:81]
	v_mov_b32_e32 v4, s76
	s_and_saveexec_b64 vcc, s[82:83]
	s_cbranch_execnz .LBB169_7742
	s_branch .LBB169_7743
.LBB169_7857:
	v_bfe_u32 v1, v50, 20, 1
	s_mov_b32 s74, 0x487ffff
	v_add3_u32 v1, v50, v1, s74
	s_mov_b64 s[82:83], exec
	v_lshrrev_b32_e32 v1, 20, v1
	s_or_saveexec_b64 s[80:81], vcc
                                        ; implicit-def: $sgpr76
	s_xor_b64 exec, exec, s[80:81]
	s_cbranch_execz .LBB169_4050
.LBB169_7858:
	s_mov_b32 s74, 0x46000000
	v_add_f32_e64 v1, |v50|, s74
	v_and_b32_e32 v1, 0xff, v1
	v_cmp_ne_u32_e32 vcc, 0, v1
	s_andn2_b64 s[74:75], s[82:83], exec
	s_and_b64 vcc, vcc, exec
	s_mov_b32 s76, 0
	s_or_b64 s[82:83], s[74:75], vcc
	s_or_b64 exec, exec, s[80:81]
	v_mov_b32_e32 v4, s76
	s_and_saveexec_b64 vcc, s[82:83]
	s_cbranch_execnz .LBB169_4051
	s_branch .LBB169_4052
.LBB169_7859:
	v_mov_b32_e32 v1, 25
	v_readlane_b32 s92, v77, 62
	v_cmp_gt_i16_sdwa s[4:5], v62, v1 src0_sel:BYTE_0 src1_sel:DWORD
	s_mov_b64 s[88:89], 0
	v_readlane_b32 s93, v77, 63
	s_and_saveexec_b64 vcc, s[4:5]
	s_xor_b64 s[90:91], exec, vcc
	s_cbranch_execz .LBB169_7895
; %bb.7860:
	v_mov_b32_e32 v1, 28
	v_readlane_b32 s92, v77, 62
	v_cmp_gt_i16_sdwa vcc, v62, v1 src0_sel:BYTE_0 src1_sel:DWORD
	s_mov_b64 s[4:5], 0
	v_readlane_b32 s93, v77, 63
	s_and_saveexec_b64 s[74:75], vcc
	s_xor_b64 s[88:89], exec, s[74:75]
	s_cbranch_execz .LBB169_7878
; %bb.7861:
	v_mov_b32_e32 v1, 43
	v_readlane_b32 vcc_lo, v77, 62
	v_cmp_gt_i16_sdwa s[74:75], v62, v1 src0_sel:BYTE_0 src1_sel:DWORD
	v_readlane_b32 vcc_hi, v77, 63
	s_and_saveexec_b64 s[76:77], s[74:75]
	s_xor_b64 s[76:77], exec, s[76:77]
	s_cbranch_execz .LBB169_7873
; %bb.7862:
	v_mov_b32_e32 v1, 45
	v_readlane_b32 s84, v77, 62
	v_cmp_gt_i16_sdwa s[4:5], v62, v1 src0_sel:BYTE_0 src1_sel:DWORD
	s_mov_b64 s[86:87], 0
	v_readlane_b32 s85, v77, 63
	s_and_saveexec_b64 vcc, s[4:5]
	s_xor_b64 s[4:5], exec, vcc
	s_cbranch_execz .LBB169_7866
; %bb.7863:
	v_mov_b32_e32 v1, 46
	v_cmp_eq_u16_sdwa s[74:75], v62, v1 src0_sel:BYTE_0 src1_sel:DWORD
	s_mov_b64 vcc, -1
	s_and_saveexec_b64 s[82:83], s[74:75]
	s_cbranch_execz .LBB169_7865
; %bb.7864:
	v_bfe_u32 v1, v32, 16, 1
	s_movk_i32 vcc_lo, 0x7fff
	v_add3_u32 v1, v32, v1, vcc_lo
	v_lshrrev_b32_e32 v1, 16, v1
	v_mov_b32_e32 v4, 0x7fc0
	v_cmp_o_f32_e32 vcc, v32, v32
	v_cndmask_b32_e32 v1, v4, v1, vcc
	s_mov_b64 s[80:81], exec
	flat_store_dword v[2:3], v1
	s_xor_b64 vcc, exec, -1
.LBB169_7865:
	s_or_b64 exec, exec, s[82:83]
	v_readlane_b32 s74, v77, 62
	v_readlane_b32 s75, v77, 63
	s_andn2_b64 s[74:75], s[74:75], exec
	s_and_b64 vcc, vcc, exec
	s_or_b64 s[84:85], s[74:75], vcc
	s_and_b64 s[86:87], s[80:81], exec
                                        ; implicit-def: $vgpr2_vgpr3
                                        ; implicit-def: $vgpr32
.LBB169_7866:
	s_andn2_saveexec_b64 s[92:93], s[4:5]
	s_cbranch_execz .LBB169_7872
; %bb.7867:
	v_mov_b32_e32 v1, 44
	v_cmp_eq_u16_sdwa s[74:75], v62, v1 src0_sel:BYTE_0 src1_sel:DWORD
	s_mov_b64 vcc, -1
	s_mov_b64 s[4:5], s[86:87]
	s_and_saveexec_b64 s[80:81], s[74:75]
	s_cbranch_execz .LBB169_7871
; %bb.7868:
	v_bfe_u32 v1, v32, 23, 8
	s_movk_i32 s4, 0xff
	v_cmp_ne_u32_e32 vcc, s4, v1
	v_mov_b32_e32 v4, 0xff
	s_and_saveexec_b64 s[82:83], vcc
; %bb.7869:
	s_mov_b32 s4, 0x3fffff
	v_and_b32_e32 v5, 0x400000, v32
	v_and_or_b32 v1, v32, s4, v1
	v_cmp_ne_u32_e32 vcc, 0, v5
	v_cmp_ne_u32_e64 s[4:5], 0, v1
	s_and_b64 s[4:5], vcc, s[4:5]
	v_lshrrev_b32_e32 v4, 23, v32
	v_cndmask_b32_e64 v1, 0, 1, s[4:5]
	v_add_u32_e32 v4, v4, v1
; %bb.7870:
	s_or_b64 exec, exec, s[82:83]
	s_xor_b64 vcc, exec, -1
	s_or_b64 s[4:5], s[86:87], exec
	flat_store_byte v[2:3], v4
.LBB169_7871:
	s_or_b64 exec, exec, s[80:81]
	s_andn2_b64 s[74:75], s[84:85], exec
	s_and_b64 vcc, vcc, exec
	s_or_b64 s[84:85], s[74:75], vcc
	s_andn2_b64 vcc, s[86:87], exec
	s_and_b64 s[4:5], s[4:5], exec
	s_or_b64 s[86:87], vcc, s[4:5]
.LBB169_7872:
	s_or_b64 exec, exec, s[92:93]
	v_readlane_b32 s4, v77, 62
	v_readlane_b32 s5, v77, 63
	s_andn2_b64 s[4:5], s[4:5], exec
	s_and_b64 vcc, s[84:85], exec
	s_or_b64 vcc, s[4:5], vcc
	s_and_b64 s[4:5], s[86:87], exec
                                        ; implicit-def: $vgpr32
                                        ; implicit-def: $vgpr2_vgpr3
.LBB169_7873:
	s_andn2_saveexec_b64 s[82:83], s[76:77]
	s_cbranch_execz .LBB169_7877
; %bb.7874:
	v_mov_b32_e32 v1, 29
	v_cmp_eq_u16_sdwa s[74:75], v62, v1 src0_sel:BYTE_0 src1_sel:DWORD
	s_mov_b64 s[86:87], -1
	s_mov_b64 s[84:85], s[4:5]
	s_and_saveexec_b64 s[80:81], s[74:75]
	s_cbranch_execz .LBB169_7876
; %bb.7875:
	v_trunc_f32_e32 v1, v32
	v_mul_f32_e32 v4, 0x2f800000, v1
	v_floor_f32_e32 v4, v4
	v_fmac_f32_e32 v1, 0xcf800000, v4
	v_cvt_u32_f32_e32 v5, v4
	v_cvt_u32_f32_e32 v4, v1
	s_xor_b64 s[86:87], exec, -1
	s_or_b64 s[84:85], s[4:5], exec
	flat_store_dwordx2 v[2:3], v[4:5]
.LBB169_7876:
	s_or_b64 exec, exec, s[80:81]
	s_andn2_b64 vcc, vcc, exec
	s_and_b64 s[74:75], s[86:87], exec
	s_or_b64 vcc, vcc, s[74:75]
	s_andn2_b64 s[4:5], s[4:5], exec
	s_and_b64 s[74:75], s[84:85], exec
	s_or_b64 s[4:5], s[4:5], s[74:75]
.LBB169_7877:
	s_or_b64 exec, exec, s[82:83]
	v_readlane_b32 s74, v77, 62
	v_readlane_b32 s75, v77, 63
	s_andn2_b64 s[74:75], s[74:75], exec
	s_and_b64 vcc, vcc, exec
	s_or_b64 s[92:93], s[74:75], vcc
	s_and_b64 s[4:5], s[4:5], exec
                                        ; implicit-def: $vgpr2_vgpr3
                                        ; implicit-def: $vgpr32
.LBB169_7878:
	s_andn2_saveexec_b64 s[88:89], s[88:89]
	s_cbranch_execz .LBB169_7894
; %bb.7879:
	v_mov_b32_e32 v1, 26
	v_cmp_gt_i16_sdwa vcc, v62, v1 src0_sel:BYTE_0 src1_sel:DWORD
	s_and_saveexec_b64 s[74:75], vcc
	s_xor_b64 vcc, exec, s[74:75]
	s_cbranch_execz .LBB169_7885
; %bb.7880:
	v_cvt_u32_f32_e32 v1, v32
	v_mov_b32_e32 v4, 27
	v_cmp_gt_i16_sdwa s[74:75], v62, v4 src0_sel:BYTE_0 src1_sel:DWORD
	s_and_saveexec_b64 s[76:77], s[74:75]
	s_xor_b64 s[76:77], exec, s[76:77]
	s_cbranch_execz .LBB169_7882
; %bb.7881:
	flat_store_dword v[2:3], v1
                                        ; implicit-def: $vgpr2_vgpr3
                                        ; implicit-def: $vgpr1
.LBB169_7882:
	s_andn2_saveexec_b64 s[76:77], s[76:77]
	s_cbranch_execz .LBB169_7884
; %bb.7883:
	flat_store_short v[2:3], v1
.LBB169_7884:
	s_or_b64 exec, exec, s[76:77]
                                        ; implicit-def: $vgpr2_vgpr3
                                        ; implicit-def: $vgpr32
.LBB169_7885:
	s_andn2_saveexec_b64 s[86:87], vcc
	s_cbranch_execz .LBB169_7893
; %bb.7886:
	v_and_b32_e32 v1, 0x7fffffff, v32
	s_mov_b32 vcc_lo, 0x43800000
	v_cmp_gt_u32_e32 vcc, vcc_lo, v1
	v_mov_b32_e32 v4, 0x80
	s_and_saveexec_b64 s[84:85], vcc
	s_cbranch_execz .LBB169_7892
; %bb.7887:
	s_mov_b32 vcc_lo, 0x3bffffff
	v_cmp_lt_u32_e32 vcc, vcc_lo, v1
	s_mov_b64 s[82:83], 0
                                        ; implicit-def: $vgpr1
	s_and_saveexec_b64 s[74:75], vcc
	s_xor_b64 vcc, exec, s[74:75]
	s_cbranch_execnz .LBB169_8001
; %bb.7888:
	s_or_saveexec_b64 s[80:81], vcc
                                        ; implicit-def: $sgpr76
	s_xor_b64 exec, exec, s[80:81]
	s_cbranch_execnz .LBB169_8002
.LBB169_7889:
	s_or_b64 exec, exec, s[80:81]
	v_mov_b32_e32 v4, s76
	s_and_saveexec_b64 vcc, s[82:83]
.LBB169_7890:
	v_lshrrev_b32_e32 v4, 24, v32
	s_movk_i32 s74, 0x80
	v_and_or_b32 v4, v4, s74, v1
.LBB169_7891:
	s_or_b64 exec, exec, vcc
.LBB169_7892:
	s_or_b64 exec, exec, s[84:85]
	flat_store_byte v[2:3], v4
.LBB169_7893:
	s_or_b64 exec, exec, s[86:87]
	s_or_b64 s[4:5], s[4:5], exec
.LBB169_7894:
	s_or_b64 exec, exec, s[88:89]
	v_readlane_b32 vcc_lo, v77, 62
	v_readlane_b32 vcc_hi, v77, 63
	s_andn2_b64 vcc, vcc, exec
	s_and_b64 s[74:75], s[92:93], exec
	s_or_b64 s[92:93], vcc, s[74:75]
	s_and_b64 s[88:89], s[4:5], exec
                                        ; implicit-def: $vgpr32
                                        ; implicit-def: $vgpr2_vgpr3
.LBB169_7895:
	s_andn2_saveexec_b64 s[90:91], s[90:91]
	s_cbranch_execz .LBB169_7939
; %bb.7896:
	v_mov_b32_e32 v1, 22
	v_cmp_gt_i16_sdwa vcc, v62, v1 src0_sel:BYTE_0 src1_sel:DWORD
	s_mov_b64 s[4:5], s[88:89]
	s_and_saveexec_b64 s[74:75], vcc
	s_xor_b64 s[86:87], exec, s[74:75]
	s_cbranch_execz .LBB169_7928
; %bb.7897:
	v_mov_b32_e32 v1, 23
	v_cmp_gt_i16_sdwa s[4:5], v62, v1 src0_sel:BYTE_0 src1_sel:DWORD
	s_and_saveexec_b64 vcc, s[4:5]
	s_xor_b64 vcc, exec, vcc
	v_writelane_b32 v76, vcc_lo, 8
	v_writelane_b32 v76, vcc_hi, 9
	s_cbranch_execz .LBB169_7917
; %bb.7898:
	v_mov_b32_e32 v1, 24
	v_cmp_gt_i16_sdwa s[4:5], v62, v1 src0_sel:BYTE_0 src1_sel:DWORD
	s_and_saveexec_b64 vcc, s[4:5]
	s_xor_b64 s[4:5], exec, vcc
	s_cbranch_execz .LBB169_7906
; %bb.7899:
	v_and_b32_e32 v1, 0x7fffffff, v32
	s_mov_b32 vcc_lo, 0x47800000
	v_cmp_gt_u32_e32 vcc, vcc_lo, v1
	v_mov_b32_e32 v4, 0x80
	s_and_saveexec_b64 s[84:85], vcc
	s_cbranch_execz .LBB169_7905
; %bb.7900:
	s_mov_b32 vcc_lo, 0x37ffffff
	v_cmp_lt_u32_e32 vcc, vcc_lo, v1
	s_mov_b64 s[82:83], 0
                                        ; implicit-def: $vgpr1
	s_and_saveexec_b64 s[74:75], vcc
	s_xor_b64 vcc, exec, s[74:75]
	s_cbranch_execnz .LBB169_8005
; %bb.7901:
	s_or_saveexec_b64 s[80:81], vcc
                                        ; implicit-def: $sgpr76
	s_xor_b64 exec, exec, s[80:81]
	s_cbranch_execnz .LBB169_8006
.LBB169_7902:
	s_or_b64 exec, exec, s[80:81]
	v_mov_b32_e32 v4, s76
	s_and_saveexec_b64 vcc, s[82:83]
.LBB169_7903:
	v_lshrrev_b32_e32 v4, 24, v32
	s_movk_i32 s74, 0x80
	v_and_or_b32 v4, v4, s74, v1
.LBB169_7904:
	s_or_b64 exec, exec, vcc
.LBB169_7905:
	s_or_b64 exec, exec, s[84:85]
	flat_store_byte v[2:3], v4
                                        ; implicit-def: $vgpr32
                                        ; implicit-def: $vgpr2_vgpr3
.LBB169_7906:
	s_andn2_saveexec_b64 s[4:5], s[4:5]
	s_cbranch_execz .LBB169_7916
; %bb.7907:
	v_and_b32_e32 v4, 0x7fffffff, v32
	s_mov_b32 vcc_lo, 0x43f00000
	v_cmp_gt_u32_e32 vcc, vcc_lo, v4
                                        ; implicit-def: $vgpr1
	s_and_saveexec_b64 s[74:75], vcc
	s_xor_b64 s[80:81], exec, s[74:75]
	s_cbranch_execz .LBB169_7913
; %bb.7908:
	s_mov_b32 vcc_lo, 0x3c7fffff
	v_cmp_lt_u32_e32 vcc, vcc_lo, v4
                                        ; implicit-def: $vgpr1
	s_and_saveexec_b64 s[74:75], vcc
	s_xor_b64 s[78:79], exec, s[74:75]
; %bb.7909:
	v_bfe_u32 v1, v32, 20, 1
	s_mov_b32 vcc_lo, 0x407ffff
	v_add3_u32 v1, v32, v1, vcc_lo
	v_lshrrev_b32_e32 v4, 20, v1
	v_and_b32_e32 v1, 0xff00000, v1
	s_mov_b32 vcc_lo, 0x7f00000
	v_mov_b32_e32 v5, 0x7e
	v_cmp_ne_u32_e32 vcc, vcc_lo, v1
	v_cndmask_b32_e32 v1, v5, v4, vcc
; %bb.7910:
	s_andn2_saveexec_b64 vcc, s[78:79]
; %bb.7911:
	s_mov_b32 s74, 0x46800000
	v_add_f32_e64 v1, |v32|, s74
; %bb.7912:
	s_or_b64 exec, exec, vcc
                                        ; implicit-def: $vgpr4
.LBB169_7913:
	s_andn2_saveexec_b64 s[80:81], s[80:81]
; %bb.7914:
	s_mov_b32 vcc_lo, 0x7f800000
	v_mov_b32_e32 v1, 0x7e
	v_mov_b32_e32 v5, 0x7f
	v_cmp_lt_u32_e32 vcc, vcc_lo, v4
	v_cndmask_b32_e32 v1, v1, v5, vcc
; %bb.7915:
	s_or_b64 exec, exec, s[80:81]
	v_lshrrev_b32_e32 v4, 24, v32
	s_movk_i32 vcc_lo, 0x80
	v_and_or_b32 v1, v4, vcc_lo, v1
	flat_store_byte v[2:3], v1
.LBB169_7916:
	s_or_b64 exec, exec, s[4:5]
                                        ; implicit-def: $vgpr32
                                        ; implicit-def: $vgpr2_vgpr3
.LBB169_7917:
	v_readlane_b32 s4, v76, 8
	v_readlane_b32 s5, v76, 9
	s_andn2_saveexec_b64 s[4:5], s[4:5]
	s_cbranch_execz .LBB169_7927
; %bb.7918:
	v_and_b32_e32 v4, 0x7fffffff, v32
	s_mov_b32 vcc_lo, 0x47800000
	v_cmp_gt_u32_e32 vcc, vcc_lo, v4
                                        ; implicit-def: $vgpr1
	s_and_saveexec_b64 s[74:75], vcc
	s_xor_b64 s[80:81], exec, s[74:75]
	s_cbranch_execz .LBB169_7924
; %bb.7919:
	s_mov_b32 vcc_lo, 0x387fffff
	v_cmp_lt_u32_e32 vcc, vcc_lo, v4
                                        ; implicit-def: $vgpr1
	s_and_saveexec_b64 s[74:75], vcc
	s_xor_b64 vcc, exec, s[74:75]
; %bb.7920:
	v_bfe_u32 v1, v32, 21, 1
	s_mov_b32 s74, 0x80fffff
	v_add3_u32 v1, v32, v1, s74
	v_lshrrev_b32_e32 v1, 21, v1
; %bb.7921:
	s_andn2_saveexec_b64 vcc, vcc
; %bb.7922:
	s_mov_b32 s74, 0x43000000
	v_add_f32_e64 v1, |v32|, s74
; %bb.7923:
	s_or_b64 exec, exec, vcc
                                        ; implicit-def: $vgpr4
.LBB169_7924:
	s_andn2_saveexec_b64 s[80:81], s[80:81]
; %bb.7925:
	s_mov_b32 vcc_lo, 0x7f800000
	v_mov_b32_e32 v1, 0x7c
	v_mov_b32_e32 v5, 0x7f
	v_cmp_lt_u32_e32 vcc, vcc_lo, v4
	v_cndmask_b32_e32 v1, v1, v5, vcc
; %bb.7926:
	s_or_b64 exec, exec, s[80:81]
	v_lshrrev_b32_e32 v4, 24, v32
	s_movk_i32 vcc_lo, 0x80
	v_and_or_b32 v1, v4, vcc_lo, v1
	flat_store_byte v[2:3], v1
.LBB169_7927:
	s_or_b64 exec, exec, s[4:5]
	s_or_b64 s[4:5], s[88:89], exec
                                        ; implicit-def: $vgpr32
                                        ; implicit-def: $vgpr2_vgpr3
.LBB169_7928:
	s_or_saveexec_b64 s[86:87], s[86:87]
	s_mov_b64 vcc, s[92:93]
	s_xor_b64 exec, exec, s[86:87]
	s_cbranch_execz .LBB169_7938
; %bb.7929:
	v_mov_b32_e32 v1, 14
	v_cmp_gt_i16_sdwa vcc, v62, v1 src0_sel:BYTE_0 src1_sel:DWORD
	s_mov_b64 s[84:85], s[4:5]
	s_mov_b64 s[82:83], s[92:93]
	s_and_saveexec_b64 s[74:75], vcc
	s_xor_b64 s[80:81], exec, s[74:75]
	s_cbranch_execz .LBB169_7933
; %bb.7930:
	v_mov_b32_e32 v1, 15
	v_cmp_eq_u16_sdwa s[74:75], v62, v1 src0_sel:BYTE_0 src1_sel:DWORD
	s_mov_b64 s[78:79], -1
	s_mov_b64 vcc, s[4:5]
	s_and_saveexec_b64 s[82:83], s[74:75]
	s_cbranch_execz .LBB169_7932
; %bb.7931:
	v_bfe_u32 v1, v32, 16, 1
	s_movk_i32 vcc_lo, 0x7fff
	v_add3_u32 v1, v32, v1, vcc_lo
	v_lshrrev_b32_e32 v1, 16, v1
	v_mov_b32_e32 v4, 0x7fc0
	v_cmp_o_f32_e32 vcc, v32, v32
	v_cndmask_b32_e32 v1, v4, v1, vcc
	flat_store_short v[2:3], v1
	s_xor_b64 s[78:79], exec, -1
	s_or_b64 vcc, s[4:5], exec
.LBB169_7932:
	s_or_b64 exec, exec, s[82:83]
	s_andn2_b64 s[74:75], s[92:93], exec
	s_and_b64 s[76:77], s[78:79], exec
	s_or_b64 s[82:83], s[74:75], s[76:77]
	s_andn2_b64 s[74:75], s[4:5], exec
	s_and_b64 vcc, vcc, exec
	s_or_b64 s[84:85], s[74:75], vcc
                                        ; implicit-def: $vgpr32
                                        ; implicit-def: $vgpr2_vgpr3
.LBB169_7933:
	s_andn2_saveexec_b64 s[80:81], s[80:81]
	s_cbranch_execz .LBB169_7937
; %bb.7934:
	v_mov_b32_e32 v1, 11
	v_cmp_eq_u16_sdwa s[74:75], v62, v1 src0_sel:BYTE_0 src1_sel:DWORD
	s_mov_b64 s[78:79], -1
	s_mov_b64 vcc, s[84:85]
	s_and_saveexec_b64 s[76:77], s[74:75]
	s_cbranch_execz .LBB169_7936
; %bb.7935:
	v_cmp_neq_f32_e32 vcc, 0, v32
	v_cndmask_b32_e64 v1, 0, 1, vcc
	flat_store_byte v[2:3], v1
	s_xor_b64 s[78:79], exec, -1
	s_or_b64 vcc, s[84:85], exec
.LBB169_7936:
	s_or_b64 exec, exec, s[76:77]
	s_andn2_b64 s[74:75], s[82:83], exec
	s_and_b64 s[76:77], s[78:79], exec
	s_or_b64 s[82:83], s[74:75], s[76:77]
	s_andn2_b64 s[74:75], s[84:85], exec
	s_and_b64 vcc, vcc, exec
	s_or_b64 s[84:85], s[74:75], vcc
.LBB169_7937:
	s_or_b64 exec, exec, s[80:81]
	s_andn2_b64 vcc, s[92:93], exec
	s_and_b64 s[74:75], s[82:83], exec
	s_or_b64 vcc, vcc, s[74:75]
	s_andn2_b64 s[4:5], s[4:5], exec
	s_and_b64 s[74:75], s[84:85], exec
	s_or_b64 s[4:5], s[4:5], s[74:75]
.LBB169_7938:
	s_or_b64 exec, exec, s[86:87]
	s_andn2_b64 s[74:75], s[92:93], exec
	s_and_b64 vcc, vcc, exec
	s_or_b64 s[92:93], s[74:75], vcc
	s_andn2_b64 vcc, s[88:89], exec
	s_and_b64 s[4:5], s[4:5], exec
	s_or_b64 s[88:89], vcc, s[4:5]
.LBB169_7939:
	s_or_b64 exec, exec, s[90:91]
	v_readlane_b32 s4, v77, 62
	v_readlane_b32 s5, v77, 63
	s_andn2_b64 s[4:5], s[4:5], exec
	s_and_b64 vcc, s[92:93], exec
	s_or_b64 s[90:91], s[4:5], vcc
	s_and_b64 s[4:5], s[88:89], exec
                                        ; implicit-def: $vgpr32
                                        ; implicit-def: $vgpr2_vgpr3
	s_andn2_saveexec_b64 s[92:93], s[96:97]
	s_cbranch_execz .LBB169_4666
.LBB169_7940:
	v_mov_b32_e32 v1, 4
	v_cmp_gt_i16_sdwa vcc, v62, v1 src0_sel:BYTE_0 src1_sel:DWORD
	s_and_saveexec_b64 s[74:75], vcc
	s_xor_b64 vcc, exec, s[74:75]
	s_cbranch_execz .LBB169_7962
; %bb.7941:
	v_mov_b32_e32 v1, 7
	v_cmp_gt_i16_sdwa s[74:75], v62, v1 src0_sel:BYTE_0 src1_sel:DWORD
	s_and_saveexec_b64 s[76:77], s[74:75]
	s_xor_b64 s[84:85], exec, s[76:77]
	s_cbranch_execz .LBB169_7951
; %bb.7942:
	v_mov_b32_e32 v1, 8
	v_cmp_gt_i16_sdwa s[74:75], v62, v1 src0_sel:BYTE_0 src1_sel:DWORD
	s_and_saveexec_b64 s[76:77], s[74:75]
	s_xor_b64 s[82:83], exec, s[76:77]
	;; [unrolled: 6-line block ×3, first 2 shown]
	s_cbranch_execz .LBB169_7945
; %bb.7944:
	v_mov_b32_e32 v6, 0
	v_cvt_f64_f32_e32 v[4:5], v32
	v_mov_b32_e32 v7, v6
	flat_store_dwordx4 v[2:3], v[4:7]
                                        ; implicit-def: $vgpr32
                                        ; implicit-def: $vgpr2_vgpr3
.LBB169_7945:
	s_andn2_saveexec_b64 s[76:77], s[78:79]
	s_cbranch_execz .LBB169_7947
; %bb.7946:
	v_mov_b32_e32 v33, 0
	flat_store_dwordx2 v[2:3], v[32:33]
.LBB169_7947:
	s_or_b64 exec, exec, s[76:77]
                                        ; implicit-def: $vgpr32
                                        ; implicit-def: $vgpr2_vgpr3
.LBB169_7948:
	s_andn2_saveexec_b64 s[76:77], s[82:83]
	s_cbranch_execz .LBB169_7950
; %bb.7949:
	v_cvt_f16_f32_e32 v1, v32
	flat_store_dword v[2:3], v1
.LBB169_7950:
	s_or_b64 exec, exec, s[76:77]
                                        ; implicit-def: $vgpr32
                                        ; implicit-def: $vgpr2_vgpr3
.LBB169_7951:
	s_andn2_saveexec_b64 s[82:83], s[84:85]
	s_cbranch_execz .LBB169_7961
; %bb.7952:
	v_mov_b32_e32 v1, 5
	v_cmp_gt_i16_sdwa s[74:75], v62, v1 src0_sel:BYTE_0 src1_sel:DWORD
	s_and_saveexec_b64 s[76:77], s[74:75]
	s_xor_b64 s[80:81], exec, s[76:77]
	s_cbranch_execz .LBB169_7958
; %bb.7953:
	v_mov_b32_e32 v1, 6
	v_cmp_gt_i16_sdwa s[74:75], v62, v1 src0_sel:BYTE_0 src1_sel:DWORD
	s_and_saveexec_b64 s[76:77], s[74:75]
	s_xor_b64 s[76:77], exec, s[76:77]
	s_cbranch_execz .LBB169_7955
; %bb.7954:
	v_cvt_f64_f32_e32 v[4:5], v32
	flat_store_dwordx2 v[2:3], v[4:5]
                                        ; implicit-def: $vgpr2_vgpr3
                                        ; implicit-def: $vgpr32
.LBB169_7955:
	s_andn2_saveexec_b64 s[76:77], s[76:77]
	s_cbranch_execz .LBB169_7957
; %bb.7956:
	flat_store_dword v[2:3], v32
.LBB169_7957:
	s_or_b64 exec, exec, s[76:77]
                                        ; implicit-def: $vgpr32
                                        ; implicit-def: $vgpr2_vgpr3
.LBB169_7958:
	s_andn2_saveexec_b64 s[76:77], s[80:81]
	s_cbranch_execz .LBB169_7960
; %bb.7959:
	v_cvt_f16_f32_e32 v1, v32
	flat_store_short v[2:3], v1
.LBB169_7960:
	s_or_b64 exec, exec, s[76:77]
.LBB169_7961:
	s_or_b64 exec, exec, s[82:83]
                                        ; implicit-def: $vgpr32
                                        ; implicit-def: $vgpr2_vgpr3
.LBB169_7962:
	s_andn2_saveexec_b64 s[88:89], vcc
	s_cbranch_execz .LBB169_7980
; %bb.7963:
	v_mov_b32_e32 v1, 1
	v_cmp_gt_i16_sdwa vcc, v62, v1 src0_sel:BYTE_0 src1_sel:DWORD
	s_and_saveexec_b64 s[74:75], vcc
	s_xor_b64 s[84:85], exec, s[74:75]
	s_cbranch_execz .LBB169_7973
; %bb.7964:
	v_mov_b32_e32 v1, 2
	v_cmp_gt_i16_sdwa vcc, v62, v1 src0_sel:BYTE_0 src1_sel:DWORD
	s_and_saveexec_b64 s[74:75], vcc
	s_xor_b64 s[82:83], exec, s[74:75]
	;; [unrolled: 6-line block ×3, first 2 shown]
	s_cbranch_execz .LBB169_7967
; %bb.7966:
	v_trunc_f32_e32 v1, v32
	s_mov_b32 s74, 0x2f800000
	v_mul_f32_e64 v4, |v1|, s74
	v_floor_f32_e32 v4, v4
	s_mov_b32 s74, 0xcf800000
	v_cvt_u32_f32_e32 v5, v4
	v_fma_f32 v4, v4, s74, |v1|
	v_cvt_u32_f32_e32 v4, v4
	v_ashrrev_i32_e32 v1, 31, v1
	v_xor_b32_e32 v5, v5, v1
                                        ; implicit-def: $vgpr32
	v_xor_b32_e32 v4, v4, v1
	v_sub_co_u32_e32 v4, vcc, v4, v1
	v_subb_co_u32_e32 v5, vcc, v5, v1, vcc
	flat_store_dwordx2 v[2:3], v[4:5]
                                        ; implicit-def: $vgpr2_vgpr3
.LBB169_7967:
	s_andn2_saveexec_b64 vcc, s[80:81]
	s_cbranch_execz .LBB169_7969
; %bb.7968:
	v_cvt_i32_f32_e32 v1, v32
	flat_store_dword v[2:3], v1
.LBB169_7969:
	s_or_b64 exec, exec, vcc
                                        ; implicit-def: $vgpr32
                                        ; implicit-def: $vgpr2_vgpr3
.LBB169_7970:
	s_andn2_saveexec_b64 vcc, s[82:83]
	s_cbranch_execz .LBB169_7972
; %bb.7971:
	v_cvt_i32_f32_e32 v1, v32
	flat_store_short v[2:3], v1
.LBB169_7972:
	s_or_b64 exec, exec, vcc
                                        ; implicit-def: $vgpr32
                                        ; implicit-def: $vgpr2_vgpr3
.LBB169_7973:
	s_andn2_saveexec_b64 vcc, s[84:85]
	s_cbranch_execz .LBB169_7979
; %bb.7974:
	v_mov_b32_e32 v1, 0
	v_cmp_gt_i16_sdwa s[74:75], v62, v1 src0_sel:BYTE_0 src1_sel:DWORD
	s_and_saveexec_b64 s[76:77], s[74:75]
	s_xor_b64 s[76:77], exec, s[76:77]
	s_cbranch_execz .LBB169_7976
; %bb.7975:
	v_cvt_i32_f32_e32 v1, v32
                                        ; implicit-def: $vgpr32
	flat_store_byte v[2:3], v1
                                        ; implicit-def: $vgpr2_vgpr3
.LBB169_7976:
	s_andn2_saveexec_b64 s[80:81], s[76:77]
	s_cbranch_execz .LBB169_7978
; %bb.7977:
	v_trunc_f32_e32 v1, v32
	s_mov_b32 s74, 0x2f800000
	v_mul_f32_e64 v4, |v1|, s74
	v_floor_f32_e32 v4, v4
	s_mov_b32 s74, 0xcf800000
	v_fma_f32 v4, v4, s74, |v1|
	v_cvt_u32_f32_e32 v4, v4
	v_ashrrev_i32_e32 v1, 31, v1
	v_xor_b32_e32 v4, v4, v1
	v_sub_u32_e32 v1, v4, v1
	flat_store_byte v[2:3], v1
.LBB169_7978:
	s_or_b64 exec, exec, s[80:81]
.LBB169_7979:
	s_or_b64 exec, exec, vcc
.LBB169_7980:
	s_or_b64 exec, exec, s[88:89]
	s_or_b64 s[4:5], s[4:5], exec
	s_or_b64 exec, exec, s[92:93]
	s_mov_b64 vcc, 0
	s_and_saveexec_b64 s[76:77], s[4:5]
	s_cbranch_execnz .LBB169_4667
	s_branch .LBB169_4668
.LBB169_7981:
	v_bfe_u32 v1, v52, 21, 1
	s_mov_b32 s74, 0x88fffff
	v_add3_u32 v1, v52, v1, s74
	s_mov_b64 s[82:83], exec
	v_lshrrev_b32_e32 v1, 21, v1
	s_or_saveexec_b64 s[80:81], vcc
                                        ; implicit-def: $sgpr76
	s_xor_b64 exec, exec, s[80:81]
	s_cbranch_execz .LBB169_7754
.LBB169_7982:
	s_mov_b32 s74, 0x42800000
	v_add_f32_e64 v1, |v52|, s74
	v_and_b32_e32 v1, 0xff, v1
	v_cmp_ne_u32_e32 vcc, 0, v1
	s_andn2_b64 s[74:75], s[82:83], exec
	s_and_b64 vcc, vcc, exec
	s_mov_b32 s76, 0
	s_or_b64 s[82:83], s[74:75], vcc
	s_or_b64 exec, exec, s[80:81]
	v_mov_b32_e32 v4, s76
	s_and_saveexec_b64 vcc, s[82:83]
	s_cbranch_execnz .LBB169_7755
	s_branch .LBB169_7756
.LBB169_7983:
	v_bfe_u32 v1, v50, 21, 1
	s_mov_b32 s74, 0x88fffff
	v_add3_u32 v1, v50, v1, s74
	s_mov_b64 s[82:83], exec
	v_lshrrev_b32_e32 v1, 21, v1
	s_or_saveexec_b64 s[80:81], vcc
                                        ; implicit-def: $sgpr76
	s_xor_b64 exec, exec, s[80:81]
	s_cbranch_execz .LBB169_4063
.LBB169_7984:
	s_mov_b32 s74, 0x42800000
	v_add_f32_e64 v1, |v50|, s74
	v_and_b32_e32 v1, 0xff, v1
	v_cmp_ne_u32_e32 vcc, 0, v1
	s_andn2_b64 s[74:75], s[82:83], exec
	s_and_b64 vcc, vcc, exec
	s_mov_b32 s76, 0
	s_or_b64 s[82:83], s[74:75], vcc
	s_or_b64 exec, exec, s[80:81]
	v_mov_b32_e32 v4, s76
	s_and_saveexec_b64 vcc, s[82:83]
	s_cbranch_execnz .LBB169_4064
	s_branch .LBB169_4065
.LBB169_7985:
	v_bfe_u32 v1, v48, 20, 1
	s_mov_b32 s74, 0x487ffff
	v_add3_u32 v1, v48, v1, s74
	s_mov_b64 s[82:83], exec
	v_lshrrev_b32_e32 v1, 20, v1
	s_or_saveexec_b64 s[80:81], vcc
                                        ; implicit-def: $sgpr76
	s_xor_b64 exec, exec, s[80:81]
	s_cbranch_execz .LBB169_4179
.LBB169_7986:
	s_mov_b32 s74, 0x46000000
	v_add_f32_e64 v1, |v48|, s74
	v_and_b32_e32 v1, 0xff, v1
	v_cmp_ne_u32_e32 vcc, 0, v1
	s_andn2_b64 s[74:75], s[82:83], exec
	s_and_b64 vcc, vcc, exec
	s_mov_b32 s76, 0
	s_or_b64 s[82:83], s[74:75], vcc
	s_or_b64 exec, exec, s[80:81]
	v_mov_b32_e32 v4, s76
	s_and_saveexec_b64 vcc, s[82:83]
	s_cbranch_execnz .LBB169_4180
	s_branch .LBB169_4181
.LBB169_7987:
	v_bfe_u32 v1, v48, 21, 1
	s_mov_b32 s74, 0x88fffff
	v_add3_u32 v1, v48, v1, s74
	s_mov_b64 s[82:83], exec
	v_lshrrev_b32_e32 v1, 21, v1
	s_or_saveexec_b64 s[80:81], vcc
                                        ; implicit-def: $sgpr76
	s_xor_b64 exec, exec, s[80:81]
	s_cbranch_execz .LBB169_4192
.LBB169_7988:
	s_mov_b32 s74, 0x42800000
	v_add_f32_e64 v1, |v48|, s74
	v_and_b32_e32 v1, 0xff, v1
	v_cmp_ne_u32_e32 vcc, 0, v1
	s_andn2_b64 s[74:75], s[82:83], exec
	s_and_b64 vcc, vcc, exec
	s_mov_b32 s76, 0
	s_or_b64 s[82:83], s[74:75], vcc
	s_or_b64 exec, exec, s[80:81]
	v_mov_b32_e32 v4, s76
	s_and_saveexec_b64 vcc, s[82:83]
	s_cbranch_execnz .LBB169_4193
	s_branch .LBB169_4194
.LBB169_7989:
	v_bfe_u32 v1, v38, 20, 1
	s_mov_b32 s74, 0x487ffff
	v_add3_u32 v1, v38, v1, s74
	s_mov_b64 s[82:83], exec
	v_lshrrev_b32_e32 v1, 20, v1
	s_or_saveexec_b64 s[80:81], vcc
                                        ; implicit-def: $sgpr76
	s_xor_b64 exec, exec, s[80:81]
	s_cbranch_execz .LBB169_4308
.LBB169_7990:
	s_mov_b32 s74, 0x46000000
	v_add_f32_e64 v1, |v38|, s74
	v_and_b32_e32 v1, 0xff, v1
	v_cmp_ne_u32_e32 vcc, 0, v1
	s_andn2_b64 s[74:75], s[82:83], exec
	s_and_b64 vcc, vcc, exec
	s_mov_b32 s76, 0
	s_or_b64 s[82:83], s[74:75], vcc
	s_or_b64 exec, exec, s[80:81]
	v_mov_b32_e32 v4, s76
	s_and_saveexec_b64 vcc, s[82:83]
	s_cbranch_execnz .LBB169_4309
	s_branch .LBB169_4310
.LBB169_7991:
	v_bfe_u32 v1, v38, 21, 1
	s_mov_b32 s74, 0x88fffff
	v_add3_u32 v1, v38, v1, s74
	s_mov_b64 s[82:83], exec
	v_lshrrev_b32_e32 v1, 21, v1
	s_or_saveexec_b64 s[80:81], vcc
                                        ; implicit-def: $sgpr76
	s_xor_b64 exec, exec, s[80:81]
	s_cbranch_execz .LBB169_4321
.LBB169_7992:
	s_mov_b32 s74, 0x42800000
	v_add_f32_e64 v1, |v38|, s74
	v_and_b32_e32 v1, 0xff, v1
	v_cmp_ne_u32_e32 vcc, 0, v1
	s_andn2_b64 s[74:75], s[82:83], exec
	s_and_b64 vcc, vcc, exec
	s_mov_b32 s76, 0
	s_or_b64 s[82:83], s[74:75], vcc
	s_or_b64 exec, exec, s[80:81]
	v_mov_b32_e32 v4, s76
	s_and_saveexec_b64 vcc, s[82:83]
	s_cbranch_execnz .LBB169_4322
	s_branch .LBB169_4323
.LBB169_7993:
	v_bfe_u32 v1, v36, 20, 1
	s_mov_b32 s74, 0x487ffff
	v_add3_u32 v1, v36, v1, s74
	s_mov_b64 s[82:83], exec
	v_lshrrev_b32_e32 v1, 20, v1
	s_or_saveexec_b64 s[80:81], vcc
                                        ; implicit-def: $sgpr76
	s_xor_b64 exec, exec, s[80:81]
	s_cbranch_execz .LBB169_4437
.LBB169_7994:
	s_mov_b32 s74, 0x46000000
	v_add_f32_e64 v1, |v36|, s74
	v_and_b32_e32 v1, 0xff, v1
	v_cmp_ne_u32_e32 vcc, 0, v1
	s_andn2_b64 s[74:75], s[82:83], exec
	s_and_b64 vcc, vcc, exec
	s_mov_b32 s76, 0
	s_or_b64 s[82:83], s[74:75], vcc
	s_or_b64 exec, exec, s[80:81]
	v_mov_b32_e32 v4, s76
	s_and_saveexec_b64 vcc, s[82:83]
	s_cbranch_execnz .LBB169_4438
	s_branch .LBB169_4439
.LBB169_7995:
	v_bfe_u32 v1, v36, 21, 1
	s_mov_b32 s74, 0x88fffff
	v_add3_u32 v1, v36, v1, s74
	s_mov_b64 s[82:83], exec
	v_lshrrev_b32_e32 v1, 21, v1
	s_or_saveexec_b64 s[80:81], vcc
                                        ; implicit-def: $sgpr76
	s_xor_b64 exec, exec, s[80:81]
	s_cbranch_execz .LBB169_4450
.LBB169_7996:
	s_mov_b32 s74, 0x42800000
	v_add_f32_e64 v1, |v36|, s74
	v_and_b32_e32 v1, 0xff, v1
	v_cmp_ne_u32_e32 vcc, 0, v1
	s_andn2_b64 s[74:75], s[82:83], exec
	s_and_b64 vcc, vcc, exec
	s_mov_b32 s76, 0
	s_or_b64 s[82:83], s[74:75], vcc
	s_or_b64 exec, exec, s[80:81]
	v_mov_b32_e32 v4, s76
	s_and_saveexec_b64 vcc, s[82:83]
	s_cbranch_execnz .LBB169_4451
	s_branch .LBB169_4452
.LBB169_7997:
	v_bfe_u32 v1, v34, 20, 1
	s_mov_b32 s74, 0x487ffff
	v_add3_u32 v1, v34, v1, s74
	s_mov_b64 s[82:83], exec
	v_lshrrev_b32_e32 v1, 20, v1
	s_or_saveexec_b64 s[80:81], vcc
                                        ; implicit-def: $sgpr76
	s_xor_b64 exec, exec, s[80:81]
	s_cbranch_execz .LBB169_4566
.LBB169_7998:
	s_mov_b32 s74, 0x46000000
	v_add_f32_e64 v1, |v34|, s74
	v_and_b32_e32 v1, 0xff, v1
	v_cmp_ne_u32_e32 vcc, 0, v1
	s_andn2_b64 s[74:75], s[82:83], exec
	s_and_b64 vcc, vcc, exec
	s_mov_b32 s76, 0
	s_or_b64 s[82:83], s[74:75], vcc
	s_or_b64 exec, exec, s[80:81]
	v_mov_b32_e32 v4, s76
	s_and_saveexec_b64 vcc, s[82:83]
	s_cbranch_execnz .LBB169_4567
	s_branch .LBB169_4568
.LBB169_7999:
	v_bfe_u32 v1, v34, 21, 1
	s_mov_b32 s74, 0x88fffff
	v_add3_u32 v1, v34, v1, s74
	s_mov_b64 s[82:83], exec
	v_lshrrev_b32_e32 v1, 21, v1
	s_or_saveexec_b64 s[80:81], vcc
                                        ; implicit-def: $sgpr76
	s_xor_b64 exec, exec, s[80:81]
	s_cbranch_execz .LBB169_4579
.LBB169_8000:
	s_mov_b32 s74, 0x42800000
	v_add_f32_e64 v1, |v34|, s74
	v_and_b32_e32 v1, 0xff, v1
	v_cmp_ne_u32_e32 vcc, 0, v1
	s_andn2_b64 s[74:75], s[82:83], exec
	s_and_b64 vcc, vcc, exec
	s_mov_b32 s76, 0
	s_or_b64 s[82:83], s[74:75], vcc
	s_or_b64 exec, exec, s[80:81]
	v_mov_b32_e32 v4, s76
	s_and_saveexec_b64 vcc, s[82:83]
	s_cbranch_execnz .LBB169_4580
	s_branch .LBB169_4581
.LBB169_8001:
	v_bfe_u32 v1, v32, 20, 1
	s_mov_b32 s74, 0x487ffff
	v_add3_u32 v1, v32, v1, s74
	s_mov_b64 s[82:83], exec
	v_lshrrev_b32_e32 v1, 20, v1
	s_or_saveexec_b64 s[80:81], vcc
                                        ; implicit-def: $sgpr76
	s_xor_b64 exec, exec, s[80:81]
	s_cbranch_execz .LBB169_7889
.LBB169_8002:
	s_mov_b32 s74, 0x46000000
	v_add_f32_e64 v1, |v32|, s74
	v_and_b32_e32 v1, 0xff, v1
	v_cmp_ne_u32_e32 vcc, 0, v1
	s_andn2_b64 s[74:75], s[82:83], exec
	s_and_b64 vcc, vcc, exec
	s_mov_b32 s76, 0
	s_or_b64 s[82:83], s[74:75], vcc
	s_or_b64 exec, exec, s[80:81]
	v_mov_b32_e32 v4, s76
	s_and_saveexec_b64 vcc, s[82:83]
	s_cbranch_execnz .LBB169_7890
	s_branch .LBB169_7891
.LBB169_8003:
	v_bfe_u32 v1, v0, 20, 1
	s_mov_b32 s74, 0x487ffff
	v_add3_u32 v1, v0, v1, s74
	s_mov_b64 s[82:83], exec
	v_lshrrev_b32_e32 v1, 20, v1
	s_or_saveexec_b64 s[80:81], vcc
                                        ; implicit-def: $sgpr76
	s_xor_b64 exec, exec, s[80:81]
	s_cbranch_execz .LBB169_4702
.LBB169_8004:
	s_mov_b32 s74, 0x46000000
	v_add_f32_e64 v1, |v0|, s74
	v_and_b32_e32 v1, 0xff, v1
	v_cmp_ne_u32_e32 vcc, 0, v1
	s_andn2_b64 s[74:75], s[82:83], exec
	s_and_b64 vcc, vcc, exec
	s_mov_b32 s76, 0
	s_or_b64 s[82:83], s[74:75], vcc
	s_or_b64 exec, exec, s[80:81]
	v_mov_b32_e32 v5, s76
	s_and_saveexec_b64 vcc, s[82:83]
	s_cbranch_execnz .LBB169_4703
	s_branch .LBB169_4704
.LBB169_8005:
	v_bfe_u32 v1, v32, 21, 1
	s_mov_b32 s74, 0x88fffff
	v_add3_u32 v1, v32, v1, s74
	s_mov_b64 s[82:83], exec
	v_lshrrev_b32_e32 v1, 21, v1
	s_or_saveexec_b64 s[80:81], vcc
                                        ; implicit-def: $sgpr76
	s_xor_b64 exec, exec, s[80:81]
	s_cbranch_execz .LBB169_7902
.LBB169_8006:
	s_mov_b32 s74, 0x42800000
	v_add_f32_e64 v1, |v32|, s74
	v_and_b32_e32 v1, 0xff, v1
	v_cmp_ne_u32_e32 vcc, 0, v1
	s_andn2_b64 s[74:75], s[82:83], exec
	s_and_b64 vcc, vcc, exec
	s_mov_b32 s76, 0
	s_or_b64 s[82:83], s[74:75], vcc
	s_or_b64 exec, exec, s[80:81]
	v_mov_b32_e32 v4, s76
	s_and_saveexec_b64 vcc, s[82:83]
	s_cbranch_execnz .LBB169_7903
	s_branch .LBB169_7904
.LBB169_8007:
	v_bfe_u32 v1, v0, 21, 1
	s_mov_b32 s74, 0x88fffff
	v_add3_u32 v1, v0, v1, s74
	s_mov_b64 s[82:83], exec
	v_lshrrev_b32_e32 v1, 21, v1
	s_or_saveexec_b64 s[80:81], vcc
                                        ; implicit-def: $sgpr76
	s_xor_b64 exec, exec, s[80:81]
	s_cbranch_execz .LBB169_4715
.LBB169_8008:
	s_mov_b32 s74, 0x42800000
	v_add_f32_e64 v1, |v0|, s74
	v_and_b32_e32 v1, 0xff, v1
	v_cmp_ne_u32_e32 vcc, 0, v1
	s_andn2_b64 s[74:75], s[82:83], exec
	s_and_b64 vcc, vcc, exec
	s_mov_b32 s76, 0
	s_or_b64 s[82:83], s[74:75], vcc
	s_or_b64 exec, exec, s[80:81]
	v_mov_b32_e32 v5, s76
	s_and_saveexec_b64 vcc, s[82:83]
	s_cbranch_execnz .LBB169_4716
	s_branch .LBB169_4717
.Lfunc_end169:
	.size	_ZN2at6native25elementwise_kernel_helperILb1EZZZNS0_33launch_standard_gamma_grad_kernelERNS_18TensorIteratorBaseEENKUlvE_clEvENKUlvE0_clEvEUlffE_NS0_6memory8policies11unroll_baseILi512ESt5arrayIPcLm3EE23TrivialOffsetCalculatorILi2EjESD_ILi1EjENS7_12LoadWithCastILi2EEENS7_13StoreWithCastILi1EEELi32ELi1EEEEEvT0_T1_, .Lfunc_end169-_ZN2at6native25elementwise_kernel_helperILb1EZZZNS0_33launch_standard_gamma_grad_kernelERNS_18TensorIteratorBaseEENKUlvE_clEvENKUlvE0_clEvEUlffE_NS0_6memory8policies11unroll_baseILi512ESt5arrayIPcLm3EE23TrivialOffsetCalculatorILi2EjESD_ILi1EjENS7_12LoadWithCastILi2EEENS7_13StoreWithCastILi1EEELi32ELi1EEEEEvT0_T1_
                                        ; -- End function
	.section	.AMDGPU.csdata,"",@progbits
; Function info:
; codeLenInByte = 171124
; NumSgprs: 102
; NumVgprs: 120
; NumAgprs: 18
; TotalNumVgprs: 138
; ScratchSize: 288
; MemoryBound: 1
	.section	.text._ZN2at6native39vectorized_templated_elementwise_kernelILi8EZZZNS0_33launch_standard_gamma_grad_kernelERNS_18TensorIteratorBaseEENKUlvE_clEvENKUlvE0_clEvEUlffE_St5arrayIPcLm3EE23TrivialOffsetCalculatorILi2EjESA_ILi1EjENS0_6memory12LoadWithCastILi2EEENSD_13StoreWithCastILi1EEEfJfN3c108BFloat16EEEEviT0_T1_T2_T3_T4_T5_,"axG",@progbits,_ZN2at6native39vectorized_templated_elementwise_kernelILi8EZZZNS0_33launch_standard_gamma_grad_kernelERNS_18TensorIteratorBaseEENKUlvE_clEvENKUlvE0_clEvEUlffE_St5arrayIPcLm3EE23TrivialOffsetCalculatorILi2EjESA_ILi1EjENS0_6memory12LoadWithCastILi2EEENSD_13StoreWithCastILi1EEEfJfN3c108BFloat16EEEEviT0_T1_T2_T3_T4_T5_,comdat
	.globl	_ZN2at6native39vectorized_templated_elementwise_kernelILi8EZZZNS0_33launch_standard_gamma_grad_kernelERNS_18TensorIteratorBaseEENKUlvE_clEvENKUlvE0_clEvEUlffE_St5arrayIPcLm3EE23TrivialOffsetCalculatorILi2EjESA_ILi1EjENS0_6memory12LoadWithCastILi2EEENSD_13StoreWithCastILi1EEEfJfN3c108BFloat16EEEEviT0_T1_T2_T3_T4_T5_ ; -- Begin function _ZN2at6native39vectorized_templated_elementwise_kernelILi8EZZZNS0_33launch_standard_gamma_grad_kernelERNS_18TensorIteratorBaseEENKUlvE_clEvENKUlvE0_clEvEUlffE_St5arrayIPcLm3EE23TrivialOffsetCalculatorILi2EjESA_ILi1EjENS0_6memory12LoadWithCastILi2EEENSD_13StoreWithCastILi1EEEfJfN3c108BFloat16EEEEviT0_T1_T2_T3_T4_T5_
	.p2align	8
	.type	_ZN2at6native39vectorized_templated_elementwise_kernelILi8EZZZNS0_33launch_standard_gamma_grad_kernelERNS_18TensorIteratorBaseEENKUlvE_clEvENKUlvE0_clEvEUlffE_St5arrayIPcLm3EE23TrivialOffsetCalculatorILi2EjESA_ILi1EjENS0_6memory12LoadWithCastILi2EEENSD_13StoreWithCastILi1EEEfJfN3c108BFloat16EEEEviT0_T1_T2_T3_T4_T5_,@function
_ZN2at6native39vectorized_templated_elementwise_kernelILi8EZZZNS0_33launch_standard_gamma_grad_kernelERNS_18TensorIteratorBaseEENKUlvE_clEvENKUlvE0_clEvEUlffE_St5arrayIPcLm3EE23TrivialOffsetCalculatorILi2EjESA_ILi1EjENS0_6memory12LoadWithCastILi2EEENSD_13StoreWithCastILi1EEEfJfN3c108BFloat16EEEEviT0_T1_T2_T3_T4_T5_: ; @_ZN2at6native39vectorized_templated_elementwise_kernelILi8EZZZNS0_33launch_standard_gamma_grad_kernelERNS_18TensorIteratorBaseEENKUlvE_clEvENKUlvE0_clEvEUlffE_St5arrayIPcLm3EE23TrivialOffsetCalculatorILi2EjESA_ILi1EjENS0_6memory12LoadWithCastILi2EEENSD_13StoreWithCastILi1EEEfJfN3c108BFloat16EEEEviT0_T1_T2_T3_T4_T5_
; %bb.0:
	s_add_u32 flat_scratch_lo, s6, s9
	s_addc_u32 flat_scratch_hi, s7, 0
	s_add_u32 s0, s0, s9
	s_mov_b64 s[22:23], s[4:5]
	s_load_dword s4, s[4:5], 0x38
	s_nop 0
	s_load_dwordx2 s[26:27], s[22:23], 0x18
	s_load_dword s5, s[22:23], 0x0
	s_load_dwordx4 s[36:39], s[22:23], 0x8
	s_addc_u32 s1, s1, 0
	s_not_b32 s6, s8
	s_waitcnt lgkmcnt(0)
	s_add_i32 s4, s4, s6
	s_lshl_b32 s6, s4, 14
	s_sub_i32 s25, s5, s6
	s_mov_b32 s24, s8
	v_mov_b32_e32 v34, v0
	s_cmpk_gt_i32 s25, 0x3fff
	s_mov_b64 s[4:5], -1
	s_mov_b32 s32, 0
	s_cbranch_scc1 .LBB170_3
; %bb.1:
	s_andn2_b64 vcc, exec, s[4:5]
	s_cbranch_vccz .LBB170_4
.LBB170_2:
	s_endpgm
.LBB170_3:
	s_ashr_i32 s7, s6, 31
	s_lshl_b64 s[28:29], s[6:7], 2
	s_add_u32 s4, s38, s28
	s_addc_u32 s5, s39, s29
	v_lshlrev_b32_e32 v94, 5, v34
	s_lshl_b64 s[6:7], s[6:7], 1
	v_mov_b32_e32 v0, s5
	v_add_co_u32_e32 v20, vcc, s4, v94
	s_add_u32 s6, s26, s6
	v_addc_co_u32_e32 v21, vcc, 0, v0, vcc
	s_addc_u32 s7, s27, s7
	v_lshlrev_b32_e32 v0, 4, v34
	v_or_b32_e32 v22, 0x400, v34
	v_mov_b32_e32 v1, s7
	v_add_co_u32_e32 v14, vcc, s6, v0
	global_load_dwordx4 v[36:39], v94, s[4:5] offset:16
	global_load_dwordx4 v[40:43], v94, s[4:5]
	global_load_dwordx4 v[2:5], v0, s[6:7]
	v_addc_co_u32_e32 v15, vcc, 0, v1, vcc
	s_movk_i32 s8, 0x2000
	v_lshlrev_b32_e32 v0, 4, v22
	global_load_dwordx4 v[6:9], v0, s[6:7]
	v_add_co_u32_e32 v0, vcc, s8, v14
	s_movk_i32 s33, 0x4000
	v_addc_co_u32_e32 v1, vcc, 0, v15, vcc
	global_load_dwordx4 v[10:13], v[0:1], off
	v_add_co_u32_e32 v0, vcc, s33, v20
	v_addc_co_u32_e32 v1, vcc, 0, v21, vcc
	s_movk_i32 s6, 0x6000
	v_add_co_u32_e32 v18, vcc, s6, v14
	v_addc_co_u32_e32 v19, vcc, 0, v15, vcc
	v_lshlrev_b32_e32 v95, 5, v22
	global_load_dwordx4 v[14:17], v[18:19], off
	global_load_dwordx4 v[44:47], v[0:1], off
	global_load_dwordx4 v[48:51], v[0:1], off offset:16
	global_load_dwordx4 v[52:55], v95, s[4:5] offset:16
	global_load_dwordx4 v[56:59], v95, s[4:5]
	s_mov_b32 s4, 0xc000
	v_add_co_u32_e32 v0, vcc, s4, v20
	v_addc_co_u32_e32 v1, vcc, 0, v21, vcc
	global_load_dwordx4 v[60:63], v[0:1], off
	global_load_dwordx4 v[30:33], v[0:1], off offset:16
	s_getpc_b64 s[34:35]
	s_add_u32 s34, s34, _ZZZZN2at6native33launch_standard_gamma_grad_kernelERNS_18TensorIteratorBaseEENKUlvE_clEvENKUlvE0_clEvENKUlffE_clEff@rel32@lo+4
	s_addc_u32 s35, s35, _ZZZZN2at6native33launch_standard_gamma_grad_kernelERNS_18TensorIteratorBaseEENKUlvE_clEvENKUlvE0_clEvENKUlffE_clEff@rel32@hi+12
	s_waitcnt vmcnt(10)
	v_mov_b32_e32 v0, v40
	s_waitcnt vmcnt(9)
	v_lshlrev_b32_e32 v1, 16, v2
	v_and_b32_e32 v35, 0xffff0000, v2
	v_lshlrev_b32_e32 v64, 16, v3
	v_and_b32_e32 v65, 0xffff0000, v3
	v_lshlrev_b32_e32 v66, 16, v4
	v_and_b32_e32 v67, 0xffff0000, v4
	v_lshlrev_b32_e32 v68, 16, v5
	v_and_b32_e32 v69, 0xffff0000, v5
	s_waitcnt vmcnt(8)
	v_lshlrev_b32_e32 v70, 16, v6
	v_and_b32_e32 v71, 0xffff0000, v6
	v_lshlrev_b32_e32 v72, 16, v7
	v_and_b32_e32 v73, 0xffff0000, v7
	v_lshlrev_b32_e32 v74, 16, v8
	v_and_b32_e32 v75, 0xffff0000, v8
	v_lshlrev_b32_e32 v76, 16, v9
	v_and_b32_e32 v77, 0xffff0000, v9
	;; [unrolled: 9-line block ×4, first 2 shown]
	s_swappc_b64 s[30:31], s[34:35]
	v_mov_b32_e32 v40, v0
	v_mov_b32_e32 v0, v41
	v_mov_b32_e32 v1, v35
	s_swappc_b64 s[30:31], s[34:35]
	v_mov_b32_e32 v41, v0
	v_mov_b32_e32 v0, v42
	v_mov_b32_e32 v1, v64
	;; [unrolled: 4-line block ×31, first 2 shown]
	s_swappc_b64 s[30:31], s[34:35]
	s_add_u32 s4, s36, s28
	s_addc_u32 s5, s37, s29
	v_mov_b32_e32 v33, v0
	v_mov_b32_e32 v0, s5
	v_add_co_u32_e32 v2, vcc, s4, v94
	v_addc_co_u32_e32 v3, vcc, 0, v0, vcc
	v_add_co_u32_e32 v0, vcc, s33, v2
	v_addc_co_u32_e32 v1, vcc, 0, v3, vcc
	global_store_dwordx4 v94, v[40:43], s[4:5]
	global_store_dwordx4 v94, v[36:39], s[4:5] offset:16
	global_store_dwordx4 v[0:1], v[44:47], off
	global_store_dwordx4 v[0:1], v[48:51], off offset:16
	global_store_dwordx4 v95, v[56:59], s[4:5]
	global_store_dwordx4 v95, v[52:55], s[4:5] offset:16
	v_add_co_u32_e32 v0, vcc, 0xc000, v2
	v_addc_co_u32_e32 v1, vcc, 0, v3, vcc
	global_store_dwordx4 v[0:1], v[60:63], off
	global_store_dwordx4 v[0:1], v[30:33], off offset:16
	s_cbranch_execnz .LBB170_2
.LBB170_4:
	s_load_dword s13, s[22:23], 0x24
	s_load_dwordx4 s[4:7], s[22:23], 0x28
	s_add_u32 s8, s22, 56
	s_addc_u32 s9, s23, 0
	s_mov_b32 s12, s24
	s_waitcnt lgkmcnt(0)
	v_lshrrev_b16_e64 v8, 8, s13
	v_mov_b32_e32 v31, v34
	v_mov_b32_e32 v0, s36
	;; [unrolled: 1-line block ×13, first 2 shown]
	s_getpc_b64 s[10:11]
	s_add_u32 s10, s10, _ZN2at6native25elementwise_kernel_helperILb1EZZZNS0_33launch_standard_gamma_grad_kernelERNS_18TensorIteratorBaseEENKUlvE_clEvENKUlvE0_clEvEUlffE_NS0_6memory8policies11unroll_baseILi512ESt5arrayIPcLm3EE23TrivialOffsetCalculatorILi2EjESD_ILi1EjENS7_12LoadWithCastILi2EEENS7_13StoreWithCastILi1EEELi32ELi1EEEEEvT0_T1_@rel32@lo+4
	s_addc_u32 s11, s11, _ZN2at6native25elementwise_kernel_helperILb1EZZZNS0_33launch_standard_gamma_grad_kernelERNS_18TensorIteratorBaseEENKUlvE_clEvENKUlvE0_clEvEUlffE_NS0_6memory8policies11unroll_baseILi512ESt5arrayIPcLm3EE23TrivialOffsetCalculatorILi2EjESD_ILi1EjENS7_12LoadWithCastILi2EEENS7_13StoreWithCastILi1EEELi32ELi1EEEEEvT0_T1_@rel32@hi+12
	s_swappc_b64 s[30:31], s[10:11]
	s_endpgm
	.section	.rodata,"a",@progbits
	.p2align	6, 0x0
	.amdhsa_kernel _ZN2at6native39vectorized_templated_elementwise_kernelILi8EZZZNS0_33launch_standard_gamma_grad_kernelERNS_18TensorIteratorBaseEENKUlvE_clEvENKUlvE0_clEvEUlffE_St5arrayIPcLm3EE23TrivialOffsetCalculatorILi2EjESA_ILi1EjENS0_6memory12LoadWithCastILi2EEENSD_13StoreWithCastILi1EEEfJfN3c108BFloat16EEEEviT0_T1_T2_T3_T4_T5_
		.amdhsa_group_segment_fixed_size 0
		.amdhsa_private_segment_fixed_size 288
		.amdhsa_kernarg_size 312
		.amdhsa_user_sgpr_count 8
		.amdhsa_user_sgpr_private_segment_buffer 1
		.amdhsa_user_sgpr_dispatch_ptr 0
		.amdhsa_user_sgpr_queue_ptr 0
		.amdhsa_user_sgpr_kernarg_segment_ptr 1
		.amdhsa_user_sgpr_dispatch_id 0
		.amdhsa_user_sgpr_flat_scratch_init 1
		.amdhsa_user_sgpr_kernarg_preload_length 0
		.amdhsa_user_sgpr_kernarg_preload_offset 0
		.amdhsa_user_sgpr_private_segment_size 0
		.amdhsa_uses_dynamic_stack 0
		.amdhsa_system_sgpr_private_segment_wavefront_offset 1
		.amdhsa_system_sgpr_workgroup_id_x 1
		.amdhsa_system_sgpr_workgroup_id_y 0
		.amdhsa_system_sgpr_workgroup_id_z 0
		.amdhsa_system_sgpr_workgroup_info 0
		.amdhsa_system_vgpr_workitem_id 0
		.amdhsa_next_free_vgpr 138
		.amdhsa_next_free_sgpr 98
		.amdhsa_accum_offset 120
		.amdhsa_reserve_vcc 1
		.amdhsa_reserve_flat_scratch 1
		.amdhsa_float_round_mode_32 0
		.amdhsa_float_round_mode_16_64 0
		.amdhsa_float_denorm_mode_32 3
		.amdhsa_float_denorm_mode_16_64 3
		.amdhsa_dx10_clamp 1
		.amdhsa_ieee_mode 1
		.amdhsa_fp16_overflow 0
		.amdhsa_tg_split 0
		.amdhsa_exception_fp_ieee_invalid_op 0
		.amdhsa_exception_fp_denorm_src 0
		.amdhsa_exception_fp_ieee_div_zero 0
		.amdhsa_exception_fp_ieee_overflow 0
		.amdhsa_exception_fp_ieee_underflow 0
		.amdhsa_exception_fp_ieee_inexact 0
		.amdhsa_exception_int_div_zero 0
	.end_amdhsa_kernel
	.section	.text._ZN2at6native39vectorized_templated_elementwise_kernelILi8EZZZNS0_33launch_standard_gamma_grad_kernelERNS_18TensorIteratorBaseEENKUlvE_clEvENKUlvE0_clEvEUlffE_St5arrayIPcLm3EE23TrivialOffsetCalculatorILi2EjESA_ILi1EjENS0_6memory12LoadWithCastILi2EEENSD_13StoreWithCastILi1EEEfJfN3c108BFloat16EEEEviT0_T1_T2_T3_T4_T5_,"axG",@progbits,_ZN2at6native39vectorized_templated_elementwise_kernelILi8EZZZNS0_33launch_standard_gamma_grad_kernelERNS_18TensorIteratorBaseEENKUlvE_clEvENKUlvE0_clEvEUlffE_St5arrayIPcLm3EE23TrivialOffsetCalculatorILi2EjESA_ILi1EjENS0_6memory12LoadWithCastILi2EEENSD_13StoreWithCastILi1EEEfJfN3c108BFloat16EEEEviT0_T1_T2_T3_T4_T5_,comdat
.Lfunc_end170:
	.size	_ZN2at6native39vectorized_templated_elementwise_kernelILi8EZZZNS0_33launch_standard_gamma_grad_kernelERNS_18TensorIteratorBaseEENKUlvE_clEvENKUlvE0_clEvEUlffE_St5arrayIPcLm3EE23TrivialOffsetCalculatorILi2EjESA_ILi1EjENS0_6memory12LoadWithCastILi2EEENSD_13StoreWithCastILi1EEEfJfN3c108BFloat16EEEEviT0_T1_T2_T3_T4_T5_, .Lfunc_end170-_ZN2at6native39vectorized_templated_elementwise_kernelILi8EZZZNS0_33launch_standard_gamma_grad_kernelERNS_18TensorIteratorBaseEENKUlvE_clEvENKUlvE0_clEvEUlffE_St5arrayIPcLm3EE23TrivialOffsetCalculatorILi2EjESA_ILi1EjENS0_6memory12LoadWithCastILi2EEENSD_13StoreWithCastILi1EEEfJfN3c108BFloat16EEEEviT0_T1_T2_T3_T4_T5_
                                        ; -- End function
	.section	.AMDGPU.csdata,"",@progbits
; Kernel info:
; codeLenInByte = 1304
; NumSgprs: 104
; NumVgprs: 120
; NumAgprs: 18
; TotalNumVgprs: 138
; ScratchSize: 288
; MemoryBound: 0
; FloatMode: 240
; IeeeMode: 1
; LDSByteSize: 0 bytes/workgroup (compile time only)
; SGPRBlocks: 12
; VGPRBlocks: 17
; NumSGPRsForWavesPerEU: 104
; NumVGPRsForWavesPerEU: 138
; AccumOffset: 120
; Occupancy: 3
; WaveLimiterHint : 0
; COMPUTE_PGM_RSRC2:SCRATCH_EN: 1
; COMPUTE_PGM_RSRC2:USER_SGPR: 8
; COMPUTE_PGM_RSRC2:TRAP_HANDLER: 0
; COMPUTE_PGM_RSRC2:TGID_X_EN: 1
; COMPUTE_PGM_RSRC2:TGID_Y_EN: 0
; COMPUTE_PGM_RSRC2:TGID_Z_EN: 0
; COMPUTE_PGM_RSRC2:TIDIG_COMP_CNT: 0
; COMPUTE_PGM_RSRC3_GFX90A:ACCUM_OFFSET: 29
; COMPUTE_PGM_RSRC3_GFX90A:TG_SPLIT: 0
	.section	.text._ZN2at6native39vectorized_templated_elementwise_kernelILi4EZZZNS0_33launch_standard_gamma_grad_kernelERNS_18TensorIteratorBaseEENKUlvE_clEvENKUlvE0_clEvEUlffE_St5arrayIPcLm3EE23TrivialOffsetCalculatorILi2EjESA_ILi1EjENS0_6memory12LoadWithCastILi2EEENSD_13StoreWithCastILi1EEEfJfN3c108BFloat16EEEEviT0_T1_T2_T3_T4_T5_,"axG",@progbits,_ZN2at6native39vectorized_templated_elementwise_kernelILi4EZZZNS0_33launch_standard_gamma_grad_kernelERNS_18TensorIteratorBaseEENKUlvE_clEvENKUlvE0_clEvEUlffE_St5arrayIPcLm3EE23TrivialOffsetCalculatorILi2EjESA_ILi1EjENS0_6memory12LoadWithCastILi2EEENSD_13StoreWithCastILi1EEEfJfN3c108BFloat16EEEEviT0_T1_T2_T3_T4_T5_,comdat
	.globl	_ZN2at6native39vectorized_templated_elementwise_kernelILi4EZZZNS0_33launch_standard_gamma_grad_kernelERNS_18TensorIteratorBaseEENKUlvE_clEvENKUlvE0_clEvEUlffE_St5arrayIPcLm3EE23TrivialOffsetCalculatorILi2EjESA_ILi1EjENS0_6memory12LoadWithCastILi2EEENSD_13StoreWithCastILi1EEEfJfN3c108BFloat16EEEEviT0_T1_T2_T3_T4_T5_ ; -- Begin function _ZN2at6native39vectorized_templated_elementwise_kernelILi4EZZZNS0_33launch_standard_gamma_grad_kernelERNS_18TensorIteratorBaseEENKUlvE_clEvENKUlvE0_clEvEUlffE_St5arrayIPcLm3EE23TrivialOffsetCalculatorILi2EjESA_ILi1EjENS0_6memory12LoadWithCastILi2EEENSD_13StoreWithCastILi1EEEfJfN3c108BFloat16EEEEviT0_T1_T2_T3_T4_T5_
	.p2align	8
	.type	_ZN2at6native39vectorized_templated_elementwise_kernelILi4EZZZNS0_33launch_standard_gamma_grad_kernelERNS_18TensorIteratorBaseEENKUlvE_clEvENKUlvE0_clEvEUlffE_St5arrayIPcLm3EE23TrivialOffsetCalculatorILi2EjESA_ILi1EjENS0_6memory12LoadWithCastILi2EEENSD_13StoreWithCastILi1EEEfJfN3c108BFloat16EEEEviT0_T1_T2_T3_T4_T5_,@function
_ZN2at6native39vectorized_templated_elementwise_kernelILi4EZZZNS0_33launch_standard_gamma_grad_kernelERNS_18TensorIteratorBaseEENKUlvE_clEvENKUlvE0_clEvEUlffE_St5arrayIPcLm3EE23TrivialOffsetCalculatorILi2EjESA_ILi1EjENS0_6memory12LoadWithCastILi2EEENSD_13StoreWithCastILi1EEEfJfN3c108BFloat16EEEEviT0_T1_T2_T3_T4_T5_: ; @_ZN2at6native39vectorized_templated_elementwise_kernelILi4EZZZNS0_33launch_standard_gamma_grad_kernelERNS_18TensorIteratorBaseEENKUlvE_clEvENKUlvE0_clEvEUlffE_St5arrayIPcLm3EE23TrivialOffsetCalculatorILi2EjESA_ILi1EjENS0_6memory12LoadWithCastILi2EEENSD_13StoreWithCastILi1EEEfJfN3c108BFloat16EEEEviT0_T1_T2_T3_T4_T5_
; %bb.0:
	s_add_u32 flat_scratch_lo, s6, s9
	s_addc_u32 flat_scratch_hi, s7, 0
	s_add_u32 s0, s0, s9
	s_mov_b64 s[22:23], s[4:5]
	s_load_dword s4, s[4:5], 0x38
	s_nop 0
	s_load_dwordx2 s[26:27], s[22:23], 0x18
	s_load_dword s5, s[22:23], 0x0
	s_load_dwordx4 s[36:39], s[22:23], 0x8
	s_addc_u32 s1, s1, 0
	s_not_b32 s6, s8
	s_waitcnt lgkmcnt(0)
	s_add_i32 s4, s4, s6
	s_lshl_b32 s6, s4, 14
	s_sub_i32 s25, s5, s6
	s_mov_b32 s24, s8
	v_mov_b32_e32 v38, v0
	s_cmpk_gt_i32 s25, 0x3fff
	s_mov_b64 s[4:5], -1
	s_mov_b32 s32, 0
	s_cbranch_scc1 .LBB171_3
; %bb.1:
	s_andn2_b64 vcc, exec, s[4:5]
	s_cbranch_vccz .LBB171_4
.LBB171_2:
	s_endpgm
.LBB171_3:
	s_ashr_i32 s7, s6, 31
	s_lshl_b64 s[28:29], s[6:7], 2
	s_add_u32 s4, s38, s28
	s_addc_u32 s5, s39, s29
	v_lshlrev_b32_e32 v94, 4, v38
	v_mov_b32_e32 v0, s5
	v_add_co_u32_e32 v20, vcc, s4, v94
	v_addc_co_u32_e32 v21, vcc, 0, v0, vcc
	v_add_co_u32_e32 v0, vcc, 0x2000, v20
	v_addc_co_u32_e32 v1, vcc, 0, v21, vcc
	s_movk_i32 s33, 0x6000
	global_load_dwordx4 v[40:43], v94, s[4:5]
	global_load_dwordx4 v[44:47], v[0:1], off
	v_or_b32_e32 v6, 0x400, v38
	v_add_co_u32_e32 v0, vcc, s33, v20
	v_lshlrev_b32_e32 v95, 4, v6
	v_addc_co_u32_e32 v1, vcc, 0, v21, vcc
	s_mov_b32 s8, 0xa000
	s_lshl_b64 s[6:7], s[6:7], 1
	global_load_dwordx4 v[48:51], v95, s[4:5]
	global_load_dwordx4 v[30:33], v[0:1], off
	v_add_co_u32_e32 v0, vcc, s8, v20
	s_add_u32 s6, s26, s6
	v_addc_co_u32_e32 v1, vcc, 0, v21, vcc
	s_addc_u32 s7, s27, s7
	v_lshlrev_b32_e32 v2, 3, v38
	v_mov_b32_e32 v3, s7
	v_add_co_u32_e32 v18, vcc, s6, v2
	v_addc_co_u32_e32 v19, vcc, 0, v3, vcc
	s_movk_i32 s8, 0x1000
	v_add_co_u32_e32 v4, vcc, s8, v18
	v_addc_co_u32_e32 v5, vcc, 0, v19, vcc
	s_movk_i32 s8, 0x3000
	global_load_dwordx2 v[2:3], v2, s[6:7]
	v_lshlrev_b32_e32 v11, 3, v6
	global_load_dwordx2 v[6:7], v[4:5], off
	global_load_dwordx2 v[8:9], v11, s[6:7]
	v_add_co_u32_e32 v4, vcc, s8, v18
	v_addc_co_u32_e32 v5, vcc, 0, v19, vcc
	s_movk_i32 s8, 0x5000
	v_or_b32_e32 v10, 0x800, v38
	v_add_co_u32_e32 v12, vcc, s8, v18
	v_lshlrev_b32_e32 v96, 4, v10
	v_or_b32_e32 v22, 0xc00, v38
	v_lshlrev_b32_e32 v10, 3, v10
	v_addc_co_u32_e32 v13, vcc, 0, v19, vcc
	global_load_dwordx2 v[4:5], v[4:5], off
	v_lshlrev_b32_e32 v23, 3, v22
	global_load_dwordx2 v[10:11], v10, s[6:7]
	s_nop 0
	global_load_dwordx2 v[14:15], v[12:13], off
	global_load_dwordx2 v[16:17], v23, s[6:7]
	v_add_co_u32_e32 v12, vcc, 0x7000, v18
	v_addc_co_u32_e32 v13, vcc, 0, v19, vcc
	s_mov_b32 s6, 0xe000
	global_load_dwordx2 v[18:19], v[12:13], off
	global_load_dwordx4 v[52:55], v96, s[4:5]
	global_load_dwordx4 v[56:59], v[0:1], off
	v_lshlrev_b32_e32 v97, 4, v22
	v_add_co_u32_e32 v0, vcc, s6, v20
	v_addc_co_u32_e32 v1, vcc, 0, v21, vcc
	global_load_dwordx4 v[60:63], v97, s[4:5]
	global_load_dwordx4 v[34:37], v[0:1], off
	s_movk_i32 s40, 0x2000
	s_getpc_b64 s[34:35]
	s_add_u32 s34, s34, _ZZZZN2at6native33launch_standard_gamma_grad_kernelERNS_18TensorIteratorBaseEENKUlvE_clEvENKUlvE0_clEvENKUlffE_clEff@rel32@lo+4
	s_addc_u32 s35, s35, _ZZZZN2at6native33launch_standard_gamma_grad_kernelERNS_18TensorIteratorBaseEENKUlvE_clEvENKUlvE0_clEvENKUlffE_clEff@rel32@hi+12
	s_waitcnt vmcnt(15)
	v_mov_b32_e32 v0, v40
	s_waitcnt vmcnt(11)
	v_lshlrev_b32_e32 v1, 16, v2
	v_and_b32_e32 v39, 0xffff0000, v2
	v_lshlrev_b32_e32 v64, 16, v3
	v_and_b32_e32 v65, 0xffff0000, v3
	s_waitcnt vmcnt(10)
	v_lshlrev_b32_e32 v66, 16, v6
	v_and_b32_e32 v67, 0xffff0000, v6
	v_lshlrev_b32_e32 v68, 16, v7
	v_and_b32_e32 v69, 0xffff0000, v7
	;; [unrolled: 5-line block ×8, first 2 shown]
	s_swappc_b64 s[30:31], s[34:35]
	v_mov_b32_e32 v40, v0
	v_mov_b32_e32 v0, v41
	v_mov_b32_e32 v1, v39
	s_swappc_b64 s[30:31], s[34:35]
	v_mov_b32_e32 v41, v0
	v_mov_b32_e32 v0, v42
	v_mov_b32_e32 v1, v64
	;; [unrolled: 4-line block ×31, first 2 shown]
	s_swappc_b64 s[30:31], s[34:35]
	s_add_u32 s4, s36, s28
	s_addc_u32 s5, s37, s29
	v_mov_b32_e32 v37, v0
	v_mov_b32_e32 v0, s5
	v_add_co_u32_e32 v2, vcc, s4, v94
	v_addc_co_u32_e32 v3, vcc, 0, v0, vcc
	v_add_co_u32_e32 v0, vcc, s40, v2
	v_addc_co_u32_e32 v1, vcc, 0, v3, vcc
	global_store_dwordx4 v94, v[40:43], s[4:5]
	global_store_dwordx4 v[0:1], v[44:47], off
	global_store_dwordx4 v95, v[48:51], s[4:5]
	v_add_co_u32_e32 v0, vcc, s33, v2
	v_addc_co_u32_e32 v1, vcc, 0, v3, vcc
	global_store_dwordx4 v[0:1], v[30:33], off
	global_store_dwordx4 v96, v[52:55], s[4:5]
	v_add_co_u32_e32 v0, vcc, 0xa000, v2
	v_addc_co_u32_e32 v1, vcc, 0, v3, vcc
	;; [unrolled: 4-line block ×3, first 2 shown]
	global_store_dwordx4 v[0:1], v[34:37], off
	s_cbranch_execnz .LBB171_2
.LBB171_4:
	s_load_dword s13, s[22:23], 0x24
	s_load_dwordx4 s[4:7], s[22:23], 0x28
	s_add_u32 s8, s22, 56
	s_addc_u32 s9, s23, 0
	s_mov_b32 s12, s24
	s_waitcnt lgkmcnt(0)
	v_lshrrev_b16_e64 v8, 8, s13
	v_mov_b32_e32 v31, v38
	v_mov_b32_e32 v0, s36
	;; [unrolled: 1-line block ×13, first 2 shown]
	s_getpc_b64 s[10:11]
	s_add_u32 s10, s10, _ZN2at6native25elementwise_kernel_helperILb1EZZZNS0_33launch_standard_gamma_grad_kernelERNS_18TensorIteratorBaseEENKUlvE_clEvENKUlvE0_clEvEUlffE_NS0_6memory8policies11unroll_baseILi512ESt5arrayIPcLm3EE23TrivialOffsetCalculatorILi2EjESD_ILi1EjENS7_12LoadWithCastILi2EEENS7_13StoreWithCastILi1EEELi32ELi1EEEEEvT0_T1_@rel32@lo+4
	s_addc_u32 s11, s11, _ZN2at6native25elementwise_kernel_helperILb1EZZZNS0_33launch_standard_gamma_grad_kernelERNS_18TensorIteratorBaseEENKUlvE_clEvENKUlvE0_clEvEUlffE_NS0_6memory8policies11unroll_baseILi512ESt5arrayIPcLm3EE23TrivialOffsetCalculatorILi2EjESD_ILi1EjENS7_12LoadWithCastILi2EEENS7_13StoreWithCastILi1EEELi32ELi1EEEEEvT0_T1_@rel32@hi+12
	s_swappc_b64 s[30:31], s[10:11]
	s_endpgm
	.section	.rodata,"a",@progbits
	.p2align	6, 0x0
	.amdhsa_kernel _ZN2at6native39vectorized_templated_elementwise_kernelILi4EZZZNS0_33launch_standard_gamma_grad_kernelERNS_18TensorIteratorBaseEENKUlvE_clEvENKUlvE0_clEvEUlffE_St5arrayIPcLm3EE23TrivialOffsetCalculatorILi2EjESA_ILi1EjENS0_6memory12LoadWithCastILi2EEENSD_13StoreWithCastILi1EEEfJfN3c108BFloat16EEEEviT0_T1_T2_T3_T4_T5_
		.amdhsa_group_segment_fixed_size 0
		.amdhsa_private_segment_fixed_size 288
		.amdhsa_kernarg_size 312
		.amdhsa_user_sgpr_count 8
		.amdhsa_user_sgpr_private_segment_buffer 1
		.amdhsa_user_sgpr_dispatch_ptr 0
		.amdhsa_user_sgpr_queue_ptr 0
		.amdhsa_user_sgpr_kernarg_segment_ptr 1
		.amdhsa_user_sgpr_dispatch_id 0
		.amdhsa_user_sgpr_flat_scratch_init 1
		.amdhsa_user_sgpr_kernarg_preload_length 0
		.amdhsa_user_sgpr_kernarg_preload_offset 0
		.amdhsa_user_sgpr_private_segment_size 0
		.amdhsa_uses_dynamic_stack 0
		.amdhsa_system_sgpr_private_segment_wavefront_offset 1
		.amdhsa_system_sgpr_workgroup_id_x 1
		.amdhsa_system_sgpr_workgroup_id_y 0
		.amdhsa_system_sgpr_workgroup_id_z 0
		.amdhsa_system_sgpr_workgroup_info 0
		.amdhsa_system_vgpr_workitem_id 0
		.amdhsa_next_free_vgpr 138
		.amdhsa_next_free_sgpr 98
		.amdhsa_accum_offset 120
		.amdhsa_reserve_vcc 1
		.amdhsa_reserve_flat_scratch 1
		.amdhsa_float_round_mode_32 0
		.amdhsa_float_round_mode_16_64 0
		.amdhsa_float_denorm_mode_32 3
		.amdhsa_float_denorm_mode_16_64 3
		.amdhsa_dx10_clamp 1
		.amdhsa_ieee_mode 1
		.amdhsa_fp16_overflow 0
		.amdhsa_tg_split 0
		.amdhsa_exception_fp_ieee_invalid_op 0
		.amdhsa_exception_fp_denorm_src 0
		.amdhsa_exception_fp_ieee_div_zero 0
		.amdhsa_exception_fp_ieee_overflow 0
		.amdhsa_exception_fp_ieee_underflow 0
		.amdhsa_exception_fp_ieee_inexact 0
		.amdhsa_exception_int_div_zero 0
	.end_amdhsa_kernel
	.section	.text._ZN2at6native39vectorized_templated_elementwise_kernelILi4EZZZNS0_33launch_standard_gamma_grad_kernelERNS_18TensorIteratorBaseEENKUlvE_clEvENKUlvE0_clEvEUlffE_St5arrayIPcLm3EE23TrivialOffsetCalculatorILi2EjESA_ILi1EjENS0_6memory12LoadWithCastILi2EEENSD_13StoreWithCastILi1EEEfJfN3c108BFloat16EEEEviT0_T1_T2_T3_T4_T5_,"axG",@progbits,_ZN2at6native39vectorized_templated_elementwise_kernelILi4EZZZNS0_33launch_standard_gamma_grad_kernelERNS_18TensorIteratorBaseEENKUlvE_clEvENKUlvE0_clEvEUlffE_St5arrayIPcLm3EE23TrivialOffsetCalculatorILi2EjESA_ILi1EjENS0_6memory12LoadWithCastILi2EEENSD_13StoreWithCastILi1EEEfJfN3c108BFloat16EEEEviT0_T1_T2_T3_T4_T5_,comdat
.Lfunc_end171:
	.size	_ZN2at6native39vectorized_templated_elementwise_kernelILi4EZZZNS0_33launch_standard_gamma_grad_kernelERNS_18TensorIteratorBaseEENKUlvE_clEvENKUlvE0_clEvEUlffE_St5arrayIPcLm3EE23TrivialOffsetCalculatorILi2EjESA_ILi1EjENS0_6memory12LoadWithCastILi2EEENSD_13StoreWithCastILi1EEEfJfN3c108BFloat16EEEEviT0_T1_T2_T3_T4_T5_, .Lfunc_end171-_ZN2at6native39vectorized_templated_elementwise_kernelILi4EZZZNS0_33launch_standard_gamma_grad_kernelERNS_18TensorIteratorBaseEENKUlvE_clEvENKUlvE0_clEvEUlffE_St5arrayIPcLm3EE23TrivialOffsetCalculatorILi2EjESA_ILi1EjENS0_6memory12LoadWithCastILi2EEENSD_13StoreWithCastILi1EEEfJfN3c108BFloat16EEEEviT0_T1_T2_T3_T4_T5_
                                        ; -- End function
	.section	.AMDGPU.csdata,"",@progbits
; Kernel info:
; codeLenInByte = 1464
; NumSgprs: 104
; NumVgprs: 120
; NumAgprs: 18
; TotalNumVgprs: 138
; ScratchSize: 288
; MemoryBound: 0
; FloatMode: 240
; IeeeMode: 1
; LDSByteSize: 0 bytes/workgroup (compile time only)
; SGPRBlocks: 12
; VGPRBlocks: 17
; NumSGPRsForWavesPerEU: 104
; NumVGPRsForWavesPerEU: 138
; AccumOffset: 120
; Occupancy: 3
; WaveLimiterHint : 0
; COMPUTE_PGM_RSRC2:SCRATCH_EN: 1
; COMPUTE_PGM_RSRC2:USER_SGPR: 8
; COMPUTE_PGM_RSRC2:TRAP_HANDLER: 0
; COMPUTE_PGM_RSRC2:TGID_X_EN: 1
; COMPUTE_PGM_RSRC2:TGID_Y_EN: 0
; COMPUTE_PGM_RSRC2:TGID_Z_EN: 0
; COMPUTE_PGM_RSRC2:TIDIG_COMP_CNT: 0
; COMPUTE_PGM_RSRC3_GFX90A:ACCUM_OFFSET: 29
; COMPUTE_PGM_RSRC3_GFX90A:TG_SPLIT: 0
	.section	.text._ZN2at6native39vectorized_templated_elementwise_kernelILi2EZZZNS0_33launch_standard_gamma_grad_kernelERNS_18TensorIteratorBaseEENKUlvE_clEvENKUlvE0_clEvEUlffE_St5arrayIPcLm3EE23TrivialOffsetCalculatorILi2EjESA_ILi1EjENS0_6memory12LoadWithCastILi2EEENSD_13StoreWithCastILi1EEEfJfN3c108BFloat16EEEEviT0_T1_T2_T3_T4_T5_,"axG",@progbits,_ZN2at6native39vectorized_templated_elementwise_kernelILi2EZZZNS0_33launch_standard_gamma_grad_kernelERNS_18TensorIteratorBaseEENKUlvE_clEvENKUlvE0_clEvEUlffE_St5arrayIPcLm3EE23TrivialOffsetCalculatorILi2EjESA_ILi1EjENS0_6memory12LoadWithCastILi2EEENSD_13StoreWithCastILi1EEEfJfN3c108BFloat16EEEEviT0_T1_T2_T3_T4_T5_,comdat
	.globl	_ZN2at6native39vectorized_templated_elementwise_kernelILi2EZZZNS0_33launch_standard_gamma_grad_kernelERNS_18TensorIteratorBaseEENKUlvE_clEvENKUlvE0_clEvEUlffE_St5arrayIPcLm3EE23TrivialOffsetCalculatorILi2EjESA_ILi1EjENS0_6memory12LoadWithCastILi2EEENSD_13StoreWithCastILi1EEEfJfN3c108BFloat16EEEEviT0_T1_T2_T3_T4_T5_ ; -- Begin function _ZN2at6native39vectorized_templated_elementwise_kernelILi2EZZZNS0_33launch_standard_gamma_grad_kernelERNS_18TensorIteratorBaseEENKUlvE_clEvENKUlvE0_clEvEUlffE_St5arrayIPcLm3EE23TrivialOffsetCalculatorILi2EjESA_ILi1EjENS0_6memory12LoadWithCastILi2EEENSD_13StoreWithCastILi1EEEfJfN3c108BFloat16EEEEviT0_T1_T2_T3_T4_T5_
	.p2align	8
	.type	_ZN2at6native39vectorized_templated_elementwise_kernelILi2EZZZNS0_33launch_standard_gamma_grad_kernelERNS_18TensorIteratorBaseEENKUlvE_clEvENKUlvE0_clEvEUlffE_St5arrayIPcLm3EE23TrivialOffsetCalculatorILi2EjESA_ILi1EjENS0_6memory12LoadWithCastILi2EEENSD_13StoreWithCastILi1EEEfJfN3c108BFloat16EEEEviT0_T1_T2_T3_T4_T5_,@function
_ZN2at6native39vectorized_templated_elementwise_kernelILi2EZZZNS0_33launch_standard_gamma_grad_kernelERNS_18TensorIteratorBaseEENKUlvE_clEvENKUlvE0_clEvEUlffE_St5arrayIPcLm3EE23TrivialOffsetCalculatorILi2EjESA_ILi1EjENS0_6memory12LoadWithCastILi2EEENSD_13StoreWithCastILi1EEEfJfN3c108BFloat16EEEEviT0_T1_T2_T3_T4_T5_: ; @_ZN2at6native39vectorized_templated_elementwise_kernelILi2EZZZNS0_33launch_standard_gamma_grad_kernelERNS_18TensorIteratorBaseEENKUlvE_clEvENKUlvE0_clEvEUlffE_St5arrayIPcLm3EE23TrivialOffsetCalculatorILi2EjESA_ILi1EjENS0_6memory12LoadWithCastILi2EEENSD_13StoreWithCastILi1EEEfJfN3c108BFloat16EEEEviT0_T1_T2_T3_T4_T5_
; %bb.0:
	s_add_u32 flat_scratch_lo, s6, s9
	s_addc_u32 flat_scratch_hi, s7, 0
	s_add_u32 s0, s0, s9
	s_mov_b64 s[22:23], s[4:5]
	s_load_dword s4, s[4:5], 0x38
	s_nop 0
	s_load_dwordx2 s[26:27], s[22:23], 0x18
	s_load_dword s5, s[22:23], 0x0
	s_load_dwordx4 s[36:39], s[22:23], 0x8
	s_addc_u32 s1, s1, 0
	s_not_b32 s6, s8
	s_waitcnt lgkmcnt(0)
	s_add_i32 s4, s4, s6
	s_lshl_b32 s4, s4, 14
	s_sub_i32 s25, s5, s4
	s_mov_b32 s24, s8
	v_mov_b32_e32 v56, v0
	s_cmpk_gt_i32 s25, 0x3fff
	s_mov_b64 s[6:7], -1
	s_mov_b32 s32, 0
	s_cbranch_scc1 .LBB172_3
; %bb.1:
	s_andn2_b64 vcc, exec, s[6:7]
	s_cbranch_vccz .LBB172_4
.LBB172_2:
	s_endpgm
.LBB172_3:
	s_ashr_i32 s5, s4, 31
	s_lshl_b64 s[28:29], s[4:5], 2
	s_add_u32 s6, s38, s28
	s_addc_u32 s7, s39, s29
	v_lshlrev_b32_e32 v94, 3, v56
	v_mov_b32_e32 v0, s7
	v_add_co_u32_e32 v4, vcc, s6, v94
	v_addc_co_u32_e32 v10, vcc, 0, v0, vcc
	v_add_co_u32_e32 v0, vcc, 0x1000, v4
	v_addc_co_u32_e32 v1, vcc, 0, v10, vcc
	v_add_co_u32_e32 v2, vcc, 0x3000, v4
	v_or_b32_e32 v5, 0x400, v56
	v_addc_co_u32_e32 v3, vcc, 0, v10, vcc
	v_lshlrev_b32_e32 v95, 3, v5
	global_load_dwordx2 v[52:53], v94, s[6:7]
	global_load_dwordx2 v[50:51], v[0:1], off
	global_load_dwordx2 v[46:47], v95, s[6:7]
	global_load_dwordx2 v[42:43], v[2:3], off
	v_add_co_u32_e32 v0, vcc, 0x5000, v4
	v_addc_co_u32_e32 v1, vcc, 0, v10, vcc
	v_or_b32_e32 v6, 0x800, v56
	v_add_co_u32_e32 v2, vcc, 0x7000, v4
	v_lshlrev_b32_e32 v96, 3, v6
	v_or_b32_e32 v8, 0xc00, v56
	v_addc_co_u32_e32 v3, vcc, 0, v10, vcc
	v_lshlrev_b32_e32 v97, 3, v8
	global_load_dwordx2 v[48:49], v96, s[6:7]
	global_load_dwordx2 v[44:45], v[0:1], off
	global_load_dwordx2 v[38:39], v97, s[6:7]
	global_load_dwordx2 v[34:35], v[2:3], off
	v_add_co_u32_e32 v0, vcc, 0x9000, v4
	v_addc_co_u32_e32 v1, vcc, 0, v10, vcc
	v_or_b32_e32 v11, 0x1000, v56
	v_add_co_u32_e32 v2, vcc, 0xb000, v4
	v_lshlrev_b32_e32 v98, 3, v11
	v_or_b32_e32 v12, 0x1400, v56
	v_addc_co_u32_e32 v3, vcc, 0, v10, vcc
	s_lshl_b64 s[4:5], s[4:5], 1
	v_lshlrev_b32_e32 v99, 3, v12
	global_load_dwordx2 v[40:41], v98, s[6:7]
	global_load_dwordx2 v[36:37], v[0:1], off
	global_load_dwordx2 v[32:33], v99, s[6:7]
	global_load_dwordx2 v[30:31], v[2:3], off
	v_add_co_u32_e32 v0, vcc, 0xd000, v4
	s_add_u32 s8, s26, s4
	v_addc_co_u32_e32 v1, vcc, 0, v10, vcc
	s_addc_u32 s9, s27, s5
	v_lshlrev_b32_e32 v14, 2, v56
	v_add_co_u32_e32 v2, vcc, 0xf000, v4
	v_mov_b32_e32 v4, s9
	v_add_co_u32_e64 v15, s[4:5], s8, v14
	s_movk_i32 s33, 0x1000
	v_addc_co_u32_e64 v16, s[4:5], 0, v4, s[4:5]
	v_add_co_u32_e64 v4, s[4:5], s33, v15
	v_lshlrev_b32_e32 v17, 2, v5
	v_addc_co_u32_e64 v5, s[4:5], 0, v16, s[4:5]
	s_movk_i32 s4, 0x2000
	v_lshlrev_b32_e32 v18, 2, v6
	v_add_co_u32_e64 v6, s[4:5], s4, v15
	s_movk_i32 s40, 0x3000
	v_addc_co_u32_e64 v7, s[4:5], 0, v16, s[4:5]
	v_lshlrev_b32_e32 v19, 2, v8
	v_add_co_u32_e64 v8, s[4:5], s40, v15
	v_addc_co_u32_e64 v9, s[4:5], 0, v16, s[4:5]
	global_load_dword v20, v14, s[8:9]
	global_load_dword v21, v14, s[8:9] offset:2048
	global_load_dword v22, v17, s[8:9]
	global_load_dword v23, v[4:5], off offset:2048
	global_load_dword v24, v18, s[8:9]
	global_load_dword v25, v[6:7], off offset:2048
	;; [unrolled: 2-line block ×3, first 2 shown]
	v_lshlrev_b32_e32 v4, 2, v11
	s_movk_i32 s10, 0x4000
	global_load_dword v11, v4, s[8:9]
	s_mov_b64 s[4:5], vcc
	v_add_co_u32_e32 v4, vcc, s10, v15
	s_movk_i32 s41, 0x5000
	v_addc_co_u32_e32 v5, vcc, 0, v16, vcc
	v_add_co_u32_e32 v6, vcc, s41, v15
	v_addc_co_u32_e32 v7, vcc, 0, v16, vcc
	v_or_b32_e32 v13, 0x1c00, v56
	v_add_co_u32_e32 v8, vcc, 0x6000, v15
	v_or_b32_e32 v3, 0x1800, v56
	v_lshlrev_b32_e32 v12, 2, v12
	v_addc_co_u32_e32 v9, vcc, 0, v16, vcc
	global_load_dword v14, v[4:5], off offset:2048
	v_lshlrev_b32_e32 v4, 2, v13
	v_lshlrev_b32_e32 v100, 3, v3
	;; [unrolled: 1-line block ×3, first 2 shown]
	global_load_dword v17, v12, s[8:9]
	global_load_dword v18, v[6:7], off offset:2048
	global_load_dword v19, v3, s[8:9]
	global_load_dword v28, v[8:9], off offset:2048
	global_load_dword v29, v4, s[8:9]
	v_add_co_u32_e32 v4, vcc, 0x7000, v15
	v_addc_co_u32_e32 v5, vcc, 0, v16, vcc
	global_load_dword v4, v[4:5], off offset:2048
	v_lshlrev_b32_e32 v101, 3, v13
	v_addc_co_u32_e64 v3, vcc, 0, v10, s[4:5]
	global_load_dwordx2 v[58:59], v100, s[6:7]
	global_load_dwordx2 v[60:61], v[0:1], off
	global_load_dwordx2 v[62:63], v101, s[6:7]
	global_load_dwordx2 v[54:55], v[2:3], off
	s_waitcnt vmcnt(31)
	v_mov_b32_e32 v0, v52
	s_movk_i32 s44, 0x7000
	s_mov_b32 s43, 0x9000
	s_mov_b32 s42, 0xb000
	s_getpc_b64 s[34:35]
	s_add_u32 s34, s34, _ZZZZN2at6native33launch_standard_gamma_grad_kernelERNS_18TensorIteratorBaseEENKUlvE_clEvENKUlvE0_clEvENKUlffE_clEff@rel32@lo+4
	s_addc_u32 s35, s35, _ZZZZN2at6native33launch_standard_gamma_grad_kernelERNS_18TensorIteratorBaseEENKUlvE_clEvENKUlvE0_clEvENKUlffE_clEff@rel32@hi+12
	s_waitcnt vmcnt(19)
	v_lshlrev_b32_e32 v1, 16, v20
	v_and_b32_e32 v57, 0xffff0000, v20
	s_waitcnt vmcnt(18)
	v_and_b32_e32 v64, 0xffff0000, v21
	v_lshlrev_b32_e32 v65, 16, v21
	s_waitcnt vmcnt(17)
	v_and_b32_e32 v66, 0xffff0000, v22
	v_lshlrev_b32_e32 v67, 16, v22
	;; [unrolled: 3-line block ×15, first 2 shown]
	s_swappc_b64 s[30:31], s[34:35]
	v_mov_b32_e32 v52, v0
	v_mov_b32_e32 v0, v53
	v_mov_b32_e32 v1, v57
	s_swappc_b64 s[30:31], s[34:35]
	v_mov_b32_e32 v53, v0
	v_mov_b32_e32 v0, v50
	v_mov_b32_e32 v1, v65
	;; [unrolled: 4-line block ×31, first 2 shown]
	s_swappc_b64 s[30:31], s[34:35]
	s_add_u32 s4, s36, s28
	s_addc_u32 s5, s37, s29
	v_mov_b32_e32 v55, v0
	v_mov_b32_e32 v0, s5
	v_add_co_u32_e32 v2, vcc, s4, v94
	v_addc_co_u32_e32 v3, vcc, 0, v0, vcc
	v_add_co_u32_e32 v0, vcc, s33, v2
	v_addc_co_u32_e32 v1, vcc, 0, v3, vcc
	global_store_dwordx2 v94, v[52:53], s[4:5]
	global_store_dwordx2 v[0:1], v[50:51], off
	global_store_dwordx2 v95, v[46:47], s[4:5]
	v_add_co_u32_e32 v0, vcc, s40, v2
	v_addc_co_u32_e32 v1, vcc, 0, v3, vcc
	global_store_dwordx2 v[0:1], v[42:43], off
	global_store_dwordx2 v96, v[48:49], s[4:5]
	v_add_co_u32_e32 v0, vcc, s41, v2
	v_addc_co_u32_e32 v1, vcc, 0, v3, vcc
	;; [unrolled: 4-line block ×7, first 2 shown]
	global_store_dwordx2 v[0:1], v[54:55], off
	s_cbranch_execnz .LBB172_2
.LBB172_4:
	s_load_dword s13, s[22:23], 0x24
	s_load_dwordx4 s[4:7], s[22:23], 0x28
	s_add_u32 s8, s22, 56
	s_addc_u32 s9, s23, 0
	s_mov_b32 s12, s24
	s_waitcnt lgkmcnt(0)
	v_lshrrev_b16_e64 v8, 8, s13
	v_mov_b32_e32 v31, v56
	v_mov_b32_e32 v0, s36
	;; [unrolled: 1-line block ×13, first 2 shown]
	s_getpc_b64 s[10:11]
	s_add_u32 s10, s10, _ZN2at6native25elementwise_kernel_helperILb1EZZZNS0_33launch_standard_gamma_grad_kernelERNS_18TensorIteratorBaseEENKUlvE_clEvENKUlvE0_clEvEUlffE_NS0_6memory8policies11unroll_baseILi512ESt5arrayIPcLm3EE23TrivialOffsetCalculatorILi2EjESD_ILi1EjENS7_12LoadWithCastILi2EEENS7_13StoreWithCastILi1EEELi32ELi1EEEEEvT0_T1_@rel32@lo+4
	s_addc_u32 s11, s11, _ZN2at6native25elementwise_kernel_helperILb1EZZZNS0_33launch_standard_gamma_grad_kernelERNS_18TensorIteratorBaseEENKUlvE_clEvENKUlvE0_clEvEUlffE_NS0_6memory8policies11unroll_baseILi512ESt5arrayIPcLm3EE23TrivialOffsetCalculatorILi2EjESD_ILi1EjENS7_12LoadWithCastILi2EEENS7_13StoreWithCastILi1EEELi32ELi1EEEEEvT0_T1_@rel32@hi+12
	s_swappc_b64 s[30:31], s[10:11]
	s_endpgm
	.section	.rodata,"a",@progbits
	.p2align	6, 0x0
	.amdhsa_kernel _ZN2at6native39vectorized_templated_elementwise_kernelILi2EZZZNS0_33launch_standard_gamma_grad_kernelERNS_18TensorIteratorBaseEENKUlvE_clEvENKUlvE0_clEvEUlffE_St5arrayIPcLm3EE23TrivialOffsetCalculatorILi2EjESA_ILi1EjENS0_6memory12LoadWithCastILi2EEENSD_13StoreWithCastILi1EEEfJfN3c108BFloat16EEEEviT0_T1_T2_T3_T4_T5_
		.amdhsa_group_segment_fixed_size 0
		.amdhsa_private_segment_fixed_size 288
		.amdhsa_kernarg_size 312
		.amdhsa_user_sgpr_count 8
		.amdhsa_user_sgpr_private_segment_buffer 1
		.amdhsa_user_sgpr_dispatch_ptr 0
		.amdhsa_user_sgpr_queue_ptr 0
		.amdhsa_user_sgpr_kernarg_segment_ptr 1
		.amdhsa_user_sgpr_dispatch_id 0
		.amdhsa_user_sgpr_flat_scratch_init 1
		.amdhsa_user_sgpr_kernarg_preload_length 0
		.amdhsa_user_sgpr_kernarg_preload_offset 0
		.amdhsa_user_sgpr_private_segment_size 0
		.amdhsa_uses_dynamic_stack 0
		.amdhsa_system_sgpr_private_segment_wavefront_offset 1
		.amdhsa_system_sgpr_workgroup_id_x 1
		.amdhsa_system_sgpr_workgroup_id_y 0
		.amdhsa_system_sgpr_workgroup_id_z 0
		.amdhsa_system_sgpr_workgroup_info 0
		.amdhsa_system_vgpr_workitem_id 0
		.amdhsa_next_free_vgpr 138
		.amdhsa_next_free_sgpr 98
		.amdhsa_accum_offset 120
		.amdhsa_reserve_vcc 1
		.amdhsa_reserve_flat_scratch 1
		.amdhsa_float_round_mode_32 0
		.amdhsa_float_round_mode_16_64 0
		.amdhsa_float_denorm_mode_32 3
		.amdhsa_float_denorm_mode_16_64 3
		.amdhsa_dx10_clamp 1
		.amdhsa_ieee_mode 1
		.amdhsa_fp16_overflow 0
		.amdhsa_tg_split 0
		.amdhsa_exception_fp_ieee_invalid_op 0
		.amdhsa_exception_fp_denorm_src 0
		.amdhsa_exception_fp_ieee_div_zero 0
		.amdhsa_exception_fp_ieee_overflow 0
		.amdhsa_exception_fp_ieee_underflow 0
		.amdhsa_exception_fp_ieee_inexact 0
		.amdhsa_exception_int_div_zero 0
	.end_amdhsa_kernel
	.section	.text._ZN2at6native39vectorized_templated_elementwise_kernelILi2EZZZNS0_33launch_standard_gamma_grad_kernelERNS_18TensorIteratorBaseEENKUlvE_clEvENKUlvE0_clEvEUlffE_St5arrayIPcLm3EE23TrivialOffsetCalculatorILi2EjESA_ILi1EjENS0_6memory12LoadWithCastILi2EEENSD_13StoreWithCastILi1EEEfJfN3c108BFloat16EEEEviT0_T1_T2_T3_T4_T5_,"axG",@progbits,_ZN2at6native39vectorized_templated_elementwise_kernelILi2EZZZNS0_33launch_standard_gamma_grad_kernelERNS_18TensorIteratorBaseEENKUlvE_clEvENKUlvE0_clEvEUlffE_St5arrayIPcLm3EE23TrivialOffsetCalculatorILi2EjESA_ILi1EjENS0_6memory12LoadWithCastILi2EEENSD_13StoreWithCastILi1EEEfJfN3c108BFloat16EEEEviT0_T1_T2_T3_T4_T5_,comdat
.Lfunc_end172:
	.size	_ZN2at6native39vectorized_templated_elementwise_kernelILi2EZZZNS0_33launch_standard_gamma_grad_kernelERNS_18TensorIteratorBaseEENKUlvE_clEvENKUlvE0_clEvEUlffE_St5arrayIPcLm3EE23TrivialOffsetCalculatorILi2EjESA_ILi1EjENS0_6memory12LoadWithCastILi2EEENSD_13StoreWithCastILi1EEEfJfN3c108BFloat16EEEEviT0_T1_T2_T3_T4_T5_, .Lfunc_end172-_ZN2at6native39vectorized_templated_elementwise_kernelILi2EZZZNS0_33launch_standard_gamma_grad_kernelERNS_18TensorIteratorBaseEENKUlvE_clEvENKUlvE0_clEvEUlffE_St5arrayIPcLm3EE23TrivialOffsetCalculatorILi2EjESA_ILi1EjENS0_6memory12LoadWithCastILi2EEENSD_13StoreWithCastILi1EEEfJfN3c108BFloat16EEEEviT0_T1_T2_T3_T4_T5_
                                        ; -- End function
	.section	.AMDGPU.csdata,"",@progbits
; Kernel info:
; codeLenInByte = 1912
; NumSgprs: 104
; NumVgprs: 120
; NumAgprs: 18
; TotalNumVgprs: 138
; ScratchSize: 288
; MemoryBound: 0
; FloatMode: 240
; IeeeMode: 1
; LDSByteSize: 0 bytes/workgroup (compile time only)
; SGPRBlocks: 12
; VGPRBlocks: 17
; NumSGPRsForWavesPerEU: 104
; NumVGPRsForWavesPerEU: 138
; AccumOffset: 120
; Occupancy: 3
; WaveLimiterHint : 0
; COMPUTE_PGM_RSRC2:SCRATCH_EN: 1
; COMPUTE_PGM_RSRC2:USER_SGPR: 8
; COMPUTE_PGM_RSRC2:TRAP_HANDLER: 0
; COMPUTE_PGM_RSRC2:TGID_X_EN: 1
; COMPUTE_PGM_RSRC2:TGID_Y_EN: 0
; COMPUTE_PGM_RSRC2:TGID_Z_EN: 0
; COMPUTE_PGM_RSRC2:TIDIG_COMP_CNT: 0
; COMPUTE_PGM_RSRC3_GFX90A:ACCUM_OFFSET: 29
; COMPUTE_PGM_RSRC3_GFX90A:TG_SPLIT: 0
	.section	.text._ZN2at6native39vectorized_templated_elementwise_kernelILi8EZZZNS0_33launch_standard_gamma_grad_kernelERNS_18TensorIteratorBaseEENKUlvE_clEvENKUlvE0_clEvEUlffE_St5arrayIPcLm3EE23TrivialOffsetCalculatorILi2EjESA_ILi1EjENS0_6memory12LoadWithCastILi2EEENSD_13StoreWithCastILi1EEEfJN3c108BFloat16EfEEEviT0_T1_T2_T3_T4_T5_,"axG",@progbits,_ZN2at6native39vectorized_templated_elementwise_kernelILi8EZZZNS0_33launch_standard_gamma_grad_kernelERNS_18TensorIteratorBaseEENKUlvE_clEvENKUlvE0_clEvEUlffE_St5arrayIPcLm3EE23TrivialOffsetCalculatorILi2EjESA_ILi1EjENS0_6memory12LoadWithCastILi2EEENSD_13StoreWithCastILi1EEEfJN3c108BFloat16EfEEEviT0_T1_T2_T3_T4_T5_,comdat
	.globl	_ZN2at6native39vectorized_templated_elementwise_kernelILi8EZZZNS0_33launch_standard_gamma_grad_kernelERNS_18TensorIteratorBaseEENKUlvE_clEvENKUlvE0_clEvEUlffE_St5arrayIPcLm3EE23TrivialOffsetCalculatorILi2EjESA_ILi1EjENS0_6memory12LoadWithCastILi2EEENSD_13StoreWithCastILi1EEEfJN3c108BFloat16EfEEEviT0_T1_T2_T3_T4_T5_ ; -- Begin function _ZN2at6native39vectorized_templated_elementwise_kernelILi8EZZZNS0_33launch_standard_gamma_grad_kernelERNS_18TensorIteratorBaseEENKUlvE_clEvENKUlvE0_clEvEUlffE_St5arrayIPcLm3EE23TrivialOffsetCalculatorILi2EjESA_ILi1EjENS0_6memory12LoadWithCastILi2EEENSD_13StoreWithCastILi1EEEfJN3c108BFloat16EfEEEviT0_T1_T2_T3_T4_T5_
	.p2align	8
	.type	_ZN2at6native39vectorized_templated_elementwise_kernelILi8EZZZNS0_33launch_standard_gamma_grad_kernelERNS_18TensorIteratorBaseEENKUlvE_clEvENKUlvE0_clEvEUlffE_St5arrayIPcLm3EE23TrivialOffsetCalculatorILi2EjESA_ILi1EjENS0_6memory12LoadWithCastILi2EEENSD_13StoreWithCastILi1EEEfJN3c108BFloat16EfEEEviT0_T1_T2_T3_T4_T5_,@function
_ZN2at6native39vectorized_templated_elementwise_kernelILi8EZZZNS0_33launch_standard_gamma_grad_kernelERNS_18TensorIteratorBaseEENKUlvE_clEvENKUlvE0_clEvEUlffE_St5arrayIPcLm3EE23TrivialOffsetCalculatorILi2EjESA_ILi1EjENS0_6memory12LoadWithCastILi2EEENSD_13StoreWithCastILi1EEEfJN3c108BFloat16EfEEEviT0_T1_T2_T3_T4_T5_: ; @_ZN2at6native39vectorized_templated_elementwise_kernelILi8EZZZNS0_33launch_standard_gamma_grad_kernelERNS_18TensorIteratorBaseEENKUlvE_clEvENKUlvE0_clEvEUlffE_St5arrayIPcLm3EE23TrivialOffsetCalculatorILi2EjESA_ILi1EjENS0_6memory12LoadWithCastILi2EEENSD_13StoreWithCastILi1EEEfJN3c108BFloat16EfEEEviT0_T1_T2_T3_T4_T5_
; %bb.0:
	s_add_u32 flat_scratch_lo, s6, s9
	s_addc_u32 flat_scratch_hi, s7, 0
	s_add_u32 s0, s0, s9
	s_mov_b64 s[22:23], s[4:5]
	s_load_dword s4, s[4:5], 0x38
	s_nop 0
	s_load_dwordx2 s[26:27], s[22:23], 0x18
	s_load_dword s5, s[22:23], 0x0
	s_load_dwordx4 s[36:39], s[22:23], 0x8
	s_addc_u32 s1, s1, 0
	s_not_b32 s6, s8
	s_waitcnt lgkmcnt(0)
	s_add_i32 s4, s4, s6
	s_lshl_b32 s4, s4, 14
	s_sub_i32 s25, s5, s4
	s_mov_b32 s24, s8
	v_mov_b32_e32 v34, v0
	s_cmpk_gt_i32 s25, 0x3fff
	s_mov_b64 s[6:7], -1
	s_mov_b32 s32, 0
	s_cbranch_scc1 .LBB173_3
; %bb.1:
	s_andn2_b64 vcc, exec, s[6:7]
	s_cbranch_vccz .LBB173_4
.LBB173_2:
	s_endpgm
.LBB173_3:
	s_ashr_i32 s5, s4, 31
	s_lshl_b64 s[6:7], s[4:5], 1
	s_add_u32 s6, s38, s6
	s_addc_u32 s7, s39, s7
	v_lshlrev_b32_e32 v10, 4, v34
	v_mov_b32_e32 v0, s7
	v_add_co_u32_e32 v11, vcc, s6, v10
	v_addc_co_u32_e32 v12, vcc, 0, v0, vcc
	s_movk_i32 s8, 0x2000
	v_add_co_u32_e32 v0, vcc, s8, v11
	v_addc_co_u32_e32 v1, vcc, 0, v12, vcc
	s_movk_i32 s8, 0x6000
	s_lshl_b64 s[28:29], s[4:5], 2
	global_load_dwordx4 v[2:5], v10, s[6:7]
	global_load_dwordx4 v[6:9], v[0:1], off
	v_or_b32_e32 v18, 0x400, v34
	v_add_co_u32_e32 v0, vcc, s8, v11
	s_add_u32 s4, s26, s28
	v_lshlrev_b32_e32 v19, 4, v18
	v_addc_co_u32_e32 v1, vcc, 0, v12, vcc
	s_addc_u32 s5, s27, s29
	v_lshlrev_b32_e32 v94, 5, v34
	global_load_dwordx4 v[10:13], v19, s[6:7]
	global_load_dwordx4 v[14:17], v[0:1], off
	v_mov_b32_e32 v0, s5
	v_add_co_u32_e32 v19, vcc, s4, v94
	v_addc_co_u32_e32 v20, vcc, 0, v0, vcc
	s_movk_i32 s33, 0x4000
	v_add_co_u32_e32 v0, vcc, s33, v19
	v_addc_co_u32_e32 v1, vcc, 0, v20, vcc
	v_lshlrev_b32_e32 v95, 5, v18
	global_load_dwordx4 v[36:39], v94, s[4:5] offset:16
	global_load_dwordx4 v[40:43], v94, s[4:5]
	global_load_dwordx4 v[44:47], v[0:1], off
	global_load_dwordx4 v[48:51], v[0:1], off offset:16
	global_load_dwordx4 v[52:55], v95, s[4:5] offset:16
	global_load_dwordx4 v[56:59], v95, s[4:5]
	s_mov_b32 s4, 0xc000
	v_add_co_u32_e32 v0, vcc, s4, v19
	v_addc_co_u32_e32 v1, vcc, 0, v20, vcc
	global_load_dwordx4 v[60:63], v[0:1], off
	global_load_dwordx4 v[30:33], v[0:1], off offset:16
	s_getpc_b64 s[34:35]
	s_add_u32 s34, s34, _ZZZZN2at6native33launch_standard_gamma_grad_kernelERNS_18TensorIteratorBaseEENKUlvE_clEvENKUlvE0_clEvENKUlffE_clEff@rel32@lo+4
	s_addc_u32 s35, s35, _ZZZZN2at6native33launch_standard_gamma_grad_kernelERNS_18TensorIteratorBaseEENKUlvE_clEvENKUlvE0_clEvENKUlffE_clEff@rel32@hi+12
	s_waitcnt vmcnt(11)
	v_lshlrev_b32_e32 v0, 16, v2
	v_and_b32_e32 v35, 0xffff0000, v2
	v_lshlrev_b32_e32 v64, 16, v3
	v_and_b32_e32 v65, 0xffff0000, v3
	;; [unrolled: 2-line block ×4, first 2 shown]
	s_waitcnt vmcnt(10)
	v_lshlrev_b32_e32 v78, 16, v6
	v_and_b32_e32 v79, 0xffff0000, v6
	s_waitcnt vmcnt(9)
	v_lshlrev_b32_e32 v70, 16, v10
	v_and_b32_e32 v71, 0xffff0000, v10
	v_lshlrev_b32_e32 v72, 16, v11
	v_and_b32_e32 v73, 0xffff0000, v11
	;; [unrolled: 2-line block ×6, first 2 shown]
	v_lshlrev_b32_e32 v84, 16, v9
	s_waitcnt vmcnt(6)
	v_mov_b32_e32 v1, v40
	v_and_b32_e32 v85, 0xffff0000, v9
	v_lshlrev_b32_e32 v86, 16, v14
	v_and_b32_e32 v87, 0xffff0000, v14
	v_lshlrev_b32_e32 v88, 16, v15
	;; [unrolled: 2-line block ×4, first 2 shown]
	v_and_b32_e32 v93, 0xffff0000, v17
	s_swappc_b64 s[30:31], s[34:35]
	v_mov_b32_e32 v40, v0
	v_mov_b32_e32 v0, v35
	v_mov_b32_e32 v1, v41
	s_swappc_b64 s[30:31], s[34:35]
	v_mov_b32_e32 v41, v0
	v_mov_b32_e32 v0, v64
	v_mov_b32_e32 v1, v42
	;; [unrolled: 4-line block ×31, first 2 shown]
	s_swappc_b64 s[30:31], s[34:35]
	s_add_u32 s4, s36, s28
	s_addc_u32 s5, s37, s29
	v_mov_b32_e32 v33, v0
	v_mov_b32_e32 v0, s5
	v_add_co_u32_e32 v2, vcc, s4, v94
	v_addc_co_u32_e32 v3, vcc, 0, v0, vcc
	v_add_co_u32_e32 v0, vcc, s33, v2
	v_addc_co_u32_e32 v1, vcc, 0, v3, vcc
	global_store_dwordx4 v94, v[40:43], s[4:5]
	global_store_dwordx4 v94, v[36:39], s[4:5] offset:16
	global_store_dwordx4 v[0:1], v[44:47], off
	global_store_dwordx4 v[0:1], v[48:51], off offset:16
	global_store_dwordx4 v95, v[56:59], s[4:5]
	global_store_dwordx4 v95, v[52:55], s[4:5] offset:16
	v_add_co_u32_e32 v0, vcc, 0xc000, v2
	v_addc_co_u32_e32 v1, vcc, 0, v3, vcc
	global_store_dwordx4 v[0:1], v[60:63], off
	global_store_dwordx4 v[0:1], v[30:33], off offset:16
	s_cbranch_execnz .LBB173_2
.LBB173_4:
	s_load_dword s13, s[22:23], 0x24
	s_load_dwordx4 s[4:7], s[22:23], 0x28
	s_add_u32 s8, s22, 56
	s_addc_u32 s9, s23, 0
	s_mov_b32 s12, s24
	s_waitcnt lgkmcnt(0)
	v_lshrrev_b16_e64 v8, 8, s13
	v_mov_b32_e32 v31, v34
	v_mov_b32_e32 v0, s36
	;; [unrolled: 1-line block ×13, first 2 shown]
	s_getpc_b64 s[10:11]
	s_add_u32 s10, s10, _ZN2at6native25elementwise_kernel_helperILb1EZZZNS0_33launch_standard_gamma_grad_kernelERNS_18TensorIteratorBaseEENKUlvE_clEvENKUlvE0_clEvEUlffE_NS0_6memory8policies11unroll_baseILi512ESt5arrayIPcLm3EE23TrivialOffsetCalculatorILi2EjESD_ILi1EjENS7_12LoadWithCastILi2EEENS7_13StoreWithCastILi1EEELi32ELi1EEEEEvT0_T1_@rel32@lo+4
	s_addc_u32 s11, s11, _ZN2at6native25elementwise_kernel_helperILb1EZZZNS0_33launch_standard_gamma_grad_kernelERNS_18TensorIteratorBaseEENKUlvE_clEvENKUlvE0_clEvEUlffE_NS0_6memory8policies11unroll_baseILi512ESt5arrayIPcLm3EE23TrivialOffsetCalculatorILi2EjESD_ILi1EjENS7_12LoadWithCastILi2EEENS7_13StoreWithCastILi1EEELi32ELi1EEEEEvT0_T1_@rel32@hi+12
	s_swappc_b64 s[30:31], s[10:11]
	s_endpgm
	.section	.rodata,"a",@progbits
	.p2align	6, 0x0
	.amdhsa_kernel _ZN2at6native39vectorized_templated_elementwise_kernelILi8EZZZNS0_33launch_standard_gamma_grad_kernelERNS_18TensorIteratorBaseEENKUlvE_clEvENKUlvE0_clEvEUlffE_St5arrayIPcLm3EE23TrivialOffsetCalculatorILi2EjESA_ILi1EjENS0_6memory12LoadWithCastILi2EEENSD_13StoreWithCastILi1EEEfJN3c108BFloat16EfEEEviT0_T1_T2_T3_T4_T5_
		.amdhsa_group_segment_fixed_size 0
		.amdhsa_private_segment_fixed_size 288
		.amdhsa_kernarg_size 312
		.amdhsa_user_sgpr_count 8
		.amdhsa_user_sgpr_private_segment_buffer 1
		.amdhsa_user_sgpr_dispatch_ptr 0
		.amdhsa_user_sgpr_queue_ptr 0
		.amdhsa_user_sgpr_kernarg_segment_ptr 1
		.amdhsa_user_sgpr_dispatch_id 0
		.amdhsa_user_sgpr_flat_scratch_init 1
		.amdhsa_user_sgpr_kernarg_preload_length 0
		.amdhsa_user_sgpr_kernarg_preload_offset 0
		.amdhsa_user_sgpr_private_segment_size 0
		.amdhsa_uses_dynamic_stack 0
		.amdhsa_system_sgpr_private_segment_wavefront_offset 1
		.amdhsa_system_sgpr_workgroup_id_x 1
		.amdhsa_system_sgpr_workgroup_id_y 0
		.amdhsa_system_sgpr_workgroup_id_z 0
		.amdhsa_system_sgpr_workgroup_info 0
		.amdhsa_system_vgpr_workitem_id 0
		.amdhsa_next_free_vgpr 138
		.amdhsa_next_free_sgpr 98
		.amdhsa_accum_offset 120
		.amdhsa_reserve_vcc 1
		.amdhsa_reserve_flat_scratch 1
		.amdhsa_float_round_mode_32 0
		.amdhsa_float_round_mode_16_64 0
		.amdhsa_float_denorm_mode_32 3
		.amdhsa_float_denorm_mode_16_64 3
		.amdhsa_dx10_clamp 1
		.amdhsa_ieee_mode 1
		.amdhsa_fp16_overflow 0
		.amdhsa_tg_split 0
		.amdhsa_exception_fp_ieee_invalid_op 0
		.amdhsa_exception_fp_denorm_src 0
		.amdhsa_exception_fp_ieee_div_zero 0
		.amdhsa_exception_fp_ieee_overflow 0
		.amdhsa_exception_fp_ieee_underflow 0
		.amdhsa_exception_fp_ieee_inexact 0
		.amdhsa_exception_int_div_zero 0
	.end_amdhsa_kernel
	.section	.text._ZN2at6native39vectorized_templated_elementwise_kernelILi8EZZZNS0_33launch_standard_gamma_grad_kernelERNS_18TensorIteratorBaseEENKUlvE_clEvENKUlvE0_clEvEUlffE_St5arrayIPcLm3EE23TrivialOffsetCalculatorILi2EjESA_ILi1EjENS0_6memory12LoadWithCastILi2EEENSD_13StoreWithCastILi1EEEfJN3c108BFloat16EfEEEviT0_T1_T2_T3_T4_T5_,"axG",@progbits,_ZN2at6native39vectorized_templated_elementwise_kernelILi8EZZZNS0_33launch_standard_gamma_grad_kernelERNS_18TensorIteratorBaseEENKUlvE_clEvENKUlvE0_clEvEUlffE_St5arrayIPcLm3EE23TrivialOffsetCalculatorILi2EjESA_ILi1EjENS0_6memory12LoadWithCastILi2EEENSD_13StoreWithCastILi1EEEfJN3c108BFloat16EfEEEviT0_T1_T2_T3_T4_T5_,comdat
.Lfunc_end173:
	.size	_ZN2at6native39vectorized_templated_elementwise_kernelILi8EZZZNS0_33launch_standard_gamma_grad_kernelERNS_18TensorIteratorBaseEENKUlvE_clEvENKUlvE0_clEvEUlffE_St5arrayIPcLm3EE23TrivialOffsetCalculatorILi2EjESA_ILi1EjENS0_6memory12LoadWithCastILi2EEENSD_13StoreWithCastILi1EEEfJN3c108BFloat16EfEEEviT0_T1_T2_T3_T4_T5_, .Lfunc_end173-_ZN2at6native39vectorized_templated_elementwise_kernelILi8EZZZNS0_33launch_standard_gamma_grad_kernelERNS_18TensorIteratorBaseEENKUlvE_clEvENKUlvE0_clEvEUlffE_St5arrayIPcLm3EE23TrivialOffsetCalculatorILi2EjESA_ILi1EjENS0_6memory12LoadWithCastILi2EEENSD_13StoreWithCastILi1EEEfJN3c108BFloat16EfEEEviT0_T1_T2_T3_T4_T5_
                                        ; -- End function
	.section	.AMDGPU.csdata,"",@progbits
; Kernel info:
; codeLenInByte = 1300
; NumSgprs: 104
; NumVgprs: 120
; NumAgprs: 18
; TotalNumVgprs: 138
; ScratchSize: 288
; MemoryBound: 0
; FloatMode: 240
; IeeeMode: 1
; LDSByteSize: 0 bytes/workgroup (compile time only)
; SGPRBlocks: 12
; VGPRBlocks: 17
; NumSGPRsForWavesPerEU: 104
; NumVGPRsForWavesPerEU: 138
; AccumOffset: 120
; Occupancy: 3
; WaveLimiterHint : 0
; COMPUTE_PGM_RSRC2:SCRATCH_EN: 1
; COMPUTE_PGM_RSRC2:USER_SGPR: 8
; COMPUTE_PGM_RSRC2:TRAP_HANDLER: 0
; COMPUTE_PGM_RSRC2:TGID_X_EN: 1
; COMPUTE_PGM_RSRC2:TGID_Y_EN: 0
; COMPUTE_PGM_RSRC2:TGID_Z_EN: 0
; COMPUTE_PGM_RSRC2:TIDIG_COMP_CNT: 0
; COMPUTE_PGM_RSRC3_GFX90A:ACCUM_OFFSET: 29
; COMPUTE_PGM_RSRC3_GFX90A:TG_SPLIT: 0
	.section	.text._ZN2at6native39vectorized_templated_elementwise_kernelILi4EZZZNS0_33launch_standard_gamma_grad_kernelERNS_18TensorIteratorBaseEENKUlvE_clEvENKUlvE0_clEvEUlffE_St5arrayIPcLm3EE23TrivialOffsetCalculatorILi2EjESA_ILi1EjENS0_6memory12LoadWithCastILi2EEENSD_13StoreWithCastILi1EEEfJN3c108BFloat16EfEEEviT0_T1_T2_T3_T4_T5_,"axG",@progbits,_ZN2at6native39vectorized_templated_elementwise_kernelILi4EZZZNS0_33launch_standard_gamma_grad_kernelERNS_18TensorIteratorBaseEENKUlvE_clEvENKUlvE0_clEvEUlffE_St5arrayIPcLm3EE23TrivialOffsetCalculatorILi2EjESA_ILi1EjENS0_6memory12LoadWithCastILi2EEENSD_13StoreWithCastILi1EEEfJN3c108BFloat16EfEEEviT0_T1_T2_T3_T4_T5_,comdat
	.globl	_ZN2at6native39vectorized_templated_elementwise_kernelILi4EZZZNS0_33launch_standard_gamma_grad_kernelERNS_18TensorIteratorBaseEENKUlvE_clEvENKUlvE0_clEvEUlffE_St5arrayIPcLm3EE23TrivialOffsetCalculatorILi2EjESA_ILi1EjENS0_6memory12LoadWithCastILi2EEENSD_13StoreWithCastILi1EEEfJN3c108BFloat16EfEEEviT0_T1_T2_T3_T4_T5_ ; -- Begin function _ZN2at6native39vectorized_templated_elementwise_kernelILi4EZZZNS0_33launch_standard_gamma_grad_kernelERNS_18TensorIteratorBaseEENKUlvE_clEvENKUlvE0_clEvEUlffE_St5arrayIPcLm3EE23TrivialOffsetCalculatorILi2EjESA_ILi1EjENS0_6memory12LoadWithCastILi2EEENSD_13StoreWithCastILi1EEEfJN3c108BFloat16EfEEEviT0_T1_T2_T3_T4_T5_
	.p2align	8
	.type	_ZN2at6native39vectorized_templated_elementwise_kernelILi4EZZZNS0_33launch_standard_gamma_grad_kernelERNS_18TensorIteratorBaseEENKUlvE_clEvENKUlvE0_clEvEUlffE_St5arrayIPcLm3EE23TrivialOffsetCalculatorILi2EjESA_ILi1EjENS0_6memory12LoadWithCastILi2EEENSD_13StoreWithCastILi1EEEfJN3c108BFloat16EfEEEviT0_T1_T2_T3_T4_T5_,@function
_ZN2at6native39vectorized_templated_elementwise_kernelILi4EZZZNS0_33launch_standard_gamma_grad_kernelERNS_18TensorIteratorBaseEENKUlvE_clEvENKUlvE0_clEvEUlffE_St5arrayIPcLm3EE23TrivialOffsetCalculatorILi2EjESA_ILi1EjENS0_6memory12LoadWithCastILi2EEENSD_13StoreWithCastILi1EEEfJN3c108BFloat16EfEEEviT0_T1_T2_T3_T4_T5_: ; @_ZN2at6native39vectorized_templated_elementwise_kernelILi4EZZZNS0_33launch_standard_gamma_grad_kernelERNS_18TensorIteratorBaseEENKUlvE_clEvENKUlvE0_clEvEUlffE_St5arrayIPcLm3EE23TrivialOffsetCalculatorILi2EjESA_ILi1EjENS0_6memory12LoadWithCastILi2EEENSD_13StoreWithCastILi1EEEfJN3c108BFloat16EfEEEviT0_T1_T2_T3_T4_T5_
; %bb.0:
	s_add_u32 flat_scratch_lo, s6, s9
	s_addc_u32 flat_scratch_hi, s7, 0
	s_add_u32 s0, s0, s9
	s_mov_b64 s[22:23], s[4:5]
	s_load_dword s4, s[4:5], 0x38
	s_nop 0
	s_load_dwordx2 s[26:27], s[22:23], 0x18
	s_load_dword s5, s[22:23], 0x0
	s_load_dwordx4 s[36:39], s[22:23], 0x8
	s_addc_u32 s1, s1, 0
	s_not_b32 s6, s8
	s_waitcnt lgkmcnt(0)
	s_add_i32 s4, s4, s6
	s_lshl_b32 s4, s4, 14
	s_sub_i32 s25, s5, s4
	s_mov_b32 s24, s8
	v_mov_b32_e32 v34, v0
	s_cmpk_gt_i32 s25, 0x3fff
	s_mov_b64 s[6:7], -1
	s_mov_b32 s32, 0
	s_cbranch_scc1 .LBB174_3
; %bb.1:
	s_andn2_b64 vcc, exec, s[6:7]
	s_cbranch_vccz .LBB174_4
.LBB174_2:
	s_endpgm
.LBB174_3:
	s_ashr_i32 s5, s4, 31
	s_lshl_b64 s[6:7], s[4:5], 1
	s_add_u32 s6, s38, s6
	s_addc_u32 s7, s39, s7
	v_lshlrev_b32_e32 v12, 3, v34
	v_mov_b32_e32 v0, s7
	v_add_co_u32_e32 v13, vcc, s6, v12
	v_addc_co_u32_e32 v14, vcc, 0, v0, vcc
	s_movk_i32 s8, 0x1000
	v_add_co_u32_e32 v0, vcc, s8, v13
	v_addc_co_u32_e32 v1, vcc, 0, v14, vcc
	s_movk_i32 s8, 0x3000
	v_add_co_u32_e32 v2, vcc, s8, v13
	v_or_b32_e32 v20, 0x400, v34
	v_addc_co_u32_e32 v3, vcc, 0, v14, vcc
	s_movk_i32 s8, 0x5000
	v_lshlrev_b32_e32 v15, 3, v20
	global_load_dwordx2 v[4:5], v12, s[6:7]
	global_load_dwordx2 v[6:7], v[0:1], off
	global_load_dwordx2 v[8:9], v15, s[6:7]
	global_load_dwordx2 v[10:11], v[2:3], off
	v_add_co_u32_e32 v0, vcc, s8, v13
	v_addc_co_u32_e32 v1, vcc, 0, v14, vcc
	s_movk_i32 s8, 0x7000
	s_lshl_b64 s[28:29], s[4:5], 2
	v_or_b32_e32 v21, 0x800, v34
	v_add_co_u32_e32 v2, vcc, s8, v13
	s_add_u32 s4, s26, s28
	v_lshlrev_b32_e32 v22, 3, v21
	v_or_b32_e32 v23, 0xc00, v34
	v_addc_co_u32_e32 v3, vcc, 0, v14, vcc
	s_addc_u32 s5, s27, s29
	v_lshlrev_b32_e32 v94, 4, v34
	v_lshlrev_b32_e32 v24, 3, v23
	global_load_dwordx2 v[12:13], v22, s[6:7]
	global_load_dwordx2 v[14:15], v[0:1], off
	global_load_dwordx2 v[16:17], v24, s[6:7]
	global_load_dwordx2 v[18:19], v[2:3], off
	v_mov_b32_e32 v0, s5
	v_add_co_u32_e32 v2, vcc, s4, v94
	v_addc_co_u32_e32 v3, vcc, 0, v0, vcc
	s_movk_i32 s33, 0x2000
	v_add_co_u32_e32 v0, vcc, s33, v2
	v_addc_co_u32_e32 v1, vcc, 0, v3, vcc
	s_movk_i32 s40, 0x6000
	global_load_dwordx4 v[36:39], v94, s[4:5]
	global_load_dwordx4 v[40:43], v[0:1], off
	v_add_co_u32_e32 v0, vcc, s40, v2
	v_lshlrev_b32_e32 v95, 4, v20
	v_addc_co_u32_e32 v1, vcc, 0, v3, vcc
	s_mov_b32 s6, 0xa000
	global_load_dwordx4 v[44:47], v95, s[4:5]
	global_load_dwordx4 v[48:51], v[0:1], off
	v_add_co_u32_e32 v0, vcc, s6, v2
	v_lshlrev_b32_e32 v96, 4, v21
	v_addc_co_u32_e32 v1, vcc, 0, v3, vcc
	global_load_dwordx4 v[52:55], v96, s[4:5]
	global_load_dwordx4 v[56:59], v[0:1], off
	v_lshlrev_b32_e32 v97, 4, v23
	v_add_co_u32_e32 v0, vcc, 0xe000, v2
	v_addc_co_u32_e32 v1, vcc, 0, v3, vcc
	global_load_dwordx4 v[60:63], v97, s[4:5]
	global_load_dwordx4 v[30:33], v[0:1], off
	s_getpc_b64 s[34:35]
	s_add_u32 s34, s34, _ZZZZN2at6native33launch_standard_gamma_grad_kernelERNS_18TensorIteratorBaseEENKUlvE_clEvENKUlvE0_clEvENKUlffE_clEff@rel32@lo+4
	s_addc_u32 s35, s35, _ZZZZN2at6native33launch_standard_gamma_grad_kernelERNS_18TensorIteratorBaseEENKUlvE_clEvENKUlvE0_clEvENKUlffE_clEff@rel32@hi+12
	s_waitcnt vmcnt(15)
	v_lshlrev_b32_e32 v0, 16, v4
	v_and_b32_e32 v35, 0xffff0000, v4
	v_lshlrev_b32_e32 v64, 16, v5
	v_and_b32_e32 v65, 0xffff0000, v5
	s_waitcnt vmcnt(14)
	v_lshlrev_b32_e32 v66, 16, v6
	v_and_b32_e32 v67, 0xffff0000, v6
	v_lshlrev_b32_e32 v68, 16, v7
	v_and_b32_e32 v69, 0xffff0000, v7
	s_waitcnt vmcnt(13)
	v_lshlrev_b32_e32 v70, 16, v8
	v_and_b32_e32 v71, 0xffff0000, v8
	v_lshlrev_b32_e32 v72, 16, v9
	v_and_b32_e32 v73, 0xffff0000, v9
	s_waitcnt vmcnt(12)
	v_lshlrev_b32_e32 v74, 16, v10
	v_and_b32_e32 v75, 0xffff0000, v10
	v_lshlrev_b32_e32 v76, 16, v11
	v_and_b32_e32 v77, 0xffff0000, v11
	s_waitcnt vmcnt(11)
	v_lshlrev_b32_e32 v78, 16, v12
	v_and_b32_e32 v79, 0xffff0000, v12
	v_lshlrev_b32_e32 v80, 16, v13
	v_and_b32_e32 v81, 0xffff0000, v13
	s_waitcnt vmcnt(10)
	v_lshlrev_b32_e32 v82, 16, v14
	v_and_b32_e32 v83, 0xffff0000, v14
	v_lshlrev_b32_e32 v84, 16, v15
	v_and_b32_e32 v85, 0xffff0000, v15
	s_waitcnt vmcnt(9)
	v_lshlrev_b32_e32 v86, 16, v16
	v_and_b32_e32 v87, 0xffff0000, v16
	v_lshlrev_b32_e32 v88, 16, v17
	v_and_b32_e32 v89, 0xffff0000, v17
	s_waitcnt vmcnt(8)
	v_lshlrev_b32_e32 v90, 16, v18
	v_and_b32_e32 v91, 0xffff0000, v18
	s_waitcnt vmcnt(7)
	v_mov_b32_e32 v1, v36
	v_lshlrev_b32_e32 v92, 16, v19
	v_and_b32_e32 v93, 0xffff0000, v19
	s_swappc_b64 s[30:31], s[34:35]
	v_mov_b32_e32 v36, v0
	v_mov_b32_e32 v0, v35
	v_mov_b32_e32 v1, v37
	s_swappc_b64 s[30:31], s[34:35]
	v_mov_b32_e32 v37, v0
	v_mov_b32_e32 v0, v64
	v_mov_b32_e32 v1, v38
	;; [unrolled: 4-line block ×31, first 2 shown]
	s_swappc_b64 s[30:31], s[34:35]
	s_add_u32 s4, s36, s28
	s_addc_u32 s5, s37, s29
	v_mov_b32_e32 v33, v0
	v_mov_b32_e32 v0, s5
	v_add_co_u32_e32 v2, vcc, s4, v94
	v_addc_co_u32_e32 v3, vcc, 0, v0, vcc
	v_add_co_u32_e32 v0, vcc, s33, v2
	v_addc_co_u32_e32 v1, vcc, 0, v3, vcc
	global_store_dwordx4 v94, v[36:39], s[4:5]
	global_store_dwordx4 v[0:1], v[40:43], off
	global_store_dwordx4 v95, v[44:47], s[4:5]
	v_add_co_u32_e32 v0, vcc, s40, v2
	v_addc_co_u32_e32 v1, vcc, 0, v3, vcc
	global_store_dwordx4 v[0:1], v[48:51], off
	global_store_dwordx4 v96, v[52:55], s[4:5]
	v_add_co_u32_e32 v0, vcc, 0xa000, v2
	v_addc_co_u32_e32 v1, vcc, 0, v3, vcc
	;; [unrolled: 4-line block ×3, first 2 shown]
	global_store_dwordx4 v[0:1], v[30:33], off
	s_cbranch_execnz .LBB174_2
.LBB174_4:
	s_load_dword s13, s[22:23], 0x24
	s_load_dwordx4 s[4:7], s[22:23], 0x28
	s_add_u32 s8, s22, 56
	s_addc_u32 s9, s23, 0
	s_mov_b32 s12, s24
	s_waitcnt lgkmcnt(0)
	v_lshrrev_b16_e64 v8, 8, s13
	v_mov_b32_e32 v31, v34
	v_mov_b32_e32 v0, s36
	;; [unrolled: 1-line block ×13, first 2 shown]
	s_getpc_b64 s[10:11]
	s_add_u32 s10, s10, _ZN2at6native25elementwise_kernel_helperILb1EZZZNS0_33launch_standard_gamma_grad_kernelERNS_18TensorIteratorBaseEENKUlvE_clEvENKUlvE0_clEvEUlffE_NS0_6memory8policies11unroll_baseILi512ESt5arrayIPcLm3EE23TrivialOffsetCalculatorILi2EjESD_ILi1EjENS7_12LoadWithCastILi2EEENS7_13StoreWithCastILi1EEELi32ELi1EEEEEvT0_T1_@rel32@lo+4
	s_addc_u32 s11, s11, _ZN2at6native25elementwise_kernel_helperILb1EZZZNS0_33launch_standard_gamma_grad_kernelERNS_18TensorIteratorBaseEENKUlvE_clEvENKUlvE0_clEvEUlffE_NS0_6memory8policies11unroll_baseILi512ESt5arrayIPcLm3EE23TrivialOffsetCalculatorILi2EjESD_ILi1EjENS7_12LoadWithCastILi2EEENS7_13StoreWithCastILi1EEELi32ELi1EEEEEvT0_T1_@rel32@hi+12
	s_swappc_b64 s[30:31], s[10:11]
	s_endpgm
	.section	.rodata,"a",@progbits
	.p2align	6, 0x0
	.amdhsa_kernel _ZN2at6native39vectorized_templated_elementwise_kernelILi4EZZZNS0_33launch_standard_gamma_grad_kernelERNS_18TensorIteratorBaseEENKUlvE_clEvENKUlvE0_clEvEUlffE_St5arrayIPcLm3EE23TrivialOffsetCalculatorILi2EjESA_ILi1EjENS0_6memory12LoadWithCastILi2EEENSD_13StoreWithCastILi1EEEfJN3c108BFloat16EfEEEviT0_T1_T2_T3_T4_T5_
		.amdhsa_group_segment_fixed_size 0
		.amdhsa_private_segment_fixed_size 288
		.amdhsa_kernarg_size 312
		.amdhsa_user_sgpr_count 8
		.amdhsa_user_sgpr_private_segment_buffer 1
		.amdhsa_user_sgpr_dispatch_ptr 0
		.amdhsa_user_sgpr_queue_ptr 0
		.amdhsa_user_sgpr_kernarg_segment_ptr 1
		.amdhsa_user_sgpr_dispatch_id 0
		.amdhsa_user_sgpr_flat_scratch_init 1
		.amdhsa_user_sgpr_kernarg_preload_length 0
		.amdhsa_user_sgpr_kernarg_preload_offset 0
		.amdhsa_user_sgpr_private_segment_size 0
		.amdhsa_uses_dynamic_stack 0
		.amdhsa_system_sgpr_private_segment_wavefront_offset 1
		.amdhsa_system_sgpr_workgroup_id_x 1
		.amdhsa_system_sgpr_workgroup_id_y 0
		.amdhsa_system_sgpr_workgroup_id_z 0
		.amdhsa_system_sgpr_workgroup_info 0
		.amdhsa_system_vgpr_workitem_id 0
		.amdhsa_next_free_vgpr 138
		.amdhsa_next_free_sgpr 98
		.amdhsa_accum_offset 120
		.amdhsa_reserve_vcc 1
		.amdhsa_reserve_flat_scratch 1
		.amdhsa_float_round_mode_32 0
		.amdhsa_float_round_mode_16_64 0
		.amdhsa_float_denorm_mode_32 3
		.amdhsa_float_denorm_mode_16_64 3
		.amdhsa_dx10_clamp 1
		.amdhsa_ieee_mode 1
		.amdhsa_fp16_overflow 0
		.amdhsa_tg_split 0
		.amdhsa_exception_fp_ieee_invalid_op 0
		.amdhsa_exception_fp_denorm_src 0
		.amdhsa_exception_fp_ieee_div_zero 0
		.amdhsa_exception_fp_ieee_overflow 0
		.amdhsa_exception_fp_ieee_underflow 0
		.amdhsa_exception_fp_ieee_inexact 0
		.amdhsa_exception_int_div_zero 0
	.end_amdhsa_kernel
	.section	.text._ZN2at6native39vectorized_templated_elementwise_kernelILi4EZZZNS0_33launch_standard_gamma_grad_kernelERNS_18TensorIteratorBaseEENKUlvE_clEvENKUlvE0_clEvEUlffE_St5arrayIPcLm3EE23TrivialOffsetCalculatorILi2EjESA_ILi1EjENS0_6memory12LoadWithCastILi2EEENSD_13StoreWithCastILi1EEEfJN3c108BFloat16EfEEEviT0_T1_T2_T3_T4_T5_,"axG",@progbits,_ZN2at6native39vectorized_templated_elementwise_kernelILi4EZZZNS0_33launch_standard_gamma_grad_kernelERNS_18TensorIteratorBaseEENKUlvE_clEvENKUlvE0_clEvEUlffE_St5arrayIPcLm3EE23TrivialOffsetCalculatorILi2EjESA_ILi1EjENS0_6memory12LoadWithCastILi2EEENSD_13StoreWithCastILi1EEEfJN3c108BFloat16EfEEEviT0_T1_T2_T3_T4_T5_,comdat
.Lfunc_end174:
	.size	_ZN2at6native39vectorized_templated_elementwise_kernelILi4EZZZNS0_33launch_standard_gamma_grad_kernelERNS_18TensorIteratorBaseEENKUlvE_clEvENKUlvE0_clEvEUlffE_St5arrayIPcLm3EE23TrivialOffsetCalculatorILi2EjESA_ILi1EjENS0_6memory12LoadWithCastILi2EEENSD_13StoreWithCastILi1EEEfJN3c108BFloat16EfEEEviT0_T1_T2_T3_T4_T5_, .Lfunc_end174-_ZN2at6native39vectorized_templated_elementwise_kernelILi4EZZZNS0_33launch_standard_gamma_grad_kernelERNS_18TensorIteratorBaseEENKUlvE_clEvENKUlvE0_clEvEUlffE_St5arrayIPcLm3EE23TrivialOffsetCalculatorILi2EjESA_ILi1EjENS0_6memory12LoadWithCastILi2EEENSD_13StoreWithCastILi1EEEfJN3c108BFloat16EfEEEviT0_T1_T2_T3_T4_T5_
                                        ; -- End function
	.section	.AMDGPU.csdata,"",@progbits
; Kernel info:
; codeLenInByte = 1452
; NumSgprs: 104
; NumVgprs: 120
; NumAgprs: 18
; TotalNumVgprs: 138
; ScratchSize: 288
; MemoryBound: 0
; FloatMode: 240
; IeeeMode: 1
; LDSByteSize: 0 bytes/workgroup (compile time only)
; SGPRBlocks: 12
; VGPRBlocks: 17
; NumSGPRsForWavesPerEU: 104
; NumVGPRsForWavesPerEU: 138
; AccumOffset: 120
; Occupancy: 3
; WaveLimiterHint : 0
; COMPUTE_PGM_RSRC2:SCRATCH_EN: 1
; COMPUTE_PGM_RSRC2:USER_SGPR: 8
; COMPUTE_PGM_RSRC2:TRAP_HANDLER: 0
; COMPUTE_PGM_RSRC2:TGID_X_EN: 1
; COMPUTE_PGM_RSRC2:TGID_Y_EN: 0
; COMPUTE_PGM_RSRC2:TGID_Z_EN: 0
; COMPUTE_PGM_RSRC2:TIDIG_COMP_CNT: 0
; COMPUTE_PGM_RSRC3_GFX90A:ACCUM_OFFSET: 29
; COMPUTE_PGM_RSRC3_GFX90A:TG_SPLIT: 0
	.section	.text._ZN2at6native39vectorized_templated_elementwise_kernelILi2EZZZNS0_33launch_standard_gamma_grad_kernelERNS_18TensorIteratorBaseEENKUlvE_clEvENKUlvE0_clEvEUlffE_St5arrayIPcLm3EE23TrivialOffsetCalculatorILi2EjESA_ILi1EjENS0_6memory12LoadWithCastILi2EEENSD_13StoreWithCastILi1EEEfJN3c108BFloat16EfEEEviT0_T1_T2_T3_T4_T5_,"axG",@progbits,_ZN2at6native39vectorized_templated_elementwise_kernelILi2EZZZNS0_33launch_standard_gamma_grad_kernelERNS_18TensorIteratorBaseEENKUlvE_clEvENKUlvE0_clEvEUlffE_St5arrayIPcLm3EE23TrivialOffsetCalculatorILi2EjESA_ILi1EjENS0_6memory12LoadWithCastILi2EEENSD_13StoreWithCastILi1EEEfJN3c108BFloat16EfEEEviT0_T1_T2_T3_T4_T5_,comdat
	.globl	_ZN2at6native39vectorized_templated_elementwise_kernelILi2EZZZNS0_33launch_standard_gamma_grad_kernelERNS_18TensorIteratorBaseEENKUlvE_clEvENKUlvE0_clEvEUlffE_St5arrayIPcLm3EE23TrivialOffsetCalculatorILi2EjESA_ILi1EjENS0_6memory12LoadWithCastILi2EEENSD_13StoreWithCastILi1EEEfJN3c108BFloat16EfEEEviT0_T1_T2_T3_T4_T5_ ; -- Begin function _ZN2at6native39vectorized_templated_elementwise_kernelILi2EZZZNS0_33launch_standard_gamma_grad_kernelERNS_18TensorIteratorBaseEENKUlvE_clEvENKUlvE0_clEvEUlffE_St5arrayIPcLm3EE23TrivialOffsetCalculatorILi2EjESA_ILi1EjENS0_6memory12LoadWithCastILi2EEENSD_13StoreWithCastILi1EEEfJN3c108BFloat16EfEEEviT0_T1_T2_T3_T4_T5_
	.p2align	8
	.type	_ZN2at6native39vectorized_templated_elementwise_kernelILi2EZZZNS0_33launch_standard_gamma_grad_kernelERNS_18TensorIteratorBaseEENKUlvE_clEvENKUlvE0_clEvEUlffE_St5arrayIPcLm3EE23TrivialOffsetCalculatorILi2EjESA_ILi1EjENS0_6memory12LoadWithCastILi2EEENSD_13StoreWithCastILi1EEEfJN3c108BFloat16EfEEEviT0_T1_T2_T3_T4_T5_,@function
_ZN2at6native39vectorized_templated_elementwise_kernelILi2EZZZNS0_33launch_standard_gamma_grad_kernelERNS_18TensorIteratorBaseEENKUlvE_clEvENKUlvE0_clEvEUlffE_St5arrayIPcLm3EE23TrivialOffsetCalculatorILi2EjESA_ILi1EjENS0_6memory12LoadWithCastILi2EEENSD_13StoreWithCastILi1EEEfJN3c108BFloat16EfEEEviT0_T1_T2_T3_T4_T5_: ; @_ZN2at6native39vectorized_templated_elementwise_kernelILi2EZZZNS0_33launch_standard_gamma_grad_kernelERNS_18TensorIteratorBaseEENKUlvE_clEvENKUlvE0_clEvEUlffE_St5arrayIPcLm3EE23TrivialOffsetCalculatorILi2EjESA_ILi1EjENS0_6memory12LoadWithCastILi2EEENSD_13StoreWithCastILi1EEEfJN3c108BFloat16EfEEEviT0_T1_T2_T3_T4_T5_
; %bb.0:
	s_add_u32 flat_scratch_lo, s6, s9
	s_addc_u32 flat_scratch_hi, s7, 0
	s_add_u32 s0, s0, s9
	s_mov_b64 s[22:23], s[4:5]
	s_load_dword s4, s[4:5], 0x38
	s_nop 0
	s_load_dwordx2 s[26:27], s[22:23], 0x18
	s_load_dword s5, s[22:23], 0x0
	s_load_dwordx4 s[36:39], s[22:23], 0x8
	s_addc_u32 s1, s1, 0
	s_not_b32 s6, s8
	s_waitcnt lgkmcnt(0)
	s_add_i32 s4, s4, s6
	s_lshl_b32 s4, s4, 14
	s_sub_i32 s25, s5, s4
	s_mov_b32 s24, s8
	v_mov_b32_e32 v32, v0
	s_cmpk_gt_i32 s25, 0x3fff
	s_mov_b64 s[6:7], -1
	s_mov_b32 s32, 0
	s_cbranch_scc1 .LBB175_3
; %bb.1:
	s_andn2_b64 vcc, exec, s[6:7]
	s_cbranch_vccz .LBB175_4
.LBB175_2:
	s_endpgm
.LBB175_3:
	s_ashr_i32 s5, s4, 31
	s_lshl_b64 s[6:7], s[4:5], 1
	s_add_u32 s6, s38, s6
	s_addc_u32 s7, s39, s7
	v_lshlrev_b32_e32 v6, 2, v32
	v_mov_b32_e32 v0, s7
	v_add_co_u32_e32 v7, vcc, s6, v6
	v_addc_co_u32_e32 v8, vcc, 0, v0, vcc
	s_movk_i32 s33, 0x1000
	v_add_co_u32_e32 v0, vcc, s33, v7
	v_addc_co_u32_e32 v1, vcc, 0, v8, vcc
	s_movk_i32 s8, 0x2000
	;; [unrolled: 3-line block ×3, first 2 shown]
	v_add_co_u32_e32 v4, vcc, s40, v7
	v_or_b32_e32 v9, 0x400, v32
	v_or_b32_e32 v11, 0x800, v32
	v_or_b32_e32 v13, 0xc00, v32
	v_addc_co_u32_e32 v5, vcc, 0, v8, vcc
	s_movk_i32 s8, 0x4000
	v_lshlrev_b32_e32 v10, 2, v9
	v_lshlrev_b32_e32 v12, 2, v11
	;; [unrolled: 1-line block ×3, first 2 shown]
	global_load_dword v15, v6, s[6:7]
	global_load_dword v16, v6, s[6:7] offset:2048
	global_load_dword v17, v10, s[6:7]
	global_load_dword v18, v[0:1], off offset:2048
	global_load_dword v19, v12, s[6:7]
	global_load_dword v20, v[2:3], off offset:2048
	;; [unrolled: 2-line block ×3, first 2 shown]
	v_add_co_u32_e32 v0, vcc, s8, v7
	v_addc_co_u32_e32 v1, vcc, 0, v8, vcc
	s_movk_i32 s41, 0x5000
	v_add_co_u32_e32 v2, vcc, s41, v7
	v_addc_co_u32_e32 v3, vcc, 0, v8, vcc
	s_movk_i32 s8, 0x6000
	;; [unrolled: 3-line block ×3, first 2 shown]
	s_lshl_b64 s[28:29], s[4:5], 2
	v_or_b32_e32 v10, 0x1000, v32
	v_add_co_u32_e32 v6, vcc, s42, v7
	s_add_u32 s4, s26, s28
	v_lshlrev_b32_e32 v12, 2, v10
	v_or_b32_e32 v14, 0x1400, v32
	v_or_b32_e32 v24, 0x1800, v32
	v_or_b32_e32 v26, 0x1c00, v32
	v_addc_co_u32_e32 v7, vcc, 0, v8, vcc
	s_addc_u32 s5, s27, s29
	v_lshlrev_b32_e32 v94, 3, v32
	v_lshlrev_b32_e32 v23, 2, v14
	;; [unrolled: 1-line block ×4, first 2 shown]
	global_load_dword v8, v12, s[6:7]
	global_load_dword v28, v[0:1], off offset:2048
	global_load_dword v29, v23, s[6:7]
	global_load_dword v85, v[2:3], off offset:2048
	;; [unrolled: 2-line block ×4, first 2 shown]
	v_mov_b32_e32 v0, s5
	v_add_co_u32_e32 v4, vcc, s4, v94
	v_addc_co_u32_e32 v5, vcc, 0, v0, vcc
	v_add_co_u32_e32 v0, vcc, s33, v4
	v_addc_co_u32_e32 v1, vcc, 0, v5, vcc
	;; [unrolled: 2-line block ×3, first 2 shown]
	v_lshlrev_b32_e32 v95, 3, v9
	global_load_dwordx2 v[34:35], v94, s[4:5]
	global_load_dwordx2 v[36:37], v[0:1], off
	global_load_dwordx2 v[38:39], v95, s[4:5]
	global_load_dwordx2 v[40:41], v[2:3], off
	v_add_co_u32_e32 v0, vcc, s41, v4
	v_addc_co_u32_e32 v1, vcc, 0, v5, vcc
	v_add_co_u32_e32 v2, vcc, s42, v4
	v_lshlrev_b32_e32 v96, 3, v11
	v_addc_co_u32_e32 v3, vcc, 0, v5, vcc
	s_mov_b32 s43, 0x9000
	v_lshlrev_b32_e32 v97, 3, v13
	global_load_dwordx2 v[42:43], v96, s[4:5]
	global_load_dwordx2 v[44:45], v[0:1], off
	global_load_dwordx2 v[46:47], v97, s[4:5]
	global_load_dwordx2 v[48:49], v[2:3], off
	v_add_co_u32_e32 v0, vcc, s43, v4
	v_addc_co_u32_e32 v1, vcc, 0, v5, vcc
	s_mov_b32 s44, 0xb000
	v_add_co_u32_e32 v2, vcc, s44, v4
	v_lshlrev_b32_e32 v98, 3, v10
	v_addc_co_u32_e32 v3, vcc, 0, v5, vcc
	s_mov_b32 s6, 0xd000
	v_lshlrev_b32_e32 v99, 3, v14
	global_load_dwordx2 v[50:51], v98, s[4:5]
	global_load_dwordx2 v[52:53], v[0:1], off
	global_load_dwordx2 v[54:55], v99, s[4:5]
	global_load_dwordx2 v[56:57], v[2:3], off
	v_add_co_u32_e32 v0, vcc, s6, v4
	v_addc_co_u32_e32 v1, vcc, 0, v5, vcc
	v_lshlrev_b32_e32 v100, 3, v24
	v_add_co_u32_e32 v2, vcc, 0xf000, v4
	v_lshlrev_b32_e32 v101, 3, v26
	v_addc_co_u32_e32 v3, vcc, 0, v5, vcc
	global_load_dwordx2 v[58:59], v100, s[4:5]
	global_load_dwordx2 v[60:61], v[0:1], off
	global_load_dwordx2 v[62:63], v101, s[4:5]
	global_load_dwordx2 v[30:31], v[2:3], off
	s_waitcnt vmcnt(31)
	v_lshlrev_b32_e32 v0, 16, v15
	v_and_b32_e32 v33, 0xffff0000, v15
	s_waitcnt vmcnt(30)
	v_and_b32_e32 v64, 0xffff0000, v16
	v_lshlrev_b32_e32 v65, 16, v16
	s_waitcnt vmcnt(29)
	v_and_b32_e32 v66, 0xffff0000, v17
	v_lshlrev_b32_e32 v67, 16, v17
	;; [unrolled: 3-line block ×7, first 2 shown]
	s_getpc_b64 s[34:35]
	s_add_u32 s34, s34, _ZZZZN2at6native33launch_standard_gamma_grad_kernelERNS_18TensorIteratorBaseEENKUlvE_clEvENKUlvE0_clEvENKUlffE_clEff@rel32@lo+4
	s_addc_u32 s35, s35, _ZZZZN2at6native33launch_standard_gamma_grad_kernelERNS_18TensorIteratorBaseEENKUlvE_clEvENKUlvE0_clEvENKUlffE_clEff@rel32@hi+12
	s_waitcnt vmcnt(23)
	v_and_b32_e32 v78, 0xffff0000, v8
	v_lshlrev_b32_e32 v79, 16, v8
	s_waitcnt vmcnt(22)
	v_and_b32_e32 v80, 0xffff0000, v28
	v_lshlrev_b32_e32 v81, 16, v28
	;; [unrolled: 3-line block ×8, first 2 shown]
	s_waitcnt vmcnt(15)
	v_mov_b32_e32 v1, v34
	s_swappc_b64 s[30:31], s[34:35]
	v_mov_b32_e32 v34, v0
	v_mov_b32_e32 v0, v33
	v_mov_b32_e32 v1, v35
	s_swappc_b64 s[30:31], s[34:35]
	v_mov_b32_e32 v35, v0
	v_mov_b32_e32 v0, v65
	;; [unrolled: 4-line block ×31, first 2 shown]
	v_mov_b32_e32 v1, v31
	s_swappc_b64 s[30:31], s[34:35]
	s_add_u32 s4, s36, s28
	s_addc_u32 s5, s37, s29
	v_mov_b32_e32 v31, v0
	v_mov_b32_e32 v0, s5
	v_add_co_u32_e32 v2, vcc, s4, v94
	v_addc_co_u32_e32 v3, vcc, 0, v0, vcc
	v_add_co_u32_e32 v0, vcc, s33, v2
	v_addc_co_u32_e32 v1, vcc, 0, v3, vcc
	global_store_dwordx2 v94, v[34:35], s[4:5]
	global_store_dwordx2 v[0:1], v[36:37], off
	global_store_dwordx2 v95, v[38:39], s[4:5]
	v_add_co_u32_e32 v0, vcc, s40, v2
	v_addc_co_u32_e32 v1, vcc, 0, v3, vcc
	global_store_dwordx2 v[0:1], v[40:41], off
	global_store_dwordx2 v96, v[42:43], s[4:5]
	v_add_co_u32_e32 v0, vcc, s41, v2
	v_addc_co_u32_e32 v1, vcc, 0, v3, vcc
	;; [unrolled: 4-line block ×7, first 2 shown]
	global_store_dwordx2 v[0:1], v[30:31], off
	s_cbranch_execnz .LBB175_2
.LBB175_4:
	s_load_dword s13, s[22:23], 0x24
	s_load_dwordx4 s[4:7], s[22:23], 0x28
	s_add_u32 s8, s22, 56
	s_addc_u32 s9, s23, 0
	s_mov_b32 s12, s24
	s_waitcnt lgkmcnt(0)
	v_lshrrev_b16_e64 v8, 8, s13
	v_mov_b32_e32 v31, v32
	v_mov_b32_e32 v0, s36
	;; [unrolled: 1-line block ×13, first 2 shown]
	s_getpc_b64 s[10:11]
	s_add_u32 s10, s10, _ZN2at6native25elementwise_kernel_helperILb1EZZZNS0_33launch_standard_gamma_grad_kernelERNS_18TensorIteratorBaseEENKUlvE_clEvENKUlvE0_clEvEUlffE_NS0_6memory8policies11unroll_baseILi512ESt5arrayIPcLm3EE23TrivialOffsetCalculatorILi2EjESD_ILi1EjENS7_12LoadWithCastILi2EEENS7_13StoreWithCastILi1EEELi32ELi1EEEEEvT0_T1_@rel32@lo+4
	s_addc_u32 s11, s11, _ZN2at6native25elementwise_kernel_helperILb1EZZZNS0_33launch_standard_gamma_grad_kernelERNS_18TensorIteratorBaseEENKUlvE_clEvENKUlvE0_clEvEUlffE_NS0_6memory8policies11unroll_baseILi512ESt5arrayIPcLm3EE23TrivialOffsetCalculatorILi2EjESD_ILi1EjENS7_12LoadWithCastILi2EEENS7_13StoreWithCastILi1EEELi32ELi1EEEEEvT0_T1_@rel32@hi+12
	s_swappc_b64 s[30:31], s[10:11]
	s_endpgm
	.section	.rodata,"a",@progbits
	.p2align	6, 0x0
	.amdhsa_kernel _ZN2at6native39vectorized_templated_elementwise_kernelILi2EZZZNS0_33launch_standard_gamma_grad_kernelERNS_18TensorIteratorBaseEENKUlvE_clEvENKUlvE0_clEvEUlffE_St5arrayIPcLm3EE23TrivialOffsetCalculatorILi2EjESA_ILi1EjENS0_6memory12LoadWithCastILi2EEENSD_13StoreWithCastILi1EEEfJN3c108BFloat16EfEEEviT0_T1_T2_T3_T4_T5_
		.amdhsa_group_segment_fixed_size 0
		.amdhsa_private_segment_fixed_size 288
		.amdhsa_kernarg_size 312
		.amdhsa_user_sgpr_count 8
		.amdhsa_user_sgpr_private_segment_buffer 1
		.amdhsa_user_sgpr_dispatch_ptr 0
		.amdhsa_user_sgpr_queue_ptr 0
		.amdhsa_user_sgpr_kernarg_segment_ptr 1
		.amdhsa_user_sgpr_dispatch_id 0
		.amdhsa_user_sgpr_flat_scratch_init 1
		.amdhsa_user_sgpr_kernarg_preload_length 0
		.amdhsa_user_sgpr_kernarg_preload_offset 0
		.amdhsa_user_sgpr_private_segment_size 0
		.amdhsa_uses_dynamic_stack 0
		.amdhsa_system_sgpr_private_segment_wavefront_offset 1
		.amdhsa_system_sgpr_workgroup_id_x 1
		.amdhsa_system_sgpr_workgroup_id_y 0
		.amdhsa_system_sgpr_workgroup_id_z 0
		.amdhsa_system_sgpr_workgroup_info 0
		.amdhsa_system_vgpr_workitem_id 0
		.amdhsa_next_free_vgpr 138
		.amdhsa_next_free_sgpr 98
		.amdhsa_accum_offset 120
		.amdhsa_reserve_vcc 1
		.amdhsa_reserve_flat_scratch 1
		.amdhsa_float_round_mode_32 0
		.amdhsa_float_round_mode_16_64 0
		.amdhsa_float_denorm_mode_32 3
		.amdhsa_float_denorm_mode_16_64 3
		.amdhsa_dx10_clamp 1
		.amdhsa_ieee_mode 1
		.amdhsa_fp16_overflow 0
		.amdhsa_tg_split 0
		.amdhsa_exception_fp_ieee_invalid_op 0
		.amdhsa_exception_fp_denorm_src 0
		.amdhsa_exception_fp_ieee_div_zero 0
		.amdhsa_exception_fp_ieee_overflow 0
		.amdhsa_exception_fp_ieee_underflow 0
		.amdhsa_exception_fp_ieee_inexact 0
		.amdhsa_exception_int_div_zero 0
	.end_amdhsa_kernel
	.section	.text._ZN2at6native39vectorized_templated_elementwise_kernelILi2EZZZNS0_33launch_standard_gamma_grad_kernelERNS_18TensorIteratorBaseEENKUlvE_clEvENKUlvE0_clEvEUlffE_St5arrayIPcLm3EE23TrivialOffsetCalculatorILi2EjESA_ILi1EjENS0_6memory12LoadWithCastILi2EEENSD_13StoreWithCastILi1EEEfJN3c108BFloat16EfEEEviT0_T1_T2_T3_T4_T5_,"axG",@progbits,_ZN2at6native39vectorized_templated_elementwise_kernelILi2EZZZNS0_33launch_standard_gamma_grad_kernelERNS_18TensorIteratorBaseEENKUlvE_clEvENKUlvE0_clEvEUlffE_St5arrayIPcLm3EE23TrivialOffsetCalculatorILi2EjESA_ILi1EjENS0_6memory12LoadWithCastILi2EEENSD_13StoreWithCastILi1EEEfJN3c108BFloat16EfEEEviT0_T1_T2_T3_T4_T5_,comdat
.Lfunc_end175:
	.size	_ZN2at6native39vectorized_templated_elementwise_kernelILi2EZZZNS0_33launch_standard_gamma_grad_kernelERNS_18TensorIteratorBaseEENKUlvE_clEvENKUlvE0_clEvEUlffE_St5arrayIPcLm3EE23TrivialOffsetCalculatorILi2EjESA_ILi1EjENS0_6memory12LoadWithCastILi2EEENSD_13StoreWithCastILi1EEEfJN3c108BFloat16EfEEEviT0_T1_T2_T3_T4_T5_, .Lfunc_end175-_ZN2at6native39vectorized_templated_elementwise_kernelILi2EZZZNS0_33launch_standard_gamma_grad_kernelERNS_18TensorIteratorBaseEENKUlvE_clEvENKUlvE0_clEvEUlffE_St5arrayIPcLm3EE23TrivialOffsetCalculatorILi2EjESA_ILi1EjENS0_6memory12LoadWithCastILi2EEENSD_13StoreWithCastILi1EEEfJN3c108BFloat16EfEEEviT0_T1_T2_T3_T4_T5_
                                        ; -- End function
	.section	.AMDGPU.csdata,"",@progbits
; Kernel info:
; codeLenInByte = 1848
; NumSgprs: 104
; NumVgprs: 120
; NumAgprs: 18
; TotalNumVgprs: 138
; ScratchSize: 288
; MemoryBound: 0
; FloatMode: 240
; IeeeMode: 1
; LDSByteSize: 0 bytes/workgroup (compile time only)
; SGPRBlocks: 12
; VGPRBlocks: 17
; NumSGPRsForWavesPerEU: 104
; NumVGPRsForWavesPerEU: 138
; AccumOffset: 120
; Occupancy: 3
; WaveLimiterHint : 0
; COMPUTE_PGM_RSRC2:SCRATCH_EN: 1
; COMPUTE_PGM_RSRC2:USER_SGPR: 8
; COMPUTE_PGM_RSRC2:TRAP_HANDLER: 0
; COMPUTE_PGM_RSRC2:TGID_X_EN: 1
; COMPUTE_PGM_RSRC2:TGID_Y_EN: 0
; COMPUTE_PGM_RSRC2:TGID_Z_EN: 0
; COMPUTE_PGM_RSRC2:TIDIG_COMP_CNT: 0
; COMPUTE_PGM_RSRC3_GFX90A:ACCUM_OFFSET: 29
; COMPUTE_PGM_RSRC3_GFX90A:TG_SPLIT: 0
	.section	.text._ZN2at6native39vectorized_templated_elementwise_kernelILi8EZZZNS0_33launch_standard_gamma_grad_kernelERNS_18TensorIteratorBaseEENKUlvE_clEvENKUlvE0_clEvEUlffE_St5arrayIPcLm3EE23TrivialOffsetCalculatorILi2EjESA_ILi1EjENS0_6memory12LoadWithCastILi2EEENSD_13StoreWithCastILi1EEEN3c108BFloat16EJSJ_fEEEviT0_T1_T2_T3_T4_T5_,"axG",@progbits,_ZN2at6native39vectorized_templated_elementwise_kernelILi8EZZZNS0_33launch_standard_gamma_grad_kernelERNS_18TensorIteratorBaseEENKUlvE_clEvENKUlvE0_clEvEUlffE_St5arrayIPcLm3EE23TrivialOffsetCalculatorILi2EjESA_ILi1EjENS0_6memory12LoadWithCastILi2EEENSD_13StoreWithCastILi1EEEN3c108BFloat16EJSJ_fEEEviT0_T1_T2_T3_T4_T5_,comdat
	.globl	_ZN2at6native39vectorized_templated_elementwise_kernelILi8EZZZNS0_33launch_standard_gamma_grad_kernelERNS_18TensorIteratorBaseEENKUlvE_clEvENKUlvE0_clEvEUlffE_St5arrayIPcLm3EE23TrivialOffsetCalculatorILi2EjESA_ILi1EjENS0_6memory12LoadWithCastILi2EEENSD_13StoreWithCastILi1EEEN3c108BFloat16EJSJ_fEEEviT0_T1_T2_T3_T4_T5_ ; -- Begin function _ZN2at6native39vectorized_templated_elementwise_kernelILi8EZZZNS0_33launch_standard_gamma_grad_kernelERNS_18TensorIteratorBaseEENKUlvE_clEvENKUlvE0_clEvEUlffE_St5arrayIPcLm3EE23TrivialOffsetCalculatorILi2EjESA_ILi1EjENS0_6memory12LoadWithCastILi2EEENSD_13StoreWithCastILi1EEEN3c108BFloat16EJSJ_fEEEviT0_T1_T2_T3_T4_T5_
	.p2align	8
	.type	_ZN2at6native39vectorized_templated_elementwise_kernelILi8EZZZNS0_33launch_standard_gamma_grad_kernelERNS_18TensorIteratorBaseEENKUlvE_clEvENKUlvE0_clEvEUlffE_St5arrayIPcLm3EE23TrivialOffsetCalculatorILi2EjESA_ILi1EjENS0_6memory12LoadWithCastILi2EEENSD_13StoreWithCastILi1EEEN3c108BFloat16EJSJ_fEEEviT0_T1_T2_T3_T4_T5_,@function
_ZN2at6native39vectorized_templated_elementwise_kernelILi8EZZZNS0_33launch_standard_gamma_grad_kernelERNS_18TensorIteratorBaseEENKUlvE_clEvENKUlvE0_clEvEUlffE_St5arrayIPcLm3EE23TrivialOffsetCalculatorILi2EjESA_ILi1EjENS0_6memory12LoadWithCastILi2EEENSD_13StoreWithCastILi1EEEN3c108BFloat16EJSJ_fEEEviT0_T1_T2_T3_T4_T5_: ; @_ZN2at6native39vectorized_templated_elementwise_kernelILi8EZZZNS0_33launch_standard_gamma_grad_kernelERNS_18TensorIteratorBaseEENKUlvE_clEvENKUlvE0_clEvEUlffE_St5arrayIPcLm3EE23TrivialOffsetCalculatorILi2EjESA_ILi1EjENS0_6memory12LoadWithCastILi2EEENSD_13StoreWithCastILi1EEEN3c108BFloat16EJSJ_fEEEviT0_T1_T2_T3_T4_T5_
; %bb.0:
	s_add_u32 flat_scratch_lo, s6, s9
	s_addc_u32 flat_scratch_hi, s7, 0
	s_add_u32 s0, s0, s9
	s_mov_b64 s[22:23], s[4:5]
	s_load_dword s4, s[4:5], 0x38
	s_nop 0
	s_load_dwordx2 s[70:71], s[22:23], 0x18
	s_load_dword s5, s[22:23], 0x0
	s_load_dwordx4 s[72:75], s[22:23], 0x8
	s_addc_u32 s1, s1, 0
	s_not_b32 s6, s8
	s_waitcnt lgkmcnt(0)
	s_add_i32 s4, s4, s6
	s_lshl_b32 s4, s4, 14
	s_sub_i32 s78, s5, s4
	s_mov_b32 s33, s8
	v_mov_b32_e32 v31, v0
	s_cmpk_gt_i32 s78, 0x3fff
	s_mov_b64 s[6:7], -1
	s_mov_b32 s32, 0
	s_cbranch_scc1 .LBB176_3
; %bb.1:
	s_andn2_b64 vcc, exec, s[6:7]
	s_cbranch_vccz .LBB176_4
.LBB176_2:
	s_endpgm
.LBB176_3:
	s_ashr_i32 s5, s4, 31
	s_lshl_b64 s[76:77], s[4:5], 1
	s_add_u32 s6, s74, s76
	s_addc_u32 s7, s75, s77
	v_lshlrev_b32_e32 v95, 4, v31
	global_load_dwordx4 v[2:5], v95, s[6:7]
	s_lshl_b64 s[4:5], s[4:5], 2
	v_or_b32_e32 v28, 0x400, v31
	s_add_u32 s4, s70, s4
	v_lshlrev_b32_e32 v94, 4, v28
	global_load_dwordx4 v[6:9], v94, s[6:7]
	s_addc_u32 s5, s71, s5
	v_lshlrev_b32_e32 v30, 5, v31
	global_load_dwordx4 v[10:13], v30, s[4:5] offset:16
	v_mov_b32_e32 v0, s7
	v_add_co_u32_e32 v26, vcc, s6, v95
	v_addc_co_u32_e32 v27, vcc, 0, v0, vcc
	s_movk_i32 s79, 0x2000
	v_add_co_u32_e32 v0, vcc, s79, v26
	v_addc_co_u32_e32 v1, vcc, 0, v27, vcc
	global_load_dwordx4 v[14:17], v[0:1], off
	v_mov_b32_e32 v0, s5
	v_add_co_u32_e32 v32, vcc, s4, v30
	s_movk_i32 s6, 0x4000
	v_addc_co_u32_e32 v33, vcc, 0, v0, vcc
	v_add_co_u32_e32 v0, vcc, s6, v32
	v_addc_co_u32_e32 v1, vcc, 0, v33, vcc
	global_load_dwordx4 v[18:21], v[0:1], off
	global_load_dwordx4 v[22:25], v[0:1], off offset:16
	s_movk_i32 s6, 0x6000
	v_add_co_u32_e32 v0, vcc, s6, v26
	v_lshlrev_b32_e32 v34, 5, v28
	v_addc_co_u32_e32 v1, vcc, 0, v27, vcc
	global_load_dwordx4 v[26:29], v30, s[4:5]
	global_load_dwordx4 v[54:57], v34, s[4:5] offset:16
	global_load_dwordx4 v[58:61], v34, s[4:5]
	global_load_dwordx4 v[62:65], v[0:1], off
	s_mov_b32 s7, 0xc000
	v_add_co_u32_e32 v66, vcc, s7, v32
	v_addc_co_u32_e32 v67, vcc, 0, v33, vcc
	s_movk_i32 s80, 0x7fff
	v_mov_b32_e32 v92, 0x7fc00000
	s_waitcnt vmcnt(9)
	v_lshlrev_b32_e32 v0, 16, v2
	v_and_b32_e32 v30, 0xffff0000, v2
	v_lshlrev_b32_e32 v32, 16, v3
	v_and_b32_e32 v33, 0xffff0000, v3
	;; [unrolled: 2-line block ×4, first 2 shown]
	global_load_dwordx4 v[2:5], v[66:67], off
	s_waitcnt vmcnt(9)
	v_lshlrev_b32_e32 v38, 16, v6
	v_and_b32_e32 v39, 0xffff0000, v6
	v_lshlrev_b32_e32 v40, 16, v7
	v_and_b32_e32 v41, 0xffff0000, v7
	s_waitcnt vmcnt(8)
	v_bfe_u32 v6, v11, 16, 1
	v_bfe_u32 v7, v12, 16, 1
	;; [unrolled: 1-line block ×3, first 2 shown]
	v_add3_u32 v6, v11, v6, s80
	v_add3_u32 v7, v12, v7, s80
	v_lshlrev_b32_e32 v42, 16, v8
	v_and_b32_e32 v43, 0xffff0000, v8
	v_lshlrev_b32_e32 v44, 16, v9
	v_and_b32_e32 v45, 0xffff0000, v9
	v_add3_u32 v1, v10, v1, s80
	v_cmp_o_f32_e32 vcc, v10, v10
	v_and_b32_e32 v10, 0xffff0000, v6
	v_cmp_o_f32_e64 s[4:5], v11, v11
	v_and_b32_e32 v11, 0xffff0000, v7
	global_load_dwordx4 v[6:9], v[66:67], off offset:16
	s_waitcnt vmcnt(8)
	v_lshlrev_b32_e32 v46, 16, v14
	v_and_b32_e32 v47, 0xffff0000, v14
	v_and_b32_e32 v14, 0xffff0000, v1
	v_bfe_u32 v1, v13, 16, 1
	v_add3_u32 v1, v13, v1, s80
	v_cmp_o_f32_e64 s[6:7], v12, v12
	v_and_b32_e32 v12, 0xffff0000, v1
	s_waitcnt vmcnt(7)
	v_bfe_u32 v1, v18, 16, 1
	v_add3_u32 v1, v18, v1, s80
	v_cmp_o_f32_e64 s[8:9], v13, v13
	v_and_b32_e32 v13, 0xffff0000, v1
	v_bfe_u32 v1, v19, 16, 1
	v_add3_u32 v1, v19, v1, s80
	v_lshlrev_b32_e32 v48, 16, v15
	v_and_b32_e32 v49, 0xffff0000, v15
	v_and_b32_e32 v15, 0xffff0000, v1
	v_bfe_u32 v1, v20, 16, 1
	v_add3_u32 v1, v20, v1, s80
	v_lshlrev_b32_e32 v50, 16, v16
	v_and_b32_e32 v51, 0xffff0000, v16
	;; [unrolled: 5-line block ×3, first 2 shown]
	v_and_b32_e32 v17, 0xffff0000, v1
	s_waitcnt vmcnt(6)
	v_bfe_u32 v1, v22, 16, 1
	v_add3_u32 v1, v22, v1, s80
	v_cmp_o_f32_e64 s[10:11], v18, v18
	v_and_b32_e32 v18, 0xffff0000, v1
	v_bfe_u32 v1, v23, 16, 1
	v_add3_u32 v1, v23, v1, s80
	v_cmp_o_f32_e64 s[12:13], v19, v19
	v_and_b32_e32 v19, 0xffff0000, v1
	;; [unrolled: 4-line block ×4, first 2 shown]
	s_waitcnt vmcnt(3)
	v_bfe_u32 v1, v58, 16, 1
	v_add3_u32 v1, v58, v1, s80
	v_cmp_o_f32_e64 s[18:19], v22, v22
	v_and_b32_e32 v22, 0xffff0000, v1
	v_bfe_u32 v1, v59, 16, 1
	v_add3_u32 v1, v59, v1, s80
	v_cmp_o_f32_e64 s[20:21], v23, v23
	v_and_b32_e32 v23, 0xffff0000, v1
	;; [unrolled: 4-line block ×4, first 2 shown]
	v_bfe_u32 v1, v54, 16, 1
	v_add3_u32 v1, v54, v1, s80
	v_and_b32_e32 v81, 0xffff0000, v1
	v_bfe_u32 v1, v55, 16, 1
	v_add3_u32 v1, v55, v1, s80
	v_and_b32_e32 v82, 0xffff0000, v1
	;; [unrolled: 3-line block ×4, first 2 shown]
	s_waitcnt vmcnt(1)
	v_bfe_u32 v1, v2, 16, 1
	v_add3_u32 v1, v2, v1, s80
	v_and_b32_e32 v85, 0xffff0000, v1
	v_bfe_u32 v1, v3, 16, 1
	v_add3_u32 v1, v3, v1, s80
	v_cmp_o_f32_e64 s[46:47], v2, v2
	v_and_b32_e32 v2, 0xffff0000, v1
	v_bfe_u32 v1, v4, 16, 1
	v_add3_u32 v1, v4, v1, s80
	v_cmp_o_f32_e64 s[48:49], v3, v3
	;; [unrolled: 4-line block ×3, first 2 shown]
	v_and_b32_e32 v4, 0xffff0000, v1
	s_waitcnt vmcnt(0)
	v_bfe_u32 v1, v6, 16, 1
	v_add3_u32 v1, v6, v1, s80
	v_cmp_o_f32_e64 s[52:53], v5, v5
	v_and_b32_e32 v5, 0xffff0000, v1
	v_bfe_u32 v1, v7, 16, 1
	v_add3_u32 v1, v7, v1, s80
	v_cmp_o_f32_e64 s[54:55], v6, v6
	v_and_b32_e32 v6, 0xffff0000, v1
	;; [unrolled: 4-line block ×3, first 2 shown]
	v_bfe_u32 v1, v9, 16, 1
	v_add3_u32 v1, v9, v1, s80
	v_cmp_o_f32_e64 s[60:61], v9, v9
	v_bfe_u32 v9, v27, 16, 1
	v_cmp_o_f32_e64 s[58:59], v8, v8
	v_and_b32_e32 v8, 0xffff0000, v1
	v_bfe_u32 v1, v26, 16, 1
	v_add3_u32 v9, v27, v9, s80
	v_cmp_o_f32_e64 s[62:63], v27, v27
	v_bfe_u32 v27, v28, 16, 1
	v_add3_u32 v1, v26, v1, s80
	v_add3_u32 v27, v28, v27, s80
	v_cmp_o_f32_e64 s[64:65], v28, v28
	v_bfe_u32 v28, v29, 16, 1
	v_and_b32_e32 v1, 0xffff0000, v1
	v_add3_u32 v28, v29, v28, s80
	v_cmp_o_f32_e64 s[68:69], v26, v26
	v_cmp_o_f32_e64 s[28:29], v58, v58
	;; [unrolled: 1-line block ×9, first 2 shown]
	v_and_b32_e32 v9, 0xffff0000, v9
	v_and_b32_e32 v27, 0xffff0000, v27
	;; [unrolled: 1-line block ×3, first 2 shown]
	v_cmp_o_f32_e64 s[66:67], v29, v29
	v_cndmask_b32_e64 v1, v92, v1, s[68:69]
	v_lshlrev_b32_e32 v54, 16, v62
	v_and_b32_e32 v55, 0xffff0000, v62
	v_lshlrev_b32_e32 v56, 16, v63
	v_and_b32_e32 v57, 0xffff0000, v63
	;; [unrolled: 2-line block ×4, first 2 shown]
	v_cndmask_b32_e64 v62, v92, v9, s[62:63]
	v_cndmask_b32_e64 v63, v92, v27, s[64:65]
	;; [unrolled: 1-line block ×3, first 2 shown]
	v_cndmask_b32_e32 v65, v92, v14, vcc
	v_cndmask_b32_e64 v66, v92, v10, s[4:5]
	v_cndmask_b32_e64 v67, v92, v11, s[6:7]
	;; [unrolled: 1-line block ×27, first 2 shown]
	s_getpc_b64 s[24:25]
	s_add_u32 s24, s24, _ZZZZN2at6native33launch_standard_gamma_grad_kernelERNS_18TensorIteratorBaseEENKUlvE_clEvENKUlvE0_clEvENKUlffE_clEff@rel32@lo+4
	s_addc_u32 s25, s25, _ZZZZN2at6native33launch_standard_gamma_grad_kernelERNS_18TensorIteratorBaseEENKUlvE_clEvENKUlvE0_clEvENKUlffE_clEff@rel32@hi+12
	s_swappc_b64 s[30:31], s[24:25]
	v_mov_b32_e32 v93, v0
	v_mov_b32_e32 v0, v30
	v_mov_b32_e32 v1, v62
	s_swappc_b64 s[30:31], s[24:25]
	v_mov_b32_e32 v30, v0
	v_mov_b32_e32 v0, v32
	v_mov_b32_e32 v1, v63
	;; [unrolled: 4-line block ×31, first 2 shown]
	s_swappc_b64 s[30:31], s[24:25]
	s_add_u32 s4, s72, s76
	s_addc_u32 s5, s73, s77
	v_mov_b32_e32 v1, s5
	v_add_co_u32_e32 v8, vcc, s4, v95
	v_addc_co_u32_e32 v9, vcc, 0, v1, vcc
	v_bfe_u32 v1, v32, 16, 1
	v_bfe_u32 v2, v33, 16, 1
	v_add3_u32 v1, v32, v1, s80
	v_bfe_u32 v3, v93, 16, 1
	v_add3_u32 v2, v33, v2, s80
	v_lshrrev_b32_e32 v1, 16, v1
	v_mov_b32_e32 v10, 0x7fc0
	v_cmp_o_f32_e32 vcc, v32, v32
	v_bfe_u32 v4, v30, 16, 1
	v_add3_u32 v3, v93, v3, s80
	v_lshrrev_b32_e32 v2, 16, v2
	v_cndmask_b32_e32 v1, v10, v1, vcc
	v_cmp_o_f32_e32 vcc, v33, v33
	v_add3_u32 v4, v30, v4, s80
	v_lshrrev_b32_e32 v3, 16, v3
	v_cndmask_b32_e32 v5, v10, v2, vcc
	v_cmp_o_f32_e32 vcc, v93, v93
	v_lshrrev_b32_e32 v4, 16, v4
	v_cndmask_b32_e32 v2, v10, v3, vcc
	v_cmp_o_f32_e32 vcc, v30, v30
	v_cndmask_b32_e32 v3, v10, v4, vcc
	v_bfe_u32 v4, v36, 16, 1
	v_bfe_u32 v6, v37, 16, 1
	v_add3_u32 v4, v36, v4, s80
	v_bfe_u32 v7, v34, 16, 1
	v_add3_u32 v6, v37, v6, s80
	v_lshrrev_b32_e32 v4, 16, v4
	v_cmp_o_f32_e32 vcc, v36, v36
	v_bfe_u32 v11, v35, 16, 1
	v_add3_u32 v7, v34, v7, s80
	v_lshrrev_b32_e32 v6, 16, v6
	v_cndmask_b32_e32 v12, v10, v4, vcc
	v_cmp_o_f32_e32 vcc, v37, v37
	v_add3_u32 v11, v35, v11, s80
	v_lshrrev_b32_e32 v7, 16, v7
	v_cndmask_b32_e32 v6, v10, v6, vcc
	v_cmp_o_f32_e32 vcc, v34, v34
	v_lshrrev_b32_e32 v11, 16, v11
	v_cndmask_b32_e32 v4, v10, v7, vcc
	v_cmp_o_f32_e32 vcc, v35, v35
	v_cndmask_b32_e32 v7, v10, v11, vcc
	s_mov_b32 s6, 0x5040100
	v_perm_b32 v2, v3, v2, s6
	v_perm_b32 v3, v5, v1, s6
	;; [unrolled: 1-line block ×4, first 2 shown]
	v_bfe_u32 v1, v48, 16, 1
	global_store_dwordx4 v95, v[2:5], s[4:5]
	v_add3_u32 v1, v48, v1, s80
	v_bfe_u32 v2, v49, 16, 1
	v_bfe_u32 v3, v46, 16, 1
	v_add3_u32 v2, v49, v2, s80
	v_lshrrev_b32_e32 v1, 16, v1
	v_cmp_o_f32_e32 vcc, v48, v48
	v_bfe_u32 v4, v47, 16, 1
	v_add3_u32 v3, v46, v3, s80
	v_lshrrev_b32_e32 v2, 16, v2
	v_cndmask_b32_e32 v1, v10, v1, vcc
	v_cmp_o_f32_e32 vcc, v49, v49
	v_add3_u32 v4, v47, v4, s80
	v_lshrrev_b32_e32 v3, 16, v3
	v_cndmask_b32_e32 v5, v10, v2, vcc
	v_cmp_o_f32_e32 vcc, v46, v46
	v_lshrrev_b32_e32 v4, 16, v4
	v_cndmask_b32_e32 v2, v10, v3, vcc
	v_cmp_o_f32_e32 vcc, v47, v47
	v_cndmask_b32_e32 v3, v10, v4, vcc
	v_bfe_u32 v4, v52, 16, 1
	v_bfe_u32 v6, v53, 16, 1
	v_add3_u32 v4, v52, v4, s80
	v_bfe_u32 v7, v50, 16, 1
	v_add3_u32 v6, v53, v6, s80
	v_lshrrev_b32_e32 v4, 16, v4
	v_cmp_o_f32_e32 vcc, v52, v52
	v_bfe_u32 v11, v51, 16, 1
	v_add3_u32 v7, v50, v7, s80
	v_lshrrev_b32_e32 v6, 16, v6
	v_cndmask_b32_e32 v12, v10, v4, vcc
	v_cmp_o_f32_e32 vcc, v53, v53
	v_add3_u32 v11, v51, v11, s80
	v_lshrrev_b32_e32 v7, 16, v7
	v_cndmask_b32_e32 v6, v10, v6, vcc
	v_cmp_o_f32_e32 vcc, v50, v50
	v_lshrrev_b32_e32 v11, 16, v11
	v_cndmask_b32_e32 v4, v10, v7, vcc
	v_cmp_o_f32_e32 vcc, v51, v51
	v_cndmask_b32_e32 v7, v10, v11, vcc
	v_perm_b32 v2, v3, v2, s6
	v_perm_b32 v3, v5, v1, s6
	;; [unrolled: 1-line block ×3, first 2 shown]
	v_add_co_u32_e32 v6, vcc, s79, v8
	v_perm_b32 v4, v7, v4, s6
	v_addc_co_u32_e32 v7, vcc, 0, v9, vcc
	v_bfe_u32 v1, v40, 16, 1
	global_store_dwordx4 v[6:7], v[2:5], off
	v_add3_u32 v1, v40, v1, s80
	v_bfe_u32 v2, v41, 16, 1
	v_bfe_u32 v3, v38, 16, 1
	v_add3_u32 v2, v41, v2, s80
	v_lshrrev_b32_e32 v1, 16, v1
	v_cmp_o_f32_e32 vcc, v40, v40
	v_bfe_u32 v4, v39, 16, 1
	v_add3_u32 v3, v38, v3, s80
	v_lshrrev_b32_e32 v2, 16, v2
	v_cndmask_b32_e32 v1, v10, v1, vcc
	v_cmp_o_f32_e32 vcc, v41, v41
	v_add3_u32 v4, v39, v4, s80
	v_lshrrev_b32_e32 v3, 16, v3
	v_cndmask_b32_e32 v5, v10, v2, vcc
	v_cmp_o_f32_e32 vcc, v38, v38
	v_lshrrev_b32_e32 v4, 16, v4
	v_cndmask_b32_e32 v2, v10, v3, vcc
	v_cmp_o_f32_e32 vcc, v39, v39
	v_cndmask_b32_e32 v3, v10, v4, vcc
	v_bfe_u32 v4, v44, 16, 1
	v_bfe_u32 v6, v45, 16, 1
	v_add3_u32 v4, v44, v4, s80
	v_bfe_u32 v7, v42, 16, 1
	v_add3_u32 v6, v45, v6, s80
	v_lshrrev_b32_e32 v4, 16, v4
	v_cmp_o_f32_e32 vcc, v44, v44
	v_bfe_u32 v11, v43, 16, 1
	v_add3_u32 v7, v42, v7, s80
	v_lshrrev_b32_e32 v6, 16, v6
	v_cndmask_b32_e32 v12, v10, v4, vcc
	v_cmp_o_f32_e32 vcc, v45, v45
	v_add3_u32 v11, v43, v11, s80
	v_lshrrev_b32_e32 v7, 16, v7
	v_cndmask_b32_e32 v6, v10, v6, vcc
	v_cmp_o_f32_e32 vcc, v42, v42
	v_lshrrev_b32_e32 v11, 16, v11
	v_cndmask_b32_e32 v4, v10, v7, vcc
	v_cmp_o_f32_e32 vcc, v43, v43
	v_cndmask_b32_e32 v7, v10, v11, vcc
	v_perm_b32 v2, v3, v2, s6
	v_perm_b32 v3, v5, v1, s6
	;; [unrolled: 1-line block ×4, first 2 shown]
	v_bfe_u32 v1, v56, 16, 1
	global_store_dwordx4 v94, v[2:5], s[4:5]
	v_add3_u32 v1, v56, v1, s80
	v_bfe_u32 v2, v57, 16, 1
	v_bfe_u32 v3, v54, 16, 1
	v_add3_u32 v2, v57, v2, s80
	v_lshrrev_b32_e32 v1, 16, v1
	v_cmp_o_f32_e32 vcc, v56, v56
	v_bfe_u32 v4, v55, 16, 1
	v_add3_u32 v3, v54, v3, s80
	v_lshrrev_b32_e32 v2, 16, v2
	v_cndmask_b32_e32 v1, v10, v1, vcc
	v_cmp_o_f32_e32 vcc, v57, v57
	v_add3_u32 v4, v55, v4, s80
	v_lshrrev_b32_e32 v3, 16, v3
	v_cndmask_b32_e32 v2, v10, v2, vcc
	v_cmp_o_f32_e32 vcc, v54, v54
	v_bfe_u32 v5, v60, 16, 1
	v_lshrrev_b32_e32 v4, 16, v4
	v_cndmask_b32_e32 v3, v10, v3, vcc
	v_cmp_o_f32_e32 vcc, v55, v55
	v_bfe_u32 v6, v0, 16, 1
	v_add3_u32 v5, v60, v5, s80
	v_cndmask_b32_e32 v4, v10, v4, vcc
	v_bfe_u32 v7, v58, 16, 1
	v_add3_u32 v6, v0, v6, s80
	v_lshrrev_b32_e32 v5, 16, v5
	v_cmp_o_f32_e32 vcc, v60, v60
	v_bfe_u32 v11, v59, 16, 1
	v_add3_u32 v7, v58, v7, s80
	v_lshrrev_b32_e32 v6, 16, v6
	v_cndmask_b32_e32 v5, v10, v5, vcc
	v_cmp_o_f32_e32 vcc, v0, v0
	v_add3_u32 v11, v59, v11, s80
	v_lshrrev_b32_e32 v7, 16, v7
	v_cndmask_b32_e32 v6, v10, v6, vcc
	v_cmp_o_f32_e32 vcc, v58, v58
	v_lshrrev_b32_e32 v11, 16, v11
	v_cndmask_b32_e32 v7, v10, v7, vcc
	v_cmp_o_f32_e32 vcc, v59, v59
	v_cndmask_b32_e32 v10, v10, v11, vcc
	v_perm_b32 v0, v4, v3, s6
	v_add_co_u32_e32 v4, vcc, 0x6000, v8
	v_perm_b32 v1, v2, v1, s6
	v_perm_b32 v2, v10, v7, s6
	;; [unrolled: 1-line block ×3, first 2 shown]
	v_addc_co_u32_e32 v5, vcc, 0, v9, vcc
	global_store_dwordx4 v[4:5], v[0:3], off
	s_cbranch_execnz .LBB176_2
.LBB176_4:
	s_load_dword s13, s[22:23], 0x24
	s_load_dwordx4 s[4:7], s[22:23], 0x28
	s_add_u32 s8, s22, 56
	s_addc_u32 s9, s23, 0
	s_mov_b32 s12, s33
	s_waitcnt lgkmcnt(0)
	v_lshrrev_b16_e64 v8, 8, s13
	v_mov_b32_e32 v0, s72
	v_mov_b32_e32 v1, s73
	v_mov_b32_e32 v2, s74
	v_mov_b32_e32 v3, s75
	v_mov_b32_e32 v4, s70
	v_mov_b32_e32 v5, s71
	v_mov_b32_e32 v6, s78
	v_mov_b32_e32 v7, s13
	v_mov_b32_e32 v9, s4
	v_mov_b32_e32 v10, s5
	v_mov_b32_e32 v11, s6
	v_mov_b32_e32 v12, s7
	s_getpc_b64 s[10:11]
	s_add_u32 s10, s10, _ZN2at6native25elementwise_kernel_helperILb1EZZZNS0_33launch_standard_gamma_grad_kernelERNS_18TensorIteratorBaseEENKUlvE_clEvENKUlvE0_clEvEUlffE_NS0_6memory8policies11unroll_baseILi512ESt5arrayIPcLm3EE23TrivialOffsetCalculatorILi2EjESD_ILi1EjENS7_12LoadWithCastILi2EEENS7_13StoreWithCastILi1EEELi32ELi1EEEEEvT0_T1_@rel32@lo+4
	s_addc_u32 s11, s11, _ZN2at6native25elementwise_kernel_helperILb1EZZZNS0_33launch_standard_gamma_grad_kernelERNS_18TensorIteratorBaseEENKUlvE_clEvENKUlvE0_clEvEUlffE_NS0_6memory8policies11unroll_baseILi512ESt5arrayIPcLm3EE23TrivialOffsetCalculatorILi2EjESD_ILi1EjENS7_12LoadWithCastILi2EEENS7_13StoreWithCastILi1EEELi32ELi1EEEEEvT0_T1_@rel32@hi+12
	s_swappc_b64 s[30:31], s[10:11]
	s_endpgm
	.section	.rodata,"a",@progbits
	.p2align	6, 0x0
	.amdhsa_kernel _ZN2at6native39vectorized_templated_elementwise_kernelILi8EZZZNS0_33launch_standard_gamma_grad_kernelERNS_18TensorIteratorBaseEENKUlvE_clEvENKUlvE0_clEvEUlffE_St5arrayIPcLm3EE23TrivialOffsetCalculatorILi2EjESA_ILi1EjENS0_6memory12LoadWithCastILi2EEENSD_13StoreWithCastILi1EEEN3c108BFloat16EJSJ_fEEEviT0_T1_T2_T3_T4_T5_
		.amdhsa_group_segment_fixed_size 0
		.amdhsa_private_segment_fixed_size 288
		.amdhsa_kernarg_size 312
		.amdhsa_user_sgpr_count 8
		.amdhsa_user_sgpr_private_segment_buffer 1
		.amdhsa_user_sgpr_dispatch_ptr 0
		.amdhsa_user_sgpr_queue_ptr 0
		.amdhsa_user_sgpr_kernarg_segment_ptr 1
		.amdhsa_user_sgpr_dispatch_id 0
		.amdhsa_user_sgpr_flat_scratch_init 1
		.amdhsa_user_sgpr_kernarg_preload_length 0
		.amdhsa_user_sgpr_kernarg_preload_offset 0
		.amdhsa_user_sgpr_private_segment_size 0
		.amdhsa_uses_dynamic_stack 0
		.amdhsa_system_sgpr_private_segment_wavefront_offset 1
		.amdhsa_system_sgpr_workgroup_id_x 1
		.amdhsa_system_sgpr_workgroup_id_y 0
		.amdhsa_system_sgpr_workgroup_id_z 0
		.amdhsa_system_sgpr_workgroup_info 0
		.amdhsa_system_vgpr_workitem_id 0
		.amdhsa_next_free_vgpr 138
		.amdhsa_next_free_sgpr 98
		.amdhsa_accum_offset 120
		.amdhsa_reserve_vcc 1
		.amdhsa_reserve_flat_scratch 1
		.amdhsa_float_round_mode_32 0
		.amdhsa_float_round_mode_16_64 0
		.amdhsa_float_denorm_mode_32 3
		.amdhsa_float_denorm_mode_16_64 3
		.amdhsa_dx10_clamp 1
		.amdhsa_ieee_mode 1
		.amdhsa_fp16_overflow 0
		.amdhsa_tg_split 0
		.amdhsa_exception_fp_ieee_invalid_op 0
		.amdhsa_exception_fp_denorm_src 0
		.amdhsa_exception_fp_ieee_div_zero 0
		.amdhsa_exception_fp_ieee_overflow 0
		.amdhsa_exception_fp_ieee_underflow 0
		.amdhsa_exception_fp_ieee_inexact 0
		.amdhsa_exception_int_div_zero 0
	.end_amdhsa_kernel
	.section	.text._ZN2at6native39vectorized_templated_elementwise_kernelILi8EZZZNS0_33launch_standard_gamma_grad_kernelERNS_18TensorIteratorBaseEENKUlvE_clEvENKUlvE0_clEvEUlffE_St5arrayIPcLm3EE23TrivialOffsetCalculatorILi2EjESA_ILi1EjENS0_6memory12LoadWithCastILi2EEENSD_13StoreWithCastILi1EEEN3c108BFloat16EJSJ_fEEEviT0_T1_T2_T3_T4_T5_,"axG",@progbits,_ZN2at6native39vectorized_templated_elementwise_kernelILi8EZZZNS0_33launch_standard_gamma_grad_kernelERNS_18TensorIteratorBaseEENKUlvE_clEvENKUlvE0_clEvEUlffE_St5arrayIPcLm3EE23TrivialOffsetCalculatorILi2EjESA_ILi1EjENS0_6memory12LoadWithCastILi2EEENSD_13StoreWithCastILi1EEEN3c108BFloat16EJSJ_fEEEviT0_T1_T2_T3_T4_T5_,comdat
.Lfunc_end176:
	.size	_ZN2at6native39vectorized_templated_elementwise_kernelILi8EZZZNS0_33launch_standard_gamma_grad_kernelERNS_18TensorIteratorBaseEENKUlvE_clEvENKUlvE0_clEvEUlffE_St5arrayIPcLm3EE23TrivialOffsetCalculatorILi2EjESA_ILi1EjENS0_6memory12LoadWithCastILi2EEENSD_13StoreWithCastILi1EEEN3c108BFloat16EJSJ_fEEEviT0_T1_T2_T3_T4_T5_, .Lfunc_end176-_ZN2at6native39vectorized_templated_elementwise_kernelILi8EZZZNS0_33launch_standard_gamma_grad_kernelERNS_18TensorIteratorBaseEENKUlvE_clEvENKUlvE0_clEvEUlffE_St5arrayIPcLm3EE23TrivialOffsetCalculatorILi2EjESA_ILi1EjENS0_6memory12LoadWithCastILi2EEENSD_13StoreWithCastILi1EEEN3c108BFloat16EJSJ_fEEEviT0_T1_T2_T3_T4_T5_
                                        ; -- End function
	.section	.AMDGPU.csdata,"",@progbits
; Kernel info:
; codeLenInByte = 3600
; NumSgprs: 104
; NumVgprs: 120
; NumAgprs: 18
; TotalNumVgprs: 138
; ScratchSize: 288
; MemoryBound: 0
; FloatMode: 240
; IeeeMode: 1
; LDSByteSize: 0 bytes/workgroup (compile time only)
; SGPRBlocks: 12
; VGPRBlocks: 17
; NumSGPRsForWavesPerEU: 104
; NumVGPRsForWavesPerEU: 138
; AccumOffset: 120
; Occupancy: 3
; WaveLimiterHint : 0
; COMPUTE_PGM_RSRC2:SCRATCH_EN: 1
; COMPUTE_PGM_RSRC2:USER_SGPR: 8
; COMPUTE_PGM_RSRC2:TRAP_HANDLER: 0
; COMPUTE_PGM_RSRC2:TGID_X_EN: 1
; COMPUTE_PGM_RSRC2:TGID_Y_EN: 0
; COMPUTE_PGM_RSRC2:TGID_Z_EN: 0
; COMPUTE_PGM_RSRC2:TIDIG_COMP_CNT: 0
; COMPUTE_PGM_RSRC3_GFX90A:ACCUM_OFFSET: 29
; COMPUTE_PGM_RSRC3_GFX90A:TG_SPLIT: 0
	.section	.text._ZN2at6native39vectorized_templated_elementwise_kernelILi4EZZZNS0_33launch_standard_gamma_grad_kernelERNS_18TensorIteratorBaseEENKUlvE_clEvENKUlvE0_clEvEUlffE_St5arrayIPcLm3EE23TrivialOffsetCalculatorILi2EjESA_ILi1EjENS0_6memory12LoadWithCastILi2EEENSD_13StoreWithCastILi1EEEN3c108BFloat16EJSJ_fEEEviT0_T1_T2_T3_T4_T5_,"axG",@progbits,_ZN2at6native39vectorized_templated_elementwise_kernelILi4EZZZNS0_33launch_standard_gamma_grad_kernelERNS_18TensorIteratorBaseEENKUlvE_clEvENKUlvE0_clEvEUlffE_St5arrayIPcLm3EE23TrivialOffsetCalculatorILi2EjESA_ILi1EjENS0_6memory12LoadWithCastILi2EEENSD_13StoreWithCastILi1EEEN3c108BFloat16EJSJ_fEEEviT0_T1_T2_T3_T4_T5_,comdat
	.globl	_ZN2at6native39vectorized_templated_elementwise_kernelILi4EZZZNS0_33launch_standard_gamma_grad_kernelERNS_18TensorIteratorBaseEENKUlvE_clEvENKUlvE0_clEvEUlffE_St5arrayIPcLm3EE23TrivialOffsetCalculatorILi2EjESA_ILi1EjENS0_6memory12LoadWithCastILi2EEENSD_13StoreWithCastILi1EEEN3c108BFloat16EJSJ_fEEEviT0_T1_T2_T3_T4_T5_ ; -- Begin function _ZN2at6native39vectorized_templated_elementwise_kernelILi4EZZZNS0_33launch_standard_gamma_grad_kernelERNS_18TensorIteratorBaseEENKUlvE_clEvENKUlvE0_clEvEUlffE_St5arrayIPcLm3EE23TrivialOffsetCalculatorILi2EjESA_ILi1EjENS0_6memory12LoadWithCastILi2EEENSD_13StoreWithCastILi1EEEN3c108BFloat16EJSJ_fEEEviT0_T1_T2_T3_T4_T5_
	.p2align	8
	.type	_ZN2at6native39vectorized_templated_elementwise_kernelILi4EZZZNS0_33launch_standard_gamma_grad_kernelERNS_18TensorIteratorBaseEENKUlvE_clEvENKUlvE0_clEvEUlffE_St5arrayIPcLm3EE23TrivialOffsetCalculatorILi2EjESA_ILi1EjENS0_6memory12LoadWithCastILi2EEENSD_13StoreWithCastILi1EEEN3c108BFloat16EJSJ_fEEEviT0_T1_T2_T3_T4_T5_,@function
_ZN2at6native39vectorized_templated_elementwise_kernelILi4EZZZNS0_33launch_standard_gamma_grad_kernelERNS_18TensorIteratorBaseEENKUlvE_clEvENKUlvE0_clEvEUlffE_St5arrayIPcLm3EE23TrivialOffsetCalculatorILi2EjESA_ILi1EjENS0_6memory12LoadWithCastILi2EEENSD_13StoreWithCastILi1EEEN3c108BFloat16EJSJ_fEEEviT0_T1_T2_T3_T4_T5_: ; @_ZN2at6native39vectorized_templated_elementwise_kernelILi4EZZZNS0_33launch_standard_gamma_grad_kernelERNS_18TensorIteratorBaseEENKUlvE_clEvENKUlvE0_clEvEUlffE_St5arrayIPcLm3EE23TrivialOffsetCalculatorILi2EjESA_ILi1EjENS0_6memory12LoadWithCastILi2EEENSD_13StoreWithCastILi1EEEN3c108BFloat16EJSJ_fEEEviT0_T1_T2_T3_T4_T5_
; %bb.0:
	s_add_u32 flat_scratch_lo, s6, s9
	s_addc_u32 flat_scratch_hi, s7, 0
	s_add_u32 s0, s0, s9
	s_mov_b64 s[22:23], s[4:5]
	s_load_dword s4, s[4:5], 0x38
	s_nop 0
	s_load_dwordx2 s[70:71], s[22:23], 0x18
	s_load_dword s5, s[22:23], 0x0
	s_load_dwordx4 s[72:75], s[22:23], 0x8
	s_addc_u32 s1, s1, 0
	s_not_b32 s6, s8
	s_waitcnt lgkmcnt(0)
	s_add_i32 s4, s4, s6
	s_lshl_b32 s6, s4, 14
	s_sub_i32 s78, s5, s6
	s_mov_b32 s33, s8
	v_mov_b32_e32 v31, v0
	s_cmpk_gt_i32 s78, 0x3fff
	s_mov_b64 s[4:5], -1
	s_mov_b32 s32, 0
	s_cbranch_scc1 .LBB177_3
; %bb.1:
	s_andn2_b64 vcc, exec, s[4:5]
	s_cbranch_vccz .LBB177_4
.LBB177_2:
	s_endpgm
.LBB177_3:
	s_ashr_i32 s7, s6, 31
	s_lshl_b64 s[76:77], s[6:7], 1
	s_add_u32 s4, s74, s76
	s_addc_u32 s5, s75, s77
	v_lshlrev_b32_e32 v96, 3, v31
	v_mov_b32_e32 v0, s5
	v_add_co_u32_e32 v14, vcc, s4, v96
	v_addc_co_u32_e32 v15, vcc, 0, v0, vcc
	s_movk_i32 s80, 0x1000
	v_add_co_u32_e32 v0, vcc, s80, v14
	v_addc_co_u32_e32 v1, vcc, 0, v15, vcc
	s_movk_i32 s79, 0x3000
	s_lshl_b64 s[6:7], s[6:7], 2
	global_load_dwordx2 v[22:23], v96, s[4:5]
	global_load_dwordx2 v[24:25], v[0:1], off
	v_or_b32_e32 v6, 0x400, v31
	v_add_co_u32_e32 v0, vcc, s79, v14
	s_add_u32 s6, s70, s6
	v_lshlrev_b32_e32 v95, 3, v6
	v_addc_co_u32_e32 v1, vcc, 0, v15, vcc
	s_addc_u32 s7, s71, s7
	v_lshlrev_b32_e32 v16, 4, v31
	global_load_dwordx2 v[26:27], v95, s[4:5]
	global_load_dwordx2 v[28:29], v[0:1], off
	v_mov_b32_e32 v0, s7
	v_add_co_u32_e32 v58, vcc, s6, v16
	v_addc_co_u32_e32 v59, vcc, 0, v0, vcc
	s_movk_i32 s8, 0x2000
	v_add_co_u32_e32 v0, vcc, s8, v58
	v_addc_co_u32_e32 v1, vcc, 0, v59, vcc
	global_load_dwordx4 v[2:5], v[0:1], off
	v_lshlrev_b32_e32 v0, 4, v6
	global_load_dwordx4 v[6:9], v0, s[6:7]
	v_or_b32_e32 v10, 0x800, v31
	s_movk_i32 s9, 0x6000
	v_lshlrev_b32_e32 v18, 4, v10
	global_load_dwordx4 v[18:21], v18, s[6:7]
	v_add_co_u32_e32 v0, vcc, s9, v58
	v_addc_co_u32_e32 v1, vcc, 0, v59, vcc
	v_lshlrev_b32_e32 v94, 3, v10
	global_load_dwordx4 v[10:13], v[0:1], off
	s_movk_i32 s81, 0x5000
	v_add_co_u32_e32 v46, vcc, s81, v14
	s_movk_i32 s8, 0x7000
	v_addc_co_u32_e32 v47, vcc, 0, v15, vcc
	v_add_co_u32_e32 v50, vcc, s8, v14
	s_mov_b32 s10, 0xa000
	v_addc_co_u32_e32 v51, vcc, 0, v15, vcc
	v_add_co_u32_e32 v52, vcc, s10, v58
	v_or_b32_e32 v62, 0xc00, v31
	v_addc_co_u32_e32 v53, vcc, 0, v59, vcc
	global_load_dwordx2 v[48:49], v94, s[4:5]
	v_lshlrev_b32_e32 v97, 3, v62
	global_load_dwordx4 v[14:17], v16, s[6:7]
	s_movk_i32 s82, 0x7fff
	s_mov_b32 s10, 0xe000
	v_mov_b32_e32 v98, 0x7fc00000
	s_waitcnt vmcnt(9)
	v_lshlrev_b32_e32 v0, 16, v22
	v_and_b32_e32 v30, 0xffff0000, v22
	v_lshlrev_b32_e32 v32, 16, v23
	v_and_b32_e32 v33, 0xffff0000, v23
	s_waitcnt vmcnt(8)
	v_lshlrev_b32_e32 v34, 16, v24
	v_and_b32_e32 v35, 0xffff0000, v24
	v_lshlrev_b32_e32 v36, 16, v25
	v_and_b32_e32 v37, 0xffff0000, v25
	global_load_dwordx4 v[22:25], v[52:53], off
	global_load_dwordx2 v[54:55], v[46:47], off
	global_load_dwordx2 v[56:57], v97, s[4:5]
	global_load_dwordx2 v[60:61], v[50:51], off
	s_waitcnt vmcnt(11)
	v_lshlrev_b32_e32 v38, 16, v26
	v_and_b32_e32 v39, 0xffff0000, v26
	v_lshlrev_b32_e32 v40, 16, v27
	v_and_b32_e32 v41, 0xffff0000, v27
	s_waitcnt vmcnt(10)
	v_lshlrev_b32_e32 v42, 16, v28
	v_and_b32_e32 v43, 0xffff0000, v28
	v_lshlrev_b32_e32 v44, 16, v29
	v_and_b32_e32 v45, 0xffff0000, v29
	s_waitcnt vmcnt(9)
	v_bfe_u32 v1, v2, 16, 1
	v_add3_u32 v1, v2, v1, s82
	v_and_b32_e32 v65, 0xffff0000, v1
	v_bfe_u32 v1, v3, 16, 1
	v_add3_u32 v1, v3, v1, s82
	v_and_b32_e32 v66, 0xffff0000, v1
	v_lshlrev_b32_e32 v1, 4, v62
	global_load_dwordx4 v[26:29], v1, s[6:7]
	v_bfe_u32 v1, v4, 16, 1
	v_cmp_o_f32_e32 vcc, v2, v2
	v_add3_u32 v1, v4, v1, s82
	v_add_co_u32_e64 v2, s[10:11], s10, v58
	v_cmp_o_f32_e64 s[4:5], v3, v3
	v_and_b32_e32 v67, 0xffff0000, v1
	v_bfe_u32 v1, v5, 16, 1
	v_addc_co_u32_e64 v3, s[10:11], 0, v59, s[10:11]
	v_cmp_o_f32_e64 s[6:7], v4, v4
	v_add3_u32 v1, v5, v1, s82
	v_cmp_o_f32_e64 s[8:9], v5, v5
	global_load_dwordx4 v[2:5], v[2:3], off
	v_and_b32_e32 v68, 0xffff0000, v1
	s_waitcnt vmcnt(10)
	v_bfe_u32 v1, v6, 16, 1
	v_add3_u32 v1, v6, v1, s82
	v_and_b32_e32 v69, 0xffff0000, v1
	v_bfe_u32 v1, v7, 16, 1
	v_add3_u32 v1, v7, v1, s82
	v_cmp_o_f32_e64 s[10:11], v6, v6
	v_and_b32_e32 v6, 0xffff0000, v1
	v_bfe_u32 v1, v8, 16, 1
	v_add3_u32 v1, v8, v1, s82
	v_cmp_o_f32_e64 s[12:13], v7, v7
	;; [unrolled: 4-line block ×3, first 2 shown]
	v_and_b32_e32 v8, 0xffff0000, v1
	s_waitcnt vmcnt(8)
	v_bfe_u32 v1, v10, 16, 1
	v_add3_u32 v1, v10, v1, s82
	v_cmp_o_f32_e64 s[16:17], v9, v9
	v_and_b32_e32 v9, 0xffff0000, v1
	v_bfe_u32 v1, v11, 16, 1
	v_add3_u32 v1, v11, v1, s82
	v_cmp_o_f32_e64 s[18:19], v10, v10
	v_and_b32_e32 v10, 0xffff0000, v1
	;; [unrolled: 4-line block ×8, first 2 shown]
	s_waitcnt vmcnt(5)
	v_bfe_u32 v1, v22, 16, 1
	v_add3_u32 v1, v22, v1, s82
	v_cmp_o_f32_e64 s[36:37], v21, v21
	v_and_b32_e32 v21, 0xffff0000, v1
	v_bfe_u32 v1, v23, 16, 1
	v_add3_u32 v1, v23, v1, s82
	v_cmp_o_f32_e64 s[38:39], v22, v22
	v_and_b32_e32 v22, 0xffff0000, v1
	;; [unrolled: 4-line block ×4, first 2 shown]
	v_cmp_o_f32_e64 s[44:45], v25, v25
	s_waitcnt vmcnt(1)
	v_bfe_u32 v1, v26, 16, 1
	v_add3_u32 v1, v26, v1, s82
	v_and_b32_e32 v25, 0xffff0000, v1
	v_bfe_u32 v1, v27, 16, 1
	v_add3_u32 v1, v27, v1, s82
	v_cmp_o_f32_e64 s[46:47], v26, v26
	v_and_b32_e32 v26, 0xffff0000, v1
	v_bfe_u32 v1, v28, 16, 1
	v_add3_u32 v1, v28, v1, s82
	v_cmp_o_f32_e64 s[48:49], v27, v27
	v_and_b32_e32 v27, 0xffff0000, v1
	v_bfe_u32 v1, v29, 16, 1
	v_add3_u32 v1, v29, v1, s82
	v_cmp_o_f32_e64 s[50:51], v28, v28
	v_and_b32_e32 v28, 0xffff0000, v1
	s_waitcnt vmcnt(0)
	v_bfe_u32 v1, v2, 16, 1
	v_add3_u32 v1, v2, v1, s82
	v_cmp_o_f32_e64 s[52:53], v29, v29
	v_and_b32_e32 v29, 0xffff0000, v1
	v_bfe_u32 v1, v3, 16, 1
	v_add3_u32 v1, v3, v1, s82
	v_cmp_o_f32_e64 s[54:55], v2, v2
	v_and_b32_e32 v2, 0xffff0000, v1
	;; [unrolled: 4-line block ×3, first 2 shown]
	v_bfe_u32 v1, v5, 16, 1
	v_add3_u32 v1, v5, v1, s82
	v_cmp_o_f32_e64 s[60:61], v5, v5
	v_bfe_u32 v5, v15, 16, 1
	v_cmp_o_f32_e64 s[58:59], v4, v4
	v_and_b32_e32 v4, 0xffff0000, v1
	v_bfe_u32 v1, v14, 16, 1
	v_add3_u32 v5, v15, v5, s82
	v_cmp_o_f32_e64 s[62:63], v15, v15
	v_bfe_u32 v15, v16, 16, 1
	v_add3_u32 v1, v14, v1, s82
	v_add3_u32 v15, v16, v15, s82
	v_cmp_o_f32_e64 s[64:65], v16, v16
	v_bfe_u32 v16, v17, 16, 1
	v_and_b32_e32 v1, 0xffff0000, v1
	v_add3_u32 v16, v17, v16, s82
	v_cmp_o_f32_e64 s[68:69], v14, v14
	v_and_b32_e32 v5, 0xffff0000, v5
	v_and_b32_e32 v15, 0xffff0000, v15
	;; [unrolled: 1-line block ×3, first 2 shown]
	v_cmp_o_f32_e64 s[66:67], v17, v17
	v_cndmask_b32_e64 v1, v98, v1, s[68:69]
	v_lshlrev_b32_e32 v46, 16, v48
	v_and_b32_e32 v47, 0xffff0000, v48
	v_lshlrev_b32_e32 v48, 16, v49
	v_and_b32_e32 v49, 0xffff0000, v49
	;; [unrolled: 2-line block ×8, first 2 shown]
	v_cndmask_b32_e64 v62, v98, v5, s[62:63]
	v_cndmask_b32_e64 v63, v98, v15, s[64:65]
	;; [unrolled: 1-line block ×3, first 2 shown]
	v_cndmask_b32_e32 v65, v98, v65, vcc
	v_cndmask_b32_e64 v66, v98, v66, s[4:5]
	v_cndmask_b32_e64 v67, v98, v67, s[6:7]
	;; [unrolled: 1-line block ×27, first 2 shown]
	s_getpc_b64 s[24:25]
	s_add_u32 s24, s24, _ZZZZN2at6native33launch_standard_gamma_grad_kernelERNS_18TensorIteratorBaseEENKUlvE_clEvENKUlvE0_clEvENKUlffE_clEff@rel32@lo+4
	s_addc_u32 s25, s25, _ZZZZN2at6native33launch_standard_gamma_grad_kernelERNS_18TensorIteratorBaseEENKUlvE_clEvENKUlvE0_clEvENKUlffE_clEff@rel32@hi+12
	s_swappc_b64 s[30:31], s[24:25]
	v_mov_b32_e32 v93, v0
	v_mov_b32_e32 v0, v30
	v_mov_b32_e32 v1, v62
	s_swappc_b64 s[30:31], s[24:25]
	v_mov_b32_e32 v30, v0
	v_mov_b32_e32 v0, v32
	v_mov_b32_e32 v1, v63
	;; [unrolled: 4-line block ×31, first 2 shown]
	s_swappc_b64 s[30:31], s[24:25]
	s_add_u32 s4, s72, s76
	s_addc_u32 s5, s73, s77
	v_bfe_u32 v4, v33, 16, 1
	v_mov_b32_e32 v5, s5
	v_add_co_u32_e32 v6, vcc, s4, v96
	v_bfe_u32 v3, v32, 16, 1
	v_add3_u32 v4, v33, v4, s82
	v_addc_co_u32_e32 v7, vcc, 0, v5, vcc
	v_bfe_u32 v2, v30, 16, 1
	v_add3_u32 v3, v32, v3, s82
	v_and_b32_e32 v4, 0xffff0000, v4
	v_cmp_o_f32_e32 vcc, v33, v33
	v_bfe_u32 v1, v93, 16, 1
	v_add3_u32 v2, v30, v2, s82
	v_lshrrev_b32_e32 v3, 16, v3
	v_cndmask_b32_e32 v4, v98, v4, vcc
	v_mov_b32_e32 v8, 0x7fc0
	v_cmp_o_f32_e32 vcc, v32, v32
	v_add3_u32 v1, v93, v1, s82
	v_and_b32_e32 v2, 0xffff0000, v2
	v_cndmask_b32_e32 v3, v8, v3, vcc
	v_cmp_o_f32_e32 vcc, v30, v30
	v_lshrrev_b32_e32 v1, 16, v1
	v_cndmask_b32_e32 v2, v98, v2, vcc
	v_cmp_o_f32_e32 vcc, v93, v93
	v_cndmask_b32_e32 v1, v8, v1, vcc
	v_or_b32_e32 v1, v2, v1
	v_or3_b32 v3, 0, v3, v4
	v_or3_b32 v2, v1, 0, 0
	v_bfe_u32 v4, v37, 16, 1
	global_store_dwordx2 v96, v[2:3], s[4:5]
	v_bfe_u32 v3, v36, 16, 1
	v_add3_u32 v4, v37, v4, s82
	v_bfe_u32 v2, v35, 16, 1
	v_add3_u32 v3, v36, v3, s82
	v_and_b32_e32 v4, 0xffff0000, v4
	v_cmp_o_f32_e32 vcc, v37, v37
	v_bfe_u32 v1, v34, 16, 1
	v_add3_u32 v2, v35, v2, s82
	v_lshrrev_b32_e32 v3, 16, v3
	v_cndmask_b32_e32 v4, v98, v4, vcc
	v_cmp_o_f32_e32 vcc, v36, v36
	v_add3_u32 v1, v34, v1, s82
	v_and_b32_e32 v2, 0xffff0000, v2
	v_cndmask_b32_e32 v3, v8, v3, vcc
	v_cmp_o_f32_e32 vcc, v35, v35
	v_lshrrev_b32_e32 v1, 16, v1
	v_cndmask_b32_e32 v2, v98, v2, vcc
	v_cmp_o_f32_e32 vcc, v34, v34
	v_cndmask_b32_e32 v1, v8, v1, vcc
	v_or_b32_e32 v1, v2, v1
	v_or3_b32 v3, 0, v3, v4
	v_add_co_u32_e32 v4, vcc, s80, v6
	v_or3_b32 v2, v1, 0, 0
	v_addc_co_u32_e32 v5, vcc, 0, v7, vcc
	global_store_dwordx2 v[4:5], v[2:3], off
	v_bfe_u32 v4, v41, 16, 1
	v_bfe_u32 v3, v40, 16, 1
	v_add3_u32 v4, v41, v4, s82
	v_bfe_u32 v2, v39, 16, 1
	v_add3_u32 v3, v40, v3, s82
	v_and_b32_e32 v4, 0xffff0000, v4
	v_cmp_o_f32_e32 vcc, v41, v41
	v_bfe_u32 v1, v38, 16, 1
	v_add3_u32 v2, v39, v2, s82
	v_lshrrev_b32_e32 v3, 16, v3
	v_cndmask_b32_e32 v4, v98, v4, vcc
	v_cmp_o_f32_e32 vcc, v40, v40
	v_add3_u32 v1, v38, v1, s82
	v_and_b32_e32 v2, 0xffff0000, v2
	v_cndmask_b32_e32 v3, v8, v3, vcc
	v_cmp_o_f32_e32 vcc, v39, v39
	v_lshrrev_b32_e32 v1, 16, v1
	v_cndmask_b32_e32 v2, v98, v2, vcc
	v_cmp_o_f32_e32 vcc, v38, v38
	v_cndmask_b32_e32 v1, v8, v1, vcc
	v_or_b32_e32 v1, v2, v1
	v_or3_b32 v3, 0, v3, v4
	v_or3_b32 v2, v1, 0, 0
	v_bfe_u32 v4, v45, 16, 1
	global_store_dwordx2 v95, v[2:3], s[4:5]
	v_bfe_u32 v3, v44, 16, 1
	v_add3_u32 v4, v45, v4, s82
	v_bfe_u32 v2, v43, 16, 1
	v_add3_u32 v3, v44, v3, s82
	v_and_b32_e32 v4, 0xffff0000, v4
	v_cmp_o_f32_e32 vcc, v45, v45
	v_bfe_u32 v1, v42, 16, 1
	v_add3_u32 v2, v43, v2, s82
	v_lshrrev_b32_e32 v3, 16, v3
	v_cndmask_b32_e32 v4, v98, v4, vcc
	v_cmp_o_f32_e32 vcc, v44, v44
	v_add3_u32 v1, v42, v1, s82
	v_and_b32_e32 v2, 0xffff0000, v2
	v_cndmask_b32_e32 v3, v8, v3, vcc
	v_cmp_o_f32_e32 vcc, v43, v43
	v_lshrrev_b32_e32 v1, 16, v1
	v_cndmask_b32_e32 v2, v98, v2, vcc
	v_cmp_o_f32_e32 vcc, v42, v42
	v_cndmask_b32_e32 v1, v8, v1, vcc
	v_or_b32_e32 v1, v2, v1
	v_or3_b32 v3, 0, v3, v4
	v_add_co_u32_e32 v4, vcc, s79, v6
	v_or3_b32 v2, v1, 0, 0
	v_addc_co_u32_e32 v5, vcc, 0, v7, vcc
	global_store_dwordx2 v[4:5], v[2:3], off
	v_bfe_u32 v4, v49, 16, 1
	v_bfe_u32 v3, v48, 16, 1
	v_add3_u32 v4, v49, v4, s82
	v_bfe_u32 v2, v47, 16, 1
	v_add3_u32 v3, v48, v3, s82
	v_and_b32_e32 v4, 0xffff0000, v4
	v_cmp_o_f32_e32 vcc, v49, v49
	v_bfe_u32 v1, v46, 16, 1
	v_add3_u32 v2, v47, v2, s82
	v_lshrrev_b32_e32 v3, 16, v3
	v_cndmask_b32_e32 v4, v98, v4, vcc
	;; [unrolled: 50-line block ×3, first 2 shown]
	v_cmp_o_f32_e32 vcc, v56, v56
	v_add3_u32 v1, v54, v1, s82
	v_and_b32_e32 v2, 0xffff0000, v2
	v_cndmask_b32_e32 v3, v8, v3, vcc
	v_cmp_o_f32_e32 vcc, v55, v55
	v_lshrrev_b32_e32 v1, 16, v1
	v_cndmask_b32_e32 v2, v98, v2, vcc
	v_cmp_o_f32_e32 vcc, v54, v54
	v_cndmask_b32_e32 v1, v8, v1, vcc
	v_or_b32_e32 v1, v2, v1
	v_or3_b32 v3, 0, v3, v4
	v_or3_b32 v2, v1, 0, 0
	v_bfe_u32 v4, v0, 16, 1
	global_store_dwordx2 v97, v[2:3], s[4:5]
	v_bfe_u32 v3, v60, 16, 1
	v_add3_u32 v4, v0, v4, s82
	v_bfe_u32 v2, v59, 16, 1
	v_add3_u32 v3, v60, v3, s82
	v_and_b32_e32 v4, 0xffff0000, v4
	v_cmp_o_f32_e32 vcc, v0, v0
	v_bfe_u32 v1, v58, 16, 1
	v_add3_u32 v2, v59, v2, s82
	v_lshrrev_b32_e32 v3, 16, v3
	v_cndmask_b32_e32 v0, v98, v4, vcc
	v_cmp_o_f32_e32 vcc, v60, v60
	v_add3_u32 v1, v58, v1, s82
	v_and_b32_e32 v2, 0xffff0000, v2
	v_cndmask_b32_e32 v3, v8, v3, vcc
	v_cmp_o_f32_e32 vcc, v59, v59
	v_lshrrev_b32_e32 v1, 16, v1
	v_cndmask_b32_e32 v2, v98, v2, vcc
	v_cmp_o_f32_e32 vcc, v58, v58
	v_cndmask_b32_e32 v1, v8, v1, vcc
	v_or_b32_e32 v2, v2, v1
	v_or3_b32 v1, 0, v3, v0
	v_or3_b32 v0, v2, 0, 0
	v_add_co_u32_e32 v2, vcc, 0x7000, v6
	v_addc_co_u32_e32 v3, vcc, 0, v7, vcc
	global_store_dwordx2 v[2:3], v[0:1], off
	s_cbranch_execnz .LBB177_2
.LBB177_4:
	s_load_dword s13, s[22:23], 0x24
	s_load_dwordx4 s[4:7], s[22:23], 0x28
	s_add_u32 s8, s22, 56
	s_addc_u32 s9, s23, 0
	s_mov_b32 s12, s33
	s_waitcnt lgkmcnt(0)
	v_lshrrev_b16_e64 v8, 8, s13
	v_mov_b32_e32 v0, s72
	v_mov_b32_e32 v1, s73
	;; [unrolled: 1-line block ×12, first 2 shown]
	s_getpc_b64 s[10:11]
	s_add_u32 s10, s10, _ZN2at6native25elementwise_kernel_helperILb1EZZZNS0_33launch_standard_gamma_grad_kernelERNS_18TensorIteratorBaseEENKUlvE_clEvENKUlvE0_clEvEUlffE_NS0_6memory8policies11unroll_baseILi512ESt5arrayIPcLm3EE23TrivialOffsetCalculatorILi2EjESD_ILi1EjENS7_12LoadWithCastILi2EEENS7_13StoreWithCastILi1EEELi32ELi1EEEEEvT0_T1_@rel32@lo+4
	s_addc_u32 s11, s11, _ZN2at6native25elementwise_kernel_helperILb1EZZZNS0_33launch_standard_gamma_grad_kernelERNS_18TensorIteratorBaseEENKUlvE_clEvENKUlvE0_clEvEUlffE_NS0_6memory8policies11unroll_baseILi512ESt5arrayIPcLm3EE23TrivialOffsetCalculatorILi2EjESD_ILi1EjENS7_12LoadWithCastILi2EEENS7_13StoreWithCastILi1EEELi32ELi1EEEEEvT0_T1_@rel32@hi+12
	s_swappc_b64 s[30:31], s[10:11]
	s_endpgm
	.section	.rodata,"a",@progbits
	.p2align	6, 0x0
	.amdhsa_kernel _ZN2at6native39vectorized_templated_elementwise_kernelILi4EZZZNS0_33launch_standard_gamma_grad_kernelERNS_18TensorIteratorBaseEENKUlvE_clEvENKUlvE0_clEvEUlffE_St5arrayIPcLm3EE23TrivialOffsetCalculatorILi2EjESA_ILi1EjENS0_6memory12LoadWithCastILi2EEENSD_13StoreWithCastILi1EEEN3c108BFloat16EJSJ_fEEEviT0_T1_T2_T3_T4_T5_
		.amdhsa_group_segment_fixed_size 0
		.amdhsa_private_segment_fixed_size 288
		.amdhsa_kernarg_size 312
		.amdhsa_user_sgpr_count 8
		.amdhsa_user_sgpr_private_segment_buffer 1
		.amdhsa_user_sgpr_dispatch_ptr 0
		.amdhsa_user_sgpr_queue_ptr 0
		.amdhsa_user_sgpr_kernarg_segment_ptr 1
		.amdhsa_user_sgpr_dispatch_id 0
		.amdhsa_user_sgpr_flat_scratch_init 1
		.amdhsa_user_sgpr_kernarg_preload_length 0
		.amdhsa_user_sgpr_kernarg_preload_offset 0
		.amdhsa_user_sgpr_private_segment_size 0
		.amdhsa_uses_dynamic_stack 0
		.amdhsa_system_sgpr_private_segment_wavefront_offset 1
		.amdhsa_system_sgpr_workgroup_id_x 1
		.amdhsa_system_sgpr_workgroup_id_y 0
		.amdhsa_system_sgpr_workgroup_id_z 0
		.amdhsa_system_sgpr_workgroup_info 0
		.amdhsa_system_vgpr_workitem_id 0
		.amdhsa_next_free_vgpr 138
		.amdhsa_next_free_sgpr 98
		.amdhsa_accum_offset 120
		.amdhsa_reserve_vcc 1
		.amdhsa_reserve_flat_scratch 1
		.amdhsa_float_round_mode_32 0
		.amdhsa_float_round_mode_16_64 0
		.amdhsa_float_denorm_mode_32 3
		.amdhsa_float_denorm_mode_16_64 3
		.amdhsa_dx10_clamp 1
		.amdhsa_ieee_mode 1
		.amdhsa_fp16_overflow 0
		.amdhsa_tg_split 0
		.amdhsa_exception_fp_ieee_invalid_op 0
		.amdhsa_exception_fp_denorm_src 0
		.amdhsa_exception_fp_ieee_div_zero 0
		.amdhsa_exception_fp_ieee_overflow 0
		.amdhsa_exception_fp_ieee_underflow 0
		.amdhsa_exception_fp_ieee_inexact 0
		.amdhsa_exception_int_div_zero 0
	.end_amdhsa_kernel
	.section	.text._ZN2at6native39vectorized_templated_elementwise_kernelILi4EZZZNS0_33launch_standard_gamma_grad_kernelERNS_18TensorIteratorBaseEENKUlvE_clEvENKUlvE0_clEvEUlffE_St5arrayIPcLm3EE23TrivialOffsetCalculatorILi2EjESA_ILi1EjENS0_6memory12LoadWithCastILi2EEENSD_13StoreWithCastILi1EEEN3c108BFloat16EJSJ_fEEEviT0_T1_T2_T3_T4_T5_,"axG",@progbits,_ZN2at6native39vectorized_templated_elementwise_kernelILi4EZZZNS0_33launch_standard_gamma_grad_kernelERNS_18TensorIteratorBaseEENKUlvE_clEvENKUlvE0_clEvEUlffE_St5arrayIPcLm3EE23TrivialOffsetCalculatorILi2EjESA_ILi1EjENS0_6memory12LoadWithCastILi2EEENSD_13StoreWithCastILi1EEEN3c108BFloat16EJSJ_fEEEviT0_T1_T2_T3_T4_T5_,comdat
.Lfunc_end177:
	.size	_ZN2at6native39vectorized_templated_elementwise_kernelILi4EZZZNS0_33launch_standard_gamma_grad_kernelERNS_18TensorIteratorBaseEENKUlvE_clEvENKUlvE0_clEvEUlffE_St5arrayIPcLm3EE23TrivialOffsetCalculatorILi2EjESA_ILi1EjENS0_6memory12LoadWithCastILi2EEENSD_13StoreWithCastILi1EEEN3c108BFloat16EJSJ_fEEEviT0_T1_T2_T3_T4_T5_, .Lfunc_end177-_ZN2at6native39vectorized_templated_elementwise_kernelILi4EZZZNS0_33launch_standard_gamma_grad_kernelERNS_18TensorIteratorBaseEENKUlvE_clEvENKUlvE0_clEvEUlffE_St5arrayIPcLm3EE23TrivialOffsetCalculatorILi2EjESA_ILi1EjENS0_6memory12LoadWithCastILi2EEENSD_13StoreWithCastILi1EEEN3c108BFloat16EJSJ_fEEEviT0_T1_T2_T3_T4_T5_
                                        ; -- End function
	.section	.AMDGPU.csdata,"",@progbits
; Kernel info:
; codeLenInByte = 3864
; NumSgprs: 104
; NumVgprs: 120
; NumAgprs: 18
; TotalNumVgprs: 138
; ScratchSize: 288
; MemoryBound: 0
; FloatMode: 240
; IeeeMode: 1
; LDSByteSize: 0 bytes/workgroup (compile time only)
; SGPRBlocks: 12
; VGPRBlocks: 17
; NumSGPRsForWavesPerEU: 104
; NumVGPRsForWavesPerEU: 138
; AccumOffset: 120
; Occupancy: 3
; WaveLimiterHint : 0
; COMPUTE_PGM_RSRC2:SCRATCH_EN: 1
; COMPUTE_PGM_RSRC2:USER_SGPR: 8
; COMPUTE_PGM_RSRC2:TRAP_HANDLER: 0
; COMPUTE_PGM_RSRC2:TGID_X_EN: 1
; COMPUTE_PGM_RSRC2:TGID_Y_EN: 0
; COMPUTE_PGM_RSRC2:TGID_Z_EN: 0
; COMPUTE_PGM_RSRC2:TIDIG_COMP_CNT: 0
; COMPUTE_PGM_RSRC3_GFX90A:ACCUM_OFFSET: 29
; COMPUTE_PGM_RSRC3_GFX90A:TG_SPLIT: 0
	.section	.text._ZN2at6native39vectorized_templated_elementwise_kernelILi2EZZZNS0_33launch_standard_gamma_grad_kernelERNS_18TensorIteratorBaseEENKUlvE_clEvENKUlvE0_clEvEUlffE_St5arrayIPcLm3EE23TrivialOffsetCalculatorILi2EjESA_ILi1EjENS0_6memory12LoadWithCastILi2EEENSD_13StoreWithCastILi1EEEN3c108BFloat16EJSJ_fEEEviT0_T1_T2_T3_T4_T5_,"axG",@progbits,_ZN2at6native39vectorized_templated_elementwise_kernelILi2EZZZNS0_33launch_standard_gamma_grad_kernelERNS_18TensorIteratorBaseEENKUlvE_clEvENKUlvE0_clEvEUlffE_St5arrayIPcLm3EE23TrivialOffsetCalculatorILi2EjESA_ILi1EjENS0_6memory12LoadWithCastILi2EEENSD_13StoreWithCastILi1EEEN3c108BFloat16EJSJ_fEEEviT0_T1_T2_T3_T4_T5_,comdat
	.globl	_ZN2at6native39vectorized_templated_elementwise_kernelILi2EZZZNS0_33launch_standard_gamma_grad_kernelERNS_18TensorIteratorBaseEENKUlvE_clEvENKUlvE0_clEvEUlffE_St5arrayIPcLm3EE23TrivialOffsetCalculatorILi2EjESA_ILi1EjENS0_6memory12LoadWithCastILi2EEENSD_13StoreWithCastILi1EEEN3c108BFloat16EJSJ_fEEEviT0_T1_T2_T3_T4_T5_ ; -- Begin function _ZN2at6native39vectorized_templated_elementwise_kernelILi2EZZZNS0_33launch_standard_gamma_grad_kernelERNS_18TensorIteratorBaseEENKUlvE_clEvENKUlvE0_clEvEUlffE_St5arrayIPcLm3EE23TrivialOffsetCalculatorILi2EjESA_ILi1EjENS0_6memory12LoadWithCastILi2EEENSD_13StoreWithCastILi1EEEN3c108BFloat16EJSJ_fEEEviT0_T1_T2_T3_T4_T5_
	.p2align	8
	.type	_ZN2at6native39vectorized_templated_elementwise_kernelILi2EZZZNS0_33launch_standard_gamma_grad_kernelERNS_18TensorIteratorBaseEENKUlvE_clEvENKUlvE0_clEvEUlffE_St5arrayIPcLm3EE23TrivialOffsetCalculatorILi2EjESA_ILi1EjENS0_6memory12LoadWithCastILi2EEENSD_13StoreWithCastILi1EEEN3c108BFloat16EJSJ_fEEEviT0_T1_T2_T3_T4_T5_,@function
_ZN2at6native39vectorized_templated_elementwise_kernelILi2EZZZNS0_33launch_standard_gamma_grad_kernelERNS_18TensorIteratorBaseEENKUlvE_clEvENKUlvE0_clEvEUlffE_St5arrayIPcLm3EE23TrivialOffsetCalculatorILi2EjESA_ILi1EjENS0_6memory12LoadWithCastILi2EEENSD_13StoreWithCastILi1EEEN3c108BFloat16EJSJ_fEEEviT0_T1_T2_T3_T4_T5_: ; @_ZN2at6native39vectorized_templated_elementwise_kernelILi2EZZZNS0_33launch_standard_gamma_grad_kernelERNS_18TensorIteratorBaseEENKUlvE_clEvENKUlvE0_clEvEUlffE_St5arrayIPcLm3EE23TrivialOffsetCalculatorILi2EjESA_ILi1EjENS0_6memory12LoadWithCastILi2EEENSD_13StoreWithCastILi1EEEN3c108BFloat16EJSJ_fEEEviT0_T1_T2_T3_T4_T5_
; %bb.0:
	s_add_u32 flat_scratch_lo, s6, s9
	s_addc_u32 flat_scratch_hi, s7, 0
	s_add_u32 s0, s0, s9
	s_mov_b64 s[22:23], s[4:5]
	s_load_dword s4, s[4:5], 0x38
	s_nop 0
	s_load_dwordx2 s[26:27], s[22:23], 0x18
	s_load_dword s5, s[22:23], 0x0
	s_load_dwordx4 s[36:39], s[22:23], 0x8
	s_addc_u32 s1, s1, 0
	s_not_b32 s6, s8
	s_waitcnt lgkmcnt(0)
	s_add_i32 s4, s4, s6
	s_lshl_b32 s4, s4, 14
	s_sub_i32 s25, s5, s4
	s_mov_b32 s24, s8
	v_mov_b32_e32 v31, v0
	s_cmpk_gt_i32 s25, 0x3fff
	s_mov_b64 s[6:7], -1
	s_mov_b32 s32, 0
	s_cbranch_scc1 .LBB178_3
; %bb.1:
	s_andn2_b64 vcc, exec, s[6:7]
	s_cbranch_vccz .LBB178_4
.LBB178_2:
	s_endpgm
.LBB178_3:
	s_ashr_i32 s5, s4, 31
	s_lshl_b64 s[28:29], s[4:5], 1
	s_add_u32 s6, s38, s28
	s_addc_u32 s7, s39, s29
	v_lshlrev_b32_e32 v100, 2, v31
	v_mov_b32_e32 v0, s7
	v_add_co_u32_e32 v6, vcc, s6, v100
	v_addc_co_u32_e32 v7, vcc, 0, v0, vcc
	s_movk_i32 s44, 0x1000
	v_add_co_u32_e32 v0, vcc, s44, v6
	v_addc_co_u32_e32 v1, vcc, 0, v7, vcc
	s_movk_i32 s43, 0x2000
	;; [unrolled: 3-line block ×3, first 2 shown]
	v_or_b32_e32 v8, 0x400, v31
	v_or_b32_e32 v10, 0x800, v31
	v_or_b32_e32 v14, 0xc00, v31
	v_add_co_u32_e32 v4, vcc, s42, v6
	v_lshlrev_b32_e32 v101, 2, v8
	v_lshlrev_b32_e32 v99, 2, v10
	;; [unrolled: 1-line block ×3, first 2 shown]
	v_addc_co_u32_e32 v5, vcc, 0, v7, vcc
	global_load_dword v11, v100, s[6:7]
	global_load_dword v12, v100, s[6:7] offset:2048
	global_load_dword v13, v101, s[6:7]
	global_load_dword v15, v[0:1], off offset:2048
	global_load_dword v16, v99, s[6:7]
	global_load_dword v17, v[2:3], off offset:2048
	;; [unrolled: 2-line block ×3, first 2 shown]
	s_movk_i32 s41, 0x4000
	v_or_b32_e32 v20, 0x1000, v31
	v_add_co_u32_e32 v0, vcc, s41, v6
	v_lshlrev_b32_e32 v97, 2, v20
	v_addc_co_u32_e32 v1, vcc, 0, v7, vcc
	s_movk_i32 s40, 0x5000
	global_load_dword v21, v97, s[6:7]
	global_load_dword v22, v[0:1], off offset:2048
	v_add_co_u32_e32 v0, vcc, s40, v6
	v_addc_co_u32_e32 v1, vcc, 0, v7, vcc
	s_movk_i32 s33, 0x6000
	v_or_b32_e32 v23, 0x1400, v31
	v_add_co_u32_e32 v2, vcc, s33, v6
	v_lshlrev_b32_e32 v96, 2, v23
	v_or_b32_e32 v24, 0x1800, v31
	v_addc_co_u32_e32 v3, vcc, 0, v7, vcc
	v_or_b32_e32 v29, 0x1c00, v31
	s_movk_i32 s8, 0x7000
	s_lshl_b64 s[4:5], s[4:5], 2
	v_lshlrev_b32_e32 v95, 2, v24
	global_load_dword v25, v96, s[6:7]
	global_load_dword v26, v[0:1], off offset:2048
	global_load_dword v27, v95, s[6:7]
	global_load_dword v28, v[2:3], off offset:2048
	v_lshlrev_b32_e32 v94, 2, v29
	v_add_co_u32_e32 v0, vcc, s8, v6
	s_add_u32 s4, s26, s4
	v_addc_co_u32_e32 v1, vcc, 0, v7, vcc
	global_load_dword v30, v94, s[6:7]
	global_load_dword v32, v[0:1], off offset:2048
	s_addc_u32 s5, s27, s5
	v_lshlrev_b32_e32 v0, 3, v31
	global_load_dwordx2 v[2:3], v0, s[4:5]
	v_mov_b32_e32 v1, s5
	v_add_co_u32_e32 v75, vcc, s4, v0
	v_addc_co_u32_e32 v76, vcc, 0, v1, vcc
	v_add_co_u32_e32 v0, vcc, s44, v75
	v_addc_co_u32_e32 v1, vcc, 0, v76, vcc
	global_load_dwordx2 v[4:5], v[0:1], off
	v_lshlrev_b32_e32 v0, 3, v8
	global_load_dwordx2 v[6:7], v0, s[4:5]
	v_add_co_u32_e32 v0, vcc, s42, v75
	v_addc_co_u32_e32 v1, vcc, 0, v76, vcc
	global_load_dwordx2 v[8:9], v[0:1], off
	v_lshlrev_b32_e32 v1, 3, v10
	s_movk_i32 s45, 0x7fff
	v_mov_b32_e32 v102, 0x7fc00000
	s_mov_b32 s6, 0x9000
	s_getpc_b64 s[34:35]
	s_add_u32 s34, s34, _ZZZZN2at6native33launch_standard_gamma_grad_kernelERNS_18TensorIteratorBaseEENKUlvE_clEvENKUlvE0_clEvENKUlffE_clEff@rel32@lo+4
	s_addc_u32 s35, s35, _ZZZZN2at6native33launch_standard_gamma_grad_kernelERNS_18TensorIteratorBaseEENKUlvE_clEvENKUlvE0_clEvENKUlffE_clEff@rel32@hi+12
	s_waitcnt vmcnt(19)
	v_and_b32_e32 v34, 0xffff0000, v11
	v_lshlrev_b32_e32 v0, 16, v11
	global_load_dwordx2 v[10:11], v1, s[4:5]
	s_waitcnt vmcnt(19)
	v_and_b32_e32 v35, 0xffff0000, v12
	v_lshlrev_b32_e32 v36, 16, v12
	v_add_co_u32_e32 v12, vcc, s40, v75
	s_waitcnt vmcnt(18)
	v_and_b32_e32 v37, 0xffff0000, v13
	v_lshlrev_b32_e32 v38, 16, v13
	v_addc_co_u32_e32 v13, vcc, 0, v76, vcc
	global_load_dwordx2 v[12:13], v[12:13], off
	s_waitcnt vmcnt(18)
	v_and_b32_e32 v39, 0xffff0000, v15
	v_lshlrev_b32_e32 v40, 16, v15
	s_waitcnt vmcnt(17)
	v_and_b32_e32 v41, 0xffff0000, v16
	v_lshlrev_b32_e32 v42, 16, v16
	;; [unrolled: 3-line block ×13, first 2 shown]
	s_waitcnt vmcnt(5)
	v_bfe_u32 v1, v2, 16, 1
	v_add3_u32 v1, v2, v1, s45
	v_cmp_o_f32_e32 vcc, v2, v2
	v_bfe_u32 v2, v3, 16, 1
	v_and_b32_e32 v1, 0xffff0000, v1
	v_add3_u32 v2, v3, v2, s45
	v_cndmask_b32_e32 v1, v102, v1, vcc
	v_and_b32_e32 v2, 0xffff0000, v2
	v_cmp_o_f32_e32 vcc, v3, v3
	v_cndmask_b32_e32 v62, v102, v2, vcc
	v_lshlrev_b32_e32 v2, 3, v14
	global_load_dwordx2 v[2:3], v2, s[4:5]
	s_waitcnt vmcnt(5)
	v_bfe_u32 v14, v4, 16, 1
	v_add3_u32 v14, v4, v14, s45
	v_and_b32_e32 v14, 0xffff0000, v14
	v_cmp_o_f32_e32 vcc, v4, v4
	v_cndmask_b32_e32 v63, v102, v14, vcc
	v_bfe_u32 v4, v5, 16, 1
	v_add_co_u32_e32 v14, vcc, s8, v75
	v_add3_u32 v4, v5, v4, s45
	v_addc_co_u32_e32 v15, vcc, 0, v76, vcc
	v_and_b32_e32 v4, 0xffff0000, v4
	v_cmp_o_f32_e32 vcc, v5, v5
	v_cndmask_b32_e32 v64, v102, v4, vcc
	s_waitcnt vmcnt(4)
	v_bfe_u32 v4, v6, 16, 1
	v_add3_u32 v4, v6, v4, s45
	v_and_b32_e32 v4, 0xffff0000, v4
	v_cmp_o_f32_e32 vcc, v6, v6
	global_load_dwordx2 v[14:15], v[14:15], off
	v_cndmask_b32_e32 v65, v102, v4, vcc
	v_bfe_u32 v4, v7, 16, 1
	v_add3_u32 v4, v7, v4, s45
	v_and_b32_e32 v4, 0xffff0000, v4
	v_cmp_o_f32_e32 vcc, v7, v7
	v_cndmask_b32_e32 v66, v102, v4, vcc
	s_waitcnt vmcnt(4)
	v_bfe_u32 v6, v8, 16, 1
	v_lshlrev_b32_e32 v4, 3, v20
	global_load_dwordx2 v[4:5], v4, s[4:5]
	v_add3_u32 v6, v8, v6, s45
	v_and_b32_e32 v6, 0xffff0000, v6
	v_cmp_o_f32_e32 vcc, v8, v8
	v_cndmask_b32_e32 v67, v102, v6, vcc
	v_add_co_u32_e32 v6, vcc, s6, v75
	v_addc_co_u32_e32 v7, vcc, 0, v76, vcc
	global_load_dwordx2 v[6:7], v[6:7], off
	v_bfe_u32 v8, v9, 16, 1
	v_add3_u32 v8, v9, v8, s45
	v_and_b32_e32 v8, 0xffff0000, v8
	v_cmp_o_f32_e32 vcc, v9, v9
	v_cndmask_b32_e32 v68, v102, v8, vcc
	s_waitcnt vmcnt(5)
	v_bfe_u32 v8, v10, 16, 1
	v_add3_u32 v8, v10, v8, s45
	v_and_b32_e32 v16, 0xffff0000, v8
	v_lshlrev_b32_e32 v8, 3, v23
	global_load_dwordx2 v[8:9], v8, s[4:5]
	v_cmp_o_f32_e32 vcc, v10, v10
	s_mov_b32 s6, 0xb000
	v_cndmask_b32_e32 v69, v102, v16, vcc
	v_add_co_u32_e32 v16, vcc, s6, v75
	v_bfe_u32 v10, v11, 16, 1
	v_addc_co_u32_e32 v17, vcc, 0, v76, vcc
	v_add3_u32 v10, v11, v10, s45
	global_load_dwordx2 v[16:17], v[16:17], off
	v_and_b32_e32 v10, 0xffff0000, v10
	v_cmp_o_f32_e32 vcc, v11, v11
	v_cndmask_b32_e32 v70, v102, v10, vcc
	s_waitcnt vmcnt(6)
	v_bfe_u32 v10, v12, 16, 1
	v_add3_u32 v10, v12, v10, s45
	v_and_b32_e32 v10, 0xffff0000, v10
	v_cmp_o_f32_e32 vcc, v12, v12
	v_cndmask_b32_e32 v71, v102, v10, vcc
	v_lshlrev_b32_e32 v10, 3, v24
	global_load_dwordx2 v[10:11], v10, s[4:5]
	s_mov_b32 s6, 0xd000
	v_add_co_u32_e32 v18, vcc, s6, v75
	v_bfe_u32 v12, v13, 16, 1
	v_addc_co_u32_e32 v19, vcc, 0, v76, vcc
	v_add3_u32 v12, v13, v12, s45
	global_load_dwordx2 v[18:19], v[18:19], off
	v_and_b32_e32 v12, 0xffff0000, v12
	v_cmp_o_f32_e32 vcc, v13, v13
	v_cndmask_b32_e32 v72, v102, v12, vcc
	s_waitcnt vmcnt(7)
	v_bfe_u32 v12, v2, 16, 1
	v_add3_u32 v12, v2, v12, s45
	v_and_b32_e32 v12, 0xffff0000, v12
	v_cmp_o_f32_e32 vcc, v2, v2
	v_cndmask_b32_e32 v73, v102, v12, vcc
	v_lshlrev_b32_e32 v12, 3, v29
	global_load_dwordx2 v[12:13], v12, s[4:5]
	v_bfe_u32 v2, v3, 16, 1
	v_add3_u32 v2, v3, v2, s45
	v_and_b32_e32 v2, 0xffff0000, v2
	v_cmp_o_f32_e32 vcc, v3, v3
	s_mov_b32 s4, 0xf000
	v_cndmask_b32_e32 v74, v102, v2, vcc
	v_add_co_u32_e32 v2, vcc, s4, v75
	v_addc_co_u32_e32 v3, vcc, 0, v76, vcc
	global_load_dwordx2 v[2:3], v[2:3], off
	s_waitcnt vmcnt(8)
	v_bfe_u32 v20, v14, 16, 1
	v_add3_u32 v20, v14, v20, s45
	v_cmp_o_f32_e32 vcc, v14, v14
	v_bfe_u32 v14, v15, 16, 1
	v_and_b32_e32 v20, 0xffff0000, v20
	v_add3_u32 v14, v15, v14, s45
	v_cndmask_b32_e32 v75, v102, v20, vcc
	v_and_b32_e32 v14, 0xffff0000, v14
	v_cmp_o_f32_e32 vcc, v15, v15
	v_cndmask_b32_e32 v76, v102, v14, vcc
	s_waitcnt vmcnt(7)
	v_bfe_u32 v14, v4, 16, 1
	v_add3_u32 v14, v4, v14, s45
	v_cmp_o_f32_e32 vcc, v4, v4
	v_bfe_u32 v4, v5, 16, 1
	v_and_b32_e32 v14, 0xffff0000, v14
	v_add3_u32 v4, v5, v4, s45
	v_cndmask_b32_e32 v77, v102, v14, vcc
	v_and_b32_e32 v4, 0xffff0000, v4
	v_cmp_o_f32_e32 vcc, v5, v5
	v_cndmask_b32_e32 v78, v102, v4, vcc
	s_waitcnt vmcnt(6)
	v_bfe_u32 v4, v6, 16, 1
	v_add3_u32 v4, v6, v4, s45
	v_and_b32_e32 v4, 0xffff0000, v4
	v_cmp_o_f32_e32 vcc, v6, v6
	v_cndmask_b32_e32 v79, v102, v4, vcc
	v_bfe_u32 v4, v7, 16, 1
	v_add3_u32 v4, v7, v4, s45
	v_and_b32_e32 v4, 0xffff0000, v4
	v_cmp_o_f32_e32 vcc, v7, v7
	v_cndmask_b32_e32 v80, v102, v4, vcc
	s_waitcnt vmcnt(5)
	v_bfe_u32 v4, v8, 16, 1
	v_add3_u32 v4, v8, v4, s45
	v_and_b32_e32 v4, 0xffff0000, v4
	v_cmp_o_f32_e32 vcc, v8, v8
	v_cndmask_b32_e32 v81, v102, v4, vcc
	v_bfe_u32 v4, v9, 16, 1
	v_add3_u32 v4, v9, v4, s45
	;; [unrolled: 11-line block ×6, first 2 shown]
	v_and_b32_e32 v4, 0xffff0000, v4
	v_cmp_o_f32_e32 vcc, v13, v13
	v_cndmask_b32_e32 v90, v102, v4, vcc
	s_waitcnt vmcnt(0)
	v_bfe_u32 v4, v2, 16, 1
	v_add3_u32 v4, v2, v4, s45
	v_cmp_o_f32_e32 vcc, v2, v2
	v_bfe_u32 v2, v3, 16, 1
	v_and_b32_e32 v4, 0xffff0000, v4
	v_add3_u32 v2, v3, v2, s45
	v_cndmask_b32_e32 v91, v102, v4, vcc
	v_and_b32_e32 v2, 0xffff0000, v2
	v_cmp_o_f32_e32 vcc, v3, v3
	v_cndmask_b32_e32 v92, v102, v2, vcc
	s_swappc_b64 s[30:31], s[34:35]
	v_mov_b32_e32 v93, v0
	v_mov_b32_e32 v0, v34
	v_mov_b32_e32 v1, v62
	s_swappc_b64 s[30:31], s[34:35]
	v_mov_b32_e32 v34, v0
	v_mov_b32_e32 v0, v36
	v_mov_b32_e32 v1, v63
	;; [unrolled: 4-line block ×31, first 2 shown]
	s_swappc_b64 s[30:31], s[34:35]
	s_add_u32 s4, s36, s28
	s_addc_u32 s5, s37, s29
	v_bfe_u32 v2, v34, 16, 1
	v_mov_b32_e32 v3, s5
	v_add_co_u32_e32 v4, vcc, s4, v100
	v_bfe_u32 v1, v93, 16, 1
	v_add3_u32 v2, v34, v2, s45
	v_addc_co_u32_e32 v5, vcc, 0, v3, vcc
	v_add3_u32 v1, v93, v1, s45
	v_and_b32_e32 v2, 0xffff0000, v2
	v_cmp_o_f32_e32 vcc, v34, v34
	v_lshrrev_b32_e32 v1, 16, v1
	v_cndmask_b32_e32 v2, v102, v2, vcc
	v_mov_b32_e32 v6, 0x7fc0
	v_cmp_o_f32_e32 vcc, v93, v93
	v_cndmask_b32_e32 v1, v6, v1, vcc
	v_or_b32_e32 v1, v2, v1
	v_bfe_u32 v2, v35, 16, 1
	global_store_dword v100, v1, s[4:5]
	v_bfe_u32 v1, v36, 16, 1
	v_add3_u32 v2, v35, v2, s45
	v_add3_u32 v1, v36, v1, s45
	v_and_b32_e32 v2, 0xffff0000, v2
	v_cmp_o_f32_e32 vcc, v35, v35
	v_lshrrev_b32_e32 v1, 16, v1
	v_cndmask_b32_e32 v2, v102, v2, vcc
	v_cmp_o_f32_e32 vcc, v36, v36
	v_cndmask_b32_e32 v1, v6, v1, vcc
	v_or_b32_e32 v1, v2, v1
	v_bfe_u32 v2, v37, 16, 1
	global_store_dword v100, v1, s[4:5] offset:2048
	v_bfe_u32 v1, v38, 16, 1
	v_add3_u32 v2, v37, v2, s45
	v_add3_u32 v1, v38, v1, s45
	v_and_b32_e32 v2, 0xffff0000, v2
	v_cmp_o_f32_e32 vcc, v37, v37
	v_lshrrev_b32_e32 v1, 16, v1
	v_cndmask_b32_e32 v2, v102, v2, vcc
	v_cmp_o_f32_e32 vcc, v38, v38
	v_cndmask_b32_e32 v1, v6, v1, vcc
	v_or_b32_e32 v1, v2, v1
	v_bfe_u32 v2, v39, 16, 1
	global_store_dword v101, v1, s[4:5]
	v_bfe_u32 v1, v40, 16, 1
	v_add3_u32 v2, v39, v2, s45
	v_add3_u32 v1, v40, v1, s45
	v_and_b32_e32 v2, 0xffff0000, v2
	v_cmp_o_f32_e32 vcc, v39, v39
	v_lshrrev_b32_e32 v1, 16, v1
	v_cndmask_b32_e32 v2, v102, v2, vcc
	v_cmp_o_f32_e32 vcc, v40, v40
	v_cndmask_b32_e32 v1, v6, v1, vcc
	v_or_b32_e32 v1, v2, v1
	v_add_co_u32_e32 v2, vcc, s44, v4
	v_addc_co_u32_e32 v3, vcc, 0, v5, vcc
	global_store_dword v[2:3], v1, off offset:2048
	v_bfe_u32 v2, v41, 16, 1
	v_bfe_u32 v1, v42, 16, 1
	v_add3_u32 v2, v41, v2, s45
	v_add3_u32 v1, v42, v1, s45
	v_and_b32_e32 v2, 0xffff0000, v2
	v_cmp_o_f32_e32 vcc, v41, v41
	v_lshrrev_b32_e32 v1, 16, v1
	v_cndmask_b32_e32 v2, v102, v2, vcc
	v_cmp_o_f32_e32 vcc, v42, v42
	v_cndmask_b32_e32 v1, v6, v1, vcc
	v_or_b32_e32 v1, v2, v1
	v_bfe_u32 v2, v43, 16, 1
	global_store_dword v99, v1, s[4:5]
	v_bfe_u32 v1, v44, 16, 1
	v_add3_u32 v2, v43, v2, s45
	v_add3_u32 v1, v44, v1, s45
	v_and_b32_e32 v2, 0xffff0000, v2
	v_cmp_o_f32_e32 vcc, v43, v43
	v_lshrrev_b32_e32 v1, 16, v1
	v_cndmask_b32_e32 v2, v102, v2, vcc
	v_cmp_o_f32_e32 vcc, v44, v44
	v_cndmask_b32_e32 v1, v6, v1, vcc
	v_or_b32_e32 v1, v2, v1
	v_add_co_u32_e32 v2, vcc, s43, v4
	v_addc_co_u32_e32 v3, vcc, 0, v5, vcc
	global_store_dword v[2:3], v1, off offset:2048
	v_bfe_u32 v2, v45, 16, 1
	;; [unrolled: 26-line block ×6, first 2 shown]
	v_bfe_u32 v1, v61, 16, 1
	v_add3_u32 v2, v60, v2, s45
	v_add3_u32 v1, v61, v1, s45
	v_and_b32_e32 v2, 0xffff0000, v2
	v_cmp_o_f32_e32 vcc, v60, v60
	v_lshrrev_b32_e32 v1, 16, v1
	v_cndmask_b32_e32 v2, v102, v2, vcc
	v_cmp_o_f32_e32 vcc, v61, v61
	v_cndmask_b32_e32 v1, v6, v1, vcc
	v_or_b32_e32 v1, v2, v1
	v_bfe_u32 v2, v0, 16, 1
	global_store_dword v94, v1, s[4:5]
	v_bfe_u32 v1, v32, 16, 1
	v_add3_u32 v2, v0, v2, s45
	v_add3_u32 v1, v32, v1, s45
	v_and_b32_e32 v2, 0xffff0000, v2
	v_cmp_o_f32_e32 vcc, v0, v0
	v_lshrrev_b32_e32 v1, 16, v1
	v_cndmask_b32_e32 v0, v102, v2, vcc
	v_cmp_o_f32_e32 vcc, v32, v32
	v_cndmask_b32_e32 v1, v6, v1, vcc
	v_or_b32_e32 v2, v0, v1
	v_add_co_u32_e32 v0, vcc, 0x7000, v4
	v_addc_co_u32_e32 v1, vcc, 0, v5, vcc
	global_store_dword v[0:1], v2, off offset:2048
	s_cbranch_execnz .LBB178_2
.LBB178_4:
	s_load_dword s13, s[22:23], 0x24
	s_load_dwordx4 s[4:7], s[22:23], 0x28
	s_add_u32 s8, s22, 56
	s_addc_u32 s9, s23, 0
	s_mov_b32 s12, s24
	s_waitcnt lgkmcnt(0)
	v_lshrrev_b16_e64 v8, 8, s13
	v_mov_b32_e32 v0, s36
	v_mov_b32_e32 v1, s37
	;; [unrolled: 1-line block ×12, first 2 shown]
	s_getpc_b64 s[10:11]
	s_add_u32 s10, s10, _ZN2at6native25elementwise_kernel_helperILb1EZZZNS0_33launch_standard_gamma_grad_kernelERNS_18TensorIteratorBaseEENKUlvE_clEvENKUlvE0_clEvEUlffE_NS0_6memory8policies11unroll_baseILi512ESt5arrayIPcLm3EE23TrivialOffsetCalculatorILi2EjESD_ILi1EjENS7_12LoadWithCastILi2EEENS7_13StoreWithCastILi1EEELi32ELi1EEEEEvT0_T1_@rel32@lo+4
	s_addc_u32 s11, s11, _ZN2at6native25elementwise_kernel_helperILb1EZZZNS0_33launch_standard_gamma_grad_kernelERNS_18TensorIteratorBaseEENKUlvE_clEvENKUlvE0_clEvEUlffE_NS0_6memory8policies11unroll_baseILi512ESt5arrayIPcLm3EE23TrivialOffsetCalculatorILi2EjESD_ILi1EjENS7_12LoadWithCastILi2EEENS7_13StoreWithCastILi1EEELi32ELi1EEEEEvT0_T1_@rel32@hi+12
	s_swappc_b64 s[30:31], s[10:11]
	s_endpgm
	.section	.rodata,"a",@progbits
	.p2align	6, 0x0
	.amdhsa_kernel _ZN2at6native39vectorized_templated_elementwise_kernelILi2EZZZNS0_33launch_standard_gamma_grad_kernelERNS_18TensorIteratorBaseEENKUlvE_clEvENKUlvE0_clEvEUlffE_St5arrayIPcLm3EE23TrivialOffsetCalculatorILi2EjESA_ILi1EjENS0_6memory12LoadWithCastILi2EEENSD_13StoreWithCastILi1EEEN3c108BFloat16EJSJ_fEEEviT0_T1_T2_T3_T4_T5_
		.amdhsa_group_segment_fixed_size 0
		.amdhsa_private_segment_fixed_size 288
		.amdhsa_kernarg_size 312
		.amdhsa_user_sgpr_count 8
		.amdhsa_user_sgpr_private_segment_buffer 1
		.amdhsa_user_sgpr_dispatch_ptr 0
		.amdhsa_user_sgpr_queue_ptr 0
		.amdhsa_user_sgpr_kernarg_segment_ptr 1
		.amdhsa_user_sgpr_dispatch_id 0
		.amdhsa_user_sgpr_flat_scratch_init 1
		.amdhsa_user_sgpr_kernarg_preload_length 0
		.amdhsa_user_sgpr_kernarg_preload_offset 0
		.amdhsa_user_sgpr_private_segment_size 0
		.amdhsa_uses_dynamic_stack 0
		.amdhsa_system_sgpr_private_segment_wavefront_offset 1
		.amdhsa_system_sgpr_workgroup_id_x 1
		.amdhsa_system_sgpr_workgroup_id_y 0
		.amdhsa_system_sgpr_workgroup_id_z 0
		.amdhsa_system_sgpr_workgroup_info 0
		.amdhsa_system_vgpr_workitem_id 0
		.amdhsa_next_free_vgpr 138
		.amdhsa_next_free_sgpr 98
		.amdhsa_accum_offset 120
		.amdhsa_reserve_vcc 1
		.amdhsa_reserve_flat_scratch 1
		.amdhsa_float_round_mode_32 0
		.amdhsa_float_round_mode_16_64 0
		.amdhsa_float_denorm_mode_32 3
		.amdhsa_float_denorm_mode_16_64 3
		.amdhsa_dx10_clamp 1
		.amdhsa_ieee_mode 1
		.amdhsa_fp16_overflow 0
		.amdhsa_tg_split 0
		.amdhsa_exception_fp_ieee_invalid_op 0
		.amdhsa_exception_fp_denorm_src 0
		.amdhsa_exception_fp_ieee_div_zero 0
		.amdhsa_exception_fp_ieee_overflow 0
		.amdhsa_exception_fp_ieee_underflow 0
		.amdhsa_exception_fp_ieee_inexact 0
		.amdhsa_exception_int_div_zero 0
	.end_amdhsa_kernel
	.section	.text._ZN2at6native39vectorized_templated_elementwise_kernelILi2EZZZNS0_33launch_standard_gamma_grad_kernelERNS_18TensorIteratorBaseEENKUlvE_clEvENKUlvE0_clEvEUlffE_St5arrayIPcLm3EE23TrivialOffsetCalculatorILi2EjESA_ILi1EjENS0_6memory12LoadWithCastILi2EEENSD_13StoreWithCastILi1EEEN3c108BFloat16EJSJ_fEEEviT0_T1_T2_T3_T4_T5_,"axG",@progbits,_ZN2at6native39vectorized_templated_elementwise_kernelILi2EZZZNS0_33launch_standard_gamma_grad_kernelERNS_18TensorIteratorBaseEENKUlvE_clEvENKUlvE0_clEvEUlffE_St5arrayIPcLm3EE23TrivialOffsetCalculatorILi2EjESA_ILi1EjENS0_6memory12LoadWithCastILi2EEENSD_13StoreWithCastILi1EEEN3c108BFloat16EJSJ_fEEEviT0_T1_T2_T3_T4_T5_,comdat
.Lfunc_end178:
	.size	_ZN2at6native39vectorized_templated_elementwise_kernelILi2EZZZNS0_33launch_standard_gamma_grad_kernelERNS_18TensorIteratorBaseEENKUlvE_clEvENKUlvE0_clEvEUlffE_St5arrayIPcLm3EE23TrivialOffsetCalculatorILi2EjESA_ILi1EjENS0_6memory12LoadWithCastILi2EEENSD_13StoreWithCastILi1EEEN3c108BFloat16EJSJ_fEEEviT0_T1_T2_T3_T4_T5_, .Lfunc_end178-_ZN2at6native39vectorized_templated_elementwise_kernelILi2EZZZNS0_33launch_standard_gamma_grad_kernelERNS_18TensorIteratorBaseEENKUlvE_clEvENKUlvE0_clEvEUlffE_St5arrayIPcLm3EE23TrivialOffsetCalculatorILi2EjESA_ILi1EjENS0_6memory12LoadWithCastILi2EEENSD_13StoreWithCastILi1EEEN3c108BFloat16EJSJ_fEEEviT0_T1_T2_T3_T4_T5_
                                        ; -- End function
	.section	.AMDGPU.csdata,"",@progbits
; Kernel info:
; codeLenInByte = 3956
; NumSgprs: 104
; NumVgprs: 120
; NumAgprs: 18
; TotalNumVgprs: 138
; ScratchSize: 288
; MemoryBound: 0
; FloatMode: 240
; IeeeMode: 1
; LDSByteSize: 0 bytes/workgroup (compile time only)
; SGPRBlocks: 12
; VGPRBlocks: 17
; NumSGPRsForWavesPerEU: 104
; NumVGPRsForWavesPerEU: 138
; AccumOffset: 120
; Occupancy: 3
; WaveLimiterHint : 0
; COMPUTE_PGM_RSRC2:SCRATCH_EN: 1
; COMPUTE_PGM_RSRC2:USER_SGPR: 8
; COMPUTE_PGM_RSRC2:TRAP_HANDLER: 0
; COMPUTE_PGM_RSRC2:TGID_X_EN: 1
; COMPUTE_PGM_RSRC2:TGID_Y_EN: 0
; COMPUTE_PGM_RSRC2:TGID_Z_EN: 0
; COMPUTE_PGM_RSRC2:TIDIG_COMP_CNT: 0
; COMPUTE_PGM_RSRC3_GFX90A:ACCUM_OFFSET: 29
; COMPUTE_PGM_RSRC3_GFX90A:TG_SPLIT: 0
	.section	.text._ZN2at6native39vectorized_templated_elementwise_kernelILi8EZZZNS0_33launch_standard_gamma_grad_kernelERNS_18TensorIteratorBaseEENKUlvE_clEvENKUlvE0_clEvEUlffE_St5arrayIPcLm3EE23TrivialOffsetCalculatorILi2EjESA_ILi1EjENS0_6memory12LoadWithCastILi2EEENSD_13StoreWithCastILi1EEEfJfN3c104HalfEEEEviT0_T1_T2_T3_T4_T5_,"axG",@progbits,_ZN2at6native39vectorized_templated_elementwise_kernelILi8EZZZNS0_33launch_standard_gamma_grad_kernelERNS_18TensorIteratorBaseEENKUlvE_clEvENKUlvE0_clEvEUlffE_St5arrayIPcLm3EE23TrivialOffsetCalculatorILi2EjESA_ILi1EjENS0_6memory12LoadWithCastILi2EEENSD_13StoreWithCastILi1EEEfJfN3c104HalfEEEEviT0_T1_T2_T3_T4_T5_,comdat
	.globl	_ZN2at6native39vectorized_templated_elementwise_kernelILi8EZZZNS0_33launch_standard_gamma_grad_kernelERNS_18TensorIteratorBaseEENKUlvE_clEvENKUlvE0_clEvEUlffE_St5arrayIPcLm3EE23TrivialOffsetCalculatorILi2EjESA_ILi1EjENS0_6memory12LoadWithCastILi2EEENSD_13StoreWithCastILi1EEEfJfN3c104HalfEEEEviT0_T1_T2_T3_T4_T5_ ; -- Begin function _ZN2at6native39vectorized_templated_elementwise_kernelILi8EZZZNS0_33launch_standard_gamma_grad_kernelERNS_18TensorIteratorBaseEENKUlvE_clEvENKUlvE0_clEvEUlffE_St5arrayIPcLm3EE23TrivialOffsetCalculatorILi2EjESA_ILi1EjENS0_6memory12LoadWithCastILi2EEENSD_13StoreWithCastILi1EEEfJfN3c104HalfEEEEviT0_T1_T2_T3_T4_T5_
	.p2align	8
	.type	_ZN2at6native39vectorized_templated_elementwise_kernelILi8EZZZNS0_33launch_standard_gamma_grad_kernelERNS_18TensorIteratorBaseEENKUlvE_clEvENKUlvE0_clEvEUlffE_St5arrayIPcLm3EE23TrivialOffsetCalculatorILi2EjESA_ILi1EjENS0_6memory12LoadWithCastILi2EEENSD_13StoreWithCastILi1EEEfJfN3c104HalfEEEEviT0_T1_T2_T3_T4_T5_,@function
_ZN2at6native39vectorized_templated_elementwise_kernelILi8EZZZNS0_33launch_standard_gamma_grad_kernelERNS_18TensorIteratorBaseEENKUlvE_clEvENKUlvE0_clEvEUlffE_St5arrayIPcLm3EE23TrivialOffsetCalculatorILi2EjESA_ILi1EjENS0_6memory12LoadWithCastILi2EEENSD_13StoreWithCastILi1EEEfJfN3c104HalfEEEEviT0_T1_T2_T3_T4_T5_: ; @_ZN2at6native39vectorized_templated_elementwise_kernelILi8EZZZNS0_33launch_standard_gamma_grad_kernelERNS_18TensorIteratorBaseEENKUlvE_clEvENKUlvE0_clEvEUlffE_St5arrayIPcLm3EE23TrivialOffsetCalculatorILi2EjESA_ILi1EjENS0_6memory12LoadWithCastILi2EEENSD_13StoreWithCastILi1EEEfJfN3c104HalfEEEEviT0_T1_T2_T3_T4_T5_
; %bb.0:
	s_add_u32 flat_scratch_lo, s6, s9
	s_addc_u32 flat_scratch_hi, s7, 0
	s_add_u32 s0, s0, s9
	s_mov_b64 s[22:23], s[4:5]
	s_load_dword s4, s[4:5], 0x38
	s_nop 0
	s_load_dwordx2 s[26:27], s[22:23], 0x18
	s_load_dword s5, s[22:23], 0x0
	s_load_dwordx4 s[36:39], s[22:23], 0x8
	s_addc_u32 s1, s1, 0
	s_not_b32 s6, s8
	s_waitcnt lgkmcnt(0)
	s_add_i32 s4, s4, s6
	s_lshl_b32 s6, s4, 14
	s_sub_i32 s25, s5, s6
	s_mov_b32 s24, s8
	v_mov_b32_e32 v34, v0
	s_cmpk_gt_i32 s25, 0x3fff
	s_mov_b64 s[4:5], -1
	s_mov_b32 s32, 0
	s_cbranch_scc1 .LBB179_3
; %bb.1:
	s_andn2_b64 vcc, exec, s[4:5]
	s_cbranch_vccz .LBB179_4
.LBB179_2:
	s_endpgm
.LBB179_3:
	s_ashr_i32 s7, s6, 31
	s_lshl_b64 s[28:29], s[6:7], 2
	s_add_u32 s4, s38, s28
	s_addc_u32 s5, s39, s29
	v_lshlrev_b32_e32 v94, 5, v34
	s_lshl_b64 s[6:7], s[6:7], 1
	v_mov_b32_e32 v0, s5
	v_add_co_u32_e32 v20, vcc, s4, v94
	s_add_u32 s6, s26, s6
	v_addc_co_u32_e32 v21, vcc, 0, v0, vcc
	s_addc_u32 s7, s27, s7
	v_lshlrev_b32_e32 v0, 4, v34
	v_or_b32_e32 v22, 0x400, v34
	global_load_dwordx4 v[36:39], v94, s[4:5] offset:16
	global_load_dwordx4 v[40:43], v94, s[4:5]
	global_load_dwordx4 v[2:5], v0, s[6:7]
	v_mov_b32_e32 v1, s7
	v_add_co_u32_e32 v14, vcc, s6, v0
	v_lshlrev_b32_e32 v0, 4, v22
	v_addc_co_u32_e32 v15, vcc, 0, v1, vcc
	global_load_dwordx4 v[6:9], v0, s[6:7]
	s_movk_i32 s6, 0x2000
	v_add_co_u32_e32 v0, vcc, s6, v14
	s_movk_i32 s33, 0x4000
	v_addc_co_u32_e32 v1, vcc, 0, v15, vcc
	global_load_dwordx4 v[10:13], v[0:1], off
	v_add_co_u32_e32 v0, vcc, s33, v20
	v_addc_co_u32_e32 v1, vcc, 0, v21, vcc
	s_movk_i32 s6, 0x6000
	v_add_co_u32_e32 v18, vcc, s6, v14
	v_addc_co_u32_e32 v19, vcc, 0, v15, vcc
	v_lshlrev_b32_e32 v95, 5, v22
	global_load_dwordx4 v[14:17], v[18:19], off
	global_load_dwordx4 v[44:47], v[0:1], off
	global_load_dwordx4 v[48:51], v[0:1], off offset:16
	global_load_dwordx4 v[52:55], v95, s[4:5] offset:16
	global_load_dwordx4 v[56:59], v95, s[4:5]
	s_mov_b32 s4, 0xc000
	v_add_co_u32_e32 v0, vcc, s4, v20
	v_addc_co_u32_e32 v1, vcc, 0, v21, vcc
	global_load_dwordx4 v[60:63], v[0:1], off
	global_load_dwordx4 v[30:33], v[0:1], off offset:16
	s_getpc_b64 s[34:35]
	s_add_u32 s34, s34, _ZZZZN2at6native33launch_standard_gamma_grad_kernelERNS_18TensorIteratorBaseEENKUlvE_clEvENKUlvE0_clEvENKUlffE_clEff@rel32@lo+4
	s_addc_u32 s35, s35, _ZZZZN2at6native33launch_standard_gamma_grad_kernelERNS_18TensorIteratorBaseEENKUlvE_clEvENKUlvE0_clEvENKUlffE_clEff@rel32@hi+12
	s_waitcnt vmcnt(10)
	v_mov_b32_e32 v0, v40
	s_waitcnt vmcnt(9)
	v_cvt_f32_f16_e32 v1, v2
	v_cvt_f32_f16_sdwa v35, v2 dst_sel:DWORD dst_unused:UNUSED_PAD src0_sel:WORD_1
	v_cvt_f32_f16_e32 v64, v3
	v_cvt_f32_f16_sdwa v65, v3 dst_sel:DWORD dst_unused:UNUSED_PAD src0_sel:WORD_1
	v_cvt_f32_f16_e32 v66, v4
	v_cvt_f32_f16_sdwa v67, v4 dst_sel:DWORD dst_unused:UNUSED_PAD src0_sel:WORD_1
	v_cvt_f32_f16_e32 v68, v5
	v_cvt_f32_f16_sdwa v69, v5 dst_sel:DWORD dst_unused:UNUSED_PAD src0_sel:WORD_1
	s_waitcnt vmcnt(8)
	v_cvt_f32_f16_e32 v70, v6
	v_cvt_f32_f16_sdwa v71, v6 dst_sel:DWORD dst_unused:UNUSED_PAD src0_sel:WORD_1
	v_cvt_f32_f16_e32 v72, v7
	v_cvt_f32_f16_sdwa v73, v7 dst_sel:DWORD dst_unused:UNUSED_PAD src0_sel:WORD_1
	v_cvt_f32_f16_e32 v74, v8
	v_cvt_f32_f16_sdwa v75, v8 dst_sel:DWORD dst_unused:UNUSED_PAD src0_sel:WORD_1
	v_cvt_f32_f16_e32 v76, v9
	v_cvt_f32_f16_sdwa v77, v9 dst_sel:DWORD dst_unused:UNUSED_PAD src0_sel:WORD_1
	;; [unrolled: 9-line block ×4, first 2 shown]
	s_swappc_b64 s[30:31], s[34:35]
	v_mov_b32_e32 v40, v0
	v_mov_b32_e32 v0, v41
	v_mov_b32_e32 v1, v35
	s_swappc_b64 s[30:31], s[34:35]
	v_mov_b32_e32 v41, v0
	v_mov_b32_e32 v0, v42
	v_mov_b32_e32 v1, v64
	;; [unrolled: 4-line block ×31, first 2 shown]
	s_swappc_b64 s[30:31], s[34:35]
	s_add_u32 s4, s36, s28
	s_addc_u32 s5, s37, s29
	v_mov_b32_e32 v33, v0
	v_mov_b32_e32 v0, s5
	v_add_co_u32_e32 v2, vcc, s4, v94
	v_addc_co_u32_e32 v3, vcc, 0, v0, vcc
	v_add_co_u32_e32 v0, vcc, s33, v2
	v_addc_co_u32_e32 v1, vcc, 0, v3, vcc
	global_store_dwordx4 v94, v[40:43], s[4:5]
	global_store_dwordx4 v94, v[36:39], s[4:5] offset:16
	global_store_dwordx4 v[0:1], v[44:47], off
	global_store_dwordx4 v[0:1], v[48:51], off offset:16
	global_store_dwordx4 v95, v[56:59], s[4:5]
	global_store_dwordx4 v95, v[52:55], s[4:5] offset:16
	v_add_co_u32_e32 v0, vcc, 0xc000, v2
	v_addc_co_u32_e32 v1, vcc, 0, v3, vcc
	global_store_dwordx4 v[0:1], v[60:63], off
	global_store_dwordx4 v[0:1], v[30:33], off offset:16
	s_cbranch_execnz .LBB179_2
.LBB179_4:
	s_load_dword s13, s[22:23], 0x24
	s_load_dwordx4 s[4:7], s[22:23], 0x28
	s_add_u32 s8, s22, 56
	s_addc_u32 s9, s23, 0
	s_mov_b32 s12, s24
	s_waitcnt lgkmcnt(0)
	v_lshrrev_b16_e64 v8, 8, s13
	v_mov_b32_e32 v31, v34
	v_mov_b32_e32 v0, s36
	;; [unrolled: 1-line block ×13, first 2 shown]
	s_getpc_b64 s[10:11]
	s_add_u32 s10, s10, _ZN2at6native25elementwise_kernel_helperILb1EZZZNS0_33launch_standard_gamma_grad_kernelERNS_18TensorIteratorBaseEENKUlvE_clEvENKUlvE0_clEvEUlffE_NS0_6memory8policies11unroll_baseILi512ESt5arrayIPcLm3EE23TrivialOffsetCalculatorILi2EjESD_ILi1EjENS7_12LoadWithCastILi2EEENS7_13StoreWithCastILi1EEELi32ELi1EEEEEvT0_T1_@rel32@lo+4
	s_addc_u32 s11, s11, _ZN2at6native25elementwise_kernel_helperILb1EZZZNS0_33launch_standard_gamma_grad_kernelERNS_18TensorIteratorBaseEENKUlvE_clEvENKUlvE0_clEvEUlffE_NS0_6memory8policies11unroll_baseILi512ESt5arrayIPcLm3EE23TrivialOffsetCalculatorILi2EjESD_ILi1EjENS7_12LoadWithCastILi2EEENS7_13StoreWithCastILi1EEELi32ELi1EEEEEvT0_T1_@rel32@hi+12
	s_swappc_b64 s[30:31], s[10:11]
	s_endpgm
	.section	.rodata,"a",@progbits
	.p2align	6, 0x0
	.amdhsa_kernel _ZN2at6native39vectorized_templated_elementwise_kernelILi8EZZZNS0_33launch_standard_gamma_grad_kernelERNS_18TensorIteratorBaseEENKUlvE_clEvENKUlvE0_clEvEUlffE_St5arrayIPcLm3EE23TrivialOffsetCalculatorILi2EjESA_ILi1EjENS0_6memory12LoadWithCastILi2EEENSD_13StoreWithCastILi1EEEfJfN3c104HalfEEEEviT0_T1_T2_T3_T4_T5_
		.amdhsa_group_segment_fixed_size 0
		.amdhsa_private_segment_fixed_size 288
		.amdhsa_kernarg_size 312
		.amdhsa_user_sgpr_count 8
		.amdhsa_user_sgpr_private_segment_buffer 1
		.amdhsa_user_sgpr_dispatch_ptr 0
		.amdhsa_user_sgpr_queue_ptr 0
		.amdhsa_user_sgpr_kernarg_segment_ptr 1
		.amdhsa_user_sgpr_dispatch_id 0
		.amdhsa_user_sgpr_flat_scratch_init 1
		.amdhsa_user_sgpr_kernarg_preload_length 0
		.amdhsa_user_sgpr_kernarg_preload_offset 0
		.amdhsa_user_sgpr_private_segment_size 0
		.amdhsa_uses_dynamic_stack 0
		.amdhsa_system_sgpr_private_segment_wavefront_offset 1
		.amdhsa_system_sgpr_workgroup_id_x 1
		.amdhsa_system_sgpr_workgroup_id_y 0
		.amdhsa_system_sgpr_workgroup_id_z 0
		.amdhsa_system_sgpr_workgroup_info 0
		.amdhsa_system_vgpr_workitem_id 0
		.amdhsa_next_free_vgpr 138
		.amdhsa_next_free_sgpr 98
		.amdhsa_accum_offset 120
		.amdhsa_reserve_vcc 1
		.amdhsa_reserve_flat_scratch 1
		.amdhsa_float_round_mode_32 0
		.amdhsa_float_round_mode_16_64 0
		.amdhsa_float_denorm_mode_32 3
		.amdhsa_float_denorm_mode_16_64 3
		.amdhsa_dx10_clamp 1
		.amdhsa_ieee_mode 1
		.amdhsa_fp16_overflow 0
		.amdhsa_tg_split 0
		.amdhsa_exception_fp_ieee_invalid_op 0
		.amdhsa_exception_fp_denorm_src 0
		.amdhsa_exception_fp_ieee_div_zero 0
		.amdhsa_exception_fp_ieee_overflow 0
		.amdhsa_exception_fp_ieee_underflow 0
		.amdhsa_exception_fp_ieee_inexact 0
		.amdhsa_exception_int_div_zero 0
	.end_amdhsa_kernel
	.section	.text._ZN2at6native39vectorized_templated_elementwise_kernelILi8EZZZNS0_33launch_standard_gamma_grad_kernelERNS_18TensorIteratorBaseEENKUlvE_clEvENKUlvE0_clEvEUlffE_St5arrayIPcLm3EE23TrivialOffsetCalculatorILi2EjESA_ILi1EjENS0_6memory12LoadWithCastILi2EEENSD_13StoreWithCastILi1EEEfJfN3c104HalfEEEEviT0_T1_T2_T3_T4_T5_,"axG",@progbits,_ZN2at6native39vectorized_templated_elementwise_kernelILi8EZZZNS0_33launch_standard_gamma_grad_kernelERNS_18TensorIteratorBaseEENKUlvE_clEvENKUlvE0_clEvEUlffE_St5arrayIPcLm3EE23TrivialOffsetCalculatorILi2EjESA_ILi1EjENS0_6memory12LoadWithCastILi2EEENSD_13StoreWithCastILi1EEEfJfN3c104HalfEEEEviT0_T1_T2_T3_T4_T5_,comdat
.Lfunc_end179:
	.size	_ZN2at6native39vectorized_templated_elementwise_kernelILi8EZZZNS0_33launch_standard_gamma_grad_kernelERNS_18TensorIteratorBaseEENKUlvE_clEvENKUlvE0_clEvEUlffE_St5arrayIPcLm3EE23TrivialOffsetCalculatorILi2EjESA_ILi1EjENS0_6memory12LoadWithCastILi2EEENSD_13StoreWithCastILi1EEEfJfN3c104HalfEEEEviT0_T1_T2_T3_T4_T5_, .Lfunc_end179-_ZN2at6native39vectorized_templated_elementwise_kernelILi8EZZZNS0_33launch_standard_gamma_grad_kernelERNS_18TensorIteratorBaseEENKUlvE_clEvENKUlvE0_clEvEUlffE_St5arrayIPcLm3EE23TrivialOffsetCalculatorILi2EjESA_ILi1EjENS0_6memory12LoadWithCastILi2EEENSD_13StoreWithCastILi1EEEfJfN3c104HalfEEEEviT0_T1_T2_T3_T4_T5_
                                        ; -- End function
	.section	.AMDGPU.csdata,"",@progbits
; Kernel info:
; codeLenInByte = 1304
; NumSgprs: 104
; NumVgprs: 120
; NumAgprs: 18
; TotalNumVgprs: 138
; ScratchSize: 288
; MemoryBound: 0
; FloatMode: 240
; IeeeMode: 1
; LDSByteSize: 0 bytes/workgroup (compile time only)
; SGPRBlocks: 12
; VGPRBlocks: 17
; NumSGPRsForWavesPerEU: 104
; NumVGPRsForWavesPerEU: 138
; AccumOffset: 120
; Occupancy: 3
; WaveLimiterHint : 0
; COMPUTE_PGM_RSRC2:SCRATCH_EN: 1
; COMPUTE_PGM_RSRC2:USER_SGPR: 8
; COMPUTE_PGM_RSRC2:TRAP_HANDLER: 0
; COMPUTE_PGM_RSRC2:TGID_X_EN: 1
; COMPUTE_PGM_RSRC2:TGID_Y_EN: 0
; COMPUTE_PGM_RSRC2:TGID_Z_EN: 0
; COMPUTE_PGM_RSRC2:TIDIG_COMP_CNT: 0
; COMPUTE_PGM_RSRC3_GFX90A:ACCUM_OFFSET: 29
; COMPUTE_PGM_RSRC3_GFX90A:TG_SPLIT: 0
	.section	.text._ZN2at6native39vectorized_templated_elementwise_kernelILi4EZZZNS0_33launch_standard_gamma_grad_kernelERNS_18TensorIteratorBaseEENKUlvE_clEvENKUlvE0_clEvEUlffE_St5arrayIPcLm3EE23TrivialOffsetCalculatorILi2EjESA_ILi1EjENS0_6memory12LoadWithCastILi2EEENSD_13StoreWithCastILi1EEEfJfN3c104HalfEEEEviT0_T1_T2_T3_T4_T5_,"axG",@progbits,_ZN2at6native39vectorized_templated_elementwise_kernelILi4EZZZNS0_33launch_standard_gamma_grad_kernelERNS_18TensorIteratorBaseEENKUlvE_clEvENKUlvE0_clEvEUlffE_St5arrayIPcLm3EE23TrivialOffsetCalculatorILi2EjESA_ILi1EjENS0_6memory12LoadWithCastILi2EEENSD_13StoreWithCastILi1EEEfJfN3c104HalfEEEEviT0_T1_T2_T3_T4_T5_,comdat
	.globl	_ZN2at6native39vectorized_templated_elementwise_kernelILi4EZZZNS0_33launch_standard_gamma_grad_kernelERNS_18TensorIteratorBaseEENKUlvE_clEvENKUlvE0_clEvEUlffE_St5arrayIPcLm3EE23TrivialOffsetCalculatorILi2EjESA_ILi1EjENS0_6memory12LoadWithCastILi2EEENSD_13StoreWithCastILi1EEEfJfN3c104HalfEEEEviT0_T1_T2_T3_T4_T5_ ; -- Begin function _ZN2at6native39vectorized_templated_elementwise_kernelILi4EZZZNS0_33launch_standard_gamma_grad_kernelERNS_18TensorIteratorBaseEENKUlvE_clEvENKUlvE0_clEvEUlffE_St5arrayIPcLm3EE23TrivialOffsetCalculatorILi2EjESA_ILi1EjENS0_6memory12LoadWithCastILi2EEENSD_13StoreWithCastILi1EEEfJfN3c104HalfEEEEviT0_T1_T2_T3_T4_T5_
	.p2align	8
	.type	_ZN2at6native39vectorized_templated_elementwise_kernelILi4EZZZNS0_33launch_standard_gamma_grad_kernelERNS_18TensorIteratorBaseEENKUlvE_clEvENKUlvE0_clEvEUlffE_St5arrayIPcLm3EE23TrivialOffsetCalculatorILi2EjESA_ILi1EjENS0_6memory12LoadWithCastILi2EEENSD_13StoreWithCastILi1EEEfJfN3c104HalfEEEEviT0_T1_T2_T3_T4_T5_,@function
_ZN2at6native39vectorized_templated_elementwise_kernelILi4EZZZNS0_33launch_standard_gamma_grad_kernelERNS_18TensorIteratorBaseEENKUlvE_clEvENKUlvE0_clEvEUlffE_St5arrayIPcLm3EE23TrivialOffsetCalculatorILi2EjESA_ILi1EjENS0_6memory12LoadWithCastILi2EEENSD_13StoreWithCastILi1EEEfJfN3c104HalfEEEEviT0_T1_T2_T3_T4_T5_: ; @_ZN2at6native39vectorized_templated_elementwise_kernelILi4EZZZNS0_33launch_standard_gamma_grad_kernelERNS_18TensorIteratorBaseEENKUlvE_clEvENKUlvE0_clEvEUlffE_St5arrayIPcLm3EE23TrivialOffsetCalculatorILi2EjESA_ILi1EjENS0_6memory12LoadWithCastILi2EEENSD_13StoreWithCastILi1EEEfJfN3c104HalfEEEEviT0_T1_T2_T3_T4_T5_
; %bb.0:
	s_add_u32 flat_scratch_lo, s6, s9
	s_addc_u32 flat_scratch_hi, s7, 0
	s_add_u32 s0, s0, s9
	s_mov_b64 s[22:23], s[4:5]
	s_load_dword s4, s[4:5], 0x38
	s_nop 0
	s_load_dwordx2 s[26:27], s[22:23], 0x18
	s_load_dword s5, s[22:23], 0x0
	s_load_dwordx4 s[36:39], s[22:23], 0x8
	s_addc_u32 s1, s1, 0
	s_not_b32 s6, s8
	s_waitcnt lgkmcnt(0)
	s_add_i32 s4, s4, s6
	s_lshl_b32 s6, s4, 14
	s_sub_i32 s25, s5, s6
	s_mov_b32 s24, s8
	v_mov_b32_e32 v38, v0
	s_cmpk_gt_i32 s25, 0x3fff
	s_mov_b64 s[4:5], -1
	s_mov_b32 s32, 0
	s_cbranch_scc1 .LBB180_3
; %bb.1:
	s_andn2_b64 vcc, exec, s[4:5]
	s_cbranch_vccz .LBB180_4
.LBB180_2:
	s_endpgm
.LBB180_3:
	s_ashr_i32 s7, s6, 31
	s_lshl_b64 s[28:29], s[6:7], 2
	s_add_u32 s4, s38, s28
	s_addc_u32 s5, s39, s29
	v_lshlrev_b32_e32 v94, 4, v38
	v_mov_b32_e32 v0, s5
	v_add_co_u32_e32 v20, vcc, s4, v94
	v_addc_co_u32_e32 v21, vcc, 0, v0, vcc
	v_add_co_u32_e32 v0, vcc, 0x2000, v20
	v_addc_co_u32_e32 v1, vcc, 0, v21, vcc
	s_movk_i32 s33, 0x6000
	global_load_dwordx4 v[40:43], v94, s[4:5]
	global_load_dwordx4 v[44:47], v[0:1], off
	v_or_b32_e32 v6, 0x400, v38
	v_add_co_u32_e32 v0, vcc, s33, v20
	v_lshlrev_b32_e32 v95, 4, v6
	v_addc_co_u32_e32 v1, vcc, 0, v21, vcc
	s_mov_b32 s8, 0xa000
	s_lshl_b64 s[6:7], s[6:7], 1
	global_load_dwordx4 v[48:51], v95, s[4:5]
	global_load_dwordx4 v[30:33], v[0:1], off
	v_add_co_u32_e32 v0, vcc, s8, v20
	s_add_u32 s6, s26, s6
	v_addc_co_u32_e32 v1, vcc, 0, v21, vcc
	s_addc_u32 s7, s27, s7
	v_lshlrev_b32_e32 v2, 3, v38
	v_mov_b32_e32 v3, s7
	v_add_co_u32_e32 v18, vcc, s6, v2
	v_addc_co_u32_e32 v19, vcc, 0, v3, vcc
	s_movk_i32 s8, 0x1000
	v_add_co_u32_e32 v4, vcc, s8, v18
	v_addc_co_u32_e32 v5, vcc, 0, v19, vcc
	s_movk_i32 s8, 0x3000
	global_load_dwordx2 v[2:3], v2, s[6:7]
	v_lshlrev_b32_e32 v11, 3, v6
	global_load_dwordx2 v[6:7], v[4:5], off
	global_load_dwordx2 v[8:9], v11, s[6:7]
	v_add_co_u32_e32 v4, vcc, s8, v18
	v_addc_co_u32_e32 v5, vcc, 0, v19, vcc
	s_movk_i32 s8, 0x5000
	v_or_b32_e32 v10, 0x800, v38
	v_add_co_u32_e32 v12, vcc, s8, v18
	v_lshlrev_b32_e32 v96, 4, v10
	v_or_b32_e32 v22, 0xc00, v38
	v_lshlrev_b32_e32 v10, 3, v10
	v_addc_co_u32_e32 v13, vcc, 0, v19, vcc
	global_load_dwordx2 v[4:5], v[4:5], off
	v_lshlrev_b32_e32 v23, 3, v22
	global_load_dwordx2 v[10:11], v10, s[6:7]
	s_nop 0
	global_load_dwordx2 v[14:15], v[12:13], off
	global_load_dwordx2 v[16:17], v23, s[6:7]
	s_movk_i32 s6, 0x7000
	v_add_co_u32_e32 v12, vcc, s6, v18
	v_addc_co_u32_e32 v13, vcc, 0, v19, vcc
	s_mov_b32 s6, 0xe000
	global_load_dwordx2 v[18:19], v[12:13], off
	global_load_dwordx4 v[52:55], v96, s[4:5]
	global_load_dwordx4 v[56:59], v[0:1], off
	v_lshlrev_b32_e32 v97, 4, v22
	v_add_co_u32_e32 v0, vcc, s6, v20
	v_addc_co_u32_e32 v1, vcc, 0, v21, vcc
	global_load_dwordx4 v[60:63], v97, s[4:5]
	global_load_dwordx4 v[34:37], v[0:1], off
	s_movk_i32 s40, 0x2000
	s_getpc_b64 s[34:35]
	s_add_u32 s34, s34, _ZZZZN2at6native33launch_standard_gamma_grad_kernelERNS_18TensorIteratorBaseEENKUlvE_clEvENKUlvE0_clEvENKUlffE_clEff@rel32@lo+4
	s_addc_u32 s35, s35, _ZZZZN2at6native33launch_standard_gamma_grad_kernelERNS_18TensorIteratorBaseEENKUlvE_clEvENKUlvE0_clEvENKUlffE_clEff@rel32@hi+12
	s_waitcnt vmcnt(15)
	v_mov_b32_e32 v0, v40
	s_waitcnt vmcnt(11)
	v_cvt_f32_f16_e32 v1, v2
	v_cvt_f32_f16_sdwa v39, v2 dst_sel:DWORD dst_unused:UNUSED_PAD src0_sel:WORD_1
	v_cvt_f32_f16_e32 v64, v3
	v_cvt_f32_f16_sdwa v65, v3 dst_sel:DWORD dst_unused:UNUSED_PAD src0_sel:WORD_1
	s_waitcnt vmcnt(10)
	v_cvt_f32_f16_e32 v66, v6
	v_cvt_f32_f16_sdwa v67, v6 dst_sel:DWORD dst_unused:UNUSED_PAD src0_sel:WORD_1
	v_cvt_f32_f16_e32 v68, v7
	v_cvt_f32_f16_sdwa v69, v7 dst_sel:DWORD dst_unused:UNUSED_PAD src0_sel:WORD_1
	;; [unrolled: 5-line block ×8, first 2 shown]
	s_swappc_b64 s[30:31], s[34:35]
	v_mov_b32_e32 v40, v0
	v_mov_b32_e32 v0, v41
	v_mov_b32_e32 v1, v39
	s_swappc_b64 s[30:31], s[34:35]
	v_mov_b32_e32 v41, v0
	v_mov_b32_e32 v0, v42
	v_mov_b32_e32 v1, v64
	;; [unrolled: 4-line block ×31, first 2 shown]
	s_swappc_b64 s[30:31], s[34:35]
	s_add_u32 s4, s36, s28
	s_addc_u32 s5, s37, s29
	v_mov_b32_e32 v37, v0
	v_mov_b32_e32 v0, s5
	v_add_co_u32_e32 v2, vcc, s4, v94
	v_addc_co_u32_e32 v3, vcc, 0, v0, vcc
	v_add_co_u32_e32 v0, vcc, s40, v2
	v_addc_co_u32_e32 v1, vcc, 0, v3, vcc
	global_store_dwordx4 v94, v[40:43], s[4:5]
	global_store_dwordx4 v[0:1], v[44:47], off
	global_store_dwordx4 v95, v[48:51], s[4:5]
	v_add_co_u32_e32 v0, vcc, s33, v2
	v_addc_co_u32_e32 v1, vcc, 0, v3, vcc
	global_store_dwordx4 v[0:1], v[30:33], off
	global_store_dwordx4 v96, v[52:55], s[4:5]
	v_add_co_u32_e32 v0, vcc, 0xa000, v2
	v_addc_co_u32_e32 v1, vcc, 0, v3, vcc
	;; [unrolled: 4-line block ×3, first 2 shown]
	global_store_dwordx4 v[0:1], v[34:37], off
	s_cbranch_execnz .LBB180_2
.LBB180_4:
	s_load_dword s13, s[22:23], 0x24
	s_load_dwordx4 s[4:7], s[22:23], 0x28
	s_add_u32 s8, s22, 56
	s_addc_u32 s9, s23, 0
	s_mov_b32 s12, s24
	s_waitcnt lgkmcnt(0)
	v_lshrrev_b16_e64 v8, 8, s13
	v_mov_b32_e32 v31, v38
	v_mov_b32_e32 v0, s36
	;; [unrolled: 1-line block ×13, first 2 shown]
	s_getpc_b64 s[10:11]
	s_add_u32 s10, s10, _ZN2at6native25elementwise_kernel_helperILb1EZZZNS0_33launch_standard_gamma_grad_kernelERNS_18TensorIteratorBaseEENKUlvE_clEvENKUlvE0_clEvEUlffE_NS0_6memory8policies11unroll_baseILi512ESt5arrayIPcLm3EE23TrivialOffsetCalculatorILi2EjESD_ILi1EjENS7_12LoadWithCastILi2EEENS7_13StoreWithCastILi1EEELi32ELi1EEEEEvT0_T1_@rel32@lo+4
	s_addc_u32 s11, s11, _ZN2at6native25elementwise_kernel_helperILb1EZZZNS0_33launch_standard_gamma_grad_kernelERNS_18TensorIteratorBaseEENKUlvE_clEvENKUlvE0_clEvEUlffE_NS0_6memory8policies11unroll_baseILi512ESt5arrayIPcLm3EE23TrivialOffsetCalculatorILi2EjESD_ILi1EjENS7_12LoadWithCastILi2EEENS7_13StoreWithCastILi1EEELi32ELi1EEEEEvT0_T1_@rel32@hi+12
	s_swappc_b64 s[30:31], s[10:11]
	s_endpgm
	.section	.rodata,"a",@progbits
	.p2align	6, 0x0
	.amdhsa_kernel _ZN2at6native39vectorized_templated_elementwise_kernelILi4EZZZNS0_33launch_standard_gamma_grad_kernelERNS_18TensorIteratorBaseEENKUlvE_clEvENKUlvE0_clEvEUlffE_St5arrayIPcLm3EE23TrivialOffsetCalculatorILi2EjESA_ILi1EjENS0_6memory12LoadWithCastILi2EEENSD_13StoreWithCastILi1EEEfJfN3c104HalfEEEEviT0_T1_T2_T3_T4_T5_
		.amdhsa_group_segment_fixed_size 0
		.amdhsa_private_segment_fixed_size 288
		.amdhsa_kernarg_size 312
		.amdhsa_user_sgpr_count 8
		.amdhsa_user_sgpr_private_segment_buffer 1
		.amdhsa_user_sgpr_dispatch_ptr 0
		.amdhsa_user_sgpr_queue_ptr 0
		.amdhsa_user_sgpr_kernarg_segment_ptr 1
		.amdhsa_user_sgpr_dispatch_id 0
		.amdhsa_user_sgpr_flat_scratch_init 1
		.amdhsa_user_sgpr_kernarg_preload_length 0
		.amdhsa_user_sgpr_kernarg_preload_offset 0
		.amdhsa_user_sgpr_private_segment_size 0
		.amdhsa_uses_dynamic_stack 0
		.amdhsa_system_sgpr_private_segment_wavefront_offset 1
		.amdhsa_system_sgpr_workgroup_id_x 1
		.amdhsa_system_sgpr_workgroup_id_y 0
		.amdhsa_system_sgpr_workgroup_id_z 0
		.amdhsa_system_sgpr_workgroup_info 0
		.amdhsa_system_vgpr_workitem_id 0
		.amdhsa_next_free_vgpr 138
		.amdhsa_next_free_sgpr 98
		.amdhsa_accum_offset 120
		.amdhsa_reserve_vcc 1
		.amdhsa_reserve_flat_scratch 1
		.amdhsa_float_round_mode_32 0
		.amdhsa_float_round_mode_16_64 0
		.amdhsa_float_denorm_mode_32 3
		.amdhsa_float_denorm_mode_16_64 3
		.amdhsa_dx10_clamp 1
		.amdhsa_ieee_mode 1
		.amdhsa_fp16_overflow 0
		.amdhsa_tg_split 0
		.amdhsa_exception_fp_ieee_invalid_op 0
		.amdhsa_exception_fp_denorm_src 0
		.amdhsa_exception_fp_ieee_div_zero 0
		.amdhsa_exception_fp_ieee_overflow 0
		.amdhsa_exception_fp_ieee_underflow 0
		.amdhsa_exception_fp_ieee_inexact 0
		.amdhsa_exception_int_div_zero 0
	.end_amdhsa_kernel
	.section	.text._ZN2at6native39vectorized_templated_elementwise_kernelILi4EZZZNS0_33launch_standard_gamma_grad_kernelERNS_18TensorIteratorBaseEENKUlvE_clEvENKUlvE0_clEvEUlffE_St5arrayIPcLm3EE23TrivialOffsetCalculatorILi2EjESA_ILi1EjENS0_6memory12LoadWithCastILi2EEENSD_13StoreWithCastILi1EEEfJfN3c104HalfEEEEviT0_T1_T2_T3_T4_T5_,"axG",@progbits,_ZN2at6native39vectorized_templated_elementwise_kernelILi4EZZZNS0_33launch_standard_gamma_grad_kernelERNS_18TensorIteratorBaseEENKUlvE_clEvENKUlvE0_clEvEUlffE_St5arrayIPcLm3EE23TrivialOffsetCalculatorILi2EjESA_ILi1EjENS0_6memory12LoadWithCastILi2EEENSD_13StoreWithCastILi1EEEfJfN3c104HalfEEEEviT0_T1_T2_T3_T4_T5_,comdat
.Lfunc_end180:
	.size	_ZN2at6native39vectorized_templated_elementwise_kernelILi4EZZZNS0_33launch_standard_gamma_grad_kernelERNS_18TensorIteratorBaseEENKUlvE_clEvENKUlvE0_clEvEUlffE_St5arrayIPcLm3EE23TrivialOffsetCalculatorILi2EjESA_ILi1EjENS0_6memory12LoadWithCastILi2EEENSD_13StoreWithCastILi1EEEfJfN3c104HalfEEEEviT0_T1_T2_T3_T4_T5_, .Lfunc_end180-_ZN2at6native39vectorized_templated_elementwise_kernelILi4EZZZNS0_33launch_standard_gamma_grad_kernelERNS_18TensorIteratorBaseEENKUlvE_clEvENKUlvE0_clEvEUlffE_St5arrayIPcLm3EE23TrivialOffsetCalculatorILi2EjESA_ILi1EjENS0_6memory12LoadWithCastILi2EEENSD_13StoreWithCastILi1EEEfJfN3c104HalfEEEEviT0_T1_T2_T3_T4_T5_
                                        ; -- End function
	.section	.AMDGPU.csdata,"",@progbits
; Kernel info:
; codeLenInByte = 1464
; NumSgprs: 104
; NumVgprs: 120
; NumAgprs: 18
; TotalNumVgprs: 138
; ScratchSize: 288
; MemoryBound: 0
; FloatMode: 240
; IeeeMode: 1
; LDSByteSize: 0 bytes/workgroup (compile time only)
; SGPRBlocks: 12
; VGPRBlocks: 17
; NumSGPRsForWavesPerEU: 104
; NumVGPRsForWavesPerEU: 138
; AccumOffset: 120
; Occupancy: 3
; WaveLimiterHint : 0
; COMPUTE_PGM_RSRC2:SCRATCH_EN: 1
; COMPUTE_PGM_RSRC2:USER_SGPR: 8
; COMPUTE_PGM_RSRC2:TRAP_HANDLER: 0
; COMPUTE_PGM_RSRC2:TGID_X_EN: 1
; COMPUTE_PGM_RSRC2:TGID_Y_EN: 0
; COMPUTE_PGM_RSRC2:TGID_Z_EN: 0
; COMPUTE_PGM_RSRC2:TIDIG_COMP_CNT: 0
; COMPUTE_PGM_RSRC3_GFX90A:ACCUM_OFFSET: 29
; COMPUTE_PGM_RSRC3_GFX90A:TG_SPLIT: 0
	.section	.text._ZN2at6native39vectorized_templated_elementwise_kernelILi2EZZZNS0_33launch_standard_gamma_grad_kernelERNS_18TensorIteratorBaseEENKUlvE_clEvENKUlvE0_clEvEUlffE_St5arrayIPcLm3EE23TrivialOffsetCalculatorILi2EjESA_ILi1EjENS0_6memory12LoadWithCastILi2EEENSD_13StoreWithCastILi1EEEfJfN3c104HalfEEEEviT0_T1_T2_T3_T4_T5_,"axG",@progbits,_ZN2at6native39vectorized_templated_elementwise_kernelILi2EZZZNS0_33launch_standard_gamma_grad_kernelERNS_18TensorIteratorBaseEENKUlvE_clEvENKUlvE0_clEvEUlffE_St5arrayIPcLm3EE23TrivialOffsetCalculatorILi2EjESA_ILi1EjENS0_6memory12LoadWithCastILi2EEENSD_13StoreWithCastILi1EEEfJfN3c104HalfEEEEviT0_T1_T2_T3_T4_T5_,comdat
	.globl	_ZN2at6native39vectorized_templated_elementwise_kernelILi2EZZZNS0_33launch_standard_gamma_grad_kernelERNS_18TensorIteratorBaseEENKUlvE_clEvENKUlvE0_clEvEUlffE_St5arrayIPcLm3EE23TrivialOffsetCalculatorILi2EjESA_ILi1EjENS0_6memory12LoadWithCastILi2EEENSD_13StoreWithCastILi1EEEfJfN3c104HalfEEEEviT0_T1_T2_T3_T4_T5_ ; -- Begin function _ZN2at6native39vectorized_templated_elementwise_kernelILi2EZZZNS0_33launch_standard_gamma_grad_kernelERNS_18TensorIteratorBaseEENKUlvE_clEvENKUlvE0_clEvEUlffE_St5arrayIPcLm3EE23TrivialOffsetCalculatorILi2EjESA_ILi1EjENS0_6memory12LoadWithCastILi2EEENSD_13StoreWithCastILi1EEEfJfN3c104HalfEEEEviT0_T1_T2_T3_T4_T5_
	.p2align	8
	.type	_ZN2at6native39vectorized_templated_elementwise_kernelILi2EZZZNS0_33launch_standard_gamma_grad_kernelERNS_18TensorIteratorBaseEENKUlvE_clEvENKUlvE0_clEvEUlffE_St5arrayIPcLm3EE23TrivialOffsetCalculatorILi2EjESA_ILi1EjENS0_6memory12LoadWithCastILi2EEENSD_13StoreWithCastILi1EEEfJfN3c104HalfEEEEviT0_T1_T2_T3_T4_T5_,@function
_ZN2at6native39vectorized_templated_elementwise_kernelILi2EZZZNS0_33launch_standard_gamma_grad_kernelERNS_18TensorIteratorBaseEENKUlvE_clEvENKUlvE0_clEvEUlffE_St5arrayIPcLm3EE23TrivialOffsetCalculatorILi2EjESA_ILi1EjENS0_6memory12LoadWithCastILi2EEENSD_13StoreWithCastILi1EEEfJfN3c104HalfEEEEviT0_T1_T2_T3_T4_T5_: ; @_ZN2at6native39vectorized_templated_elementwise_kernelILi2EZZZNS0_33launch_standard_gamma_grad_kernelERNS_18TensorIteratorBaseEENKUlvE_clEvENKUlvE0_clEvEUlffE_St5arrayIPcLm3EE23TrivialOffsetCalculatorILi2EjESA_ILi1EjENS0_6memory12LoadWithCastILi2EEENSD_13StoreWithCastILi1EEEfJfN3c104HalfEEEEviT0_T1_T2_T3_T4_T5_
; %bb.0:
	s_add_u32 flat_scratch_lo, s6, s9
	s_addc_u32 flat_scratch_hi, s7, 0
	s_add_u32 s0, s0, s9
	s_mov_b64 s[22:23], s[4:5]
	s_load_dword s4, s[4:5], 0x38
	s_nop 0
	s_load_dwordx2 s[26:27], s[22:23], 0x18
	s_load_dword s5, s[22:23], 0x0
	s_load_dwordx4 s[36:39], s[22:23], 0x8
	s_addc_u32 s1, s1, 0
	s_not_b32 s6, s8
	s_waitcnt lgkmcnt(0)
	s_add_i32 s4, s4, s6
	s_lshl_b32 s4, s4, 14
	s_sub_i32 s25, s5, s4
	s_mov_b32 s24, s8
	v_mov_b32_e32 v56, v0
	s_cmpk_gt_i32 s25, 0x3fff
	s_mov_b64 s[6:7], -1
	s_mov_b32 s32, 0
	s_cbranch_scc1 .LBB181_3
; %bb.1:
	s_andn2_b64 vcc, exec, s[6:7]
	s_cbranch_vccz .LBB181_4
.LBB181_2:
	s_endpgm
.LBB181_3:
	s_ashr_i32 s5, s4, 31
	s_lshl_b64 s[28:29], s[4:5], 2
	s_add_u32 s6, s38, s28
	s_addc_u32 s7, s39, s29
	v_lshlrev_b32_e32 v94, 3, v56
	v_mov_b32_e32 v0, s7
	v_add_co_u32_e32 v4, vcc, s6, v94
	v_addc_co_u32_e32 v10, vcc, 0, v0, vcc
	v_add_co_u32_e32 v0, vcc, 0x1000, v4
	v_addc_co_u32_e32 v1, vcc, 0, v10, vcc
	v_add_co_u32_e32 v2, vcc, 0x3000, v4
	v_or_b32_e32 v5, 0x400, v56
	v_addc_co_u32_e32 v3, vcc, 0, v10, vcc
	v_lshlrev_b32_e32 v95, 3, v5
	global_load_dwordx2 v[52:53], v94, s[6:7]
	global_load_dwordx2 v[50:51], v[0:1], off
	global_load_dwordx2 v[46:47], v95, s[6:7]
	global_load_dwordx2 v[42:43], v[2:3], off
	v_add_co_u32_e32 v0, vcc, 0x5000, v4
	v_addc_co_u32_e32 v1, vcc, 0, v10, vcc
	v_or_b32_e32 v6, 0x800, v56
	v_add_co_u32_e32 v2, vcc, 0x7000, v4
	v_lshlrev_b32_e32 v96, 3, v6
	v_or_b32_e32 v8, 0xc00, v56
	v_addc_co_u32_e32 v3, vcc, 0, v10, vcc
	v_lshlrev_b32_e32 v97, 3, v8
	global_load_dwordx2 v[48:49], v96, s[6:7]
	global_load_dwordx2 v[44:45], v[0:1], off
	global_load_dwordx2 v[38:39], v97, s[6:7]
	global_load_dwordx2 v[34:35], v[2:3], off
	v_add_co_u32_e32 v0, vcc, 0x9000, v4
	v_addc_co_u32_e32 v1, vcc, 0, v10, vcc
	v_or_b32_e32 v11, 0x1000, v56
	v_add_co_u32_e32 v2, vcc, 0xb000, v4
	v_lshlrev_b32_e32 v98, 3, v11
	v_or_b32_e32 v12, 0x1400, v56
	v_addc_co_u32_e32 v3, vcc, 0, v10, vcc
	s_lshl_b64 s[4:5], s[4:5], 1
	v_lshlrev_b32_e32 v99, 3, v12
	global_load_dwordx2 v[40:41], v98, s[6:7]
	global_load_dwordx2 v[36:37], v[0:1], off
	global_load_dwordx2 v[32:33], v99, s[6:7]
	global_load_dwordx2 v[30:31], v[2:3], off
	v_add_co_u32_e32 v0, vcc, 0xd000, v4
	s_add_u32 s8, s26, s4
	v_addc_co_u32_e32 v1, vcc, 0, v10, vcc
	s_addc_u32 s9, s27, s5
	v_lshlrev_b32_e32 v14, 2, v56
	v_add_co_u32_e32 v2, vcc, 0xf000, v4
	v_mov_b32_e32 v4, s9
	v_add_co_u32_e64 v15, s[4:5], s8, v14
	s_movk_i32 s33, 0x1000
	v_addc_co_u32_e64 v16, s[4:5], 0, v4, s[4:5]
	v_add_co_u32_e64 v4, s[4:5], s33, v15
	v_lshlrev_b32_e32 v17, 2, v5
	v_addc_co_u32_e64 v5, s[4:5], 0, v16, s[4:5]
	s_movk_i32 s4, 0x2000
	v_lshlrev_b32_e32 v18, 2, v6
	v_add_co_u32_e64 v6, s[4:5], s4, v15
	s_movk_i32 s40, 0x3000
	v_addc_co_u32_e64 v7, s[4:5], 0, v16, s[4:5]
	v_lshlrev_b32_e32 v19, 2, v8
	v_add_co_u32_e64 v8, s[4:5], s40, v15
	v_addc_co_u32_e64 v9, s[4:5], 0, v16, s[4:5]
	global_load_dword v20, v14, s[8:9]
	global_load_dword v21, v14, s[8:9] offset:2048
	global_load_dword v22, v17, s[8:9]
	global_load_dword v23, v[4:5], off offset:2048
	global_load_dword v24, v18, s[8:9]
	global_load_dword v25, v[6:7], off offset:2048
	;; [unrolled: 2-line block ×3, first 2 shown]
	v_lshlrev_b32_e32 v4, 2, v11
	s_movk_i32 s10, 0x4000
	global_load_dword v11, v4, s[8:9]
	s_mov_b64 s[4:5], vcc
	v_add_co_u32_e32 v4, vcc, s10, v15
	s_movk_i32 s41, 0x5000
	v_addc_co_u32_e32 v5, vcc, 0, v16, vcc
	v_add_co_u32_e32 v6, vcc, s41, v15
	v_addc_co_u32_e32 v7, vcc, 0, v16, vcc
	v_or_b32_e32 v13, 0x1c00, v56
	v_add_co_u32_e32 v8, vcc, 0x6000, v15
	v_or_b32_e32 v3, 0x1800, v56
	v_lshlrev_b32_e32 v12, 2, v12
	v_addc_co_u32_e32 v9, vcc, 0, v16, vcc
	global_load_dword v14, v[4:5], off offset:2048
	v_lshlrev_b32_e32 v4, 2, v13
	v_lshlrev_b32_e32 v100, 3, v3
	v_lshlrev_b32_e32 v3, 2, v3
	global_load_dword v17, v12, s[8:9]
	global_load_dword v18, v[6:7], off offset:2048
	global_load_dword v19, v3, s[8:9]
	global_load_dword v28, v[8:9], off offset:2048
	global_load_dword v29, v4, s[8:9]
	v_add_co_u32_e32 v4, vcc, 0x7000, v15
	v_addc_co_u32_e32 v5, vcc, 0, v16, vcc
	global_load_dword v4, v[4:5], off offset:2048
	v_lshlrev_b32_e32 v101, 3, v13
	v_addc_co_u32_e64 v3, vcc, 0, v10, s[4:5]
	global_load_dwordx2 v[58:59], v100, s[6:7]
	global_load_dwordx2 v[60:61], v[0:1], off
	global_load_dwordx2 v[62:63], v101, s[6:7]
	global_load_dwordx2 v[54:55], v[2:3], off
	s_waitcnt vmcnt(31)
	v_mov_b32_e32 v0, v52
	s_movk_i32 s44, 0x7000
	s_mov_b32 s43, 0x9000
	s_mov_b32 s42, 0xb000
	s_getpc_b64 s[34:35]
	s_add_u32 s34, s34, _ZZZZN2at6native33launch_standard_gamma_grad_kernelERNS_18TensorIteratorBaseEENKUlvE_clEvENKUlvE0_clEvENKUlffE_clEff@rel32@lo+4
	s_addc_u32 s35, s35, _ZZZZN2at6native33launch_standard_gamma_grad_kernelERNS_18TensorIteratorBaseEENKUlvE_clEvENKUlvE0_clEvENKUlffE_clEff@rel32@hi+12
	s_waitcnt vmcnt(19)
	v_cvt_f32_f16_e32 v1, v20
	v_cvt_f32_f16_sdwa v57, v20 dst_sel:DWORD dst_unused:UNUSED_PAD src0_sel:WORD_1
	s_waitcnt vmcnt(18)
	v_cvt_f32_f16_e32 v64, v21
	v_cvt_f32_f16_sdwa v65, v21 dst_sel:DWORD dst_unused:UNUSED_PAD src0_sel:WORD_1
	;; [unrolled: 3-line block ×16, first 2 shown]
	s_swappc_b64 s[30:31], s[34:35]
	v_mov_b32_e32 v52, v0
	v_mov_b32_e32 v0, v53
	v_mov_b32_e32 v1, v57
	s_swappc_b64 s[30:31], s[34:35]
	v_mov_b32_e32 v53, v0
	v_mov_b32_e32 v0, v50
	v_mov_b32_e32 v1, v64
	;; [unrolled: 4-line block ×31, first 2 shown]
	s_swappc_b64 s[30:31], s[34:35]
	s_add_u32 s4, s36, s28
	s_addc_u32 s5, s37, s29
	v_mov_b32_e32 v55, v0
	v_mov_b32_e32 v0, s5
	v_add_co_u32_e32 v2, vcc, s4, v94
	v_addc_co_u32_e32 v3, vcc, 0, v0, vcc
	v_add_co_u32_e32 v0, vcc, s33, v2
	v_addc_co_u32_e32 v1, vcc, 0, v3, vcc
	global_store_dwordx2 v94, v[52:53], s[4:5]
	global_store_dwordx2 v[0:1], v[50:51], off
	global_store_dwordx2 v95, v[46:47], s[4:5]
	v_add_co_u32_e32 v0, vcc, s40, v2
	v_addc_co_u32_e32 v1, vcc, 0, v3, vcc
	global_store_dwordx2 v[0:1], v[42:43], off
	global_store_dwordx2 v96, v[48:49], s[4:5]
	v_add_co_u32_e32 v0, vcc, s41, v2
	v_addc_co_u32_e32 v1, vcc, 0, v3, vcc
	;; [unrolled: 4-line block ×7, first 2 shown]
	global_store_dwordx2 v[0:1], v[54:55], off
	s_cbranch_execnz .LBB181_2
.LBB181_4:
	s_load_dword s13, s[22:23], 0x24
	s_load_dwordx4 s[4:7], s[22:23], 0x28
	s_add_u32 s8, s22, 56
	s_addc_u32 s9, s23, 0
	s_mov_b32 s12, s24
	s_waitcnt lgkmcnt(0)
	v_lshrrev_b16_e64 v8, 8, s13
	v_mov_b32_e32 v31, v56
	v_mov_b32_e32 v0, s36
	;; [unrolled: 1-line block ×13, first 2 shown]
	s_getpc_b64 s[10:11]
	s_add_u32 s10, s10, _ZN2at6native25elementwise_kernel_helperILb1EZZZNS0_33launch_standard_gamma_grad_kernelERNS_18TensorIteratorBaseEENKUlvE_clEvENKUlvE0_clEvEUlffE_NS0_6memory8policies11unroll_baseILi512ESt5arrayIPcLm3EE23TrivialOffsetCalculatorILi2EjESD_ILi1EjENS7_12LoadWithCastILi2EEENS7_13StoreWithCastILi1EEELi32ELi1EEEEEvT0_T1_@rel32@lo+4
	s_addc_u32 s11, s11, _ZN2at6native25elementwise_kernel_helperILb1EZZZNS0_33launch_standard_gamma_grad_kernelERNS_18TensorIteratorBaseEENKUlvE_clEvENKUlvE0_clEvEUlffE_NS0_6memory8policies11unroll_baseILi512ESt5arrayIPcLm3EE23TrivialOffsetCalculatorILi2EjESD_ILi1EjENS7_12LoadWithCastILi2EEENS7_13StoreWithCastILi1EEELi32ELi1EEEEEvT0_T1_@rel32@hi+12
	s_swappc_b64 s[30:31], s[10:11]
	s_endpgm
	.section	.rodata,"a",@progbits
	.p2align	6, 0x0
	.amdhsa_kernel _ZN2at6native39vectorized_templated_elementwise_kernelILi2EZZZNS0_33launch_standard_gamma_grad_kernelERNS_18TensorIteratorBaseEENKUlvE_clEvENKUlvE0_clEvEUlffE_St5arrayIPcLm3EE23TrivialOffsetCalculatorILi2EjESA_ILi1EjENS0_6memory12LoadWithCastILi2EEENSD_13StoreWithCastILi1EEEfJfN3c104HalfEEEEviT0_T1_T2_T3_T4_T5_
		.amdhsa_group_segment_fixed_size 0
		.amdhsa_private_segment_fixed_size 288
		.amdhsa_kernarg_size 312
		.amdhsa_user_sgpr_count 8
		.amdhsa_user_sgpr_private_segment_buffer 1
		.amdhsa_user_sgpr_dispatch_ptr 0
		.amdhsa_user_sgpr_queue_ptr 0
		.amdhsa_user_sgpr_kernarg_segment_ptr 1
		.amdhsa_user_sgpr_dispatch_id 0
		.amdhsa_user_sgpr_flat_scratch_init 1
		.amdhsa_user_sgpr_kernarg_preload_length 0
		.amdhsa_user_sgpr_kernarg_preload_offset 0
		.amdhsa_user_sgpr_private_segment_size 0
		.amdhsa_uses_dynamic_stack 0
		.amdhsa_system_sgpr_private_segment_wavefront_offset 1
		.amdhsa_system_sgpr_workgroup_id_x 1
		.amdhsa_system_sgpr_workgroup_id_y 0
		.amdhsa_system_sgpr_workgroup_id_z 0
		.amdhsa_system_sgpr_workgroup_info 0
		.amdhsa_system_vgpr_workitem_id 0
		.amdhsa_next_free_vgpr 138
		.amdhsa_next_free_sgpr 98
		.amdhsa_accum_offset 120
		.amdhsa_reserve_vcc 1
		.amdhsa_reserve_flat_scratch 1
		.amdhsa_float_round_mode_32 0
		.amdhsa_float_round_mode_16_64 0
		.amdhsa_float_denorm_mode_32 3
		.amdhsa_float_denorm_mode_16_64 3
		.amdhsa_dx10_clamp 1
		.amdhsa_ieee_mode 1
		.amdhsa_fp16_overflow 0
		.amdhsa_tg_split 0
		.amdhsa_exception_fp_ieee_invalid_op 0
		.amdhsa_exception_fp_denorm_src 0
		.amdhsa_exception_fp_ieee_div_zero 0
		.amdhsa_exception_fp_ieee_overflow 0
		.amdhsa_exception_fp_ieee_underflow 0
		.amdhsa_exception_fp_ieee_inexact 0
		.amdhsa_exception_int_div_zero 0
	.end_amdhsa_kernel
	.section	.text._ZN2at6native39vectorized_templated_elementwise_kernelILi2EZZZNS0_33launch_standard_gamma_grad_kernelERNS_18TensorIteratorBaseEENKUlvE_clEvENKUlvE0_clEvEUlffE_St5arrayIPcLm3EE23TrivialOffsetCalculatorILi2EjESA_ILi1EjENS0_6memory12LoadWithCastILi2EEENSD_13StoreWithCastILi1EEEfJfN3c104HalfEEEEviT0_T1_T2_T3_T4_T5_,"axG",@progbits,_ZN2at6native39vectorized_templated_elementwise_kernelILi2EZZZNS0_33launch_standard_gamma_grad_kernelERNS_18TensorIteratorBaseEENKUlvE_clEvENKUlvE0_clEvEUlffE_St5arrayIPcLm3EE23TrivialOffsetCalculatorILi2EjESA_ILi1EjENS0_6memory12LoadWithCastILi2EEENSD_13StoreWithCastILi1EEEfJfN3c104HalfEEEEviT0_T1_T2_T3_T4_T5_,comdat
.Lfunc_end181:
	.size	_ZN2at6native39vectorized_templated_elementwise_kernelILi2EZZZNS0_33launch_standard_gamma_grad_kernelERNS_18TensorIteratorBaseEENKUlvE_clEvENKUlvE0_clEvEUlffE_St5arrayIPcLm3EE23TrivialOffsetCalculatorILi2EjESA_ILi1EjENS0_6memory12LoadWithCastILi2EEENSD_13StoreWithCastILi1EEEfJfN3c104HalfEEEEviT0_T1_T2_T3_T4_T5_, .Lfunc_end181-_ZN2at6native39vectorized_templated_elementwise_kernelILi2EZZZNS0_33launch_standard_gamma_grad_kernelERNS_18TensorIteratorBaseEENKUlvE_clEvENKUlvE0_clEvEUlffE_St5arrayIPcLm3EE23TrivialOffsetCalculatorILi2EjESA_ILi1EjENS0_6memory12LoadWithCastILi2EEENSD_13StoreWithCastILi1EEEfJfN3c104HalfEEEEviT0_T1_T2_T3_T4_T5_
                                        ; -- End function
	.section	.AMDGPU.csdata,"",@progbits
; Kernel info:
; codeLenInByte = 1912
; NumSgprs: 104
; NumVgprs: 120
; NumAgprs: 18
; TotalNumVgprs: 138
; ScratchSize: 288
; MemoryBound: 0
; FloatMode: 240
; IeeeMode: 1
; LDSByteSize: 0 bytes/workgroup (compile time only)
; SGPRBlocks: 12
; VGPRBlocks: 17
; NumSGPRsForWavesPerEU: 104
; NumVGPRsForWavesPerEU: 138
; AccumOffset: 120
; Occupancy: 3
; WaveLimiterHint : 0
; COMPUTE_PGM_RSRC2:SCRATCH_EN: 1
; COMPUTE_PGM_RSRC2:USER_SGPR: 8
; COMPUTE_PGM_RSRC2:TRAP_HANDLER: 0
; COMPUTE_PGM_RSRC2:TGID_X_EN: 1
; COMPUTE_PGM_RSRC2:TGID_Y_EN: 0
; COMPUTE_PGM_RSRC2:TGID_Z_EN: 0
; COMPUTE_PGM_RSRC2:TIDIG_COMP_CNT: 0
; COMPUTE_PGM_RSRC3_GFX90A:ACCUM_OFFSET: 29
; COMPUTE_PGM_RSRC3_GFX90A:TG_SPLIT: 0
	.section	.text._ZN2at6native39vectorized_templated_elementwise_kernelILi8EZZZNS0_33launch_standard_gamma_grad_kernelERNS_18TensorIteratorBaseEENKUlvE_clEvENKUlvE0_clEvEUlffE_St5arrayIPcLm3EE23TrivialOffsetCalculatorILi2EjESA_ILi1EjENS0_6memory12LoadWithCastILi2EEENSD_13StoreWithCastILi1EEEfJN3c104HalfEfEEEviT0_T1_T2_T3_T4_T5_,"axG",@progbits,_ZN2at6native39vectorized_templated_elementwise_kernelILi8EZZZNS0_33launch_standard_gamma_grad_kernelERNS_18TensorIteratorBaseEENKUlvE_clEvENKUlvE0_clEvEUlffE_St5arrayIPcLm3EE23TrivialOffsetCalculatorILi2EjESA_ILi1EjENS0_6memory12LoadWithCastILi2EEENSD_13StoreWithCastILi1EEEfJN3c104HalfEfEEEviT0_T1_T2_T3_T4_T5_,comdat
	.globl	_ZN2at6native39vectorized_templated_elementwise_kernelILi8EZZZNS0_33launch_standard_gamma_grad_kernelERNS_18TensorIteratorBaseEENKUlvE_clEvENKUlvE0_clEvEUlffE_St5arrayIPcLm3EE23TrivialOffsetCalculatorILi2EjESA_ILi1EjENS0_6memory12LoadWithCastILi2EEENSD_13StoreWithCastILi1EEEfJN3c104HalfEfEEEviT0_T1_T2_T3_T4_T5_ ; -- Begin function _ZN2at6native39vectorized_templated_elementwise_kernelILi8EZZZNS0_33launch_standard_gamma_grad_kernelERNS_18TensorIteratorBaseEENKUlvE_clEvENKUlvE0_clEvEUlffE_St5arrayIPcLm3EE23TrivialOffsetCalculatorILi2EjESA_ILi1EjENS0_6memory12LoadWithCastILi2EEENSD_13StoreWithCastILi1EEEfJN3c104HalfEfEEEviT0_T1_T2_T3_T4_T5_
	.p2align	8
	.type	_ZN2at6native39vectorized_templated_elementwise_kernelILi8EZZZNS0_33launch_standard_gamma_grad_kernelERNS_18TensorIteratorBaseEENKUlvE_clEvENKUlvE0_clEvEUlffE_St5arrayIPcLm3EE23TrivialOffsetCalculatorILi2EjESA_ILi1EjENS0_6memory12LoadWithCastILi2EEENSD_13StoreWithCastILi1EEEfJN3c104HalfEfEEEviT0_T1_T2_T3_T4_T5_,@function
_ZN2at6native39vectorized_templated_elementwise_kernelILi8EZZZNS0_33launch_standard_gamma_grad_kernelERNS_18TensorIteratorBaseEENKUlvE_clEvENKUlvE0_clEvEUlffE_St5arrayIPcLm3EE23TrivialOffsetCalculatorILi2EjESA_ILi1EjENS0_6memory12LoadWithCastILi2EEENSD_13StoreWithCastILi1EEEfJN3c104HalfEfEEEviT0_T1_T2_T3_T4_T5_: ; @_ZN2at6native39vectorized_templated_elementwise_kernelILi8EZZZNS0_33launch_standard_gamma_grad_kernelERNS_18TensorIteratorBaseEENKUlvE_clEvENKUlvE0_clEvEUlffE_St5arrayIPcLm3EE23TrivialOffsetCalculatorILi2EjESA_ILi1EjENS0_6memory12LoadWithCastILi2EEENSD_13StoreWithCastILi1EEEfJN3c104HalfEfEEEviT0_T1_T2_T3_T4_T5_
; %bb.0:
	s_add_u32 flat_scratch_lo, s6, s9
	s_addc_u32 flat_scratch_hi, s7, 0
	s_add_u32 s0, s0, s9
	s_mov_b64 s[22:23], s[4:5]
	s_load_dword s4, s[4:5], 0x38
	s_nop 0
	s_load_dwordx2 s[26:27], s[22:23], 0x18
	s_load_dword s5, s[22:23], 0x0
	s_load_dwordx4 s[36:39], s[22:23], 0x8
	s_addc_u32 s1, s1, 0
	s_not_b32 s6, s8
	s_waitcnt lgkmcnt(0)
	s_add_i32 s4, s4, s6
	s_lshl_b32 s4, s4, 14
	s_sub_i32 s25, s5, s4
	s_mov_b32 s24, s8
	v_mov_b32_e32 v34, v0
	s_cmpk_gt_i32 s25, 0x3fff
	s_mov_b64 s[6:7], -1
	s_mov_b32 s32, 0
	s_cbranch_scc1 .LBB182_3
; %bb.1:
	s_andn2_b64 vcc, exec, s[6:7]
	s_cbranch_vccz .LBB182_4
.LBB182_2:
	s_endpgm
.LBB182_3:
	s_ashr_i32 s5, s4, 31
	s_lshl_b64 s[6:7], s[4:5], 1
	s_add_u32 s6, s38, s6
	s_addc_u32 s7, s39, s7
	v_lshlrev_b32_e32 v10, 4, v34
	v_mov_b32_e32 v0, s7
	v_add_co_u32_e32 v11, vcc, s6, v10
	v_addc_co_u32_e32 v12, vcc, 0, v0, vcc
	s_movk_i32 s8, 0x2000
	v_add_co_u32_e32 v0, vcc, s8, v11
	v_addc_co_u32_e32 v1, vcc, 0, v12, vcc
	s_movk_i32 s8, 0x6000
	s_lshl_b64 s[28:29], s[4:5], 2
	global_load_dwordx4 v[2:5], v10, s[6:7]
	global_load_dwordx4 v[6:9], v[0:1], off
	v_or_b32_e32 v18, 0x400, v34
	v_add_co_u32_e32 v0, vcc, s8, v11
	s_add_u32 s4, s26, s28
	v_lshlrev_b32_e32 v19, 4, v18
	v_addc_co_u32_e32 v1, vcc, 0, v12, vcc
	s_addc_u32 s5, s27, s29
	v_lshlrev_b32_e32 v94, 5, v34
	global_load_dwordx4 v[10:13], v19, s[6:7]
	global_load_dwordx4 v[14:17], v[0:1], off
	v_mov_b32_e32 v0, s5
	v_add_co_u32_e32 v19, vcc, s4, v94
	v_addc_co_u32_e32 v20, vcc, 0, v0, vcc
	s_movk_i32 s33, 0x4000
	v_add_co_u32_e32 v0, vcc, s33, v19
	v_addc_co_u32_e32 v1, vcc, 0, v20, vcc
	v_lshlrev_b32_e32 v95, 5, v18
	global_load_dwordx4 v[36:39], v94, s[4:5] offset:16
	global_load_dwordx4 v[40:43], v94, s[4:5]
	global_load_dwordx4 v[44:47], v[0:1], off
	global_load_dwordx4 v[48:51], v[0:1], off offset:16
	global_load_dwordx4 v[52:55], v95, s[4:5] offset:16
	global_load_dwordx4 v[56:59], v95, s[4:5]
	s_mov_b32 s4, 0xc000
	v_add_co_u32_e32 v0, vcc, s4, v19
	v_addc_co_u32_e32 v1, vcc, 0, v20, vcc
	global_load_dwordx4 v[60:63], v[0:1], off
	global_load_dwordx4 v[30:33], v[0:1], off offset:16
	s_getpc_b64 s[34:35]
	s_add_u32 s34, s34, _ZZZZN2at6native33launch_standard_gamma_grad_kernelERNS_18TensorIteratorBaseEENKUlvE_clEvENKUlvE0_clEvENKUlffE_clEff@rel32@lo+4
	s_addc_u32 s35, s35, _ZZZZN2at6native33launch_standard_gamma_grad_kernelERNS_18TensorIteratorBaseEENKUlvE_clEvENKUlvE0_clEvENKUlffE_clEff@rel32@hi+12
	s_waitcnt vmcnt(11)
	v_cvt_f32_f16_e32 v0, v2
	v_cvt_f32_f16_sdwa v35, v2 dst_sel:DWORD dst_unused:UNUSED_PAD src0_sel:WORD_1
	v_cvt_f32_f16_e32 v64, v3
	v_cvt_f32_f16_sdwa v65, v3 dst_sel:DWORD dst_unused:UNUSED_PAD src0_sel:WORD_1
	;; [unrolled: 2-line block ×4, first 2 shown]
	s_waitcnt vmcnt(10)
	v_cvt_f32_f16_e32 v78, v6
	v_cvt_f32_f16_sdwa v79, v6 dst_sel:DWORD dst_unused:UNUSED_PAD src0_sel:WORD_1
	s_waitcnt vmcnt(9)
	v_cvt_f32_f16_e32 v70, v10
	v_cvt_f32_f16_sdwa v71, v10 dst_sel:DWORD dst_unused:UNUSED_PAD src0_sel:WORD_1
	v_cvt_f32_f16_e32 v72, v11
	v_cvt_f32_f16_sdwa v73, v11 dst_sel:DWORD dst_unused:UNUSED_PAD src0_sel:WORD_1
	;; [unrolled: 2-line block ×6, first 2 shown]
	v_cvt_f32_f16_e32 v84, v9
	s_waitcnt vmcnt(6)
	v_mov_b32_e32 v1, v40
	v_cvt_f32_f16_sdwa v85, v9 dst_sel:DWORD dst_unused:UNUSED_PAD src0_sel:WORD_1
	v_cvt_f32_f16_e32 v86, v14
	v_cvt_f32_f16_sdwa v87, v14 dst_sel:DWORD dst_unused:UNUSED_PAD src0_sel:WORD_1
	v_cvt_f32_f16_e32 v88, v15
	;; [unrolled: 2-line block ×4, first 2 shown]
	v_cvt_f32_f16_sdwa v93, v17 dst_sel:DWORD dst_unused:UNUSED_PAD src0_sel:WORD_1
	s_swappc_b64 s[30:31], s[34:35]
	v_mov_b32_e32 v40, v0
	v_mov_b32_e32 v0, v35
	v_mov_b32_e32 v1, v41
	s_swappc_b64 s[30:31], s[34:35]
	v_mov_b32_e32 v41, v0
	v_mov_b32_e32 v0, v64
	v_mov_b32_e32 v1, v42
	;; [unrolled: 4-line block ×31, first 2 shown]
	s_swappc_b64 s[30:31], s[34:35]
	s_add_u32 s4, s36, s28
	s_addc_u32 s5, s37, s29
	v_mov_b32_e32 v33, v0
	v_mov_b32_e32 v0, s5
	v_add_co_u32_e32 v2, vcc, s4, v94
	v_addc_co_u32_e32 v3, vcc, 0, v0, vcc
	v_add_co_u32_e32 v0, vcc, s33, v2
	v_addc_co_u32_e32 v1, vcc, 0, v3, vcc
	global_store_dwordx4 v94, v[40:43], s[4:5]
	global_store_dwordx4 v94, v[36:39], s[4:5] offset:16
	global_store_dwordx4 v[0:1], v[44:47], off
	global_store_dwordx4 v[0:1], v[48:51], off offset:16
	global_store_dwordx4 v95, v[56:59], s[4:5]
	global_store_dwordx4 v95, v[52:55], s[4:5] offset:16
	v_add_co_u32_e32 v0, vcc, 0xc000, v2
	v_addc_co_u32_e32 v1, vcc, 0, v3, vcc
	global_store_dwordx4 v[0:1], v[60:63], off
	global_store_dwordx4 v[0:1], v[30:33], off offset:16
	s_cbranch_execnz .LBB182_2
.LBB182_4:
	s_load_dword s13, s[22:23], 0x24
	s_load_dwordx4 s[4:7], s[22:23], 0x28
	s_add_u32 s8, s22, 56
	s_addc_u32 s9, s23, 0
	s_mov_b32 s12, s24
	s_waitcnt lgkmcnt(0)
	v_lshrrev_b16_e64 v8, 8, s13
	v_mov_b32_e32 v31, v34
	v_mov_b32_e32 v0, s36
	;; [unrolled: 1-line block ×13, first 2 shown]
	s_getpc_b64 s[10:11]
	s_add_u32 s10, s10, _ZN2at6native25elementwise_kernel_helperILb1EZZZNS0_33launch_standard_gamma_grad_kernelERNS_18TensorIteratorBaseEENKUlvE_clEvENKUlvE0_clEvEUlffE_NS0_6memory8policies11unroll_baseILi512ESt5arrayIPcLm3EE23TrivialOffsetCalculatorILi2EjESD_ILi1EjENS7_12LoadWithCastILi2EEENS7_13StoreWithCastILi1EEELi32ELi1EEEEEvT0_T1_@rel32@lo+4
	s_addc_u32 s11, s11, _ZN2at6native25elementwise_kernel_helperILb1EZZZNS0_33launch_standard_gamma_grad_kernelERNS_18TensorIteratorBaseEENKUlvE_clEvENKUlvE0_clEvEUlffE_NS0_6memory8policies11unroll_baseILi512ESt5arrayIPcLm3EE23TrivialOffsetCalculatorILi2EjESD_ILi1EjENS7_12LoadWithCastILi2EEENS7_13StoreWithCastILi1EEELi32ELi1EEEEEvT0_T1_@rel32@hi+12
	s_swappc_b64 s[30:31], s[10:11]
	s_endpgm
	.section	.rodata,"a",@progbits
	.p2align	6, 0x0
	.amdhsa_kernel _ZN2at6native39vectorized_templated_elementwise_kernelILi8EZZZNS0_33launch_standard_gamma_grad_kernelERNS_18TensorIteratorBaseEENKUlvE_clEvENKUlvE0_clEvEUlffE_St5arrayIPcLm3EE23TrivialOffsetCalculatorILi2EjESA_ILi1EjENS0_6memory12LoadWithCastILi2EEENSD_13StoreWithCastILi1EEEfJN3c104HalfEfEEEviT0_T1_T2_T3_T4_T5_
		.amdhsa_group_segment_fixed_size 0
		.amdhsa_private_segment_fixed_size 288
		.amdhsa_kernarg_size 312
		.amdhsa_user_sgpr_count 8
		.amdhsa_user_sgpr_private_segment_buffer 1
		.amdhsa_user_sgpr_dispatch_ptr 0
		.amdhsa_user_sgpr_queue_ptr 0
		.amdhsa_user_sgpr_kernarg_segment_ptr 1
		.amdhsa_user_sgpr_dispatch_id 0
		.amdhsa_user_sgpr_flat_scratch_init 1
		.amdhsa_user_sgpr_kernarg_preload_length 0
		.amdhsa_user_sgpr_kernarg_preload_offset 0
		.amdhsa_user_sgpr_private_segment_size 0
		.amdhsa_uses_dynamic_stack 0
		.amdhsa_system_sgpr_private_segment_wavefront_offset 1
		.amdhsa_system_sgpr_workgroup_id_x 1
		.amdhsa_system_sgpr_workgroup_id_y 0
		.amdhsa_system_sgpr_workgroup_id_z 0
		.amdhsa_system_sgpr_workgroup_info 0
		.amdhsa_system_vgpr_workitem_id 0
		.amdhsa_next_free_vgpr 138
		.amdhsa_next_free_sgpr 98
		.amdhsa_accum_offset 120
		.amdhsa_reserve_vcc 1
		.amdhsa_reserve_flat_scratch 1
		.amdhsa_float_round_mode_32 0
		.amdhsa_float_round_mode_16_64 0
		.amdhsa_float_denorm_mode_32 3
		.amdhsa_float_denorm_mode_16_64 3
		.amdhsa_dx10_clamp 1
		.amdhsa_ieee_mode 1
		.amdhsa_fp16_overflow 0
		.amdhsa_tg_split 0
		.amdhsa_exception_fp_ieee_invalid_op 0
		.amdhsa_exception_fp_denorm_src 0
		.amdhsa_exception_fp_ieee_div_zero 0
		.amdhsa_exception_fp_ieee_overflow 0
		.amdhsa_exception_fp_ieee_underflow 0
		.amdhsa_exception_fp_ieee_inexact 0
		.amdhsa_exception_int_div_zero 0
	.end_amdhsa_kernel
	.section	.text._ZN2at6native39vectorized_templated_elementwise_kernelILi8EZZZNS0_33launch_standard_gamma_grad_kernelERNS_18TensorIteratorBaseEENKUlvE_clEvENKUlvE0_clEvEUlffE_St5arrayIPcLm3EE23TrivialOffsetCalculatorILi2EjESA_ILi1EjENS0_6memory12LoadWithCastILi2EEENSD_13StoreWithCastILi1EEEfJN3c104HalfEfEEEviT0_T1_T2_T3_T4_T5_,"axG",@progbits,_ZN2at6native39vectorized_templated_elementwise_kernelILi8EZZZNS0_33launch_standard_gamma_grad_kernelERNS_18TensorIteratorBaseEENKUlvE_clEvENKUlvE0_clEvEUlffE_St5arrayIPcLm3EE23TrivialOffsetCalculatorILi2EjESA_ILi1EjENS0_6memory12LoadWithCastILi2EEENSD_13StoreWithCastILi1EEEfJN3c104HalfEfEEEviT0_T1_T2_T3_T4_T5_,comdat
.Lfunc_end182:
	.size	_ZN2at6native39vectorized_templated_elementwise_kernelILi8EZZZNS0_33launch_standard_gamma_grad_kernelERNS_18TensorIteratorBaseEENKUlvE_clEvENKUlvE0_clEvEUlffE_St5arrayIPcLm3EE23TrivialOffsetCalculatorILi2EjESA_ILi1EjENS0_6memory12LoadWithCastILi2EEENSD_13StoreWithCastILi1EEEfJN3c104HalfEfEEEviT0_T1_T2_T3_T4_T5_, .Lfunc_end182-_ZN2at6native39vectorized_templated_elementwise_kernelILi8EZZZNS0_33launch_standard_gamma_grad_kernelERNS_18TensorIteratorBaseEENKUlvE_clEvENKUlvE0_clEvEUlffE_St5arrayIPcLm3EE23TrivialOffsetCalculatorILi2EjESA_ILi1EjENS0_6memory12LoadWithCastILi2EEENSD_13StoreWithCastILi1EEEfJN3c104HalfEfEEEviT0_T1_T2_T3_T4_T5_
                                        ; -- End function
	.section	.AMDGPU.csdata,"",@progbits
; Kernel info:
; codeLenInByte = 1300
; NumSgprs: 104
; NumVgprs: 120
; NumAgprs: 18
; TotalNumVgprs: 138
; ScratchSize: 288
; MemoryBound: 0
; FloatMode: 240
; IeeeMode: 1
; LDSByteSize: 0 bytes/workgroup (compile time only)
; SGPRBlocks: 12
; VGPRBlocks: 17
; NumSGPRsForWavesPerEU: 104
; NumVGPRsForWavesPerEU: 138
; AccumOffset: 120
; Occupancy: 3
; WaveLimiterHint : 0
; COMPUTE_PGM_RSRC2:SCRATCH_EN: 1
; COMPUTE_PGM_RSRC2:USER_SGPR: 8
; COMPUTE_PGM_RSRC2:TRAP_HANDLER: 0
; COMPUTE_PGM_RSRC2:TGID_X_EN: 1
; COMPUTE_PGM_RSRC2:TGID_Y_EN: 0
; COMPUTE_PGM_RSRC2:TGID_Z_EN: 0
; COMPUTE_PGM_RSRC2:TIDIG_COMP_CNT: 0
; COMPUTE_PGM_RSRC3_GFX90A:ACCUM_OFFSET: 29
; COMPUTE_PGM_RSRC3_GFX90A:TG_SPLIT: 0
	.section	.text._ZN2at6native39vectorized_templated_elementwise_kernelILi4EZZZNS0_33launch_standard_gamma_grad_kernelERNS_18TensorIteratorBaseEENKUlvE_clEvENKUlvE0_clEvEUlffE_St5arrayIPcLm3EE23TrivialOffsetCalculatorILi2EjESA_ILi1EjENS0_6memory12LoadWithCastILi2EEENSD_13StoreWithCastILi1EEEfJN3c104HalfEfEEEviT0_T1_T2_T3_T4_T5_,"axG",@progbits,_ZN2at6native39vectorized_templated_elementwise_kernelILi4EZZZNS0_33launch_standard_gamma_grad_kernelERNS_18TensorIteratorBaseEENKUlvE_clEvENKUlvE0_clEvEUlffE_St5arrayIPcLm3EE23TrivialOffsetCalculatorILi2EjESA_ILi1EjENS0_6memory12LoadWithCastILi2EEENSD_13StoreWithCastILi1EEEfJN3c104HalfEfEEEviT0_T1_T2_T3_T4_T5_,comdat
	.globl	_ZN2at6native39vectorized_templated_elementwise_kernelILi4EZZZNS0_33launch_standard_gamma_grad_kernelERNS_18TensorIteratorBaseEENKUlvE_clEvENKUlvE0_clEvEUlffE_St5arrayIPcLm3EE23TrivialOffsetCalculatorILi2EjESA_ILi1EjENS0_6memory12LoadWithCastILi2EEENSD_13StoreWithCastILi1EEEfJN3c104HalfEfEEEviT0_T1_T2_T3_T4_T5_ ; -- Begin function _ZN2at6native39vectorized_templated_elementwise_kernelILi4EZZZNS0_33launch_standard_gamma_grad_kernelERNS_18TensorIteratorBaseEENKUlvE_clEvENKUlvE0_clEvEUlffE_St5arrayIPcLm3EE23TrivialOffsetCalculatorILi2EjESA_ILi1EjENS0_6memory12LoadWithCastILi2EEENSD_13StoreWithCastILi1EEEfJN3c104HalfEfEEEviT0_T1_T2_T3_T4_T5_
	.p2align	8
	.type	_ZN2at6native39vectorized_templated_elementwise_kernelILi4EZZZNS0_33launch_standard_gamma_grad_kernelERNS_18TensorIteratorBaseEENKUlvE_clEvENKUlvE0_clEvEUlffE_St5arrayIPcLm3EE23TrivialOffsetCalculatorILi2EjESA_ILi1EjENS0_6memory12LoadWithCastILi2EEENSD_13StoreWithCastILi1EEEfJN3c104HalfEfEEEviT0_T1_T2_T3_T4_T5_,@function
_ZN2at6native39vectorized_templated_elementwise_kernelILi4EZZZNS0_33launch_standard_gamma_grad_kernelERNS_18TensorIteratorBaseEENKUlvE_clEvENKUlvE0_clEvEUlffE_St5arrayIPcLm3EE23TrivialOffsetCalculatorILi2EjESA_ILi1EjENS0_6memory12LoadWithCastILi2EEENSD_13StoreWithCastILi1EEEfJN3c104HalfEfEEEviT0_T1_T2_T3_T4_T5_: ; @_ZN2at6native39vectorized_templated_elementwise_kernelILi4EZZZNS0_33launch_standard_gamma_grad_kernelERNS_18TensorIteratorBaseEENKUlvE_clEvENKUlvE0_clEvEUlffE_St5arrayIPcLm3EE23TrivialOffsetCalculatorILi2EjESA_ILi1EjENS0_6memory12LoadWithCastILi2EEENSD_13StoreWithCastILi1EEEfJN3c104HalfEfEEEviT0_T1_T2_T3_T4_T5_
; %bb.0:
	s_add_u32 flat_scratch_lo, s6, s9
	s_addc_u32 flat_scratch_hi, s7, 0
	s_add_u32 s0, s0, s9
	s_mov_b64 s[22:23], s[4:5]
	s_load_dword s4, s[4:5], 0x38
	s_nop 0
	s_load_dwordx2 s[26:27], s[22:23], 0x18
	s_load_dword s5, s[22:23], 0x0
	s_load_dwordx4 s[36:39], s[22:23], 0x8
	s_addc_u32 s1, s1, 0
	s_not_b32 s6, s8
	s_waitcnt lgkmcnt(0)
	s_add_i32 s4, s4, s6
	s_lshl_b32 s4, s4, 14
	s_sub_i32 s25, s5, s4
	s_mov_b32 s24, s8
	v_mov_b32_e32 v34, v0
	s_cmpk_gt_i32 s25, 0x3fff
	s_mov_b64 s[6:7], -1
	s_mov_b32 s32, 0
	s_cbranch_scc1 .LBB183_3
; %bb.1:
	s_andn2_b64 vcc, exec, s[6:7]
	s_cbranch_vccz .LBB183_4
.LBB183_2:
	s_endpgm
.LBB183_3:
	s_ashr_i32 s5, s4, 31
	s_lshl_b64 s[6:7], s[4:5], 1
	s_add_u32 s6, s38, s6
	s_addc_u32 s7, s39, s7
	v_lshlrev_b32_e32 v12, 3, v34
	v_mov_b32_e32 v0, s7
	v_add_co_u32_e32 v13, vcc, s6, v12
	v_addc_co_u32_e32 v14, vcc, 0, v0, vcc
	s_movk_i32 s8, 0x1000
	v_add_co_u32_e32 v0, vcc, s8, v13
	v_addc_co_u32_e32 v1, vcc, 0, v14, vcc
	s_movk_i32 s8, 0x3000
	v_add_co_u32_e32 v2, vcc, s8, v13
	v_or_b32_e32 v20, 0x400, v34
	v_addc_co_u32_e32 v3, vcc, 0, v14, vcc
	s_movk_i32 s8, 0x5000
	v_lshlrev_b32_e32 v15, 3, v20
	global_load_dwordx2 v[4:5], v12, s[6:7]
	global_load_dwordx2 v[6:7], v[0:1], off
	global_load_dwordx2 v[8:9], v15, s[6:7]
	global_load_dwordx2 v[10:11], v[2:3], off
	v_add_co_u32_e32 v0, vcc, s8, v13
	v_addc_co_u32_e32 v1, vcc, 0, v14, vcc
	s_movk_i32 s8, 0x7000
	s_lshl_b64 s[28:29], s[4:5], 2
	v_or_b32_e32 v21, 0x800, v34
	v_add_co_u32_e32 v2, vcc, s8, v13
	s_add_u32 s4, s26, s28
	v_lshlrev_b32_e32 v22, 3, v21
	v_or_b32_e32 v23, 0xc00, v34
	v_addc_co_u32_e32 v3, vcc, 0, v14, vcc
	s_addc_u32 s5, s27, s29
	v_lshlrev_b32_e32 v94, 4, v34
	v_lshlrev_b32_e32 v24, 3, v23
	global_load_dwordx2 v[12:13], v22, s[6:7]
	global_load_dwordx2 v[14:15], v[0:1], off
	global_load_dwordx2 v[16:17], v24, s[6:7]
	global_load_dwordx2 v[18:19], v[2:3], off
	v_mov_b32_e32 v0, s5
	v_add_co_u32_e32 v2, vcc, s4, v94
	v_addc_co_u32_e32 v3, vcc, 0, v0, vcc
	s_movk_i32 s33, 0x2000
	v_add_co_u32_e32 v0, vcc, s33, v2
	v_addc_co_u32_e32 v1, vcc, 0, v3, vcc
	s_movk_i32 s40, 0x6000
	global_load_dwordx4 v[36:39], v94, s[4:5]
	global_load_dwordx4 v[40:43], v[0:1], off
	v_add_co_u32_e32 v0, vcc, s40, v2
	v_lshlrev_b32_e32 v95, 4, v20
	v_addc_co_u32_e32 v1, vcc, 0, v3, vcc
	s_mov_b32 s6, 0xa000
	global_load_dwordx4 v[44:47], v95, s[4:5]
	global_load_dwordx4 v[48:51], v[0:1], off
	v_add_co_u32_e32 v0, vcc, s6, v2
	v_lshlrev_b32_e32 v96, 4, v21
	v_addc_co_u32_e32 v1, vcc, 0, v3, vcc
	global_load_dwordx4 v[52:55], v96, s[4:5]
	global_load_dwordx4 v[56:59], v[0:1], off
	v_lshlrev_b32_e32 v97, 4, v23
	v_add_co_u32_e32 v0, vcc, 0xe000, v2
	v_addc_co_u32_e32 v1, vcc, 0, v3, vcc
	global_load_dwordx4 v[60:63], v97, s[4:5]
	global_load_dwordx4 v[30:33], v[0:1], off
	s_getpc_b64 s[34:35]
	s_add_u32 s34, s34, _ZZZZN2at6native33launch_standard_gamma_grad_kernelERNS_18TensorIteratorBaseEENKUlvE_clEvENKUlvE0_clEvENKUlffE_clEff@rel32@lo+4
	s_addc_u32 s35, s35, _ZZZZN2at6native33launch_standard_gamma_grad_kernelERNS_18TensorIteratorBaseEENKUlvE_clEvENKUlvE0_clEvENKUlffE_clEff@rel32@hi+12
	s_waitcnt vmcnt(15)
	v_cvt_f32_f16_e32 v0, v4
	v_cvt_f32_f16_sdwa v35, v4 dst_sel:DWORD dst_unused:UNUSED_PAD src0_sel:WORD_1
	v_cvt_f32_f16_e32 v64, v5
	v_cvt_f32_f16_sdwa v65, v5 dst_sel:DWORD dst_unused:UNUSED_PAD src0_sel:WORD_1
	s_waitcnt vmcnt(14)
	v_cvt_f32_f16_e32 v66, v6
	v_cvt_f32_f16_sdwa v67, v6 dst_sel:DWORD dst_unused:UNUSED_PAD src0_sel:WORD_1
	v_cvt_f32_f16_e32 v68, v7
	v_cvt_f32_f16_sdwa v69, v7 dst_sel:DWORD dst_unused:UNUSED_PAD src0_sel:WORD_1
	;; [unrolled: 5-line block ×7, first 2 shown]
	s_waitcnt vmcnt(8)
	v_cvt_f32_f16_e32 v90, v18
	v_cvt_f32_f16_sdwa v91, v18 dst_sel:DWORD dst_unused:UNUSED_PAD src0_sel:WORD_1
	s_waitcnt vmcnt(7)
	v_mov_b32_e32 v1, v36
	v_cvt_f32_f16_e32 v92, v19
	v_cvt_f32_f16_sdwa v93, v19 dst_sel:DWORD dst_unused:UNUSED_PAD src0_sel:WORD_1
	s_swappc_b64 s[30:31], s[34:35]
	v_mov_b32_e32 v36, v0
	v_mov_b32_e32 v0, v35
	v_mov_b32_e32 v1, v37
	s_swappc_b64 s[30:31], s[34:35]
	v_mov_b32_e32 v37, v0
	v_mov_b32_e32 v0, v64
	v_mov_b32_e32 v1, v38
	;; [unrolled: 4-line block ×31, first 2 shown]
	s_swappc_b64 s[30:31], s[34:35]
	s_add_u32 s4, s36, s28
	s_addc_u32 s5, s37, s29
	v_mov_b32_e32 v33, v0
	v_mov_b32_e32 v0, s5
	v_add_co_u32_e32 v2, vcc, s4, v94
	v_addc_co_u32_e32 v3, vcc, 0, v0, vcc
	v_add_co_u32_e32 v0, vcc, s33, v2
	v_addc_co_u32_e32 v1, vcc, 0, v3, vcc
	global_store_dwordx4 v94, v[36:39], s[4:5]
	global_store_dwordx4 v[0:1], v[40:43], off
	global_store_dwordx4 v95, v[44:47], s[4:5]
	v_add_co_u32_e32 v0, vcc, s40, v2
	v_addc_co_u32_e32 v1, vcc, 0, v3, vcc
	global_store_dwordx4 v[0:1], v[48:51], off
	global_store_dwordx4 v96, v[52:55], s[4:5]
	v_add_co_u32_e32 v0, vcc, 0xa000, v2
	v_addc_co_u32_e32 v1, vcc, 0, v3, vcc
	;; [unrolled: 4-line block ×3, first 2 shown]
	global_store_dwordx4 v[0:1], v[30:33], off
	s_cbranch_execnz .LBB183_2
.LBB183_4:
	s_load_dword s13, s[22:23], 0x24
	s_load_dwordx4 s[4:7], s[22:23], 0x28
	s_add_u32 s8, s22, 56
	s_addc_u32 s9, s23, 0
	s_mov_b32 s12, s24
	s_waitcnt lgkmcnt(0)
	v_lshrrev_b16_e64 v8, 8, s13
	v_mov_b32_e32 v31, v34
	v_mov_b32_e32 v0, s36
	;; [unrolled: 1-line block ×13, first 2 shown]
	s_getpc_b64 s[10:11]
	s_add_u32 s10, s10, _ZN2at6native25elementwise_kernel_helperILb1EZZZNS0_33launch_standard_gamma_grad_kernelERNS_18TensorIteratorBaseEENKUlvE_clEvENKUlvE0_clEvEUlffE_NS0_6memory8policies11unroll_baseILi512ESt5arrayIPcLm3EE23TrivialOffsetCalculatorILi2EjESD_ILi1EjENS7_12LoadWithCastILi2EEENS7_13StoreWithCastILi1EEELi32ELi1EEEEEvT0_T1_@rel32@lo+4
	s_addc_u32 s11, s11, _ZN2at6native25elementwise_kernel_helperILb1EZZZNS0_33launch_standard_gamma_grad_kernelERNS_18TensorIteratorBaseEENKUlvE_clEvENKUlvE0_clEvEUlffE_NS0_6memory8policies11unroll_baseILi512ESt5arrayIPcLm3EE23TrivialOffsetCalculatorILi2EjESD_ILi1EjENS7_12LoadWithCastILi2EEENS7_13StoreWithCastILi1EEELi32ELi1EEEEEvT0_T1_@rel32@hi+12
	s_swappc_b64 s[30:31], s[10:11]
	s_endpgm
	.section	.rodata,"a",@progbits
	.p2align	6, 0x0
	.amdhsa_kernel _ZN2at6native39vectorized_templated_elementwise_kernelILi4EZZZNS0_33launch_standard_gamma_grad_kernelERNS_18TensorIteratorBaseEENKUlvE_clEvENKUlvE0_clEvEUlffE_St5arrayIPcLm3EE23TrivialOffsetCalculatorILi2EjESA_ILi1EjENS0_6memory12LoadWithCastILi2EEENSD_13StoreWithCastILi1EEEfJN3c104HalfEfEEEviT0_T1_T2_T3_T4_T5_
		.amdhsa_group_segment_fixed_size 0
		.amdhsa_private_segment_fixed_size 288
		.amdhsa_kernarg_size 312
		.amdhsa_user_sgpr_count 8
		.amdhsa_user_sgpr_private_segment_buffer 1
		.amdhsa_user_sgpr_dispatch_ptr 0
		.amdhsa_user_sgpr_queue_ptr 0
		.amdhsa_user_sgpr_kernarg_segment_ptr 1
		.amdhsa_user_sgpr_dispatch_id 0
		.amdhsa_user_sgpr_flat_scratch_init 1
		.amdhsa_user_sgpr_kernarg_preload_length 0
		.amdhsa_user_sgpr_kernarg_preload_offset 0
		.amdhsa_user_sgpr_private_segment_size 0
		.amdhsa_uses_dynamic_stack 0
		.amdhsa_system_sgpr_private_segment_wavefront_offset 1
		.amdhsa_system_sgpr_workgroup_id_x 1
		.amdhsa_system_sgpr_workgroup_id_y 0
		.amdhsa_system_sgpr_workgroup_id_z 0
		.amdhsa_system_sgpr_workgroup_info 0
		.amdhsa_system_vgpr_workitem_id 0
		.amdhsa_next_free_vgpr 138
		.amdhsa_next_free_sgpr 98
		.amdhsa_accum_offset 120
		.amdhsa_reserve_vcc 1
		.amdhsa_reserve_flat_scratch 1
		.amdhsa_float_round_mode_32 0
		.amdhsa_float_round_mode_16_64 0
		.amdhsa_float_denorm_mode_32 3
		.amdhsa_float_denorm_mode_16_64 3
		.amdhsa_dx10_clamp 1
		.amdhsa_ieee_mode 1
		.amdhsa_fp16_overflow 0
		.amdhsa_tg_split 0
		.amdhsa_exception_fp_ieee_invalid_op 0
		.amdhsa_exception_fp_denorm_src 0
		.amdhsa_exception_fp_ieee_div_zero 0
		.amdhsa_exception_fp_ieee_overflow 0
		.amdhsa_exception_fp_ieee_underflow 0
		.amdhsa_exception_fp_ieee_inexact 0
		.amdhsa_exception_int_div_zero 0
	.end_amdhsa_kernel
	.section	.text._ZN2at6native39vectorized_templated_elementwise_kernelILi4EZZZNS0_33launch_standard_gamma_grad_kernelERNS_18TensorIteratorBaseEENKUlvE_clEvENKUlvE0_clEvEUlffE_St5arrayIPcLm3EE23TrivialOffsetCalculatorILi2EjESA_ILi1EjENS0_6memory12LoadWithCastILi2EEENSD_13StoreWithCastILi1EEEfJN3c104HalfEfEEEviT0_T1_T2_T3_T4_T5_,"axG",@progbits,_ZN2at6native39vectorized_templated_elementwise_kernelILi4EZZZNS0_33launch_standard_gamma_grad_kernelERNS_18TensorIteratorBaseEENKUlvE_clEvENKUlvE0_clEvEUlffE_St5arrayIPcLm3EE23TrivialOffsetCalculatorILi2EjESA_ILi1EjENS0_6memory12LoadWithCastILi2EEENSD_13StoreWithCastILi1EEEfJN3c104HalfEfEEEviT0_T1_T2_T3_T4_T5_,comdat
.Lfunc_end183:
	.size	_ZN2at6native39vectorized_templated_elementwise_kernelILi4EZZZNS0_33launch_standard_gamma_grad_kernelERNS_18TensorIteratorBaseEENKUlvE_clEvENKUlvE0_clEvEUlffE_St5arrayIPcLm3EE23TrivialOffsetCalculatorILi2EjESA_ILi1EjENS0_6memory12LoadWithCastILi2EEENSD_13StoreWithCastILi1EEEfJN3c104HalfEfEEEviT0_T1_T2_T3_T4_T5_, .Lfunc_end183-_ZN2at6native39vectorized_templated_elementwise_kernelILi4EZZZNS0_33launch_standard_gamma_grad_kernelERNS_18TensorIteratorBaseEENKUlvE_clEvENKUlvE0_clEvEUlffE_St5arrayIPcLm3EE23TrivialOffsetCalculatorILi2EjESA_ILi1EjENS0_6memory12LoadWithCastILi2EEENSD_13StoreWithCastILi1EEEfJN3c104HalfEfEEEviT0_T1_T2_T3_T4_T5_
                                        ; -- End function
	.section	.AMDGPU.csdata,"",@progbits
; Kernel info:
; codeLenInByte = 1452
; NumSgprs: 104
; NumVgprs: 120
; NumAgprs: 18
; TotalNumVgprs: 138
; ScratchSize: 288
; MemoryBound: 0
; FloatMode: 240
; IeeeMode: 1
; LDSByteSize: 0 bytes/workgroup (compile time only)
; SGPRBlocks: 12
; VGPRBlocks: 17
; NumSGPRsForWavesPerEU: 104
; NumVGPRsForWavesPerEU: 138
; AccumOffset: 120
; Occupancy: 3
; WaveLimiterHint : 0
; COMPUTE_PGM_RSRC2:SCRATCH_EN: 1
; COMPUTE_PGM_RSRC2:USER_SGPR: 8
; COMPUTE_PGM_RSRC2:TRAP_HANDLER: 0
; COMPUTE_PGM_RSRC2:TGID_X_EN: 1
; COMPUTE_PGM_RSRC2:TGID_Y_EN: 0
; COMPUTE_PGM_RSRC2:TGID_Z_EN: 0
; COMPUTE_PGM_RSRC2:TIDIG_COMP_CNT: 0
; COMPUTE_PGM_RSRC3_GFX90A:ACCUM_OFFSET: 29
; COMPUTE_PGM_RSRC3_GFX90A:TG_SPLIT: 0
	.section	.text._ZN2at6native39vectorized_templated_elementwise_kernelILi2EZZZNS0_33launch_standard_gamma_grad_kernelERNS_18TensorIteratorBaseEENKUlvE_clEvENKUlvE0_clEvEUlffE_St5arrayIPcLm3EE23TrivialOffsetCalculatorILi2EjESA_ILi1EjENS0_6memory12LoadWithCastILi2EEENSD_13StoreWithCastILi1EEEfJN3c104HalfEfEEEviT0_T1_T2_T3_T4_T5_,"axG",@progbits,_ZN2at6native39vectorized_templated_elementwise_kernelILi2EZZZNS0_33launch_standard_gamma_grad_kernelERNS_18TensorIteratorBaseEENKUlvE_clEvENKUlvE0_clEvEUlffE_St5arrayIPcLm3EE23TrivialOffsetCalculatorILi2EjESA_ILi1EjENS0_6memory12LoadWithCastILi2EEENSD_13StoreWithCastILi1EEEfJN3c104HalfEfEEEviT0_T1_T2_T3_T4_T5_,comdat
	.globl	_ZN2at6native39vectorized_templated_elementwise_kernelILi2EZZZNS0_33launch_standard_gamma_grad_kernelERNS_18TensorIteratorBaseEENKUlvE_clEvENKUlvE0_clEvEUlffE_St5arrayIPcLm3EE23TrivialOffsetCalculatorILi2EjESA_ILi1EjENS0_6memory12LoadWithCastILi2EEENSD_13StoreWithCastILi1EEEfJN3c104HalfEfEEEviT0_T1_T2_T3_T4_T5_ ; -- Begin function _ZN2at6native39vectorized_templated_elementwise_kernelILi2EZZZNS0_33launch_standard_gamma_grad_kernelERNS_18TensorIteratorBaseEENKUlvE_clEvENKUlvE0_clEvEUlffE_St5arrayIPcLm3EE23TrivialOffsetCalculatorILi2EjESA_ILi1EjENS0_6memory12LoadWithCastILi2EEENSD_13StoreWithCastILi1EEEfJN3c104HalfEfEEEviT0_T1_T2_T3_T4_T5_
	.p2align	8
	.type	_ZN2at6native39vectorized_templated_elementwise_kernelILi2EZZZNS0_33launch_standard_gamma_grad_kernelERNS_18TensorIteratorBaseEENKUlvE_clEvENKUlvE0_clEvEUlffE_St5arrayIPcLm3EE23TrivialOffsetCalculatorILi2EjESA_ILi1EjENS0_6memory12LoadWithCastILi2EEENSD_13StoreWithCastILi1EEEfJN3c104HalfEfEEEviT0_T1_T2_T3_T4_T5_,@function
_ZN2at6native39vectorized_templated_elementwise_kernelILi2EZZZNS0_33launch_standard_gamma_grad_kernelERNS_18TensorIteratorBaseEENKUlvE_clEvENKUlvE0_clEvEUlffE_St5arrayIPcLm3EE23TrivialOffsetCalculatorILi2EjESA_ILi1EjENS0_6memory12LoadWithCastILi2EEENSD_13StoreWithCastILi1EEEfJN3c104HalfEfEEEviT0_T1_T2_T3_T4_T5_: ; @_ZN2at6native39vectorized_templated_elementwise_kernelILi2EZZZNS0_33launch_standard_gamma_grad_kernelERNS_18TensorIteratorBaseEENKUlvE_clEvENKUlvE0_clEvEUlffE_St5arrayIPcLm3EE23TrivialOffsetCalculatorILi2EjESA_ILi1EjENS0_6memory12LoadWithCastILi2EEENSD_13StoreWithCastILi1EEEfJN3c104HalfEfEEEviT0_T1_T2_T3_T4_T5_
; %bb.0:
	s_add_u32 flat_scratch_lo, s6, s9
	s_addc_u32 flat_scratch_hi, s7, 0
	s_add_u32 s0, s0, s9
	s_mov_b64 s[22:23], s[4:5]
	s_load_dword s4, s[4:5], 0x38
	s_nop 0
	s_load_dwordx2 s[26:27], s[22:23], 0x18
	s_load_dword s5, s[22:23], 0x0
	s_load_dwordx4 s[36:39], s[22:23], 0x8
	s_addc_u32 s1, s1, 0
	s_not_b32 s6, s8
	s_waitcnt lgkmcnt(0)
	s_add_i32 s4, s4, s6
	s_lshl_b32 s4, s4, 14
	s_sub_i32 s25, s5, s4
	s_mov_b32 s24, s8
	v_mov_b32_e32 v32, v0
	s_cmpk_gt_i32 s25, 0x3fff
	s_mov_b64 s[6:7], -1
	s_mov_b32 s32, 0
	s_cbranch_scc1 .LBB184_3
; %bb.1:
	s_andn2_b64 vcc, exec, s[6:7]
	s_cbranch_vccz .LBB184_4
.LBB184_2:
	s_endpgm
.LBB184_3:
	s_ashr_i32 s5, s4, 31
	s_lshl_b64 s[6:7], s[4:5], 1
	s_add_u32 s6, s38, s6
	s_addc_u32 s7, s39, s7
	v_lshlrev_b32_e32 v6, 2, v32
	v_mov_b32_e32 v0, s7
	v_add_co_u32_e32 v7, vcc, s6, v6
	v_addc_co_u32_e32 v8, vcc, 0, v0, vcc
	s_movk_i32 s33, 0x1000
	v_add_co_u32_e32 v0, vcc, s33, v7
	v_addc_co_u32_e32 v1, vcc, 0, v8, vcc
	s_movk_i32 s8, 0x2000
	;; [unrolled: 3-line block ×3, first 2 shown]
	v_add_co_u32_e32 v4, vcc, s40, v7
	v_or_b32_e32 v9, 0x400, v32
	v_or_b32_e32 v11, 0x800, v32
	;; [unrolled: 1-line block ×3, first 2 shown]
	v_addc_co_u32_e32 v5, vcc, 0, v8, vcc
	s_movk_i32 s8, 0x4000
	v_lshlrev_b32_e32 v10, 2, v9
	v_lshlrev_b32_e32 v12, 2, v11
	;; [unrolled: 1-line block ×3, first 2 shown]
	global_load_dword v15, v6, s[6:7]
	global_load_dword v16, v6, s[6:7] offset:2048
	global_load_dword v17, v10, s[6:7]
	global_load_dword v18, v[0:1], off offset:2048
	global_load_dword v19, v12, s[6:7]
	global_load_dword v20, v[2:3], off offset:2048
	;; [unrolled: 2-line block ×3, first 2 shown]
	v_add_co_u32_e32 v0, vcc, s8, v7
	v_addc_co_u32_e32 v1, vcc, 0, v8, vcc
	s_movk_i32 s41, 0x5000
	v_add_co_u32_e32 v2, vcc, s41, v7
	v_addc_co_u32_e32 v3, vcc, 0, v8, vcc
	s_movk_i32 s8, 0x6000
	;; [unrolled: 3-line block ×3, first 2 shown]
	s_lshl_b64 s[28:29], s[4:5], 2
	v_or_b32_e32 v10, 0x1000, v32
	v_add_co_u32_e32 v6, vcc, s42, v7
	s_add_u32 s4, s26, s28
	v_lshlrev_b32_e32 v12, 2, v10
	v_or_b32_e32 v14, 0x1400, v32
	v_or_b32_e32 v24, 0x1800, v32
	;; [unrolled: 1-line block ×3, first 2 shown]
	v_addc_co_u32_e32 v7, vcc, 0, v8, vcc
	s_addc_u32 s5, s27, s29
	v_lshlrev_b32_e32 v94, 3, v32
	v_lshlrev_b32_e32 v23, 2, v14
	;; [unrolled: 1-line block ×4, first 2 shown]
	global_load_dword v8, v12, s[6:7]
	global_load_dword v28, v[0:1], off offset:2048
	global_load_dword v29, v23, s[6:7]
	global_load_dword v85, v[2:3], off offset:2048
	;; [unrolled: 2-line block ×4, first 2 shown]
	v_mov_b32_e32 v0, s5
	v_add_co_u32_e32 v4, vcc, s4, v94
	v_addc_co_u32_e32 v5, vcc, 0, v0, vcc
	v_add_co_u32_e32 v0, vcc, s33, v4
	v_addc_co_u32_e32 v1, vcc, 0, v5, vcc
	;; [unrolled: 2-line block ×3, first 2 shown]
	v_lshlrev_b32_e32 v95, 3, v9
	global_load_dwordx2 v[34:35], v94, s[4:5]
	global_load_dwordx2 v[36:37], v[0:1], off
	global_load_dwordx2 v[38:39], v95, s[4:5]
	global_load_dwordx2 v[40:41], v[2:3], off
	v_add_co_u32_e32 v0, vcc, s41, v4
	v_addc_co_u32_e32 v1, vcc, 0, v5, vcc
	v_add_co_u32_e32 v2, vcc, s42, v4
	v_lshlrev_b32_e32 v96, 3, v11
	v_addc_co_u32_e32 v3, vcc, 0, v5, vcc
	s_mov_b32 s43, 0x9000
	v_lshlrev_b32_e32 v97, 3, v13
	global_load_dwordx2 v[42:43], v96, s[4:5]
	global_load_dwordx2 v[44:45], v[0:1], off
	global_load_dwordx2 v[46:47], v97, s[4:5]
	global_load_dwordx2 v[48:49], v[2:3], off
	v_add_co_u32_e32 v0, vcc, s43, v4
	v_addc_co_u32_e32 v1, vcc, 0, v5, vcc
	s_mov_b32 s44, 0xb000
	v_add_co_u32_e32 v2, vcc, s44, v4
	v_lshlrev_b32_e32 v98, 3, v10
	v_addc_co_u32_e32 v3, vcc, 0, v5, vcc
	s_mov_b32 s6, 0xd000
	v_lshlrev_b32_e32 v99, 3, v14
	global_load_dwordx2 v[50:51], v98, s[4:5]
	global_load_dwordx2 v[52:53], v[0:1], off
	global_load_dwordx2 v[54:55], v99, s[4:5]
	global_load_dwordx2 v[56:57], v[2:3], off
	v_add_co_u32_e32 v0, vcc, s6, v4
	v_addc_co_u32_e32 v1, vcc, 0, v5, vcc
	v_lshlrev_b32_e32 v100, 3, v24
	v_add_co_u32_e32 v2, vcc, 0xf000, v4
	v_lshlrev_b32_e32 v101, 3, v26
	v_addc_co_u32_e32 v3, vcc, 0, v5, vcc
	global_load_dwordx2 v[58:59], v100, s[4:5]
	global_load_dwordx2 v[60:61], v[0:1], off
	global_load_dwordx2 v[62:63], v101, s[4:5]
	global_load_dwordx2 v[30:31], v[2:3], off
	s_waitcnt vmcnt(31)
	v_cvt_f32_f16_e32 v0, v15
	v_cvt_f32_f16_sdwa v33, v15 dst_sel:DWORD dst_unused:UNUSED_PAD src0_sel:WORD_1
	s_waitcnt vmcnt(30)
	v_cvt_f32_f16_e32 v64, v16
	v_cvt_f32_f16_sdwa v65, v16 dst_sel:DWORD dst_unused:UNUSED_PAD src0_sel:WORD_1
	s_waitcnt vmcnt(29)
	v_cvt_f32_f16_e32 v66, v17
	v_cvt_f32_f16_sdwa v67, v17 dst_sel:DWORD dst_unused:UNUSED_PAD src0_sel:WORD_1
	s_waitcnt vmcnt(28)
	v_cvt_f32_f16_e32 v68, v18
	v_cvt_f32_f16_sdwa v69, v18 dst_sel:DWORD dst_unused:UNUSED_PAD src0_sel:WORD_1
	s_waitcnt vmcnt(27)
	v_cvt_f32_f16_e32 v70, v19
	v_cvt_f32_f16_sdwa v71, v19 dst_sel:DWORD dst_unused:UNUSED_PAD src0_sel:WORD_1
	s_waitcnt vmcnt(26)
	v_cvt_f32_f16_e32 v72, v20
	v_cvt_f32_f16_sdwa v73, v20 dst_sel:DWORD dst_unused:UNUSED_PAD src0_sel:WORD_1
	s_waitcnt vmcnt(25)
	v_cvt_f32_f16_e32 v74, v21
	v_cvt_f32_f16_sdwa v75, v21 dst_sel:DWORD dst_unused:UNUSED_PAD src0_sel:WORD_1
	s_waitcnt vmcnt(24)
	v_cvt_f32_f16_e32 v76, v22
	v_cvt_f32_f16_sdwa v77, v22 dst_sel:DWORD dst_unused:UNUSED_PAD src0_sel:WORD_1
	s_getpc_b64 s[34:35]
	s_add_u32 s34, s34, _ZZZZN2at6native33launch_standard_gamma_grad_kernelERNS_18TensorIteratorBaseEENKUlvE_clEvENKUlvE0_clEvENKUlffE_clEff@rel32@lo+4
	s_addc_u32 s35, s35, _ZZZZN2at6native33launch_standard_gamma_grad_kernelERNS_18TensorIteratorBaseEENKUlvE_clEvENKUlvE0_clEvENKUlffE_clEff@rel32@hi+12
	s_waitcnt vmcnt(23)
	v_cvt_f32_f16_e32 v78, v8
	v_cvt_f32_f16_sdwa v79, v8 dst_sel:DWORD dst_unused:UNUSED_PAD src0_sel:WORD_1
	s_waitcnt vmcnt(22)
	v_cvt_f32_f16_e32 v80, v28
	v_cvt_f32_f16_sdwa v81, v28 dst_sel:DWORD dst_unused:UNUSED_PAD src0_sel:WORD_1
	;; [unrolled: 3-line block ×8, first 2 shown]
	s_waitcnt vmcnt(15)
	v_mov_b32_e32 v1, v34
	s_swappc_b64 s[30:31], s[34:35]
	v_mov_b32_e32 v34, v0
	v_mov_b32_e32 v0, v33
	v_mov_b32_e32 v1, v35
	s_swappc_b64 s[30:31], s[34:35]
	v_mov_b32_e32 v35, v0
	v_mov_b32_e32 v0, v64
	;; [unrolled: 4-line block ×31, first 2 shown]
	v_mov_b32_e32 v1, v31
	s_swappc_b64 s[30:31], s[34:35]
	s_add_u32 s4, s36, s28
	s_addc_u32 s5, s37, s29
	v_mov_b32_e32 v31, v0
	v_mov_b32_e32 v0, s5
	v_add_co_u32_e32 v2, vcc, s4, v94
	v_addc_co_u32_e32 v3, vcc, 0, v0, vcc
	v_add_co_u32_e32 v0, vcc, s33, v2
	v_addc_co_u32_e32 v1, vcc, 0, v3, vcc
	global_store_dwordx2 v94, v[34:35], s[4:5]
	global_store_dwordx2 v[0:1], v[36:37], off
	global_store_dwordx2 v95, v[38:39], s[4:5]
	v_add_co_u32_e32 v0, vcc, s40, v2
	v_addc_co_u32_e32 v1, vcc, 0, v3, vcc
	global_store_dwordx2 v[0:1], v[40:41], off
	global_store_dwordx2 v96, v[42:43], s[4:5]
	v_add_co_u32_e32 v0, vcc, s41, v2
	v_addc_co_u32_e32 v1, vcc, 0, v3, vcc
	;; [unrolled: 4-line block ×7, first 2 shown]
	global_store_dwordx2 v[0:1], v[30:31], off
	s_cbranch_execnz .LBB184_2
.LBB184_4:
	s_load_dword s13, s[22:23], 0x24
	s_load_dwordx4 s[4:7], s[22:23], 0x28
	s_add_u32 s8, s22, 56
	s_addc_u32 s9, s23, 0
	s_mov_b32 s12, s24
	s_waitcnt lgkmcnt(0)
	v_lshrrev_b16_e64 v8, 8, s13
	v_mov_b32_e32 v31, v32
	v_mov_b32_e32 v0, s36
	;; [unrolled: 1-line block ×13, first 2 shown]
	s_getpc_b64 s[10:11]
	s_add_u32 s10, s10, _ZN2at6native25elementwise_kernel_helperILb1EZZZNS0_33launch_standard_gamma_grad_kernelERNS_18TensorIteratorBaseEENKUlvE_clEvENKUlvE0_clEvEUlffE_NS0_6memory8policies11unroll_baseILi512ESt5arrayIPcLm3EE23TrivialOffsetCalculatorILi2EjESD_ILi1EjENS7_12LoadWithCastILi2EEENS7_13StoreWithCastILi1EEELi32ELi1EEEEEvT0_T1_@rel32@lo+4
	s_addc_u32 s11, s11, _ZN2at6native25elementwise_kernel_helperILb1EZZZNS0_33launch_standard_gamma_grad_kernelERNS_18TensorIteratorBaseEENKUlvE_clEvENKUlvE0_clEvEUlffE_NS0_6memory8policies11unroll_baseILi512ESt5arrayIPcLm3EE23TrivialOffsetCalculatorILi2EjESD_ILi1EjENS7_12LoadWithCastILi2EEENS7_13StoreWithCastILi1EEELi32ELi1EEEEEvT0_T1_@rel32@hi+12
	s_swappc_b64 s[30:31], s[10:11]
	s_endpgm
	.section	.rodata,"a",@progbits
	.p2align	6, 0x0
	.amdhsa_kernel _ZN2at6native39vectorized_templated_elementwise_kernelILi2EZZZNS0_33launch_standard_gamma_grad_kernelERNS_18TensorIteratorBaseEENKUlvE_clEvENKUlvE0_clEvEUlffE_St5arrayIPcLm3EE23TrivialOffsetCalculatorILi2EjESA_ILi1EjENS0_6memory12LoadWithCastILi2EEENSD_13StoreWithCastILi1EEEfJN3c104HalfEfEEEviT0_T1_T2_T3_T4_T5_
		.amdhsa_group_segment_fixed_size 0
		.amdhsa_private_segment_fixed_size 288
		.amdhsa_kernarg_size 312
		.amdhsa_user_sgpr_count 8
		.amdhsa_user_sgpr_private_segment_buffer 1
		.amdhsa_user_sgpr_dispatch_ptr 0
		.amdhsa_user_sgpr_queue_ptr 0
		.amdhsa_user_sgpr_kernarg_segment_ptr 1
		.amdhsa_user_sgpr_dispatch_id 0
		.amdhsa_user_sgpr_flat_scratch_init 1
		.amdhsa_user_sgpr_kernarg_preload_length 0
		.amdhsa_user_sgpr_kernarg_preload_offset 0
		.amdhsa_user_sgpr_private_segment_size 0
		.amdhsa_uses_dynamic_stack 0
		.amdhsa_system_sgpr_private_segment_wavefront_offset 1
		.amdhsa_system_sgpr_workgroup_id_x 1
		.amdhsa_system_sgpr_workgroup_id_y 0
		.amdhsa_system_sgpr_workgroup_id_z 0
		.amdhsa_system_sgpr_workgroup_info 0
		.amdhsa_system_vgpr_workitem_id 0
		.amdhsa_next_free_vgpr 138
		.amdhsa_next_free_sgpr 98
		.amdhsa_accum_offset 120
		.amdhsa_reserve_vcc 1
		.amdhsa_reserve_flat_scratch 1
		.amdhsa_float_round_mode_32 0
		.amdhsa_float_round_mode_16_64 0
		.amdhsa_float_denorm_mode_32 3
		.amdhsa_float_denorm_mode_16_64 3
		.amdhsa_dx10_clamp 1
		.amdhsa_ieee_mode 1
		.amdhsa_fp16_overflow 0
		.amdhsa_tg_split 0
		.amdhsa_exception_fp_ieee_invalid_op 0
		.amdhsa_exception_fp_denorm_src 0
		.amdhsa_exception_fp_ieee_div_zero 0
		.amdhsa_exception_fp_ieee_overflow 0
		.amdhsa_exception_fp_ieee_underflow 0
		.amdhsa_exception_fp_ieee_inexact 0
		.amdhsa_exception_int_div_zero 0
	.end_amdhsa_kernel
	.section	.text._ZN2at6native39vectorized_templated_elementwise_kernelILi2EZZZNS0_33launch_standard_gamma_grad_kernelERNS_18TensorIteratorBaseEENKUlvE_clEvENKUlvE0_clEvEUlffE_St5arrayIPcLm3EE23TrivialOffsetCalculatorILi2EjESA_ILi1EjENS0_6memory12LoadWithCastILi2EEENSD_13StoreWithCastILi1EEEfJN3c104HalfEfEEEviT0_T1_T2_T3_T4_T5_,"axG",@progbits,_ZN2at6native39vectorized_templated_elementwise_kernelILi2EZZZNS0_33launch_standard_gamma_grad_kernelERNS_18TensorIteratorBaseEENKUlvE_clEvENKUlvE0_clEvEUlffE_St5arrayIPcLm3EE23TrivialOffsetCalculatorILi2EjESA_ILi1EjENS0_6memory12LoadWithCastILi2EEENSD_13StoreWithCastILi1EEEfJN3c104HalfEfEEEviT0_T1_T2_T3_T4_T5_,comdat
.Lfunc_end184:
	.size	_ZN2at6native39vectorized_templated_elementwise_kernelILi2EZZZNS0_33launch_standard_gamma_grad_kernelERNS_18TensorIteratorBaseEENKUlvE_clEvENKUlvE0_clEvEUlffE_St5arrayIPcLm3EE23TrivialOffsetCalculatorILi2EjESA_ILi1EjENS0_6memory12LoadWithCastILi2EEENSD_13StoreWithCastILi1EEEfJN3c104HalfEfEEEviT0_T1_T2_T3_T4_T5_, .Lfunc_end184-_ZN2at6native39vectorized_templated_elementwise_kernelILi2EZZZNS0_33launch_standard_gamma_grad_kernelERNS_18TensorIteratorBaseEENKUlvE_clEvENKUlvE0_clEvEUlffE_St5arrayIPcLm3EE23TrivialOffsetCalculatorILi2EjESA_ILi1EjENS0_6memory12LoadWithCastILi2EEENSD_13StoreWithCastILi1EEEfJN3c104HalfEfEEEviT0_T1_T2_T3_T4_T5_
                                        ; -- End function
	.section	.AMDGPU.csdata,"",@progbits
; Kernel info:
; codeLenInByte = 1848
; NumSgprs: 104
; NumVgprs: 120
; NumAgprs: 18
; TotalNumVgprs: 138
; ScratchSize: 288
; MemoryBound: 0
; FloatMode: 240
; IeeeMode: 1
; LDSByteSize: 0 bytes/workgroup (compile time only)
; SGPRBlocks: 12
; VGPRBlocks: 17
; NumSGPRsForWavesPerEU: 104
; NumVGPRsForWavesPerEU: 138
; AccumOffset: 120
; Occupancy: 3
; WaveLimiterHint : 0
; COMPUTE_PGM_RSRC2:SCRATCH_EN: 1
; COMPUTE_PGM_RSRC2:USER_SGPR: 8
; COMPUTE_PGM_RSRC2:TRAP_HANDLER: 0
; COMPUTE_PGM_RSRC2:TGID_X_EN: 1
; COMPUTE_PGM_RSRC2:TGID_Y_EN: 0
; COMPUTE_PGM_RSRC2:TGID_Z_EN: 0
; COMPUTE_PGM_RSRC2:TIDIG_COMP_CNT: 0
; COMPUTE_PGM_RSRC3_GFX90A:ACCUM_OFFSET: 29
; COMPUTE_PGM_RSRC3_GFX90A:TG_SPLIT: 0
	.section	.text._ZN2at6native39vectorized_templated_elementwise_kernelILi8EZZZNS0_33launch_standard_gamma_grad_kernelERNS_18TensorIteratorBaseEENKUlvE_clEvENKUlvE0_clEvEUlffE_St5arrayIPcLm3EE23TrivialOffsetCalculatorILi2EjESA_ILi1EjENS0_6memory12LoadWithCastILi2EEENSD_13StoreWithCastILi1EEEN3c104HalfEJSJ_fEEEviT0_T1_T2_T3_T4_T5_,"axG",@progbits,_ZN2at6native39vectorized_templated_elementwise_kernelILi8EZZZNS0_33launch_standard_gamma_grad_kernelERNS_18TensorIteratorBaseEENKUlvE_clEvENKUlvE0_clEvEUlffE_St5arrayIPcLm3EE23TrivialOffsetCalculatorILi2EjESA_ILi1EjENS0_6memory12LoadWithCastILi2EEENSD_13StoreWithCastILi1EEEN3c104HalfEJSJ_fEEEviT0_T1_T2_T3_T4_T5_,comdat
	.globl	_ZN2at6native39vectorized_templated_elementwise_kernelILi8EZZZNS0_33launch_standard_gamma_grad_kernelERNS_18TensorIteratorBaseEENKUlvE_clEvENKUlvE0_clEvEUlffE_St5arrayIPcLm3EE23TrivialOffsetCalculatorILi2EjESA_ILi1EjENS0_6memory12LoadWithCastILi2EEENSD_13StoreWithCastILi1EEEN3c104HalfEJSJ_fEEEviT0_T1_T2_T3_T4_T5_ ; -- Begin function _ZN2at6native39vectorized_templated_elementwise_kernelILi8EZZZNS0_33launch_standard_gamma_grad_kernelERNS_18TensorIteratorBaseEENKUlvE_clEvENKUlvE0_clEvEUlffE_St5arrayIPcLm3EE23TrivialOffsetCalculatorILi2EjESA_ILi1EjENS0_6memory12LoadWithCastILi2EEENSD_13StoreWithCastILi1EEEN3c104HalfEJSJ_fEEEviT0_T1_T2_T3_T4_T5_
	.p2align	8
	.type	_ZN2at6native39vectorized_templated_elementwise_kernelILi8EZZZNS0_33launch_standard_gamma_grad_kernelERNS_18TensorIteratorBaseEENKUlvE_clEvENKUlvE0_clEvEUlffE_St5arrayIPcLm3EE23TrivialOffsetCalculatorILi2EjESA_ILi1EjENS0_6memory12LoadWithCastILi2EEENSD_13StoreWithCastILi1EEEN3c104HalfEJSJ_fEEEviT0_T1_T2_T3_T4_T5_,@function
_ZN2at6native39vectorized_templated_elementwise_kernelILi8EZZZNS0_33launch_standard_gamma_grad_kernelERNS_18TensorIteratorBaseEENKUlvE_clEvENKUlvE0_clEvEUlffE_St5arrayIPcLm3EE23TrivialOffsetCalculatorILi2EjESA_ILi1EjENS0_6memory12LoadWithCastILi2EEENSD_13StoreWithCastILi1EEEN3c104HalfEJSJ_fEEEviT0_T1_T2_T3_T4_T5_: ; @_ZN2at6native39vectorized_templated_elementwise_kernelILi8EZZZNS0_33launch_standard_gamma_grad_kernelERNS_18TensorIteratorBaseEENKUlvE_clEvENKUlvE0_clEvEUlffE_St5arrayIPcLm3EE23TrivialOffsetCalculatorILi2EjESA_ILi1EjENS0_6memory12LoadWithCastILi2EEENSD_13StoreWithCastILi1EEEN3c104HalfEJSJ_fEEEviT0_T1_T2_T3_T4_T5_
; %bb.0:
	s_add_u32 flat_scratch_lo, s6, s9
	s_addc_u32 flat_scratch_hi, s7, 0
	s_add_u32 s0, s0, s9
	s_mov_b64 s[22:23], s[4:5]
	s_load_dword s4, s[4:5], 0x38
	s_nop 0
	s_load_dwordx2 s[26:27], s[22:23], 0x18
	s_load_dword s5, s[22:23], 0x0
	s_load_dwordx4 s[36:39], s[22:23], 0x8
	s_addc_u32 s1, s1, 0
	s_not_b32 s6, s8
	s_waitcnt lgkmcnt(0)
	s_add_i32 s4, s4, s6
	s_lshl_b32 s4, s4, 14
	s_sub_i32 s25, s5, s4
	s_mov_b32 s24, s8
	v_mov_b32_e32 v31, v0
	s_cmpk_gt_i32 s25, 0x3fff
	s_mov_b64 s[6:7], -1
	s_mov_b32 s32, 0
	s_cbranch_scc1 .LBB185_3
; %bb.1:
	s_andn2_b64 vcc, exec, s[6:7]
	s_cbranch_vccz .LBB185_4
.LBB185_2:
	s_endpgm
.LBB185_3:
	s_ashr_i32 s5, s4, 31
	s_lshl_b64 s[28:29], s[4:5], 1
	s_add_u32 s6, s38, s28
	v_or_b32_e32 v30, 0x400, v31
	s_addc_u32 s7, s39, s29
	v_lshlrev_b32_e32 v94, 4, v31
	v_lshlrev_b32_e32 v95, 4, v30
	global_load_dwordx4 v[2:5], v94, s[6:7]
	global_load_dwordx4 v[6:9], v95, s[6:7]
	v_mov_b32_e32 v0, s7
	v_add_co_u32_e32 v22, vcc, s6, v94
	s_movk_i32 s33, 0x2000
	s_lshl_b64 s[4:5], s[4:5], 2
	v_addc_co_u32_e32 v23, vcc, 0, v0, vcc
	s_add_u32 s4, s26, s4
	v_add_co_u32_e32 v0, vcc, s33, v22
	s_movk_i32 s8, 0x6000
	v_lshlrev_b32_e32 v26, 5, v31
	s_addc_u32 s5, s27, s5
	v_addc_co_u32_e32 v1, vcc, 0, v23, vcc
	global_load_dwordx4 v[10:13], v26, s[4:5] offset:16
	global_load_dwordx4 v[14:17], v26, s[4:5]
	global_load_dwordx4 v[18:21], v[0:1], off
	v_add_co_u32_e32 v0, vcc, s8, v22
	v_addc_co_u32_e32 v1, vcc, 0, v23, vcc
	v_mov_b32_e32 v27, s5
	v_add_co_u32_e32 v74, vcc, s4, v26
	s_movk_i32 s6, 0x4000
	v_addc_co_u32_e32 v75, vcc, 0, v27, vcc
	global_load_dwordx4 v[22:25], v[0:1], off
	v_add_co_u32_e32 v0, vcc, s6, v74
	v_addc_co_u32_e32 v1, vcc, 0, v75, vcc
	global_load_dwordx4 v[26:29], v[0:1], off
	global_load_dwordx4 v[62:65], v[0:1], off offset:16
	v_lshlrev_b32_e32 v0, 5, v30
	global_load_dwordx4 v[66:69], v0, s[4:5]
	global_load_dwordx4 v[70:73], v0, s[4:5] offset:16
	s_mov_b32 s4, 0xc000
	s_getpc_b64 s[34:35]
	s_add_u32 s34, s34, _ZZZZN2at6native33launch_standard_gamma_grad_kernelERNS_18TensorIteratorBaseEENKUlvE_clEvENKUlvE0_clEvENKUlffE_clEff@rel32@lo+4
	s_addc_u32 s35, s35, _ZZZZN2at6native33launch_standard_gamma_grad_kernelERNS_18TensorIteratorBaseEENKUlvE_clEvENKUlvE0_clEvENKUlffE_clEff@rel32@hi+12
	s_waitcnt vmcnt(9)
	v_cvt_f32_f16_e32 v0, v2
	s_waitcnt vmcnt(8)
	v_cvt_f32_f16_e32 v38, v6
	v_cvt_f32_f16_sdwa v39, v6 dst_sel:DWORD dst_unused:UNUSED_PAD src0_sel:WORD_1
	v_add_co_u32_e32 v6, vcc, s4, v74
	v_cvt_f32_f16_e32 v40, v7
	v_cvt_f32_f16_sdwa v41, v7 dst_sel:DWORD dst_unused:UNUSED_PAD src0_sel:WORD_1
	v_addc_co_u32_e32 v7, vcc, 0, v75, vcc
	v_cvt_f32_f16_sdwa v30, v2 dst_sel:DWORD dst_unused:UNUSED_PAD src0_sel:WORD_1
	v_cvt_f32_f16_e32 v32, v3
	v_cvt_f32_f16_sdwa v33, v3 dst_sel:DWORD dst_unused:UNUSED_PAD src0_sel:WORD_1
	v_cvt_f32_f16_e32 v34, v4
	;; [unrolled: 2-line block ×5, first 2 shown]
	v_cvt_f32_f16_sdwa v45, v9 dst_sel:DWORD dst_unused:UNUSED_PAD src0_sel:WORD_1
	global_load_dwordx4 v[2:5], v[6:7], off
	s_waitcnt vmcnt(7)
	v_cvt_f16_f32_e32 v1, v14
	global_load_dwordx4 v[6:9], v[6:7], off offset:16
	v_cvt_f16_f32_e32 v14, v15
	v_cvt_f16_f32_e32 v15, v16
	;; [unrolled: 1-line block ×7, first 2 shown]
	s_waitcnt vmcnt(7)
	v_cvt_f32_f16_e32 v46, v18
	v_cvt_f32_f16_sdwa v47, v18 dst_sel:DWORD dst_unused:UNUSED_PAD src0_sel:WORD_1
	v_cvt_f32_f16_e32 v48, v19
	v_cvt_f32_f16_sdwa v49, v19 dst_sel:DWORD dst_unused:UNUSED_PAD src0_sel:WORD_1
	;; [unrolled: 2-line block ×4, first 2 shown]
	s_waitcnt vmcnt(6)
	v_cvt_f32_f16_e32 v54, v22
	v_cvt_f32_f16_sdwa v55, v22 dst_sel:DWORD dst_unused:UNUSED_PAD src0_sel:WORD_1
	v_cvt_f32_f16_e32 v56, v23
	v_cvt_f32_f16_sdwa v57, v23 dst_sel:DWORD dst_unused:UNUSED_PAD src0_sel:WORD_1
	;; [unrolled: 2-line block ×4, first 2 shown]
	s_waitcnt vmcnt(5)
	v_cvt_f16_f32_e32 v17, v26
	v_cvt_f16_f32_e32 v18, v27
	v_cvt_f16_f32_e32 v19, v28
	v_cvt_f16_f32_e32 v20, v29
	s_waitcnt vmcnt(4)
	v_cvt_f16_f32_e32 v21, v62
	v_cvt_f16_f32_e32 v22, v63
	v_cvt_f16_f32_e32 v23, v64
	v_cvt_f16_f32_e32 v24, v65
	;; [unrolled: 5-line block ×4, first 2 shown]
	v_cvt_f32_f16_e32 v1, v1
	v_cvt_f32_f16_e32 v62, v14
	;; [unrolled: 1-line block ×24, first 2 shown]
	s_waitcnt vmcnt(1)
	v_cvt_f16_f32_e32 v2, v2
	v_cvt_f16_f32_e32 v3, v3
	;; [unrolled: 1-line block ×4, first 2 shown]
	s_waitcnt vmcnt(0)
	v_cvt_f16_f32_e32 v6, v6
	v_cvt_f16_f32_e32 v7, v7
	;; [unrolled: 1-line block ×4, first 2 shown]
	v_cvt_f32_f16_e32 v85, v2
	v_cvt_f32_f16_e32 v86, v3
	;; [unrolled: 1-line block ×8, first 2 shown]
	s_swappc_b64 s[30:31], s[34:35]
	v_mov_b32_e32 v93, v0
	v_mov_b32_e32 v0, v30
	v_mov_b32_e32 v1, v62
	s_swappc_b64 s[30:31], s[34:35]
	v_mov_b32_e32 v30, v0
	v_mov_b32_e32 v0, v32
	v_mov_b32_e32 v1, v63
	;; [unrolled: 4-line block ×31, first 2 shown]
	s_swappc_b64 s[30:31], s[34:35]
	v_cvt_f16_f32_e32 v1, v93
	v_cvt_f16_f32_e32 v2, v30
	;; [unrolled: 1-line block ×8, first 2 shown]
	s_add_u32 s4, s36, s28
	s_addc_u32 s5, s37, s29
	v_pack_b32_f16 v2, v1, v2
	v_pack_b32_f16 v3, v3, v4
	v_pack_b32_f16 v4, v5, v6
	v_pack_b32_f16 v5, v7, v8
	global_store_dwordx4 v94, v[2:5], s[4:5]
	v_cvt_f16_f32_e32 v6, v51
	v_cvt_f16_f32_e32 v3, v48
	;; [unrolled: 1-line block ×8, first 2 shown]
	v_mov_b32_e32 v9, s5
	v_add_co_u32_e32 v10, vcc, s4, v94
	v_addc_co_u32_e32 v9, vcc, 0, v9, vcc
	v_pack_b32_f16 v3, v3, v4
	v_pack_b32_f16 v4, v5, v6
	v_add_co_u32_e32 v6, vcc, s33, v10
	v_pack_b32_f16 v2, v1, v2
	v_pack_b32_f16 v5, v7, v8
	v_addc_co_u32_e32 v7, vcc, 0, v9, vcc
	global_store_dwordx4 v[6:7], v[2:5], off
	v_cvt_f16_f32_e32 v1, v38
	v_cvt_f16_f32_e32 v2, v39
	;; [unrolled: 1-line block ×8, first 2 shown]
	v_pack_b32_f16 v2, v1, v2
	v_pack_b32_f16 v3, v3, v4
	;; [unrolled: 1-line block ×4, first 2 shown]
	global_store_dwordx4 v95, v[2:5], s[4:5]
	v_cvt_f16_f32_e32 v1, v54
	v_cvt_f16_f32_e32 v2, v55
	;; [unrolled: 1-line block ×8, first 2 shown]
	v_pack_b32_f16 v0, v1, v2
	v_pack_b32_f16 v1, v3, v4
	v_add_co_u32_e32 v4, vcc, 0x6000, v10
	v_pack_b32_f16 v2, v5, v6
	v_pack_b32_f16 v3, v7, v8
	v_addc_co_u32_e32 v5, vcc, 0, v9, vcc
	global_store_dwordx4 v[4:5], v[0:3], off
	s_cbranch_execnz .LBB185_2
.LBB185_4:
	s_load_dword s13, s[22:23], 0x24
	s_load_dwordx4 s[4:7], s[22:23], 0x28
	s_add_u32 s8, s22, 56
	s_addc_u32 s9, s23, 0
	s_mov_b32 s12, s24
	s_waitcnt lgkmcnt(0)
	v_lshrrev_b16_e64 v8, 8, s13
	v_mov_b32_e32 v0, s36
	v_mov_b32_e32 v1, s37
	;; [unrolled: 1-line block ×12, first 2 shown]
	s_getpc_b64 s[10:11]
	s_add_u32 s10, s10, _ZN2at6native25elementwise_kernel_helperILb1EZZZNS0_33launch_standard_gamma_grad_kernelERNS_18TensorIteratorBaseEENKUlvE_clEvENKUlvE0_clEvEUlffE_NS0_6memory8policies11unroll_baseILi512ESt5arrayIPcLm3EE23TrivialOffsetCalculatorILi2EjESD_ILi1EjENS7_12LoadWithCastILi2EEENS7_13StoreWithCastILi1EEELi32ELi1EEEEEvT0_T1_@rel32@lo+4
	s_addc_u32 s11, s11, _ZN2at6native25elementwise_kernel_helperILb1EZZZNS0_33launch_standard_gamma_grad_kernelERNS_18TensorIteratorBaseEENKUlvE_clEvENKUlvE0_clEvEUlffE_NS0_6memory8policies11unroll_baseILi512ESt5arrayIPcLm3EE23TrivialOffsetCalculatorILi2EjESD_ILi1EjENS7_12LoadWithCastILi2EEENS7_13StoreWithCastILi1EEELi32ELi1EEEEEvT0_T1_@rel32@hi+12
	s_swappc_b64 s[30:31], s[10:11]
	s_endpgm
	.section	.rodata,"a",@progbits
	.p2align	6, 0x0
	.amdhsa_kernel _ZN2at6native39vectorized_templated_elementwise_kernelILi8EZZZNS0_33launch_standard_gamma_grad_kernelERNS_18TensorIteratorBaseEENKUlvE_clEvENKUlvE0_clEvEUlffE_St5arrayIPcLm3EE23TrivialOffsetCalculatorILi2EjESA_ILi1EjENS0_6memory12LoadWithCastILi2EEENSD_13StoreWithCastILi1EEEN3c104HalfEJSJ_fEEEviT0_T1_T2_T3_T4_T5_
		.amdhsa_group_segment_fixed_size 0
		.amdhsa_private_segment_fixed_size 288
		.amdhsa_kernarg_size 312
		.amdhsa_user_sgpr_count 8
		.amdhsa_user_sgpr_private_segment_buffer 1
		.amdhsa_user_sgpr_dispatch_ptr 0
		.amdhsa_user_sgpr_queue_ptr 0
		.amdhsa_user_sgpr_kernarg_segment_ptr 1
		.amdhsa_user_sgpr_dispatch_id 0
		.amdhsa_user_sgpr_flat_scratch_init 1
		.amdhsa_user_sgpr_kernarg_preload_length 0
		.amdhsa_user_sgpr_kernarg_preload_offset 0
		.amdhsa_user_sgpr_private_segment_size 0
		.amdhsa_uses_dynamic_stack 0
		.amdhsa_system_sgpr_private_segment_wavefront_offset 1
		.amdhsa_system_sgpr_workgroup_id_x 1
		.amdhsa_system_sgpr_workgroup_id_y 0
		.amdhsa_system_sgpr_workgroup_id_z 0
		.amdhsa_system_sgpr_workgroup_info 0
		.amdhsa_system_vgpr_workitem_id 0
		.amdhsa_next_free_vgpr 138
		.amdhsa_next_free_sgpr 98
		.amdhsa_accum_offset 120
		.amdhsa_reserve_vcc 1
		.amdhsa_reserve_flat_scratch 1
		.amdhsa_float_round_mode_32 0
		.amdhsa_float_round_mode_16_64 0
		.amdhsa_float_denorm_mode_32 3
		.amdhsa_float_denorm_mode_16_64 3
		.amdhsa_dx10_clamp 1
		.amdhsa_ieee_mode 1
		.amdhsa_fp16_overflow 0
		.amdhsa_tg_split 0
		.amdhsa_exception_fp_ieee_invalid_op 0
		.amdhsa_exception_fp_denorm_src 0
		.amdhsa_exception_fp_ieee_div_zero 0
		.amdhsa_exception_fp_ieee_overflow 0
		.amdhsa_exception_fp_ieee_underflow 0
		.amdhsa_exception_fp_ieee_inexact 0
		.amdhsa_exception_int_div_zero 0
	.end_amdhsa_kernel
	.section	.text._ZN2at6native39vectorized_templated_elementwise_kernelILi8EZZZNS0_33launch_standard_gamma_grad_kernelERNS_18TensorIteratorBaseEENKUlvE_clEvENKUlvE0_clEvEUlffE_St5arrayIPcLm3EE23TrivialOffsetCalculatorILi2EjESA_ILi1EjENS0_6memory12LoadWithCastILi2EEENSD_13StoreWithCastILi1EEEN3c104HalfEJSJ_fEEEviT0_T1_T2_T3_T4_T5_,"axG",@progbits,_ZN2at6native39vectorized_templated_elementwise_kernelILi8EZZZNS0_33launch_standard_gamma_grad_kernelERNS_18TensorIteratorBaseEENKUlvE_clEvENKUlvE0_clEvEUlffE_St5arrayIPcLm3EE23TrivialOffsetCalculatorILi2EjESA_ILi1EjENS0_6memory12LoadWithCastILi2EEENSD_13StoreWithCastILi1EEEN3c104HalfEJSJ_fEEEviT0_T1_T2_T3_T4_T5_,comdat
.Lfunc_end185:
	.size	_ZN2at6native39vectorized_templated_elementwise_kernelILi8EZZZNS0_33launch_standard_gamma_grad_kernelERNS_18TensorIteratorBaseEENKUlvE_clEvENKUlvE0_clEvEUlffE_St5arrayIPcLm3EE23TrivialOffsetCalculatorILi2EjESA_ILi1EjENS0_6memory12LoadWithCastILi2EEENSD_13StoreWithCastILi1EEEN3c104HalfEJSJ_fEEEviT0_T1_T2_T3_T4_T5_, .Lfunc_end185-_ZN2at6native39vectorized_templated_elementwise_kernelILi8EZZZNS0_33launch_standard_gamma_grad_kernelERNS_18TensorIteratorBaseEENKUlvE_clEvENKUlvE0_clEvEUlffE_St5arrayIPcLm3EE23TrivialOffsetCalculatorILi2EjESA_ILi1EjENS0_6memory12LoadWithCastILi2EEENSD_13StoreWithCastILi1EEEN3c104HalfEJSJ_fEEEviT0_T1_T2_T3_T4_T5_
                                        ; -- End function
	.section	.AMDGPU.csdata,"",@progbits
; Kernel info:
; codeLenInByte = 1796
; NumSgprs: 104
; NumVgprs: 120
; NumAgprs: 18
; TotalNumVgprs: 138
; ScratchSize: 288
; MemoryBound: 0
; FloatMode: 240
; IeeeMode: 1
; LDSByteSize: 0 bytes/workgroup (compile time only)
; SGPRBlocks: 12
; VGPRBlocks: 17
; NumSGPRsForWavesPerEU: 104
; NumVGPRsForWavesPerEU: 138
; AccumOffset: 120
; Occupancy: 3
; WaveLimiterHint : 0
; COMPUTE_PGM_RSRC2:SCRATCH_EN: 1
; COMPUTE_PGM_RSRC2:USER_SGPR: 8
; COMPUTE_PGM_RSRC2:TRAP_HANDLER: 0
; COMPUTE_PGM_RSRC2:TGID_X_EN: 1
; COMPUTE_PGM_RSRC2:TGID_Y_EN: 0
; COMPUTE_PGM_RSRC2:TGID_Z_EN: 0
; COMPUTE_PGM_RSRC2:TIDIG_COMP_CNT: 0
; COMPUTE_PGM_RSRC3_GFX90A:ACCUM_OFFSET: 29
; COMPUTE_PGM_RSRC3_GFX90A:TG_SPLIT: 0
	.section	.text._ZN2at6native39vectorized_templated_elementwise_kernelILi4EZZZNS0_33launch_standard_gamma_grad_kernelERNS_18TensorIteratorBaseEENKUlvE_clEvENKUlvE0_clEvEUlffE_St5arrayIPcLm3EE23TrivialOffsetCalculatorILi2EjESA_ILi1EjENS0_6memory12LoadWithCastILi2EEENSD_13StoreWithCastILi1EEEN3c104HalfEJSJ_fEEEviT0_T1_T2_T3_T4_T5_,"axG",@progbits,_ZN2at6native39vectorized_templated_elementwise_kernelILi4EZZZNS0_33launch_standard_gamma_grad_kernelERNS_18TensorIteratorBaseEENKUlvE_clEvENKUlvE0_clEvEUlffE_St5arrayIPcLm3EE23TrivialOffsetCalculatorILi2EjESA_ILi1EjENS0_6memory12LoadWithCastILi2EEENSD_13StoreWithCastILi1EEEN3c104HalfEJSJ_fEEEviT0_T1_T2_T3_T4_T5_,comdat
	.globl	_ZN2at6native39vectorized_templated_elementwise_kernelILi4EZZZNS0_33launch_standard_gamma_grad_kernelERNS_18TensorIteratorBaseEENKUlvE_clEvENKUlvE0_clEvEUlffE_St5arrayIPcLm3EE23TrivialOffsetCalculatorILi2EjESA_ILi1EjENS0_6memory12LoadWithCastILi2EEENSD_13StoreWithCastILi1EEEN3c104HalfEJSJ_fEEEviT0_T1_T2_T3_T4_T5_ ; -- Begin function _ZN2at6native39vectorized_templated_elementwise_kernelILi4EZZZNS0_33launch_standard_gamma_grad_kernelERNS_18TensorIteratorBaseEENKUlvE_clEvENKUlvE0_clEvEUlffE_St5arrayIPcLm3EE23TrivialOffsetCalculatorILi2EjESA_ILi1EjENS0_6memory12LoadWithCastILi2EEENSD_13StoreWithCastILi1EEEN3c104HalfEJSJ_fEEEviT0_T1_T2_T3_T4_T5_
	.p2align	8
	.type	_ZN2at6native39vectorized_templated_elementwise_kernelILi4EZZZNS0_33launch_standard_gamma_grad_kernelERNS_18TensorIteratorBaseEENKUlvE_clEvENKUlvE0_clEvEUlffE_St5arrayIPcLm3EE23TrivialOffsetCalculatorILi2EjESA_ILi1EjENS0_6memory12LoadWithCastILi2EEENSD_13StoreWithCastILi1EEEN3c104HalfEJSJ_fEEEviT0_T1_T2_T3_T4_T5_,@function
_ZN2at6native39vectorized_templated_elementwise_kernelILi4EZZZNS0_33launch_standard_gamma_grad_kernelERNS_18TensorIteratorBaseEENKUlvE_clEvENKUlvE0_clEvEUlffE_St5arrayIPcLm3EE23TrivialOffsetCalculatorILi2EjESA_ILi1EjENS0_6memory12LoadWithCastILi2EEENSD_13StoreWithCastILi1EEEN3c104HalfEJSJ_fEEEviT0_T1_T2_T3_T4_T5_: ; @_ZN2at6native39vectorized_templated_elementwise_kernelILi4EZZZNS0_33launch_standard_gamma_grad_kernelERNS_18TensorIteratorBaseEENKUlvE_clEvENKUlvE0_clEvEUlffE_St5arrayIPcLm3EE23TrivialOffsetCalculatorILi2EjESA_ILi1EjENS0_6memory12LoadWithCastILi2EEENSD_13StoreWithCastILi1EEEN3c104HalfEJSJ_fEEEviT0_T1_T2_T3_T4_T5_
; %bb.0:
	s_add_u32 flat_scratch_lo, s6, s9
	s_addc_u32 flat_scratch_hi, s7, 0
	s_add_u32 s0, s0, s9
	s_mov_b64 s[22:23], s[4:5]
	s_load_dword s4, s[4:5], 0x38
	s_nop 0
	s_load_dwordx2 s[26:27], s[22:23], 0x18
	s_load_dword s5, s[22:23], 0x0
	s_load_dwordx4 s[36:39], s[22:23], 0x8
	s_addc_u32 s1, s1, 0
	s_not_b32 s6, s8
	s_waitcnt lgkmcnt(0)
	s_add_i32 s4, s4, s6
	s_lshl_b32 s6, s4, 14
	s_sub_i32 s25, s5, s6
	s_mov_b32 s24, s8
	v_mov_b32_e32 v31, v0
	s_cmpk_gt_i32 s25, 0x3fff
	s_mov_b64 s[4:5], -1
	s_mov_b32 s32, 0
	s_cbranch_scc1 .LBB186_3
; %bb.1:
	s_andn2_b64 vcc, exec, s[4:5]
	s_cbranch_vccz .LBB186_4
.LBB186_2:
	s_endpgm
.LBB186_3:
	s_ashr_i32 s7, s6, 31
	s_lshl_b64 s[28:29], s[6:7], 1
	s_add_u32 s4, s38, s28
	s_addc_u32 s5, s39, s29
	v_lshlrev_b32_e32 v96, 3, v31
	v_mov_b32_e32 v0, s5
	v_add_co_u32_e32 v30, vcc, s4, v96
	v_addc_co_u32_e32 v34, vcc, 0, v0, vcc
	s_movk_i32 s41, 0x1000
	v_add_co_u32_e32 v0, vcc, s41, v30
	v_addc_co_u32_e32 v1, vcc, 0, v34, vcc
	s_movk_i32 s40, 0x3000
	v_add_co_u32_e32 v2, vcc, s40, v30
	v_or_b32_e32 v10, 0x400, v31
	v_addc_co_u32_e32 v3, vcc, 0, v34, vcc
	v_or_b32_e32 v18, 0x800, v31
	s_movk_i32 s33, 0x5000
	s_lshl_b64 s[6:7], s[6:7], 2
	v_lshlrev_b32_e32 v95, 3, v10
	global_load_dwordx2 v[32:33], v96, s[4:5]
	global_load_dwordx2 v[36:37], v[0:1], off
	global_load_dwordx2 v[40:41], v95, s[4:5]
	global_load_dwordx2 v[44:45], v[2:3], off
	v_lshlrev_b32_e32 v94, 3, v18
	v_add_co_u32_e32 v0, vcc, s33, v30
	s_add_u32 s6, s26, s6
	v_addc_co_u32_e32 v1, vcc, 0, v34, vcc
	global_load_dwordx2 v[48:49], v94, s[4:5]
	global_load_dwordx2 v[52:53], v[0:1], off
	s_addc_u32 s7, s27, s7
	v_lshlrev_b32_e32 v0, 4, v31
	v_mov_b32_e32 v1, s7
	v_add_co_u32_e32 v38, vcc, s6, v0
	v_addc_co_u32_e32 v39, vcc, 0, v1, vcc
	s_movk_i32 s8, 0x2000
	global_load_dwordx4 v[2:5], v0, s[6:7]
	v_add_co_u32_e32 v0, vcc, s8, v38
	v_addc_co_u32_e32 v1, vcc, 0, v39, vcc
	global_load_dwordx4 v[6:9], v[0:1], off
	v_lshlrev_b32_e32 v0, 4, v10
	s_movk_i32 s8, 0x6000
	global_load_dwordx4 v[10:13], v0, s[6:7]
	v_add_co_u32_e32 v0, vcc, s8, v38
	v_addc_co_u32_e32 v1, vcc, 0, v39, vcc
	global_load_dwordx4 v[14:17], v[0:1], off
	v_lshlrev_b32_e32 v0, 4, v18
	s_mov_b32 s8, 0xa000
	global_load_dwordx4 v[18:21], v0, s[6:7]
	v_add_co_u32_e32 v0, vcc, s8, v38
	v_or_b32_e32 v35, 0xc00, v31
	v_addc_co_u32_e32 v1, vcc, 0, v39, vcc
	global_load_dwordx4 v[22:25], v[0:1], off
	v_lshlrev_b32_e32 v0, 4, v35
	global_load_dwordx4 v[26:29], v0, s[6:7]
	s_mov_b32 s6, 0xe000
	v_add_co_u32_e32 v0, vcc, s6, v38
	v_addc_co_u32_e32 v1, vcc, 0, v39, vcc
	global_load_dwordx4 v[54:57], v[0:1], off
	v_lshlrev_b32_e32 v97, 3, v35
	global_load_dwordx2 v[58:59], v97, s[4:5]
	s_movk_i32 s4, 0x7000
	v_add_co_u32_e32 v0, vcc, s4, v30
	v_addc_co_u32_e32 v1, vcc, 0, v34, vcc
	global_load_dwordx2 v[60:61], v[0:1], off
	s_getpc_b64 s[34:35]
	s_add_u32 s34, s34, _ZZZZN2at6native33launch_standard_gamma_grad_kernelERNS_18TensorIteratorBaseEENKUlvE_clEvENKUlvE0_clEvENKUlffE_clEff@rel32@lo+4
	s_addc_u32 s35, s35, _ZZZZN2at6native33launch_standard_gamma_grad_kernelERNS_18TensorIteratorBaseEENKUlvE_clEvENKUlvE0_clEvENKUlffE_clEff@rel32@hi+12
	s_waitcnt vmcnt(15)
	v_cvt_f32_f16_e32 v0, v32
	v_cvt_f32_f16_sdwa v30, v32 dst_sel:DWORD dst_unused:UNUSED_PAD src0_sel:WORD_1
	v_cvt_f32_f16_e32 v32, v33
	v_cvt_f32_f16_sdwa v33, v33 dst_sel:DWORD dst_unused:UNUSED_PAD src0_sel:WORD_1
	s_waitcnt vmcnt(14)
	v_cvt_f32_f16_e32 v34, v36
	v_cvt_f32_f16_sdwa v35, v36 dst_sel:DWORD dst_unused:UNUSED_PAD src0_sel:WORD_1
	v_cvt_f32_f16_e32 v36, v37
	v_cvt_f32_f16_sdwa v37, v37 dst_sel:DWORD dst_unused:UNUSED_PAD src0_sel:WORD_1
	;; [unrolled: 5-line block ×4, first 2 shown]
	s_waitcnt vmcnt(11)
	v_cvt_f32_f16_e32 v46, v48
	v_cvt_f32_f16_sdwa v47, v48 dst_sel:DWORD dst_unused:UNUSED_PAD src0_sel:WORD_1
	v_cvt_f32_f16_e32 v48, v49
	s_waitcnt vmcnt(9)
	v_cvt_f16_f32_e32 v1, v2
	v_cvt_f16_f32_e32 v2, v3
	;; [unrolled: 1-line block ×4, first 2 shown]
	v_cvt_f32_f16_e32 v1, v1
	s_waitcnt vmcnt(8)
	v_cvt_f16_f32_e32 v5, v6
	v_cvt_f16_f32_e32 v6, v7
	v_cvt_f16_f32_e32 v7, v8
	v_cvt_f16_f32_e32 v8, v9
	s_waitcnt vmcnt(7)
	v_cvt_f16_f32_e32 v9, v10
	v_cvt_f16_f32_e32 v10, v11
	v_cvt_f16_f32_e32 v11, v12
	v_cvt_f16_f32_e32 v12, v13
	s_waitcnt vmcnt(6)
	v_cvt_f16_f32_e32 v13, v14
	v_cvt_f16_f32_e32 v14, v15
	v_cvt_f16_f32_e32 v15, v16
	v_cvt_f16_f32_e32 v16, v17
	s_waitcnt vmcnt(5)
	v_cvt_f16_f32_e32 v17, v18
	v_cvt_f16_f32_e32 v18, v19
	v_cvt_f16_f32_e32 v19, v20
	v_cvt_f16_f32_e32 v20, v21
	v_cvt_f32_f16_sdwa v49, v49 dst_sel:DWORD dst_unused:UNUSED_PAD src0_sel:WORD_1
	s_waitcnt vmcnt(4)
	v_cvt_f16_f32_e32 v21, v22
	v_cvt_f16_f32_e32 v22, v23
	v_cvt_f16_f32_e32 v23, v24
	v_cvt_f16_f32_e32 v24, v25
	s_waitcnt vmcnt(3)
	v_cvt_f16_f32_e32 v25, v26
	v_cvt_f16_f32_e32 v26, v27
	v_cvt_f16_f32_e32 v27, v28
	v_cvt_f16_f32_e32 v28, v29
	;; [unrolled: 5-line block ×3, first 2 shown]
	v_cvt_f32_f16_e32 v50, v52
	v_cvt_f32_f16_sdwa v51, v52 dst_sel:DWORD dst_unused:UNUSED_PAD src0_sel:WORD_1
	v_cvt_f32_f16_e32 v52, v53
	v_cvt_f32_f16_sdwa v53, v53 dst_sel:DWORD dst_unused:UNUSED_PAD src0_sel:WORD_1
	s_waitcnt vmcnt(1)
	v_cvt_f32_f16_e32 v54, v58
	v_cvt_f32_f16_sdwa v55, v58 dst_sel:DWORD dst_unused:UNUSED_PAD src0_sel:WORD_1
	v_cvt_f32_f16_e32 v56, v59
	v_cvt_f32_f16_sdwa v57, v59 dst_sel:DWORD dst_unused:UNUSED_PAD src0_sel:WORD_1
	s_waitcnt vmcnt(0)
	v_cvt_f32_f16_e32 v58, v60
	v_cvt_f32_f16_sdwa v59, v60 dst_sel:DWORD dst_unused:UNUSED_PAD src0_sel:WORD_1
	v_cvt_f32_f16_e32 v60, v61
	v_cvt_f32_f16_sdwa v61, v61 dst_sel:DWORD dst_unused:UNUSED_PAD src0_sel:WORD_1
	v_cvt_f32_f16_e32 v62, v2
	v_cvt_f32_f16_e32 v63, v3
	;; [unrolled: 1-line block ×31, first 2 shown]
	s_swappc_b64 s[30:31], s[34:35]
	v_mov_b32_e32 v93, v0
	v_mov_b32_e32 v0, v30
	v_mov_b32_e32 v1, v62
	s_swappc_b64 s[30:31], s[34:35]
	v_mov_b32_e32 v30, v0
	v_mov_b32_e32 v0, v32
	v_mov_b32_e32 v1, v63
	;; [unrolled: 4-line block ×31, first 2 shown]
	s_swappc_b64 s[30:31], s[34:35]
	v_cvt_f16_f32_e32 v1, v93
	v_cvt_f16_f32_e32 v2, v30
	s_add_u32 s4, s36, s28
	s_addc_u32 s5, s37, s29
	v_cvt_f16_f32_e32 v3, v32
	v_cvt_f16_f32_e32 v4, v33
	v_mov_b32_e32 v5, s5
	v_add_co_u32_e32 v6, vcc, s4, v96
	v_addc_co_u32_e32 v7, vcc, 0, v5, vcc
	v_pack_b32_f16 v2, v1, v2
	v_cvt_f16_f32_e32 v1, v34
	v_cvt_f16_f32_e32 v5, v35
	;; [unrolled: 1-line block ×4, first 2 shown]
	v_pack_b32_f16 v3, v3, v4
	global_store_dwordx2 v96, v[2:3], s[4:5]
	v_pack_b32_f16 v2, v1, v5
	v_pack_b32_f16 v3, v8, v9
	v_cvt_f16_f32_e32 v1, v38
	v_cvt_f16_f32_e32 v8, v39
	v_add_co_u32_e32 v4, vcc, s41, v6
	v_addc_co_u32_e32 v5, vcc, 0, v7, vcc
	global_store_dwordx2 v[4:5], v[2:3], off
	v_cvt_f16_f32_e32 v3, v40
	v_cvt_f16_f32_e32 v4, v41
	v_pack_b32_f16 v2, v1, v8
	v_cvt_f16_f32_e32 v1, v42
	v_cvt_f16_f32_e32 v5, v43
	;; [unrolled: 1-line block ×4, first 2 shown]
	v_pack_b32_f16 v3, v3, v4
	global_store_dwordx2 v95, v[2:3], s[4:5]
	v_pack_b32_f16 v2, v1, v5
	v_pack_b32_f16 v3, v8, v9
	v_cvt_f16_f32_e32 v1, v46
	v_cvt_f16_f32_e32 v8, v47
	v_add_co_u32_e32 v4, vcc, s40, v6
	v_addc_co_u32_e32 v5, vcc, 0, v7, vcc
	global_store_dwordx2 v[4:5], v[2:3], off
	v_cvt_f16_f32_e32 v3, v48
	v_cvt_f16_f32_e32 v4, v49
	v_pack_b32_f16 v2, v1, v8
	v_cvt_f16_f32_e32 v1, v50
	v_cvt_f16_f32_e32 v5, v51
	;; [unrolled: 1-line block ×4, first 2 shown]
	v_pack_b32_f16 v3, v3, v4
	global_store_dwordx2 v94, v[2:3], s[4:5]
	v_pack_b32_f16 v2, v1, v5
	v_pack_b32_f16 v3, v8, v9
	v_add_co_u32_e32 v4, vcc, s33, v6
	v_cvt_f16_f32_e32 v1, v54
	v_cvt_f16_f32_e32 v8, v55
	v_addc_co_u32_e32 v5, vcc, 0, v7, vcc
	global_store_dwordx2 v[4:5], v[2:3], off
	v_cvt_f16_f32_e32 v3, v56
	v_cvt_f16_f32_e32 v4, v57
	v_pack_b32_f16 v2, v1, v8
	v_cvt_f16_f32_e32 v1, v58
	v_cvt_f16_f32_e32 v5, v59
	;; [unrolled: 1-line block ×4, first 2 shown]
	v_pack_b32_f16 v3, v3, v4
	global_store_dwordx2 v97, v[2:3], s[4:5]
	v_add_co_u32_e32 v2, vcc, 0x7000, v6
	v_pack_b32_f16 v0, v1, v5
	v_pack_b32_f16 v1, v8, v9
	v_addc_co_u32_e32 v3, vcc, 0, v7, vcc
	global_store_dwordx2 v[2:3], v[0:1], off
	s_cbranch_execnz .LBB186_2
.LBB186_4:
	s_load_dword s13, s[22:23], 0x24
	s_load_dwordx4 s[4:7], s[22:23], 0x28
	s_add_u32 s8, s22, 56
	s_addc_u32 s9, s23, 0
	s_mov_b32 s12, s24
	s_waitcnt lgkmcnt(0)
	v_lshrrev_b16_e64 v8, 8, s13
	v_mov_b32_e32 v0, s36
	v_mov_b32_e32 v1, s37
	;; [unrolled: 1-line block ×12, first 2 shown]
	s_getpc_b64 s[10:11]
	s_add_u32 s10, s10, _ZN2at6native25elementwise_kernel_helperILb1EZZZNS0_33launch_standard_gamma_grad_kernelERNS_18TensorIteratorBaseEENKUlvE_clEvENKUlvE0_clEvEUlffE_NS0_6memory8policies11unroll_baseILi512ESt5arrayIPcLm3EE23TrivialOffsetCalculatorILi2EjESD_ILi1EjENS7_12LoadWithCastILi2EEENS7_13StoreWithCastILi1EEELi32ELi1EEEEEvT0_T1_@rel32@lo+4
	s_addc_u32 s11, s11, _ZN2at6native25elementwise_kernel_helperILb1EZZZNS0_33launch_standard_gamma_grad_kernelERNS_18TensorIteratorBaseEENKUlvE_clEvENKUlvE0_clEvEUlffE_NS0_6memory8policies11unroll_baseILi512ESt5arrayIPcLm3EE23TrivialOffsetCalculatorILi2EjESD_ILi1EjENS7_12LoadWithCastILi2EEENS7_13StoreWithCastILi1EEELi32ELi1EEEEEvT0_T1_@rel32@hi+12
	s_swappc_b64 s[30:31], s[10:11]
	s_endpgm
	.section	.rodata,"a",@progbits
	.p2align	6, 0x0
	.amdhsa_kernel _ZN2at6native39vectorized_templated_elementwise_kernelILi4EZZZNS0_33launch_standard_gamma_grad_kernelERNS_18TensorIteratorBaseEENKUlvE_clEvENKUlvE0_clEvEUlffE_St5arrayIPcLm3EE23TrivialOffsetCalculatorILi2EjESA_ILi1EjENS0_6memory12LoadWithCastILi2EEENSD_13StoreWithCastILi1EEEN3c104HalfEJSJ_fEEEviT0_T1_T2_T3_T4_T5_
		.amdhsa_group_segment_fixed_size 0
		.amdhsa_private_segment_fixed_size 288
		.amdhsa_kernarg_size 312
		.amdhsa_user_sgpr_count 8
		.amdhsa_user_sgpr_private_segment_buffer 1
		.amdhsa_user_sgpr_dispatch_ptr 0
		.amdhsa_user_sgpr_queue_ptr 0
		.amdhsa_user_sgpr_kernarg_segment_ptr 1
		.amdhsa_user_sgpr_dispatch_id 0
		.amdhsa_user_sgpr_flat_scratch_init 1
		.amdhsa_user_sgpr_kernarg_preload_length 0
		.amdhsa_user_sgpr_kernarg_preload_offset 0
		.amdhsa_user_sgpr_private_segment_size 0
		.amdhsa_uses_dynamic_stack 0
		.amdhsa_system_sgpr_private_segment_wavefront_offset 1
		.amdhsa_system_sgpr_workgroup_id_x 1
		.amdhsa_system_sgpr_workgroup_id_y 0
		.amdhsa_system_sgpr_workgroup_id_z 0
		.amdhsa_system_sgpr_workgroup_info 0
		.amdhsa_system_vgpr_workitem_id 0
		.amdhsa_next_free_vgpr 138
		.amdhsa_next_free_sgpr 98
		.amdhsa_accum_offset 120
		.amdhsa_reserve_vcc 1
		.amdhsa_reserve_flat_scratch 1
		.amdhsa_float_round_mode_32 0
		.amdhsa_float_round_mode_16_64 0
		.amdhsa_float_denorm_mode_32 3
		.amdhsa_float_denorm_mode_16_64 3
		.amdhsa_dx10_clamp 1
		.amdhsa_ieee_mode 1
		.amdhsa_fp16_overflow 0
		.amdhsa_tg_split 0
		.amdhsa_exception_fp_ieee_invalid_op 0
		.amdhsa_exception_fp_denorm_src 0
		.amdhsa_exception_fp_ieee_div_zero 0
		.amdhsa_exception_fp_ieee_overflow 0
		.amdhsa_exception_fp_ieee_underflow 0
		.amdhsa_exception_fp_ieee_inexact 0
		.amdhsa_exception_int_div_zero 0
	.end_amdhsa_kernel
	.section	.text._ZN2at6native39vectorized_templated_elementwise_kernelILi4EZZZNS0_33launch_standard_gamma_grad_kernelERNS_18TensorIteratorBaseEENKUlvE_clEvENKUlvE0_clEvEUlffE_St5arrayIPcLm3EE23TrivialOffsetCalculatorILi2EjESA_ILi1EjENS0_6memory12LoadWithCastILi2EEENSD_13StoreWithCastILi1EEEN3c104HalfEJSJ_fEEEviT0_T1_T2_T3_T4_T5_,"axG",@progbits,_ZN2at6native39vectorized_templated_elementwise_kernelILi4EZZZNS0_33launch_standard_gamma_grad_kernelERNS_18TensorIteratorBaseEENKUlvE_clEvENKUlvE0_clEvEUlffE_St5arrayIPcLm3EE23TrivialOffsetCalculatorILi2EjESA_ILi1EjENS0_6memory12LoadWithCastILi2EEENSD_13StoreWithCastILi1EEEN3c104HalfEJSJ_fEEEviT0_T1_T2_T3_T4_T5_,comdat
.Lfunc_end186:
	.size	_ZN2at6native39vectorized_templated_elementwise_kernelILi4EZZZNS0_33launch_standard_gamma_grad_kernelERNS_18TensorIteratorBaseEENKUlvE_clEvENKUlvE0_clEvEUlffE_St5arrayIPcLm3EE23TrivialOffsetCalculatorILi2EjESA_ILi1EjENS0_6memory12LoadWithCastILi2EEENSD_13StoreWithCastILi1EEEN3c104HalfEJSJ_fEEEviT0_T1_T2_T3_T4_T5_, .Lfunc_end186-_ZN2at6native39vectorized_templated_elementwise_kernelILi4EZZZNS0_33launch_standard_gamma_grad_kernelERNS_18TensorIteratorBaseEENKUlvE_clEvENKUlvE0_clEvEUlffE_St5arrayIPcLm3EE23TrivialOffsetCalculatorILi2EjESA_ILi1EjENS0_6memory12LoadWithCastILi2EEENSD_13StoreWithCastILi1EEEN3c104HalfEJSJ_fEEEviT0_T1_T2_T3_T4_T5_
                                        ; -- End function
	.section	.AMDGPU.csdata,"",@progbits
; Kernel info:
; codeLenInByte = 1976
; NumSgprs: 104
; NumVgprs: 120
; NumAgprs: 18
; TotalNumVgprs: 138
; ScratchSize: 288
; MemoryBound: 0
; FloatMode: 240
; IeeeMode: 1
; LDSByteSize: 0 bytes/workgroup (compile time only)
; SGPRBlocks: 12
; VGPRBlocks: 17
; NumSGPRsForWavesPerEU: 104
; NumVGPRsForWavesPerEU: 138
; AccumOffset: 120
; Occupancy: 3
; WaveLimiterHint : 0
; COMPUTE_PGM_RSRC2:SCRATCH_EN: 1
; COMPUTE_PGM_RSRC2:USER_SGPR: 8
; COMPUTE_PGM_RSRC2:TRAP_HANDLER: 0
; COMPUTE_PGM_RSRC2:TGID_X_EN: 1
; COMPUTE_PGM_RSRC2:TGID_Y_EN: 0
; COMPUTE_PGM_RSRC2:TGID_Z_EN: 0
; COMPUTE_PGM_RSRC2:TIDIG_COMP_CNT: 0
; COMPUTE_PGM_RSRC3_GFX90A:ACCUM_OFFSET: 29
; COMPUTE_PGM_RSRC3_GFX90A:TG_SPLIT: 0
	.section	.text._ZN2at6native39vectorized_templated_elementwise_kernelILi2EZZZNS0_33launch_standard_gamma_grad_kernelERNS_18TensorIteratorBaseEENKUlvE_clEvENKUlvE0_clEvEUlffE_St5arrayIPcLm3EE23TrivialOffsetCalculatorILi2EjESA_ILi1EjENS0_6memory12LoadWithCastILi2EEENSD_13StoreWithCastILi1EEEN3c104HalfEJSJ_fEEEviT0_T1_T2_T3_T4_T5_,"axG",@progbits,_ZN2at6native39vectorized_templated_elementwise_kernelILi2EZZZNS0_33launch_standard_gamma_grad_kernelERNS_18TensorIteratorBaseEENKUlvE_clEvENKUlvE0_clEvEUlffE_St5arrayIPcLm3EE23TrivialOffsetCalculatorILi2EjESA_ILi1EjENS0_6memory12LoadWithCastILi2EEENSD_13StoreWithCastILi1EEEN3c104HalfEJSJ_fEEEviT0_T1_T2_T3_T4_T5_,comdat
	.globl	_ZN2at6native39vectorized_templated_elementwise_kernelILi2EZZZNS0_33launch_standard_gamma_grad_kernelERNS_18TensorIteratorBaseEENKUlvE_clEvENKUlvE0_clEvEUlffE_St5arrayIPcLm3EE23TrivialOffsetCalculatorILi2EjESA_ILi1EjENS0_6memory12LoadWithCastILi2EEENSD_13StoreWithCastILi1EEEN3c104HalfEJSJ_fEEEviT0_T1_T2_T3_T4_T5_ ; -- Begin function _ZN2at6native39vectorized_templated_elementwise_kernelILi2EZZZNS0_33launch_standard_gamma_grad_kernelERNS_18TensorIteratorBaseEENKUlvE_clEvENKUlvE0_clEvEUlffE_St5arrayIPcLm3EE23TrivialOffsetCalculatorILi2EjESA_ILi1EjENS0_6memory12LoadWithCastILi2EEENSD_13StoreWithCastILi1EEEN3c104HalfEJSJ_fEEEviT0_T1_T2_T3_T4_T5_
	.p2align	8
	.type	_ZN2at6native39vectorized_templated_elementwise_kernelILi2EZZZNS0_33launch_standard_gamma_grad_kernelERNS_18TensorIteratorBaseEENKUlvE_clEvENKUlvE0_clEvEUlffE_St5arrayIPcLm3EE23TrivialOffsetCalculatorILi2EjESA_ILi1EjENS0_6memory12LoadWithCastILi2EEENSD_13StoreWithCastILi1EEEN3c104HalfEJSJ_fEEEviT0_T1_T2_T3_T4_T5_,@function
_ZN2at6native39vectorized_templated_elementwise_kernelILi2EZZZNS0_33launch_standard_gamma_grad_kernelERNS_18TensorIteratorBaseEENKUlvE_clEvENKUlvE0_clEvEUlffE_St5arrayIPcLm3EE23TrivialOffsetCalculatorILi2EjESA_ILi1EjENS0_6memory12LoadWithCastILi2EEENSD_13StoreWithCastILi1EEEN3c104HalfEJSJ_fEEEviT0_T1_T2_T3_T4_T5_: ; @_ZN2at6native39vectorized_templated_elementwise_kernelILi2EZZZNS0_33launch_standard_gamma_grad_kernelERNS_18TensorIteratorBaseEENKUlvE_clEvENKUlvE0_clEvEUlffE_St5arrayIPcLm3EE23TrivialOffsetCalculatorILi2EjESA_ILi1EjENS0_6memory12LoadWithCastILi2EEENSD_13StoreWithCastILi1EEEN3c104HalfEJSJ_fEEEviT0_T1_T2_T3_T4_T5_
; %bb.0:
	s_add_u32 flat_scratch_lo, s6, s9
	s_addc_u32 flat_scratch_hi, s7, 0
	s_add_u32 s0, s0, s9
	s_mov_b64 s[22:23], s[4:5]
	s_load_dword s4, s[4:5], 0x38
	s_nop 0
	s_load_dwordx2 s[26:27], s[22:23], 0x18
	s_load_dword s5, s[22:23], 0x0
	s_load_dwordx4 s[36:39], s[22:23], 0x8
	s_addc_u32 s1, s1, 0
	s_not_b32 s6, s8
	s_waitcnt lgkmcnt(0)
	s_add_i32 s4, s4, s6
	s_lshl_b32 s6, s4, 14
	s_sub_i32 s25, s5, s6
	s_mov_b32 s24, s8
	v_mov_b32_e32 v31, v0
	s_cmpk_gt_i32 s25, 0x3fff
	s_mov_b64 s[4:5], -1
	s_mov_b32 s32, 0
	s_cbranch_scc1 .LBB187_3
; %bb.1:
	s_andn2_b64 vcc, exec, s[4:5]
	s_cbranch_vccz .LBB187_4
.LBB187_2:
	s_endpgm
.LBB187_3:
	s_ashr_i32 s7, s6, 31
	s_lshl_b64 s[28:29], s[6:7], 1
	s_add_u32 s4, s38, s28
	s_addc_u32 s5, s39, s29
	v_lshlrev_b32_e32 v94, 2, v31
	v_mov_b32_e32 v0, s5
	v_add_co_u32_e32 v30, vcc, s4, v94
	v_addc_co_u32_e32 v32, vcc, 0, v0, vcc
	s_movk_i32 s41, 0x1000
	v_add_co_u32_e32 v0, vcc, s41, v30
	v_addc_co_u32_e32 v1, vcc, 0, v32, vcc
	s_movk_i32 s40, 0x2000
	;; [unrolled: 3-line block ×3, first 2 shown]
	v_add_co_u32_e32 v4, vcc, s33, v30
	v_or_b32_e32 v6, 0x400, v31
	v_or_b32_e32 v14, 0x800, v31
	;; [unrolled: 1-line block ×3, first 2 shown]
	v_addc_co_u32_e32 v5, vcc, 0, v32, vcc
	s_movk_i32 s42, 0x4000
	v_lshlrev_b32_e32 v97, 2, v6
	v_lshlrev_b32_e32 v96, 2, v14
	;; [unrolled: 1-line block ×3, first 2 shown]
	global_load_dword v33, v94, s[4:5]
	global_load_dword v34, v94, s[4:5] offset:2048
	global_load_dword v35, v97, s[4:5]
	global_load_dword v37, v[0:1], off offset:2048
	global_load_dword v39, v96, s[4:5]
	global_load_dword v41, v[2:3], off offset:2048
	global_load_dword v43, v95, s[4:5]
	global_load_dword v45, v[4:5], off offset:2048
	v_or_b32_e32 v22, 0x1000, v31
	v_add_co_u32_e32 v0, vcc, s42, v30
	v_lshlrev_b32_e32 v98, 2, v22
	v_addc_co_u32_e32 v1, vcc, 0, v32, vcc
	s_movk_i32 s44, 0x5000
	s_lshl_b64 s[6:7], s[6:7], 2
	global_load_dword v47, v98, s[4:5]
	global_load_dword v49, v[0:1], off offset:2048
	v_add_co_u32_e32 v0, vcc, s44, v30
	s_add_u32 s6, s26, s6
	v_addc_co_u32_e32 v1, vcc, 0, v32, vcc
	s_addc_u32 s7, s27, s7
	v_lshlrev_b32_e32 v16, 3, v31
	v_mov_b32_e32 v2, s7
	v_add_co_u32_e32 v40, vcc, s6, v16
	v_addc_co_u32_e32 v42, vcc, 0, v2, vcc
	v_add_co_u32_e32 v2, vcc, s41, v40
	v_addc_co_u32_e32 v3, vcc, 0, v42, vcc
	;; [unrolled: 2-line block ×3, first 2 shown]
	v_lshlrev_b32_e32 v17, 3, v6
	global_load_dwordx2 v[6:7], v16, s[6:7]
	global_load_dwordx2 v[8:9], v[2:3], off
	global_load_dwordx2 v[10:11], v17, s[6:7]
	global_load_dwordx2 v[12:13], v[4:5], off
	v_add_co_u32_e32 v2, vcc, s44, v40
	s_movk_i32 s8, 0x7000
	v_addc_co_u32_e32 v3, vcc, 0, v42, vcc
	v_add_co_u32_e32 v4, vcc, s8, v40
	v_lshlrev_b32_e32 v24, 3, v14
	v_addc_co_u32_e32 v5, vcc, 0, v42, vcc
	s_mov_b32 s9, 0x9000
	v_lshlrev_b32_e32 v25, 3, v15
	global_load_dwordx2 v[14:15], v24, s[6:7]
	global_load_dwordx2 v[16:17], v[2:3], off
	global_load_dwordx2 v[18:19], v25, s[6:7]
	global_load_dwordx2 v[20:21], v[4:5], off
	v_add_co_u32_e32 v2, vcc, s9, v40
	v_addc_co_u32_e32 v3, vcc, 0, v42, vcc
	s_mov_b32 s9, 0xb000
	v_add_co_u32_e32 v4, vcc, s9, v40
	v_or_b32_e32 v23, 0x1400, v31
	v_lshlrev_b32_e32 v44, 3, v22
	v_addc_co_u32_e32 v5, vcc, 0, v42, vcc
	s_mov_b32 s9, 0xd000
	v_lshlrev_b32_e32 v99, 2, v23
	v_lshlrev_b32_e32 v46, 3, v23
	global_load_dwordx2 v[22:23], v44, s[6:7]
	global_load_dwordx2 v[24:25], v[2:3], off
	global_load_dwordx2 v[26:27], v46, s[6:7]
	global_load_dwordx2 v[28:29], v[4:5], off
	v_add_co_u32_e32 v2, vcc, s9, v40
	v_addc_co_u32_e32 v3, vcc, 0, v42, vcc
	v_or_b32_e32 v36, 0x1800, v31
	v_add_co_u32_e32 v4, vcc, 0xf000, v40
	v_lshlrev_b32_e32 v100, 2, v36
	s_movk_i32 s43, 0x6000
	v_or_b32_e32 v38, 0x1c00, v31
	v_lshlrev_b32_e32 v36, 3, v36
	v_addc_co_u32_e32 v5, vcc, 0, v42, vcc
	v_lshlrev_b32_e32 v44, 3, v38
	global_load_dwordx2 v[50:51], v36, s[6:7]
	global_load_dwordx2 v[52:53], v[2:3], off
	global_load_dwordx2 v[54:55], v44, s[6:7]
	global_load_dwordx2 v[56:57], v[4:5], off
	v_add_co_u32_e32 v2, vcc, s43, v30
	v_addc_co_u32_e32 v3, vcc, 0, v32, vcc
	global_load_dword v4, v99, s[4:5]
	v_lshlrev_b32_e32 v101, 2, v38
	global_load_dword v5, v[0:1], off offset:2048
	global_load_dword v58, v100, s[4:5]
	global_load_dword v59, v[2:3], off offset:2048
	global_load_dword v60, v101, s[4:5]
	v_add_co_u32_e32 v0, vcc, s8, v30
	v_addc_co_u32_e32 v1, vcc, 0, v32, vcc
	global_load_dword v1, v[0:1], off offset:2048
	s_waitcnt vmcnt(31)
	v_cvt_f32_f16_e32 v0, v33
	v_cvt_f32_f16_sdwa v30, v33 dst_sel:DWORD dst_unused:UNUSED_PAD src0_sel:WORD_1
	s_waitcnt vmcnt(30)
	v_cvt_f32_f16_e32 v32, v34
	v_cvt_f32_f16_sdwa v33, v34 dst_sel:DWORD dst_unused:UNUSED_PAD src0_sel:WORD_1
	s_waitcnt vmcnt(29)
	v_cvt_f32_f16_e32 v34, v35
	v_cvt_f32_f16_sdwa v35, v35 dst_sel:DWORD dst_unused:UNUSED_PAD src0_sel:WORD_1
	s_waitcnt vmcnt(28)
	v_cvt_f32_f16_e32 v36, v37
	v_cvt_f32_f16_sdwa v37, v37 dst_sel:DWORD dst_unused:UNUSED_PAD src0_sel:WORD_1
	s_waitcnt vmcnt(27)
	v_cvt_f32_f16_e32 v38, v39
	v_cvt_f32_f16_sdwa v39, v39 dst_sel:DWORD dst_unused:UNUSED_PAD src0_sel:WORD_1
	s_waitcnt vmcnt(26)
	v_cvt_f32_f16_e32 v40, v41
	v_cvt_f32_f16_sdwa v41, v41 dst_sel:DWORD dst_unused:UNUSED_PAD src0_sel:WORD_1
	s_waitcnt vmcnt(25)
	v_cvt_f32_f16_e32 v42, v43
	v_cvt_f32_f16_sdwa v43, v43 dst_sel:DWORD dst_unused:UNUSED_PAD src0_sel:WORD_1
	s_waitcnt vmcnt(24)
	v_cvt_f32_f16_e32 v44, v45
	v_cvt_f32_f16_sdwa v45, v45 dst_sel:DWORD dst_unused:UNUSED_PAD src0_sel:WORD_1
	s_waitcnt vmcnt(23)
	v_cvt_f32_f16_e32 v46, v47
	v_cvt_f32_f16_sdwa v47, v47 dst_sel:DWORD dst_unused:UNUSED_PAD src0_sel:WORD_1
	s_waitcnt vmcnt(22)
	v_cvt_f32_f16_e32 v48, v49
	v_cvt_f32_f16_sdwa v49, v49 dst_sel:DWORD dst_unused:UNUSED_PAD src0_sel:WORD_1
	s_getpc_b64 s[34:35]
	s_add_u32 s34, s34, _ZZZZN2at6native33launch_standard_gamma_grad_kernelERNS_18TensorIteratorBaseEENKUlvE_clEvENKUlvE0_clEvENKUlffE_clEff@rel32@lo+4
	s_addc_u32 s35, s35, _ZZZZN2at6native33launch_standard_gamma_grad_kernelERNS_18TensorIteratorBaseEENKUlvE_clEvENKUlvE0_clEvENKUlffE_clEff@rel32@hi+12
	s_waitcnt vmcnt(21)
	v_cvt_f16_f32_e32 v2, v6
	v_cvt_f16_f32_e32 v3, v7
	s_waitcnt vmcnt(20)
	v_cvt_f16_f32_e32 v6, v8
	v_cvt_f16_f32_e32 v7, v9
	;; [unrolled: 3-line block ×4, first 2 shown]
	v_cvt_f32_f16_e32 v62, v3
	v_cvt_f32_f16_e32 v63, v6
	;; [unrolled: 1-line block ×5, first 2 shown]
	s_waitcnt vmcnt(17)
	v_cvt_f16_f32_e32 v12, v14
	v_cvt_f16_f32_e32 v13, v15
	s_waitcnt vmcnt(16)
	v_cvt_f16_f32_e32 v14, v16
	v_cvt_f16_f32_e32 v15, v17
	;; [unrolled: 3-line block ×4, first 2 shown]
	v_cvt_f32_f16_e32 v67, v10
	v_cvt_f32_f16_e32 v68, v11
	;; [unrolled: 1-line block ×7, first 2 shown]
	s_waitcnt vmcnt(13)
	v_cvt_f16_f32_e32 v20, v22
	v_cvt_f16_f32_e32 v21, v23
	s_waitcnt vmcnt(12)
	v_cvt_f16_f32_e32 v22, v24
	v_cvt_f16_f32_e32 v23, v25
	;; [unrolled: 3-line block ×4, first 2 shown]
	v_cvt_f32_f16_e32 v74, v17
	v_cvt_f32_f16_e32 v75, v18
	;; [unrolled: 1-line block ×7, first 2 shown]
	s_waitcnt vmcnt(9)
	v_cvt_f16_f32_e32 v28, v50
	v_cvt_f16_f32_e32 v29, v51
	s_waitcnt vmcnt(8)
	v_cvt_f16_f32_e32 v87, v52
	v_cvt_f16_f32_e32 v88, v53
	;; [unrolled: 3-line block ×4, first 2 shown]
	s_waitcnt vmcnt(3)
	v_cvt_f32_f16_e32 v54, v58
	v_cvt_f32_f16_sdwa v55, v58 dst_sel:DWORD dst_unused:UNUSED_PAD src0_sel:WORD_1
	s_waitcnt vmcnt(2)
	v_cvt_f32_f16_e32 v56, v59
	v_cvt_f32_f16_sdwa v57, v59 dst_sel:DWORD dst_unused:UNUSED_PAD src0_sel:WORD_1
	;; [unrolled: 3-line block ×3, first 2 shown]
	v_cvt_f32_f16_e32 v50, v4
	s_waitcnt vmcnt(0)
	v_cvt_f32_f16_e32 v60, v1
	v_cvt_f32_f16_sdwa v61, v1 dst_sel:DWORD dst_unused:UNUSED_PAD src0_sel:WORD_1
	v_cvt_f32_f16_e32 v1, v2
	v_cvt_f32_f16_sdwa v51, v4 dst_sel:DWORD dst_unused:UNUSED_PAD src0_sel:WORD_1
	;; [unrolled: 2-line block ×3, first 2 shown]
	v_cvt_f32_f16_e32 v81, v24
	v_cvt_f32_f16_e32 v82, v25
	;; [unrolled: 1-line block ×12, first 2 shown]
	s_swappc_b64 s[30:31], s[34:35]
	v_mov_b32_e32 v93, v0
	v_mov_b32_e32 v0, v30
	v_mov_b32_e32 v1, v62
	s_swappc_b64 s[30:31], s[34:35]
	v_mov_b32_e32 v30, v0
	v_mov_b32_e32 v0, v32
	v_mov_b32_e32 v1, v63
	;; [unrolled: 4-line block ×31, first 2 shown]
	s_swappc_b64 s[30:31], s[34:35]
	v_cvt_f16_f32_e32 v1, v93
	v_cvt_f16_f32_e32 v2, v30
	s_add_u32 s4, s36, s28
	v_cvt_f16_f32_e32 v4, v32
	v_cvt_f16_f32_e32 v5, v33
	s_addc_u32 s5, s37, s29
	v_mov_b32_e32 v3, s5
	v_add_co_u32_e32 v6, vcc, s4, v94
	v_addc_co_u32_e32 v7, vcc, 0, v3, vcc
	v_pack_b32_f16 v1, v1, v2
	v_cvt_f16_f32_e32 v2, v34
	v_cvt_f16_f32_e32 v3, v35
	global_store_dword v94, v1, s[4:5]
	v_pack_b32_f16 v1, v4, v5
	v_cvt_f16_f32_e32 v4, v36
	v_cvt_f16_f32_e32 v5, v37
	global_store_dword v94, v1, s[4:5] offset:2048
	v_pack_b32_f16 v1, v2, v3
	global_store_dword v97, v1, s[4:5]
	v_pack_b32_f16 v1, v4, v5
	v_cvt_f16_f32_e32 v4, v38
	v_cvt_f16_f32_e32 v5, v39
	;; [unrolled: 1-line block ×4, first 2 shown]
	v_add_co_u32_e32 v2, vcc, s41, v6
	v_addc_co_u32_e32 v3, vcc, 0, v7, vcc
	global_store_dword v[2:3], v1, off offset:2048
	v_pack_b32_f16 v1, v4, v5
	v_cvt_f16_f32_e32 v4, v42
	v_cvt_f16_f32_e32 v5, v43
	global_store_dword v96, v1, s[4:5]
	v_pack_b32_f16 v1, v8, v9
	v_cvt_f16_f32_e32 v8, v44
	v_cvt_f16_f32_e32 v9, v45
	v_add_co_u32_e32 v2, vcc, s40, v6
	v_addc_co_u32_e32 v3, vcc, 0, v7, vcc
	global_store_dword v[2:3], v1, off offset:2048
	v_pack_b32_f16 v1, v4, v5
	v_cvt_f16_f32_e32 v4, v46
	v_cvt_f16_f32_e32 v5, v47
	global_store_dword v95, v1, s[4:5]
	v_pack_b32_f16 v1, v8, v9
	v_cvt_f16_f32_e32 v8, v48
	v_cvt_f16_f32_e32 v9, v49
	;; [unrolled: 10-line block ×4, first 2 shown]
	v_add_co_u32_e32 v2, vcc, s44, v6
	v_addc_co_u32_e32 v3, vcc, 0, v7, vcc
	global_store_dword v[2:3], v1, off offset:2048
	v_pack_b32_f16 v1, v4, v5
	global_store_dword v100, v1, s[4:5]
	v_pack_b32_f16 v1, v8, v9
	v_cvt_f16_f32_e32 v4, v58
	v_cvt_f16_f32_e32 v5, v59
	;; [unrolled: 1-line block ×4, first 2 shown]
	v_add_co_u32_e32 v2, vcc, s43, v6
	v_addc_co_u32_e32 v3, vcc, 0, v7, vcc
	global_store_dword v[2:3], v1, off offset:2048
	v_pack_b32_f16 v1, v4, v5
	v_pack_b32_f16 v2, v8, v0
	v_add_co_u32_e32 v0, vcc, 0x7000, v6
	global_store_dword v101, v1, s[4:5]
	v_addc_co_u32_e32 v1, vcc, 0, v7, vcc
	global_store_dword v[0:1], v2, off offset:2048
	s_cbranch_execnz .LBB187_2
.LBB187_4:
	s_load_dword s13, s[22:23], 0x24
	s_load_dwordx4 s[4:7], s[22:23], 0x28
	s_add_u32 s8, s22, 56
	s_addc_u32 s9, s23, 0
	s_mov_b32 s12, s24
	s_waitcnt lgkmcnt(0)
	v_lshrrev_b16_e64 v8, 8, s13
	v_mov_b32_e32 v0, s36
	v_mov_b32_e32 v1, s37
	;; [unrolled: 1-line block ×12, first 2 shown]
	s_getpc_b64 s[10:11]
	s_add_u32 s10, s10, _ZN2at6native25elementwise_kernel_helperILb1EZZZNS0_33launch_standard_gamma_grad_kernelERNS_18TensorIteratorBaseEENKUlvE_clEvENKUlvE0_clEvEUlffE_NS0_6memory8policies11unroll_baseILi512ESt5arrayIPcLm3EE23TrivialOffsetCalculatorILi2EjESD_ILi1EjENS7_12LoadWithCastILi2EEENS7_13StoreWithCastILi1EEELi32ELi1EEEEEvT0_T1_@rel32@lo+4
	s_addc_u32 s11, s11, _ZN2at6native25elementwise_kernel_helperILb1EZZZNS0_33launch_standard_gamma_grad_kernelERNS_18TensorIteratorBaseEENKUlvE_clEvENKUlvE0_clEvEUlffE_NS0_6memory8policies11unroll_baseILi512ESt5arrayIPcLm3EE23TrivialOffsetCalculatorILi2EjESD_ILi1EjENS7_12LoadWithCastILi2EEENS7_13StoreWithCastILi1EEELi32ELi1EEEEEvT0_T1_@rel32@hi+12
	s_swappc_b64 s[30:31], s[10:11]
	s_endpgm
	.section	.rodata,"a",@progbits
	.p2align	6, 0x0
	.amdhsa_kernel _ZN2at6native39vectorized_templated_elementwise_kernelILi2EZZZNS0_33launch_standard_gamma_grad_kernelERNS_18TensorIteratorBaseEENKUlvE_clEvENKUlvE0_clEvEUlffE_St5arrayIPcLm3EE23TrivialOffsetCalculatorILi2EjESA_ILi1EjENS0_6memory12LoadWithCastILi2EEENSD_13StoreWithCastILi1EEEN3c104HalfEJSJ_fEEEviT0_T1_T2_T3_T4_T5_
		.amdhsa_group_segment_fixed_size 0
		.amdhsa_private_segment_fixed_size 288
		.amdhsa_kernarg_size 312
		.amdhsa_user_sgpr_count 8
		.amdhsa_user_sgpr_private_segment_buffer 1
		.amdhsa_user_sgpr_dispatch_ptr 0
		.amdhsa_user_sgpr_queue_ptr 0
		.amdhsa_user_sgpr_kernarg_segment_ptr 1
		.amdhsa_user_sgpr_dispatch_id 0
		.amdhsa_user_sgpr_flat_scratch_init 1
		.amdhsa_user_sgpr_kernarg_preload_length 0
		.amdhsa_user_sgpr_kernarg_preload_offset 0
		.amdhsa_user_sgpr_private_segment_size 0
		.amdhsa_uses_dynamic_stack 0
		.amdhsa_system_sgpr_private_segment_wavefront_offset 1
		.amdhsa_system_sgpr_workgroup_id_x 1
		.amdhsa_system_sgpr_workgroup_id_y 0
		.amdhsa_system_sgpr_workgroup_id_z 0
		.amdhsa_system_sgpr_workgroup_info 0
		.amdhsa_system_vgpr_workitem_id 0
		.amdhsa_next_free_vgpr 138
		.amdhsa_next_free_sgpr 98
		.amdhsa_accum_offset 120
		.amdhsa_reserve_vcc 1
		.amdhsa_reserve_flat_scratch 1
		.amdhsa_float_round_mode_32 0
		.amdhsa_float_round_mode_16_64 0
		.amdhsa_float_denorm_mode_32 3
		.amdhsa_float_denorm_mode_16_64 3
		.amdhsa_dx10_clamp 1
		.amdhsa_ieee_mode 1
		.amdhsa_fp16_overflow 0
		.amdhsa_tg_split 0
		.amdhsa_exception_fp_ieee_invalid_op 0
		.amdhsa_exception_fp_denorm_src 0
		.amdhsa_exception_fp_ieee_div_zero 0
		.amdhsa_exception_fp_ieee_overflow 0
		.amdhsa_exception_fp_ieee_underflow 0
		.amdhsa_exception_fp_ieee_inexact 0
		.amdhsa_exception_int_div_zero 0
	.end_amdhsa_kernel
	.section	.text._ZN2at6native39vectorized_templated_elementwise_kernelILi2EZZZNS0_33launch_standard_gamma_grad_kernelERNS_18TensorIteratorBaseEENKUlvE_clEvENKUlvE0_clEvEUlffE_St5arrayIPcLm3EE23TrivialOffsetCalculatorILi2EjESA_ILi1EjENS0_6memory12LoadWithCastILi2EEENSD_13StoreWithCastILi1EEEN3c104HalfEJSJ_fEEEviT0_T1_T2_T3_T4_T5_,"axG",@progbits,_ZN2at6native39vectorized_templated_elementwise_kernelILi2EZZZNS0_33launch_standard_gamma_grad_kernelERNS_18TensorIteratorBaseEENKUlvE_clEvENKUlvE0_clEvEUlffE_St5arrayIPcLm3EE23TrivialOffsetCalculatorILi2EjESA_ILi1EjENS0_6memory12LoadWithCastILi2EEENSD_13StoreWithCastILi1EEEN3c104HalfEJSJ_fEEEviT0_T1_T2_T3_T4_T5_,comdat
.Lfunc_end187:
	.size	_ZN2at6native39vectorized_templated_elementwise_kernelILi2EZZZNS0_33launch_standard_gamma_grad_kernelERNS_18TensorIteratorBaseEENKUlvE_clEvENKUlvE0_clEvEUlffE_St5arrayIPcLm3EE23TrivialOffsetCalculatorILi2EjESA_ILi1EjENS0_6memory12LoadWithCastILi2EEENSD_13StoreWithCastILi1EEEN3c104HalfEJSJ_fEEEviT0_T1_T2_T3_T4_T5_, .Lfunc_end187-_ZN2at6native39vectorized_templated_elementwise_kernelILi2EZZZNS0_33launch_standard_gamma_grad_kernelERNS_18TensorIteratorBaseEENKUlvE_clEvENKUlvE0_clEvEUlffE_St5arrayIPcLm3EE23TrivialOffsetCalculatorILi2EjESA_ILi1EjENS0_6memory12LoadWithCastILi2EEENSD_13StoreWithCastILi1EEEN3c104HalfEJSJ_fEEEviT0_T1_T2_T3_T4_T5_
                                        ; -- End function
	.section	.AMDGPU.csdata,"",@progbits
; Kernel info:
; codeLenInByte = 2388
; NumSgprs: 104
; NumVgprs: 120
; NumAgprs: 18
; TotalNumVgprs: 138
; ScratchSize: 288
; MemoryBound: 0
; FloatMode: 240
; IeeeMode: 1
; LDSByteSize: 0 bytes/workgroup (compile time only)
; SGPRBlocks: 12
; VGPRBlocks: 17
; NumSGPRsForWavesPerEU: 104
; NumVGPRsForWavesPerEU: 138
; AccumOffset: 120
; Occupancy: 3
; WaveLimiterHint : 0
; COMPUTE_PGM_RSRC2:SCRATCH_EN: 1
; COMPUTE_PGM_RSRC2:USER_SGPR: 8
; COMPUTE_PGM_RSRC2:TRAP_HANDLER: 0
; COMPUTE_PGM_RSRC2:TGID_X_EN: 1
; COMPUTE_PGM_RSRC2:TGID_Y_EN: 0
; COMPUTE_PGM_RSRC2:TGID_Z_EN: 0
; COMPUTE_PGM_RSRC2:TIDIG_COMP_CNT: 0
; COMPUTE_PGM_RSRC3_GFX90A:ACCUM_OFFSET: 29
; COMPUTE_PGM_RSRC3_GFX90A:TG_SPLIT: 0
	.section	.text._ZN2at6native32elementwise_kernel_manual_unrollILi128ELi4EZNS0_15gpu_kernel_implIZZZNS0_33launch_standard_gamma_grad_kernelERNS_18TensorIteratorBaseEENKUlvE_clEvENKUlvE0_clEvEUlffE_EEvS4_RKT_EUlibE_EEviT1_,"axG",@progbits,_ZN2at6native32elementwise_kernel_manual_unrollILi128ELi4EZNS0_15gpu_kernel_implIZZZNS0_33launch_standard_gamma_grad_kernelERNS_18TensorIteratorBaseEENKUlvE_clEvENKUlvE0_clEvEUlffE_EEvS4_RKT_EUlibE_EEviT1_,comdat
	.globl	_ZN2at6native32elementwise_kernel_manual_unrollILi128ELi4EZNS0_15gpu_kernel_implIZZZNS0_33launch_standard_gamma_grad_kernelERNS_18TensorIteratorBaseEENKUlvE_clEvENKUlvE0_clEvEUlffE_EEvS4_RKT_EUlibE_EEviT1_ ; -- Begin function _ZN2at6native32elementwise_kernel_manual_unrollILi128ELi4EZNS0_15gpu_kernel_implIZZZNS0_33launch_standard_gamma_grad_kernelERNS_18TensorIteratorBaseEENKUlvE_clEvENKUlvE0_clEvEUlffE_EEvS4_RKT_EUlibE_EEviT1_
	.p2align	8
	.type	_ZN2at6native32elementwise_kernel_manual_unrollILi128ELi4EZNS0_15gpu_kernel_implIZZZNS0_33launch_standard_gamma_grad_kernelERNS_18TensorIteratorBaseEENKUlvE_clEvENKUlvE0_clEvEUlffE_EEvS4_RKT_EUlibE_EEviT1_,@function
_ZN2at6native32elementwise_kernel_manual_unrollILi128ELi4EZNS0_15gpu_kernel_implIZZZNS0_33launch_standard_gamma_grad_kernelERNS_18TensorIteratorBaseEENKUlvE_clEvENKUlvE0_clEvEUlffE_EEvS4_RKT_EUlibE_EEviT1_: ; @_ZN2at6native32elementwise_kernel_manual_unrollILi128ELi4EZNS0_15gpu_kernel_implIZZZNS0_33launch_standard_gamma_grad_kernelERNS_18TensorIteratorBaseEENKUlvE_clEvENKUlvE0_clEvEUlffE_EEvS4_RKT_EUlibE_EEviT1_
; %bb.0:
	v_mov_b32_e32 v1, 0
	global_load_ushort v36, v1, s[4:5] offset:45
	global_load_sbyte v38, v1, s[4:5] offset:47
	s_add_u32 flat_scratch_lo, s6, s9
	s_addc_u32 flat_scratch_hi, s7, 0
	s_load_dword s33, s[4:5], 0x0
	s_load_dwordx4 s[24:27], s[4:5], 0x8
	s_load_dwordx2 s[22:23], s[4:5], 0x18
	s_load_dwordx4 s[36:39], s[4:5], 0x20
	v_lshl_or_b32 v37, s8, 9, v0
	s_add_u32 s0, s0, s9
	v_or_b32_e32 v0, 0x180, v37
	s_addc_u32 s1, s1, 0
	s_mov_b64 s[28:29], 0
	s_waitcnt lgkmcnt(0)
	v_cmp_le_i32_e32 vcc, s33, v0
	s_mov_b64 s[40:41], 0
	s_mov_b32 s32, 0
	s_waitcnt vmcnt(1)
	v_lshrrev_b32_e32 v35, 8, v36
	s_and_saveexec_b64 s[4:5], vcc
	s_xor_b64 s[34:35], exec, s[4:5]
	s_cbranch_execz .LBB188_1542
; %bb.1:
	v_cmp_gt_i32_e32 vcc, s33, v37
	s_mov_b64 s[4:5], -1
	s_mov_b64 s[50:51], 0
	s_mov_b64 s[44:45], 0
	;; [unrolled: 1-line block ×3, first 2 shown]
	s_and_saveexec_b64 s[46:47], vcc
	s_cbranch_execz .LBB188_381
; %bb.2:
	v_mul_lo_u32 v0, v37, s37
	v_ashrrev_i32_e32 v1, 31, v0
	v_mov_b32_e32 v3, s27
	v_add_co_u32_e32 v2, vcc, s26, v0
	v_mov_b32_e32 v0, 11
	v_addc_co_u32_e32 v3, vcc, v3, v1, vcc
	v_cmp_lt_i16_sdwa s[4:5], v35, v0 src0_sel:BYTE_0 src1_sel:DWORD
	s_and_b64 vcc, exec, s[4:5]
	s_cbranch_vccnz .LBB188_9
; %bb.3:
	v_mov_b32_e32 v0, 25
	v_cmp_gt_i16_sdwa s[4:5], v35, v0 src0_sel:BYTE_0 src1_sel:DWORD
	s_and_b64 vcc, exec, s[4:5]
	s_cbranch_vccz .LBB188_11
; %bb.4:
	v_mov_b32_e32 v0, 28
	v_cmp_gt_i16_sdwa s[4:5], v35, v0 src0_sel:BYTE_0 src1_sel:DWORD
	s_and_b64 vcc, exec, s[4:5]
	s_cbranch_vccz .LBB188_12
	;; [unrolled: 5-line block ×4, first 2 shown]
; %bb.7:
	v_mov_b32_e32 v0, 46
	v_cmp_eq_u16_sdwa s[4:5], v35, v0 src0_sel:BYTE_0 src1_sel:DWORD
	s_mov_b64 s[6:7], 0
	s_and_b64 vcc, exec, s[4:5]
	s_cbranch_vccz .LBB188_15
; %bb.8:
	global_load_dword v0, v[2:3], off
	s_mov_b64 s[4:5], -1
	s_waitcnt vmcnt(0)
	v_lshlrev_b32_e32 v0, 16, v0
	s_branch .LBB188_17
.LBB188_9:
                                        ; implicit-def: $vgpr0
	s_mov_b64 s[4:5], 0
	s_cbranch_execnz .LBB188_81
.LBB188_10:
	s_andn2_b64 vcc, exec, s[4:5]
	s_cbranch_vccz .LBB188_128
	s_branch .LBB188_378
.LBB188_11:
	s_mov_b64 s[4:5], 0
                                        ; implicit-def: $vgpr0
	s_cbranch_execnz .LBB188_46
	s_branch .LBB188_80
.LBB188_12:
	s_mov_b64 s[6:7], -1
	s_mov_b64 s[4:5], 0
                                        ; implicit-def: $vgpr0
	s_branch .LBB188_27
.LBB188_13:
	s_mov_b64 s[6:7], -1
	s_mov_b64 s[4:5], 0
                                        ; implicit-def: $vgpr0
	s_branch .LBB188_22
.LBB188_14:
	s_mov_b64 s[6:7], -1
	s_branch .LBB188_16
.LBB188_15:
	s_mov_b64 s[44:45], -1
.LBB188_16:
	s_mov_b64 s[4:5], 0
                                        ; implicit-def: $vgpr0
.LBB188_17:
	s_and_b64 vcc, exec, s[6:7]
	s_cbranch_vccz .LBB188_21
; %bb.18:
	v_mov_b32_e32 v0, 44
	v_cmp_eq_u16_sdwa s[6:7], v35, v0 src0_sel:BYTE_0 src1_sel:DWORD
	s_and_b64 vcc, exec, s[6:7]
	s_cbranch_vccz .LBB188_20
; %bb.19:
	global_load_ubyte v0, v[2:3], off
	s_movk_i32 s6, 0xff
	v_mov_b32_e32 v1, 0x7f800001
	v_mov_b32_e32 v4, 0x400000
	s_mov_b64 s[4:5], -1
	s_mov_b64 s[44:45], 0
	s_waitcnt vmcnt(0)
	v_lshlrev_b32_e32 v5, 23, v0
	v_cmp_ne_u32_e32 vcc, s6, v0
	v_cndmask_b32_e32 v1, v1, v5, vcc
	v_cmp_ne_u32_e32 vcc, 0, v0
	v_cndmask_b32_e32 v0, v4, v1, vcc
	s_branch .LBB188_21
.LBB188_20:
	s_mov_b64 s[44:45], -1
                                        ; implicit-def: $vgpr0
.LBB188_21:
	s_mov_b64 s[6:7], 0
.LBB188_22:
	s_and_b64 vcc, exec, s[6:7]
	s_cbranch_vccz .LBB188_26
; %bb.23:
	v_mov_b32_e32 v0, 29
	v_cmp_eq_u16_sdwa s[6:7], v35, v0 src0_sel:BYTE_0 src1_sel:DWORD
	s_and_b64 vcc, exec, s[6:7]
	s_cbranch_vccz .LBB188_25
; %bb.24:
	global_load_dwordx2 v[0:1], v[2:3], off
	s_mov_b64 s[4:5], -1
	s_mov_b64 s[44:45], 0
	s_mov_b64 s[6:7], 0
	s_waitcnt vmcnt(0)
	v_ffbh_u32_e32 v4, v1
	v_min_u32_e32 v4, 32, v4
	v_lshlrev_b64 v[0:1], v4, v[0:1]
	v_min_u32_e32 v0, 1, v0
	v_or_b32_e32 v0, v1, v0
	v_cvt_f32_u32_e32 v0, v0
	v_sub_u32_e32 v1, 32, v4
	v_ldexp_f32 v0, v0, v1
	s_branch .LBB188_27
.LBB188_25:
	s_mov_b64 s[44:45], -1
                                        ; implicit-def: $vgpr0
.LBB188_26:
	s_mov_b64 s[6:7], 0
.LBB188_27:
	s_and_b64 vcc, exec, s[6:7]
	s_cbranch_vccz .LBB188_45
; %bb.28:
	v_mov_b32_e32 v0, 27
	v_cmp_lt_i16_sdwa s[4:5], v35, v0 src0_sel:BYTE_0 src1_sel:DWORD
	s_and_b64 vcc, exec, s[4:5]
	s_cbranch_vccnz .LBB188_31
; %bb.29:
	v_cmp_gt_i16_sdwa s[4:5], v35, v0 src0_sel:BYTE_0 src1_sel:DWORD
	s_and_b64 vcc, exec, s[4:5]
	s_cbranch_vccz .LBB188_32
; %bb.30:
	global_load_dword v0, v[2:3], off
	s_mov_b64 s[4:5], 0
	s_waitcnt vmcnt(0)
	v_cvt_f32_u32_e32 v0, v0
	s_branch .LBB188_33
.LBB188_31:
	s_mov_b64 s[4:5], -1
                                        ; implicit-def: $vgpr0
	s_branch .LBB188_36
.LBB188_32:
	s_mov_b64 s[4:5], -1
                                        ; implicit-def: $vgpr0
.LBB188_33:
	s_andn2_b64 vcc, exec, s[4:5]
	s_cbranch_vccnz .LBB188_35
; %bb.34:
	global_load_ushort v0, v[2:3], off
	s_waitcnt vmcnt(0)
	v_cvt_f32_u32_e32 v0, v0
.LBB188_35:
	s_mov_b64 s[4:5], 0
.LBB188_36:
	s_andn2_b64 vcc, exec, s[4:5]
	s_cbranch_vccnz .LBB188_44
; %bb.37:
	global_load_ubyte v1, v[2:3], off
	s_movk_i32 s4, 0x7f
                                        ; implicit-def: $sgpr10
	s_waitcnt vmcnt(0)
	v_cmp_lt_i16_e32 vcc, s4, v1
	s_mov_b64 s[4:5], 0
	s_and_saveexec_b64 s[6:7], vcc
	s_xor_b64 s[6:7], exec, s[6:7]
	s_cbranch_execz .LBB188_57
; %bb.38:
	s_movk_i32 s4, 0x80
	v_cmp_eq_u16_e32 vcc, s4, v1
	s_mov_b64 s[4:5], -1
                                        ; implicit-def: $sgpr10
	s_and_saveexec_b64 s[8:9], vcc
; %bb.39:
	s_mov_b32 s10, 0x7f800001
	s_xor_b64 s[4:5], exec, -1
; %bb.40:
	s_or_b64 exec, exec, s[8:9]
	s_and_b64 s[4:5], s[4:5], exec
	s_or_saveexec_b64 s[6:7], s[6:7]
	v_mov_b32_e32 v0, s10
	s_xor_b64 exec, exec, s[6:7]
	s_cbranch_execnz .LBB188_58
.LBB188_41:
	s_or_b64 exec, exec, s[6:7]
	s_and_saveexec_b64 s[6:7], s[4:5]
	s_cbranch_execz .LBB188_43
.LBB188_42:
	v_lshlrev_b32_e32 v0, 24, v1
	v_and_b32_e32 v1, 0xffff, v1
	v_and_b32_e32 v4, 7, v1
	v_ffbh_u32_e32 v6, v4
	v_min_u32_e32 v6, 32, v6
	v_subrev_u32_e32 v7, 28, v6
	v_bfe_u32 v5, v1, 3, 4
	v_lshlrev_b32_e32 v1, v7, v1
	v_sub_u32_e32 v6, 29, v6
	v_and_b32_e32 v1, 7, v1
	v_cmp_eq_u32_e32 vcc, 0, v5
	v_cndmask_b32_e32 v5, v5, v6, vcc
	v_cndmask_b32_e32 v1, v4, v1, vcc
	v_mov_b32_e32 v4, 0x3b800000
	v_lshlrev_b32_e32 v1, 20, v1
	v_and_b32_e32 v0, 0x80000000, v0
	v_lshl_add_u32 v4, v5, 23, v4
	v_or3_b32 v0, v0, v4, v1
.LBB188_43:
	s_or_b64 exec, exec, s[6:7]
.LBB188_44:
	s_mov_b64 s[4:5], -1
.LBB188_45:
	s_branch .LBB188_80
.LBB188_46:
	v_mov_b32_e32 v0, 22
	v_cmp_gt_i16_sdwa s[6:7], v35, v0 src0_sel:BYTE_0 src1_sel:DWORD
	s_and_b64 vcc, exec, s[6:7]
	s_cbranch_vccz .LBB188_56
; %bb.47:
	v_mov_b32_e32 v0, 24
	v_cmp_lt_i16_sdwa s[4:5], v35, v0 src0_sel:BYTE_0 src1_sel:DWORD
	s_and_b64 vcc, exec, s[4:5]
	s_cbranch_vccnz .LBB188_59
; %bb.48:
	v_cmp_gt_i16_sdwa s[4:5], v35, v0 src0_sel:BYTE_0 src1_sel:DWORD
	s_and_b64 vcc, exec, s[4:5]
	s_cbranch_vccz .LBB188_60
; %bb.49:
	global_load_ubyte v1, v[2:3], off
	s_movk_i32 s4, 0x7f
                                        ; implicit-def: $sgpr10
	s_waitcnt vmcnt(0)
	v_cmp_lt_i16_e32 vcc, s4, v1
	s_mov_b64 s[4:5], 0
	s_and_saveexec_b64 s[6:7], vcc
	s_xor_b64 s[6:7], exec, s[6:7]
	s_cbranch_execz .LBB188_72
; %bb.50:
	s_movk_i32 s4, 0x80
	v_cmp_eq_u16_e32 vcc, s4, v1
	s_mov_b64 s[4:5], -1
                                        ; implicit-def: $sgpr10
	s_and_saveexec_b64 s[8:9], vcc
; %bb.51:
	s_mov_b32 s10, 0x7f800001
	s_xor_b64 s[4:5], exec, -1
; %bb.52:
	s_or_b64 exec, exec, s[8:9]
	s_and_b64 s[4:5], s[4:5], exec
	s_or_saveexec_b64 s[6:7], s[6:7]
	v_mov_b32_e32 v0, s10
	s_xor_b64 exec, exec, s[6:7]
	s_cbranch_execnz .LBB188_73
.LBB188_53:
	s_or_b64 exec, exec, s[6:7]
	s_and_saveexec_b64 s[6:7], s[4:5]
	s_cbranch_execz .LBB188_55
.LBB188_54:
	v_lshlrev_b32_e32 v0, 24, v1
	v_and_b32_e32 v1, 0xffff, v1
	v_and_b32_e32 v4, 3, v1
	v_ffbh_u32_e32 v6, v4
	v_min_u32_e32 v6, 32, v6
	v_subrev_u32_e32 v7, 29, v6
	v_bfe_u32 v5, v1, 2, 5
	v_lshlrev_b32_e32 v1, v7, v1
	v_sub_u32_e32 v6, 30, v6
	v_and_b32_e32 v1, 3, v1
	v_cmp_eq_u32_e32 vcc, 0, v5
	v_cndmask_b32_e32 v5, v5, v6, vcc
	v_cndmask_b32_e32 v1, v4, v1, vcc
	v_mov_b32_e32 v4, 0x37800000
	v_lshlrev_b32_e32 v1, 21, v1
	v_and_b32_e32 v0, 0x80000000, v0
	v_lshl_add_u32 v4, v5, 23, v4
	v_or3_b32 v0, v0, v4, v1
.LBB188_55:
	s_or_b64 exec, exec, s[6:7]
	s_mov_b64 s[4:5], 0
	s_branch .LBB188_61
.LBB188_56:
	s_mov_b64 s[6:7], -1
                                        ; implicit-def: $vgpr0
	s_branch .LBB188_67
.LBB188_57:
	s_or_saveexec_b64 s[6:7], s[6:7]
	v_mov_b32_e32 v0, s10
	s_xor_b64 exec, exec, s[6:7]
	s_cbranch_execz .LBB188_41
.LBB188_58:
	v_cmp_ne_u16_e32 vcc, 0, v1
	s_andn2_b64 s[4:5], s[4:5], exec
	s_and_b64 s[8:9], vcc, exec
	v_mov_b32_e32 v0, 0
	s_or_b64 s[4:5], s[4:5], s[8:9]
	s_or_b64 exec, exec, s[6:7]
	s_and_saveexec_b64 s[6:7], s[4:5]
	s_cbranch_execnz .LBB188_42
	s_branch .LBB188_43
.LBB188_59:
	s_mov_b64 s[4:5], -1
                                        ; implicit-def: $vgpr0
	s_branch .LBB188_64
.LBB188_60:
	s_mov_b64 s[4:5], -1
                                        ; implicit-def: $vgpr0
.LBB188_61:
	s_and_b64 vcc, exec, s[4:5]
	s_cbranch_vccz .LBB188_63
; %bb.62:
	global_load_ubyte v0, v[2:3], off
	s_mov_b32 s4, 0x7f800000
	s_waitcnt vmcnt(0)
	v_lshlrev_b32_e32 v0, 24, v0
	v_and_b32_e32 v1, 0x7f000000, v0
	v_ffbh_u32_e32 v4, v1
	v_min_u32_e32 v4, 32, v4
	v_sub_u32_e64 v4, v4, 4 clamp
	v_lshlrev_b32_e32 v6, v4, v1
	v_lshlrev_b32_e32 v4, 23, v4
	v_lshrrev_b32_e32 v6, 4, v6
	v_add_u32_e32 v5, 0x1000000, v1
	v_sub_u32_e32 v4, v6, v4
	v_ashrrev_i32_e32 v5, 8, v5
	v_add_u32_e32 v4, 0x3c000000, v4
	v_and_or_b32 v4, v5, s4, v4
	v_cmp_ne_u32_e32 vcc, 0, v1
	v_cndmask_b32_e32 v1, 0, v4, vcc
	s_brev_b32 s4, 1
	v_and_or_b32 v0, v0, s4, v1
.LBB188_63:
	s_mov_b64 s[4:5], 0
.LBB188_64:
	s_andn2_b64 vcc, exec, s[4:5]
	s_cbranch_vccnz .LBB188_66
; %bb.65:
	global_load_ubyte v0, v[2:3], off
	s_movk_i32 s4, 0x7f00
	s_brev_b32 s5, 16
	s_waitcnt vmcnt(0)
	v_lshlrev_b16_e32 v1, 8, v0
	v_lshlrev_b32_e32 v0, 25, v0
	v_lshrrev_b32_e32 v4, 4, v0
	v_and_or_b32 v5, v1, s4, 0.5
	v_or_b32_e32 v4, 0x70000000, v4
	v_add_f32_e32 v5, -0.5, v5
	v_mul_f32_e32 v4, 0x7800000, v4
	v_cmp_gt_u32_e32 vcc, s5, v0
	v_bfe_i32 v1, v1, 0, 16
	v_cndmask_b32_e32 v0, v4, v5, vcc
	s_brev_b32 s4, 1
	v_and_or_b32 v0, v1, s4, v0
.LBB188_66:
	s_mov_b64 s[6:7], 0
	s_mov_b64 s[4:5], -1
.LBB188_67:
	s_andn2_b64 vcc, exec, s[6:7]
	s_cbranch_vccnz .LBB188_80
; %bb.68:
	v_mov_b32_e32 v0, 14
	v_cmp_gt_i16_sdwa s[6:7], v35, v0 src0_sel:BYTE_0 src1_sel:DWORD
	s_and_b64 vcc, exec, s[6:7]
	s_cbranch_vccz .LBB188_71
; %bb.69:
	v_mov_b32_e32 v0, 15
	v_cmp_eq_u16_sdwa s[6:7], v35, v0 src0_sel:BYTE_0 src1_sel:DWORD
	s_and_b64 vcc, exec, s[6:7]
	s_cbranch_vccz .LBB188_74
; %bb.70:
	global_load_ushort v0, v[2:3], off
	s_mov_b64 s[4:5], -1
	s_mov_b64 s[44:45], 0
	s_waitcnt vmcnt(0)
	v_lshlrev_b32_e32 v0, 16, v0
	s_branch .LBB188_75
.LBB188_71:
	s_mov_b64 s[6:7], -1
                                        ; implicit-def: $vgpr0
	s_branch .LBB188_76
.LBB188_72:
	s_or_saveexec_b64 s[6:7], s[6:7]
	v_mov_b32_e32 v0, s10
	s_xor_b64 exec, exec, s[6:7]
	s_cbranch_execz .LBB188_53
.LBB188_73:
	v_cmp_ne_u16_e32 vcc, 0, v1
	s_andn2_b64 s[4:5], s[4:5], exec
	s_and_b64 s[8:9], vcc, exec
	v_mov_b32_e32 v0, 0
	s_or_b64 s[4:5], s[4:5], s[8:9]
	s_or_b64 exec, exec, s[6:7]
	s_and_saveexec_b64 s[6:7], s[4:5]
	s_cbranch_execnz .LBB188_54
	s_branch .LBB188_55
.LBB188_74:
	s_mov_b64 s[44:45], -1
                                        ; implicit-def: $vgpr0
.LBB188_75:
	s_mov_b64 s[6:7], 0
.LBB188_76:
	s_and_b64 vcc, exec, s[6:7]
	s_cbranch_vccz .LBB188_80
; %bb.77:
	v_mov_b32_e32 v0, 11
	v_cmp_eq_u16_sdwa s[6:7], v35, v0 src0_sel:BYTE_0 src1_sel:DWORD
	s_and_b64 vcc, exec, s[6:7]
	s_cbranch_vccz .LBB188_79
; %bb.78:
	global_load_ubyte v0, v[2:3], off
	s_mov_b64 s[4:5], -1
	s_mov_b64 s[44:45], 0
	s_waitcnt vmcnt(0)
	v_cmp_ne_u16_e32 vcc, 0, v0
	v_cndmask_b32_e64 v0, 0, 1.0, vcc
	s_branch .LBB188_80
.LBB188_79:
	s_mov_b64 s[44:45], -1
                                        ; implicit-def: $vgpr0
.LBB188_80:
	s_branch .LBB188_10
.LBB188_81:
	v_mov_b32_e32 v0, 5
	v_cmp_lt_i16_sdwa s[4:5], v35, v0 src0_sel:BYTE_0 src1_sel:DWORD
	s_and_b64 vcc, exec, s[4:5]
	s_cbranch_vccnz .LBB188_86
; %bb.82:
	v_mov_b32_e32 v0, 8
	v_cmp_lt_i16_sdwa s[4:5], v35, v0 src0_sel:BYTE_0 src1_sel:DWORD
	s_and_b64 vcc, exec, s[4:5]
	s_cbranch_vccnz .LBB188_87
; %bb.83:
	;; [unrolled: 5-line block ×3, first 2 shown]
	v_cmp_gt_i16_sdwa s[4:5], v35, v0 src0_sel:BYTE_0 src1_sel:DWORD
	s_and_b64 vcc, exec, s[4:5]
	s_cbranch_vccz .LBB188_89
; %bb.85:
	global_load_dwordx2 v[0:1], v[2:3], off
	s_mov_b64 s[4:5], 0
	s_waitcnt vmcnt(0)
	v_cvt_f32_f64_e32 v0, v[0:1]
	s_branch .LBB188_90
.LBB188_86:
                                        ; implicit-def: $vgpr0
	s_branch .LBB188_108
.LBB188_87:
	s_mov_b64 s[4:5], -1
                                        ; implicit-def: $vgpr0
	s_branch .LBB188_96
.LBB188_88:
	s_mov_b64 s[4:5], -1
                                        ; implicit-def: $vgpr0
	s_branch .LBB188_93
.LBB188_89:
	s_mov_b64 s[4:5], -1
                                        ; implicit-def: $vgpr0
.LBB188_90:
	s_andn2_b64 vcc, exec, s[4:5]
	s_cbranch_vccnz .LBB188_92
; %bb.91:
	global_load_dword v0, v[2:3], off
.LBB188_92:
	s_mov_b64 s[4:5], 0
.LBB188_93:
	s_andn2_b64 vcc, exec, s[4:5]
	s_cbranch_vccnz .LBB188_95
; %bb.94:
	global_load_dword v0, v[2:3], off
	s_waitcnt vmcnt(0)
	v_cvt_f32_f16_e32 v0, v0
.LBB188_95:
	s_mov_b64 s[4:5], 0
.LBB188_96:
	s_andn2_b64 vcc, exec, s[4:5]
	s_cbranch_vccnz .LBB188_107
; %bb.97:
	s_waitcnt vmcnt(0)
	v_mov_b32_e32 v0, 6
	v_cmp_lt_i16_sdwa s[4:5], v35, v0 src0_sel:BYTE_0 src1_sel:DWORD
	s_and_b64 vcc, exec, s[4:5]
	s_cbranch_vccnz .LBB188_100
; %bb.98:
	v_cmp_gt_i16_sdwa s[4:5], v35, v0 src0_sel:BYTE_0 src1_sel:DWORD
	s_and_b64 vcc, exec, s[4:5]
	s_cbranch_vccz .LBB188_101
; %bb.99:
	global_load_dwordx2 v[0:1], v[2:3], off
	s_mov_b64 s[4:5], 0
	s_waitcnt vmcnt(0)
	v_cvt_f32_f64_e32 v0, v[0:1]
	s_branch .LBB188_102
.LBB188_100:
	s_mov_b64 s[4:5], -1
                                        ; implicit-def: $vgpr0
	s_branch .LBB188_105
.LBB188_101:
	s_mov_b64 s[4:5], -1
                                        ; implicit-def: $vgpr0
.LBB188_102:
	s_andn2_b64 vcc, exec, s[4:5]
	s_cbranch_vccnz .LBB188_104
; %bb.103:
	global_load_dword v0, v[2:3], off
.LBB188_104:
	s_mov_b64 s[4:5], 0
.LBB188_105:
	s_andn2_b64 vcc, exec, s[4:5]
	s_cbranch_vccnz .LBB188_107
; %bb.106:
	global_load_ushort v0, v[2:3], off
	s_waitcnt vmcnt(0)
	v_cvt_f32_f16_e32 v0, v0
.LBB188_107:
	s_cbranch_execnz .LBB188_127
.LBB188_108:
	s_waitcnt vmcnt(0)
	v_mov_b32_e32 v0, 2
	v_cmp_lt_i16_sdwa s[4:5], v35, v0 src0_sel:BYTE_0 src1_sel:DWORD
	s_and_b64 vcc, exec, s[4:5]
	s_cbranch_vccnz .LBB188_112
; %bb.109:
	v_mov_b32_e32 v0, 3
	v_cmp_lt_i16_sdwa s[4:5], v35, v0 src0_sel:BYTE_0 src1_sel:DWORD
	s_and_b64 vcc, exec, s[4:5]
	s_cbranch_vccnz .LBB188_113
; %bb.110:
	v_cmp_gt_i16_sdwa s[4:5], v35, v0 src0_sel:BYTE_0 src1_sel:DWORD
	s_and_b64 vcc, exec, s[4:5]
	s_cbranch_vccz .LBB188_114
; %bb.111:
	global_load_dwordx2 v[0:1], v[2:3], off
	s_mov_b64 s[4:5], 0
	s_waitcnt vmcnt(0)
	v_xor_b32_e32 v5, v0, v1
	v_ffbh_i32_e32 v4, v1
	v_ashrrev_i32_e32 v5, 31, v5
	v_add_u32_e32 v4, -1, v4
	v_add_u32_e32 v5, 32, v5
	v_min_u32_e32 v4, v4, v5
	v_lshlrev_b64 v[0:1], v4, v[0:1]
	v_min_u32_e32 v0, 1, v0
	v_or_b32_e32 v0, v1, v0
	v_cvt_f32_i32_e32 v0, v0
	v_sub_u32_e32 v1, 32, v4
	v_ldexp_f32 v0, v0, v1
	s_branch .LBB188_115
.LBB188_112:
	s_mov_b64 s[4:5], -1
                                        ; implicit-def: $vgpr0
	s_branch .LBB188_121
.LBB188_113:
	s_mov_b64 s[4:5], -1
                                        ; implicit-def: $vgpr0
	s_branch .LBB188_118
.LBB188_114:
	s_mov_b64 s[4:5], -1
                                        ; implicit-def: $vgpr0
.LBB188_115:
	s_andn2_b64 vcc, exec, s[4:5]
	s_cbranch_vccnz .LBB188_117
; %bb.116:
	global_load_dword v0, v[2:3], off
	s_waitcnt vmcnt(0)
	v_cvt_f32_i32_e32 v0, v0
.LBB188_117:
	s_mov_b64 s[4:5], 0
.LBB188_118:
	s_andn2_b64 vcc, exec, s[4:5]
	s_cbranch_vccnz .LBB188_120
; %bb.119:
	global_load_sshort v0, v[2:3], off
	s_waitcnt vmcnt(0)
	v_cvt_f32_i32_e32 v0, v0
.LBB188_120:
	s_mov_b64 s[4:5], 0
.LBB188_121:
	s_andn2_b64 vcc, exec, s[4:5]
	s_cbranch_vccnz .LBB188_127
; %bb.122:
	v_mov_b32_e32 v0, 0
	v_cmp_gt_i16_sdwa s[4:5], v35, v0 src0_sel:BYTE_0 src1_sel:DWORD
	s_and_b64 vcc, exec, s[4:5]
	s_cbranch_vccz .LBB188_124
; %bb.123:
	global_load_sbyte v0, v[2:3], off
	s_mov_b64 s[4:5], 0
	s_waitcnt vmcnt(0)
	v_cvt_f32_i32_e32 v0, v0
	s_branch .LBB188_125
.LBB188_124:
	s_mov_b64 s[4:5], -1
                                        ; implicit-def: $vgpr0
.LBB188_125:
	s_andn2_b64 vcc, exec, s[4:5]
	s_cbranch_vccnz .LBB188_127
; %bb.126:
	global_load_ubyte v0, v[2:3], off
	s_waitcnt vmcnt(0)
	v_cvt_f32_ubyte0_e32 v0, v0
.LBB188_127:
.LBB188_128:
	v_mul_lo_u32 v1, v37, s38
	v_ashrrev_i32_e32 v3, 31, v1
	v_mov_b32_e32 v4, s23
	v_add_co_u32_e32 v2, vcc, s22, v1
	v_mov_b32_e32 v1, 11
	v_addc_co_u32_e32 v3, vcc, v4, v3, vcc
	s_waitcnt vmcnt(0)
	v_cmp_lt_i16_sdwa s[4:5], v38, v1 src0_sel:BYTE_0 src1_sel:DWORD
	s_and_b64 vcc, exec, s[4:5]
	s_cbranch_vccnz .LBB188_135
; %bb.129:
	v_mov_b32_e32 v1, 25
	v_cmp_gt_i16_sdwa s[4:5], v38, v1 src0_sel:BYTE_0 src1_sel:DWORD
	s_and_b64 vcc, exec, s[4:5]
	s_cbranch_vccz .LBB188_144
; %bb.130:
	v_mov_b32_e32 v1, 28
	v_cmp_gt_i16_sdwa s[4:5], v38, v1 src0_sel:BYTE_0 src1_sel:DWORD
	s_and_b64 vcc, exec, s[4:5]
	s_cbranch_vccz .LBB188_146
	;; [unrolled: 5-line block ×4, first 2 shown]
; %bb.133:
	v_mov_b32_e32 v1, 46
	v_cmp_eq_u16_sdwa s[4:5], v38, v1 src0_sel:BYTE_0 src1_sel:DWORD
	s_mov_b64 s[6:7], 0
	s_and_b64 vcc, exec, s[4:5]
	s_cbranch_vccz .LBB188_152
; %bb.134:
	global_load_dword v1, v[2:3], off
	s_mov_b64 s[4:5], -1
	s_waitcnt vmcnt(0)
	v_lshlrev_b32_e32 v1, 16, v1
	s_branch .LBB188_154
.LBB188_135:
                                        ; implicit-def: $vgpr1
	s_mov_b64 s[4:5], 0
	s_cbranch_execnz .LBB188_330
.LBB188_136:
	s_andn2_b64 vcc, exec, s[4:5]
	s_cbranch_vccnz .LBB188_378
.LBB188_137:
	s_getpc_b64 s[4:5]
	s_add_u32 s4, s4, _ZZZZN2at6native33launch_standard_gamma_grad_kernelERNS_18TensorIteratorBaseEENKUlvE_clEvENKUlvE0_clEvENKUlffE_clEff@rel32@lo+4
	s_addc_u32 s5, s5, _ZZZZN2at6native33launch_standard_gamma_grad_kernelERNS_18TensorIteratorBaseEENKUlvE_clEvENKUlvE0_clEvENKUlffE_clEff@rel32@hi+12
	s_swappc_b64 s[30:31], s[4:5]
	v_mul_lo_u32 v1, v37, s36
	v_ashrrev_i32_e32 v3, 31, v1
	v_mov_b32_e32 v4, s25
	v_add_co_u32_e32 v2, vcc, s24, v1
	v_mov_b32_e32 v1, 11
	v_addc_co_u32_e32 v3, vcc, v4, v3, vcc
	v_cmp_lt_i16_sdwa s[4:5], v36, v1 src0_sel:BYTE_0 src1_sel:DWORD
	s_and_b64 vcc, exec, s[4:5]
	s_cbranch_vccnz .LBB188_145
; %bb.138:
	v_mov_b32_e32 v1, 25
	v_cmp_gt_i16_sdwa s[4:5], v36, v1 src0_sel:BYTE_0 src1_sel:DWORD
	s_and_b64 vcc, exec, s[4:5]
	s_cbranch_vccz .LBB188_147
; %bb.139:
	v_mov_b32_e32 v1, 28
	v_cmp_gt_i16_sdwa s[4:5], v36, v1 src0_sel:BYTE_0 src1_sel:DWORD
	s_and_b64 vcc, exec, s[4:5]
	s_cbranch_vccz .LBB188_149
	;; [unrolled: 5-line block ×4, first 2 shown]
; %bb.142:
	v_mov_b32_e32 v1, 46
	v_cmp_eq_u16_sdwa s[6:7], v36, v1 src0_sel:BYTE_0 src1_sel:DWORD
	s_mov_b64 s[8:9], 0
	s_mov_b64 s[4:5], -1
	s_and_b64 vcc, exec, s[6:7]
	s_mov_b64 s[6:7], 0
	s_cbranch_vccz .LBB188_158
; %bb.143:
	v_bfe_u32 v1, v0, 16, 1
	s_movk_i32 s4, 0x7fff
	v_add3_u32 v1, v0, v1, s4
	v_lshrrev_b32_e32 v1, 16, v1
	v_mov_b32_e32 v4, 0x7fc0
	v_cmp_o_f32_e32 vcc, v0, v0
	v_cndmask_b32_e32 v1, v4, v1, vcc
	global_store_dword v[2:3], v1, off
	s_mov_b64 s[6:7], -1
	s_mov_b64 s[4:5], 0
	s_branch .LBB188_158
.LBB188_144:
	s_mov_b64 s[6:7], -1
	s_mov_b64 s[4:5], 0
                                        ; implicit-def: $vgpr1
	s_branch .LBB188_294
.LBB188_145:
	s_mov_b64 s[8:9], -1
	s_mov_b64 s[4:5], 0
	s_mov_b64 s[6:7], 0
	s_branch .LBB188_227
.LBB188_146:
	s_mov_b64 s[6:7], -1
	s_mov_b64 s[4:5], 0
                                        ; implicit-def: $vgpr1
	s_branch .LBB188_275
.LBB188_147:
	s_mov_b64 s[8:9], -1
	s_mov_b64 s[4:5], 0
	s_mov_b64 s[6:7], 0
	s_branch .LBB188_185
.LBB188_148:
	s_mov_b64 s[6:7], -1
	s_mov_b64 s[4:5], 0
                                        ; implicit-def: $vgpr1
	s_branch .LBB188_270
.LBB188_149:
	s_mov_b64 s[8:9], -1
	s_mov_b64 s[4:5], 0
	s_mov_b64 s[6:7], 0
	s_branch .LBB188_168
.LBB188_150:
	s_mov_b64 s[6:7], -1
	s_branch .LBB188_153
.LBB188_151:
	s_mov_b64 s[8:9], -1
	s_mov_b64 s[4:5], 0
	s_mov_b64 s[6:7], 0
	s_branch .LBB188_164
.LBB188_152:
	s_mov_b64 s[42:43], -1
.LBB188_153:
	s_mov_b64 s[4:5], 0
                                        ; implicit-def: $vgpr1
.LBB188_154:
	s_and_b64 vcc, exec, s[6:7]
	s_cbranch_vccz .LBB188_269
; %bb.155:
	v_mov_b32_e32 v1, 44
	v_cmp_eq_u16_sdwa s[6:7], v38, v1 src0_sel:BYTE_0 src1_sel:DWORD
	s_and_b64 vcc, exec, s[6:7]
	s_cbranch_vccz .LBB188_268
; %bb.156:
	global_load_ubyte v1, v[2:3], off
	s_movk_i32 s6, 0xff
	v_mov_b32_e32 v4, 0x7f800001
	v_mov_b32_e32 v5, 0x400000
	s_mov_b64 s[4:5], -1
	s_mov_b64 s[42:43], 0
	s_waitcnt vmcnt(0)
	v_lshlrev_b32_e32 v6, 23, v1
	v_cmp_ne_u32_e32 vcc, s6, v1
	v_cndmask_b32_e32 v4, v4, v6, vcc
	v_cmp_ne_u32_e32 vcc, 0, v1
	v_cndmask_b32_e32 v1, v5, v4, vcc
	s_branch .LBB188_269
.LBB188_157:
	s_mov_b64 s[8:9], -1
	s_mov_b64 s[4:5], 0
	s_mov_b64 s[6:7], 0
.LBB188_158:
	s_and_b64 vcc, exec, s[8:9]
	s_cbranch_vccz .LBB188_163
; %bb.159:
	v_mov_b32_e32 v1, 44
	v_cmp_eq_u16_sdwa s[8:9], v36, v1 src0_sel:BYTE_0 src1_sel:DWORD
	s_mov_b64 s[4:5], -1
	s_and_b64 vcc, exec, s[8:9]
	s_cbranch_vccz .LBB188_163
; %bb.160:
	v_bfe_u32 v1, v0, 23, 8
	s_movk_i32 s4, 0xff
	v_cmp_ne_u32_e32 vcc, s4, v1
	v_mov_b32_e32 v4, 0xff
	s_and_saveexec_b64 s[6:7], vcc
; %bb.161:
	s_mov_b32 s4, 0x3fffff
	v_and_b32_e32 v5, 0x400000, v0
	v_and_or_b32 v1, v0, s4, v1
	v_cmp_ne_u32_e32 vcc, 0, v5
	v_cmp_ne_u32_e64 s[4:5], 0, v1
	s_and_b64 s[4:5], vcc, s[4:5]
	v_lshrrev_b32_e32 v4, 23, v0
	v_cndmask_b32_e64 v1, 0, 1, s[4:5]
	v_add_u32_e32 v4, v4, v1
; %bb.162:
	s_or_b64 exec, exec, s[6:7]
	s_mov_b64 s[6:7], -1
	s_mov_b64 s[4:5], 0
	global_store_byte v[2:3], v4, off
.LBB188_163:
	s_mov_b64 s[8:9], 0
.LBB188_164:
	s_and_b64 vcc, exec, s[8:9]
	s_cbranch_vccz .LBB188_167
; %bb.165:
	v_mov_b32_e32 v1, 29
	v_cmp_eq_u16_sdwa s[8:9], v36, v1 src0_sel:BYTE_0 src1_sel:DWORD
	s_mov_b64 s[4:5], -1
	s_and_b64 vcc, exec, s[8:9]
	s_cbranch_vccz .LBB188_167
; %bb.166:
	v_trunc_f32_e32 v1, v0
	v_mul_f32_e32 v4, 0x2f800000, v1
	v_floor_f32_e32 v4, v4
	v_fmac_f32_e32 v1, 0xcf800000, v4
	v_cvt_u32_f32_e32 v5, v4
	v_cvt_u32_f32_e32 v4, v1
	s_mov_b64 s[6:7], -1
	s_mov_b64 s[4:5], 0
	s_mov_b64 s[8:9], 0
	global_store_dwordx2 v[2:3], v[4:5], off
	s_branch .LBB188_168
.LBB188_167:
	s_mov_b64 s[8:9], 0
.LBB188_168:
	s_and_b64 vcc, exec, s[8:9]
	s_cbranch_vccz .LBB188_184
; %bb.169:
	v_mov_b32_e32 v1, 27
	v_cmp_lt_i16_sdwa s[8:9], v36, v1 src0_sel:BYTE_0 src1_sel:DWORD
	s_mov_b64 s[6:7], -1
	s_and_b64 vcc, exec, s[8:9]
	s_cbranch_vccnz .LBB188_175
; %bb.170:
	v_cmp_gt_i16_sdwa s[8:9], v36, v1 src0_sel:BYTE_0 src1_sel:DWORD
	v_cvt_u32_f32_e32 v1, v0
	s_and_b64 vcc, exec, s[8:9]
	s_cbranch_vccz .LBB188_172
; %bb.171:
	s_mov_b64 s[6:7], 0
	global_store_dword v[2:3], v1, off
.LBB188_172:
	s_andn2_b64 vcc, exec, s[6:7]
	s_cbranch_vccnz .LBB188_174
; %bb.173:
	global_store_short v[2:3], v1, off
.LBB188_174:
	s_mov_b64 s[6:7], 0
.LBB188_175:
	s_andn2_b64 vcc, exec, s[6:7]
	s_cbranch_vccnz .LBB188_183
; %bb.176:
	v_and_b32_e32 v1, 0x7fffffff, v0
	s_mov_b32 s6, 0x43800000
	v_cmp_gt_u32_e32 vcc, s6, v1
	v_mov_b32_e32 v4, 0x80
	s_and_saveexec_b64 s[6:7], vcc
	s_cbranch_execz .LBB188_182
; %bb.177:
	s_mov_b32 s8, 0x3bffffff
	v_cmp_lt_u32_e32 vcc, s8, v1
	s_mov_b64 s[8:9], 0
                                        ; implicit-def: $vgpr1
	s_and_saveexec_b64 s[10:11], vcc
	s_xor_b64 s[10:11], exec, s[10:11]
	s_cbranch_execz .LBB188_410
; %bb.178:
	v_bfe_u32 v1, v0, 20, 1
	s_mov_b32 s12, 0x487ffff
	v_add3_u32 v1, v0, v1, s12
	s_mov_b64 s[8:9], exec
	v_lshrrev_b32_e32 v1, 20, v1
	s_or_saveexec_b64 s[10:11], s[10:11]
                                        ; implicit-def: $sgpr12
	s_xor_b64 exec, exec, s[10:11]
	s_cbranch_execnz .LBB188_411
.LBB188_179:
	s_or_b64 exec, exec, s[10:11]
	v_mov_b32_e32 v4, s12
	s_and_saveexec_b64 s[10:11], s[8:9]
.LBB188_180:
	v_lshrrev_b32_e32 v4, 24, v0
	s_movk_i32 s8, 0x80
	v_and_or_b32 v4, v4, s8, v1
.LBB188_181:
	s_or_b64 exec, exec, s[10:11]
.LBB188_182:
	s_or_b64 exec, exec, s[6:7]
	global_store_byte v[2:3], v4, off
.LBB188_183:
	s_mov_b64 s[6:7], -1
.LBB188_184:
	s_mov_b64 s[8:9], 0
.LBB188_185:
	s_and_b64 vcc, exec, s[8:9]
	s_cbranch_vccz .LBB188_226
; %bb.186:
	v_mov_b32_e32 v1, 22
	v_cmp_gt_i16_sdwa s[10:11], v36, v1 src0_sel:BYTE_0 src1_sel:DWORD
	s_mov_b64 s[8:9], -1
	s_and_b64 vcc, exec, s[10:11]
	s_cbranch_vccz .LBB188_218
; %bb.187:
	v_mov_b32_e32 v1, 24
	v_cmp_lt_i16_sdwa s[8:9], v36, v1 src0_sel:BYTE_0 src1_sel:DWORD
	s_mov_b64 s[6:7], -1
	s_and_b64 vcc, exec, s[8:9]
	s_cbranch_vccnz .LBB188_207
; %bb.188:
	v_cmp_gt_i16_sdwa s[8:9], v36, v1 src0_sel:BYTE_0 src1_sel:DWORD
	s_and_b64 vcc, exec, s[8:9]
	s_cbranch_vccz .LBB188_196
; %bb.189:
	v_and_b32_e32 v1, 0x7fffffff, v0
	s_mov_b32 s6, 0x47800000
	v_cmp_gt_u32_e32 vcc, s6, v1
	v_mov_b32_e32 v4, 0x80
	s_and_saveexec_b64 s[6:7], vcc
	s_cbranch_execz .LBB188_195
; %bb.190:
	s_mov_b32 s8, 0x37ffffff
	v_cmp_lt_u32_e32 vcc, s8, v1
	s_mov_b64 s[8:9], 0
                                        ; implicit-def: $vgpr1
	s_and_saveexec_b64 s[10:11], vcc
	s_xor_b64 s[10:11], exec, s[10:11]
	s_cbranch_execz .LBB188_529
; %bb.191:
	v_bfe_u32 v1, v0, 21, 1
	s_mov_b32 s12, 0x88fffff
	v_add3_u32 v1, v0, v1, s12
	s_mov_b64 s[8:9], exec
	v_lshrrev_b32_e32 v1, 21, v1
	s_or_saveexec_b64 s[10:11], s[10:11]
                                        ; implicit-def: $sgpr12
	s_xor_b64 exec, exec, s[10:11]
	s_cbranch_execnz .LBB188_530
.LBB188_192:
	s_or_b64 exec, exec, s[10:11]
	v_mov_b32_e32 v4, s12
	s_and_saveexec_b64 s[10:11], s[8:9]
.LBB188_193:
	v_lshrrev_b32_e32 v4, 24, v0
	s_movk_i32 s8, 0x80
	v_and_or_b32 v4, v4, s8, v1
.LBB188_194:
	s_or_b64 exec, exec, s[10:11]
.LBB188_195:
	s_or_b64 exec, exec, s[6:7]
	s_mov_b64 s[6:7], 0
	global_store_byte v[2:3], v4, off
.LBB188_196:
	s_and_b64 vcc, exec, s[6:7]
	s_cbranch_vccz .LBB188_206
; %bb.197:
	v_and_b32_e32 v4, 0x7fffffff, v0
	s_mov_b32 s6, 0x43f00000
	v_cmp_gt_u32_e32 vcc, s6, v4
                                        ; implicit-def: $vgpr1
	s_and_saveexec_b64 s[6:7], vcc
	s_xor_b64 s[6:7], exec, s[6:7]
	s_cbranch_execz .LBB188_203
; %bb.198:
	s_mov_b32 s8, 0x3c7fffff
	v_cmp_lt_u32_e32 vcc, s8, v4
                                        ; implicit-def: $vgpr1
	s_and_saveexec_b64 s[8:9], vcc
	s_xor_b64 s[8:9], exec, s[8:9]
; %bb.199:
	v_bfe_u32 v1, v0, 20, 1
	s_mov_b32 s10, 0x407ffff
	v_add3_u32 v1, v0, v1, s10
	v_lshrrev_b32_e32 v4, 20, v1
	v_and_b32_e32 v1, 0xff00000, v1
	s_mov_b32 s10, 0x7f00000
	v_mov_b32_e32 v5, 0x7e
	v_cmp_ne_u32_e32 vcc, s10, v1
	v_cndmask_b32_e32 v1, v5, v4, vcc
; %bb.200:
	s_andn2_saveexec_b64 s[8:9], s[8:9]
; %bb.201:
	s_mov_b32 s10, 0x46800000
	v_add_f32_e64 v1, |v0|, s10
; %bb.202:
	s_or_b64 exec, exec, s[8:9]
                                        ; implicit-def: $vgpr4
.LBB188_203:
	s_andn2_saveexec_b64 s[6:7], s[6:7]
; %bb.204:
	s_mov_b32 s8, 0x7f800000
	v_mov_b32_e32 v1, 0x7e
	v_mov_b32_e32 v5, 0x7f
	v_cmp_lt_u32_e32 vcc, s8, v4
	v_cndmask_b32_e32 v1, v1, v5, vcc
; %bb.205:
	s_or_b64 exec, exec, s[6:7]
	v_lshrrev_b32_e32 v4, 24, v0
	s_movk_i32 s6, 0x80
	v_and_or_b32 v1, v4, s6, v1
	global_store_byte v[2:3], v1, off
.LBB188_206:
	s_mov_b64 s[6:7], 0
.LBB188_207:
	s_andn2_b64 vcc, exec, s[6:7]
	s_cbranch_vccnz .LBB188_217
; %bb.208:
	v_and_b32_e32 v4, 0x7fffffff, v0
	s_mov_b32 s6, 0x47800000
	v_cmp_gt_u32_e32 vcc, s6, v4
                                        ; implicit-def: $vgpr1
	s_and_saveexec_b64 s[6:7], vcc
	s_xor_b64 s[6:7], exec, s[6:7]
	s_cbranch_execz .LBB188_214
; %bb.209:
	s_mov_b32 s8, 0x387fffff
	v_cmp_lt_u32_e32 vcc, s8, v4
                                        ; implicit-def: $vgpr1
	s_and_saveexec_b64 s[8:9], vcc
	s_xor_b64 s[8:9], exec, s[8:9]
; %bb.210:
	v_bfe_u32 v1, v0, 21, 1
	s_mov_b32 s10, 0x80fffff
	v_add3_u32 v1, v0, v1, s10
	v_lshrrev_b32_e32 v1, 21, v1
; %bb.211:
	s_andn2_saveexec_b64 s[8:9], s[8:9]
; %bb.212:
	s_mov_b32 s10, 0x43000000
	v_add_f32_e64 v1, |v0|, s10
; %bb.213:
	s_or_b64 exec, exec, s[8:9]
                                        ; implicit-def: $vgpr4
.LBB188_214:
	s_andn2_saveexec_b64 s[6:7], s[6:7]
; %bb.215:
	s_mov_b32 s8, 0x7f800000
	v_mov_b32_e32 v1, 0x7c
	v_mov_b32_e32 v5, 0x7f
	v_cmp_lt_u32_e32 vcc, s8, v4
	v_cndmask_b32_e32 v1, v1, v5, vcc
; %bb.216:
	s_or_b64 exec, exec, s[6:7]
	v_lshrrev_b32_e32 v4, 24, v0
	s_movk_i32 s6, 0x80
	v_and_or_b32 v1, v4, s6, v1
	global_store_byte v[2:3], v1, off
.LBB188_217:
	s_mov_b64 s[8:9], 0
	s_mov_b64 s[6:7], -1
.LBB188_218:
	s_andn2_b64 vcc, exec, s[8:9]
	s_cbranch_vccnz .LBB188_226
; %bb.219:
	v_mov_b32_e32 v1, 14
	v_cmp_gt_i16_sdwa s[10:11], v36, v1 src0_sel:BYTE_0 src1_sel:DWORD
	s_mov_b64 s[8:9], -1
	s_and_b64 vcc, exec, s[10:11]
	s_cbranch_vccz .LBB188_223
; %bb.220:
	v_mov_b32_e32 v1, 15
	v_cmp_eq_u16_sdwa s[8:9], v36, v1 src0_sel:BYTE_0 src1_sel:DWORD
	s_mov_b64 s[4:5], -1
	s_and_b64 vcc, exec, s[8:9]
	s_cbranch_vccz .LBB188_222
; %bb.221:
	v_bfe_u32 v1, v0, 16, 1
	s_movk_i32 s4, 0x7fff
	v_add3_u32 v1, v0, v1, s4
	v_lshrrev_b32_e32 v1, 16, v1
	v_mov_b32_e32 v4, 0x7fc0
	v_cmp_o_f32_e32 vcc, v0, v0
	v_cndmask_b32_e32 v1, v4, v1, vcc
	global_store_short v[2:3], v1, off
	s_mov_b64 s[6:7], -1
	s_mov_b64 s[4:5], 0
.LBB188_222:
	s_mov_b64 s[8:9], 0
.LBB188_223:
	s_and_b64 vcc, exec, s[8:9]
	s_cbranch_vccz .LBB188_226
; %bb.224:
	v_mov_b32_e32 v1, 11
	v_cmp_eq_u16_sdwa s[8:9], v36, v1 src0_sel:BYTE_0 src1_sel:DWORD
	s_mov_b64 s[4:5], -1
	s_and_b64 vcc, exec, s[8:9]
	s_cbranch_vccz .LBB188_226
; %bb.225:
	v_cmp_neq_f32_e32 vcc, 0, v0
	v_cndmask_b32_e64 v1, 0, 1, vcc
	s_mov_b64 s[6:7], -1
	s_mov_b64 s[4:5], 0
	global_store_byte v[2:3], v1, off
.LBB188_226:
	s_mov_b64 s[8:9], 0
.LBB188_227:
	s_and_b64 vcc, exec, s[8:9]
	s_cbranch_vccz .LBB188_266
; %bb.228:
	v_mov_b32_e32 v1, 5
	v_cmp_lt_i16_sdwa s[8:9], v36, v1 src0_sel:BYTE_0 src1_sel:DWORD
	s_mov_b64 s[6:7], -1
	s_and_b64 vcc, exec, s[8:9]
	s_cbranch_vccnz .LBB188_249
; %bb.229:
	v_mov_b32_e32 v1, 8
	v_cmp_lt_i16_sdwa s[8:9], v36, v1 src0_sel:BYTE_0 src1_sel:DWORD
	s_and_b64 vcc, exec, s[8:9]
	s_cbranch_vccnz .LBB188_239
; %bb.230:
	v_mov_b32_e32 v1, 9
	v_cmp_lt_i16_sdwa s[8:9], v36, v1 src0_sel:BYTE_0 src1_sel:DWORD
	s_and_b64 vcc, exec, s[8:9]
	s_cbranch_vccnz .LBB188_236
; %bb.231:
	v_cmp_gt_i16_sdwa s[8:9], v36, v1 src0_sel:BYTE_0 src1_sel:DWORD
	s_and_b64 vcc, exec, s[8:9]
	s_cbranch_vccz .LBB188_233
; %bb.232:
	v_mov_b32_e32 v6, 0
	v_cvt_f64_f32_e32 v[4:5], v0
	v_mov_b32_e32 v7, v6
	global_store_dwordx4 v[2:3], v[4:7], off
	s_mov_b64 s[6:7], 0
.LBB188_233:
	s_andn2_b64 vcc, exec, s[6:7]
	s_cbranch_vccnz .LBB188_235
; %bb.234:
	v_mov_b32_e32 v1, 0
	global_store_dwordx2 v[2:3], v[0:1], off
.LBB188_235:
	s_mov_b64 s[6:7], 0
.LBB188_236:
	s_andn2_b64 vcc, exec, s[6:7]
	s_cbranch_vccnz .LBB188_238
; %bb.237:
	v_cvt_f16_f32_e32 v1, v0
	global_store_dword v[2:3], v1, off
.LBB188_238:
	s_mov_b64 s[6:7], 0
.LBB188_239:
	s_andn2_b64 vcc, exec, s[6:7]
	s_cbranch_vccnz .LBB188_248
; %bb.240:
	v_mov_b32_e32 v1, 6
	v_cmp_lt_i16_sdwa s[8:9], v36, v1 src0_sel:BYTE_0 src1_sel:DWORD
	s_mov_b64 s[6:7], -1
	s_and_b64 vcc, exec, s[8:9]
	s_cbranch_vccnz .LBB188_246
; %bb.241:
	v_cmp_gt_i16_sdwa s[8:9], v36, v1 src0_sel:BYTE_0 src1_sel:DWORD
	s_and_b64 vcc, exec, s[8:9]
	s_cbranch_vccz .LBB188_243
; %bb.242:
	v_cvt_f64_f32_e32 v[4:5], v0
	global_store_dwordx2 v[2:3], v[4:5], off
	s_mov_b64 s[6:7], 0
.LBB188_243:
	s_andn2_b64 vcc, exec, s[6:7]
	s_cbranch_vccnz .LBB188_245
; %bb.244:
	global_store_dword v[2:3], v0, off
.LBB188_245:
	s_mov_b64 s[6:7], 0
.LBB188_246:
	s_andn2_b64 vcc, exec, s[6:7]
	s_cbranch_vccnz .LBB188_248
; %bb.247:
	v_cvt_f16_f32_e32 v1, v0
	global_store_short v[2:3], v1, off
.LBB188_248:
	s_mov_b64 s[6:7], 0
.LBB188_249:
	s_andn2_b64 vcc, exec, s[6:7]
	s_cbranch_vccnz .LBB188_265
; %bb.250:
	v_mov_b32_e32 v1, 2
	v_cmp_lt_i16_sdwa s[8:9], v36, v1 src0_sel:BYTE_0 src1_sel:DWORD
	s_mov_b64 s[6:7], -1
	s_and_b64 vcc, exec, s[8:9]
	s_cbranch_vccnz .LBB188_260
; %bb.251:
	v_mov_b32_e32 v1, 3
	v_cmp_lt_i16_sdwa s[8:9], v36, v1 src0_sel:BYTE_0 src1_sel:DWORD
	s_and_b64 vcc, exec, s[8:9]
	s_cbranch_vccnz .LBB188_257
; %bb.252:
	v_cmp_gt_i16_sdwa s[8:9], v36, v1 src0_sel:BYTE_0 src1_sel:DWORD
	s_and_b64 vcc, exec, s[8:9]
	s_cbranch_vccz .LBB188_254
; %bb.253:
	v_trunc_f32_e32 v1, v0
	s_mov_b32 s6, 0x2f800000
	v_mul_f32_e64 v4, |v1|, s6
	v_floor_f32_e32 v4, v4
	s_mov_b32 s6, 0xcf800000
	v_cvt_u32_f32_e32 v5, v4
	v_fma_f32 v4, v4, s6, |v1|
	v_cvt_u32_f32_e32 v4, v4
	v_ashrrev_i32_e32 v1, 31, v1
	v_xor_b32_e32 v5, v5, v1
	s_mov_b64 s[6:7], 0
	v_xor_b32_e32 v4, v4, v1
	v_sub_co_u32_e32 v4, vcc, v4, v1
	v_subb_co_u32_e32 v5, vcc, v5, v1, vcc
	global_store_dwordx2 v[2:3], v[4:5], off
.LBB188_254:
	s_andn2_b64 vcc, exec, s[6:7]
	s_cbranch_vccnz .LBB188_256
; %bb.255:
	v_cvt_i32_f32_e32 v1, v0
	global_store_dword v[2:3], v1, off
.LBB188_256:
	s_mov_b64 s[6:7], 0
.LBB188_257:
	s_andn2_b64 vcc, exec, s[6:7]
	s_cbranch_vccnz .LBB188_259
; %bb.258:
	v_cvt_i32_f32_e32 v1, v0
	global_store_short v[2:3], v1, off
.LBB188_259:
	s_mov_b64 s[6:7], 0
.LBB188_260:
	s_andn2_b64 vcc, exec, s[6:7]
	s_cbranch_vccnz .LBB188_265
; %bb.261:
	v_mov_b32_e32 v1, 0
	v_cmp_gt_i16_sdwa s[8:9], v36, v1 src0_sel:BYTE_0 src1_sel:DWORD
	s_mov_b64 s[6:7], -1
	s_and_b64 vcc, exec, s[8:9]
	s_cbranch_vccz .LBB188_263
; %bb.262:
	v_cvt_i32_f32_e32 v1, v0
	s_mov_b64 s[6:7], 0
	global_store_byte v[2:3], v1, off
.LBB188_263:
	s_andn2_b64 vcc, exec, s[6:7]
	s_cbranch_vccnz .LBB188_265
; %bb.264:
	v_trunc_f32_e32 v0, v0
	s_mov_b32 s6, 0x2f800000
	v_mul_f32_e64 v1, |v0|, s6
	v_floor_f32_e32 v1, v1
	s_mov_b32 s6, 0xcf800000
	v_fma_f32 v1, v1, s6, |v0|
	v_cvt_u32_f32_e32 v1, v1
	v_ashrrev_i32_e32 v0, 31, v0
	v_xor_b32_e32 v1, v1, v0
	v_sub_u32_e32 v0, v1, v0
	global_store_byte v[2:3], v0, off
.LBB188_265:
	s_mov_b64 s[6:7], -1
.LBB188_266:
	s_andn2_b64 vcc, exec, s[6:7]
	s_cbranch_vccnz .LBB188_379
; %bb.267:
	v_add_u32_e32 v37, 0x80, v37
	s_mov_b64 s[6:7], -1
	s_branch .LBB188_380
.LBB188_268:
	s_mov_b64 s[42:43], -1
                                        ; implicit-def: $vgpr1
.LBB188_269:
	s_mov_b64 s[6:7], 0
.LBB188_270:
	s_and_b64 vcc, exec, s[6:7]
	s_cbranch_vccz .LBB188_274
; %bb.271:
	v_mov_b32_e32 v1, 29
	v_cmp_eq_u16_sdwa s[6:7], v38, v1 src0_sel:BYTE_0 src1_sel:DWORD
	s_and_b64 vcc, exec, s[6:7]
	s_cbranch_vccz .LBB188_273
; %bb.272:
	global_load_dwordx2 v[4:5], v[2:3], off
	s_mov_b64 s[4:5], -1
	s_mov_b64 s[42:43], 0
	s_mov_b64 s[6:7], 0
	s_waitcnt vmcnt(0)
	v_ffbh_u32_e32 v1, v5
	v_min_u32_e32 v1, 32, v1
	v_lshlrev_b64 v[4:5], v1, v[4:5]
	v_min_u32_e32 v4, 1, v4
	v_or_b32_e32 v4, v5, v4
	v_cvt_f32_u32_e32 v4, v4
	v_sub_u32_e32 v1, 32, v1
	v_ldexp_f32 v1, v4, v1
	s_branch .LBB188_275
.LBB188_273:
	s_mov_b64 s[42:43], -1
                                        ; implicit-def: $vgpr1
.LBB188_274:
	s_mov_b64 s[6:7], 0
.LBB188_275:
	s_and_b64 vcc, exec, s[6:7]
	s_cbranch_vccz .LBB188_293
; %bb.276:
	v_mov_b32_e32 v1, 27
	v_cmp_lt_i16_sdwa s[4:5], v38, v1 src0_sel:BYTE_0 src1_sel:DWORD
	s_and_b64 vcc, exec, s[4:5]
	s_cbranch_vccnz .LBB188_279
; %bb.277:
	v_cmp_gt_i16_sdwa s[4:5], v38, v1 src0_sel:BYTE_0 src1_sel:DWORD
	s_and_b64 vcc, exec, s[4:5]
	s_cbranch_vccz .LBB188_280
; %bb.278:
	global_load_dword v1, v[2:3], off
	s_mov_b64 s[4:5], 0
	s_waitcnt vmcnt(0)
	v_cvt_f32_u32_e32 v1, v1
	s_branch .LBB188_281
.LBB188_279:
	s_mov_b64 s[4:5], -1
                                        ; implicit-def: $vgpr1
	s_branch .LBB188_284
.LBB188_280:
	s_mov_b64 s[4:5], -1
                                        ; implicit-def: $vgpr1
.LBB188_281:
	s_andn2_b64 vcc, exec, s[4:5]
	s_cbranch_vccnz .LBB188_283
; %bb.282:
	global_load_ushort v1, v[2:3], off
	s_waitcnt vmcnt(0)
	v_cvt_f32_u32_e32 v1, v1
.LBB188_283:
	s_mov_b64 s[4:5], 0
.LBB188_284:
	s_andn2_b64 vcc, exec, s[4:5]
	s_cbranch_vccnz .LBB188_292
; %bb.285:
	global_load_ubyte v4, v[2:3], off
	s_movk_i32 s4, 0x7f
                                        ; implicit-def: $sgpr10
	s_waitcnt vmcnt(0)
	v_cmp_lt_i16_e32 vcc, s4, v4
	s_mov_b64 s[4:5], 0
	s_and_saveexec_b64 s[6:7], vcc
	s_xor_b64 s[6:7], exec, s[6:7]
	s_cbranch_execz .LBB188_306
; %bb.286:
	s_movk_i32 s4, 0x80
	v_cmp_eq_u16_e32 vcc, s4, v4
	s_mov_b64 s[4:5], -1
                                        ; implicit-def: $sgpr10
	s_and_saveexec_b64 s[8:9], vcc
; %bb.287:
	s_mov_b32 s10, 0x7f800001
	s_xor_b64 s[4:5], exec, -1
; %bb.288:
	s_or_b64 exec, exec, s[8:9]
	s_and_b64 s[4:5], s[4:5], exec
	s_or_saveexec_b64 s[6:7], s[6:7]
	v_mov_b32_e32 v1, s10
	s_xor_b64 exec, exec, s[6:7]
	s_cbranch_execnz .LBB188_307
.LBB188_289:
	s_or_b64 exec, exec, s[6:7]
	s_and_saveexec_b64 s[6:7], s[4:5]
	s_cbranch_execz .LBB188_291
.LBB188_290:
	v_lshlrev_b32_e32 v1, 24, v4
	v_and_b32_e32 v4, 0xffff, v4
	v_and_b32_e32 v5, 7, v4
	v_ffbh_u32_e32 v7, v5
	v_min_u32_e32 v7, 32, v7
	v_subrev_u32_e32 v8, 28, v7
	v_bfe_u32 v6, v4, 3, 4
	v_lshlrev_b32_e32 v4, v8, v4
	v_sub_u32_e32 v7, 29, v7
	v_and_b32_e32 v4, 7, v4
	v_cmp_eq_u32_e32 vcc, 0, v6
	v_cndmask_b32_e32 v6, v6, v7, vcc
	v_cndmask_b32_e32 v4, v5, v4, vcc
	v_mov_b32_e32 v5, 0x3b800000
	v_lshlrev_b32_e32 v4, 20, v4
	v_and_b32_e32 v1, 0x80000000, v1
	v_lshl_add_u32 v5, v6, 23, v5
	v_or3_b32 v1, v1, v5, v4
.LBB188_291:
	s_or_b64 exec, exec, s[6:7]
.LBB188_292:
	s_mov_b64 s[4:5], -1
.LBB188_293:
	s_mov_b64 s[6:7], 0
.LBB188_294:
	s_and_b64 vcc, exec, s[6:7]
	s_cbranch_vccz .LBB188_329
; %bb.295:
	v_mov_b32_e32 v1, 22
	v_cmp_gt_i16_sdwa s[6:7], v38, v1 src0_sel:BYTE_0 src1_sel:DWORD
	s_and_b64 vcc, exec, s[6:7]
	s_cbranch_vccz .LBB188_305
; %bb.296:
	v_mov_b32_e32 v1, 24
	v_cmp_lt_i16_sdwa s[4:5], v38, v1 src0_sel:BYTE_0 src1_sel:DWORD
	s_and_b64 vcc, exec, s[4:5]
	s_cbranch_vccnz .LBB188_308
; %bb.297:
	v_cmp_gt_i16_sdwa s[4:5], v38, v1 src0_sel:BYTE_0 src1_sel:DWORD
	s_and_b64 vcc, exec, s[4:5]
	s_cbranch_vccz .LBB188_309
; %bb.298:
	global_load_ubyte v4, v[2:3], off
	s_movk_i32 s4, 0x7f
                                        ; implicit-def: $sgpr10
	s_waitcnt vmcnt(0)
	v_cmp_lt_i16_e32 vcc, s4, v4
	s_mov_b64 s[4:5], 0
	s_and_saveexec_b64 s[6:7], vcc
	s_xor_b64 s[6:7], exec, s[6:7]
	s_cbranch_execz .LBB188_321
; %bb.299:
	s_movk_i32 s4, 0x80
	v_cmp_eq_u16_e32 vcc, s4, v4
	s_mov_b64 s[4:5], -1
                                        ; implicit-def: $sgpr10
	s_and_saveexec_b64 s[8:9], vcc
; %bb.300:
	s_mov_b32 s10, 0x7f800001
	s_xor_b64 s[4:5], exec, -1
; %bb.301:
	s_or_b64 exec, exec, s[8:9]
	s_and_b64 s[4:5], s[4:5], exec
	s_or_saveexec_b64 s[6:7], s[6:7]
	v_mov_b32_e32 v1, s10
	s_xor_b64 exec, exec, s[6:7]
	s_cbranch_execnz .LBB188_322
.LBB188_302:
	s_or_b64 exec, exec, s[6:7]
	s_and_saveexec_b64 s[6:7], s[4:5]
	s_cbranch_execz .LBB188_304
.LBB188_303:
	v_lshlrev_b32_e32 v1, 24, v4
	v_and_b32_e32 v4, 0xffff, v4
	v_and_b32_e32 v5, 3, v4
	v_ffbh_u32_e32 v7, v5
	v_min_u32_e32 v7, 32, v7
	v_subrev_u32_e32 v8, 29, v7
	v_bfe_u32 v6, v4, 2, 5
	v_lshlrev_b32_e32 v4, v8, v4
	v_sub_u32_e32 v7, 30, v7
	v_and_b32_e32 v4, 3, v4
	v_cmp_eq_u32_e32 vcc, 0, v6
	v_cndmask_b32_e32 v6, v6, v7, vcc
	v_cndmask_b32_e32 v4, v5, v4, vcc
	v_mov_b32_e32 v5, 0x37800000
	v_lshlrev_b32_e32 v4, 21, v4
	v_and_b32_e32 v1, 0x80000000, v1
	v_lshl_add_u32 v5, v6, 23, v5
	v_or3_b32 v1, v1, v5, v4
.LBB188_304:
	s_or_b64 exec, exec, s[6:7]
	s_mov_b64 s[4:5], 0
	s_branch .LBB188_310
.LBB188_305:
	s_mov_b64 s[6:7], -1
                                        ; implicit-def: $vgpr1
	s_branch .LBB188_316
.LBB188_306:
	s_or_saveexec_b64 s[6:7], s[6:7]
	v_mov_b32_e32 v1, s10
	s_xor_b64 exec, exec, s[6:7]
	s_cbranch_execz .LBB188_289
.LBB188_307:
	v_cmp_ne_u16_e32 vcc, 0, v4
	s_andn2_b64 s[4:5], s[4:5], exec
	s_and_b64 s[8:9], vcc, exec
	v_mov_b32_e32 v1, 0
	s_or_b64 s[4:5], s[4:5], s[8:9]
	s_or_b64 exec, exec, s[6:7]
	s_and_saveexec_b64 s[6:7], s[4:5]
	s_cbranch_execnz .LBB188_290
	s_branch .LBB188_291
.LBB188_308:
	s_mov_b64 s[4:5], -1
                                        ; implicit-def: $vgpr1
	s_branch .LBB188_313
.LBB188_309:
	s_mov_b64 s[4:5], -1
                                        ; implicit-def: $vgpr1
.LBB188_310:
	s_and_b64 vcc, exec, s[4:5]
	s_cbranch_vccz .LBB188_312
; %bb.311:
	global_load_ubyte v1, v[2:3], off
	s_mov_b32 s4, 0x7f800000
	s_waitcnt vmcnt(0)
	v_lshlrev_b32_e32 v1, 24, v1
	v_and_b32_e32 v4, 0x7f000000, v1
	v_ffbh_u32_e32 v5, v4
	v_min_u32_e32 v5, 32, v5
	v_sub_u32_e64 v5, v5, 4 clamp
	v_lshlrev_b32_e32 v7, v5, v4
	v_lshlrev_b32_e32 v5, 23, v5
	v_lshrrev_b32_e32 v7, 4, v7
	v_add_u32_e32 v6, 0x1000000, v4
	v_sub_u32_e32 v5, v7, v5
	v_ashrrev_i32_e32 v6, 8, v6
	v_add_u32_e32 v5, 0x3c000000, v5
	v_and_or_b32 v5, v6, s4, v5
	v_cmp_ne_u32_e32 vcc, 0, v4
	v_cndmask_b32_e32 v4, 0, v5, vcc
	s_brev_b32 s4, 1
	v_and_or_b32 v1, v1, s4, v4
.LBB188_312:
	s_mov_b64 s[4:5], 0
.LBB188_313:
	s_andn2_b64 vcc, exec, s[4:5]
	s_cbranch_vccnz .LBB188_315
; %bb.314:
	global_load_ubyte v1, v[2:3], off
	s_movk_i32 s4, 0x7f00
	s_brev_b32 s5, 16
	s_waitcnt vmcnt(0)
	v_lshlrev_b16_e32 v4, 8, v1
	v_lshlrev_b32_e32 v1, 25, v1
	v_lshrrev_b32_e32 v5, 4, v1
	v_and_or_b32 v6, v4, s4, 0.5
	v_or_b32_e32 v5, 0x70000000, v5
	v_add_f32_e32 v6, -0.5, v6
	v_mul_f32_e32 v5, 0x7800000, v5
	v_cmp_gt_u32_e32 vcc, s5, v1
	v_bfe_i32 v4, v4, 0, 16
	v_cndmask_b32_e32 v1, v5, v6, vcc
	s_brev_b32 s4, 1
	v_and_or_b32 v1, v4, s4, v1
.LBB188_315:
	s_mov_b64 s[6:7], 0
	s_mov_b64 s[4:5], -1
.LBB188_316:
	s_andn2_b64 vcc, exec, s[6:7]
	s_cbranch_vccnz .LBB188_329
; %bb.317:
	v_mov_b32_e32 v1, 14
	v_cmp_gt_i16_sdwa s[6:7], v38, v1 src0_sel:BYTE_0 src1_sel:DWORD
	s_and_b64 vcc, exec, s[6:7]
	s_cbranch_vccz .LBB188_320
; %bb.318:
	v_mov_b32_e32 v1, 15
	v_cmp_eq_u16_sdwa s[6:7], v38, v1 src0_sel:BYTE_0 src1_sel:DWORD
	s_and_b64 vcc, exec, s[6:7]
	s_cbranch_vccz .LBB188_323
; %bb.319:
	global_load_ushort v1, v[2:3], off
	s_mov_b64 s[4:5], -1
	s_mov_b64 s[42:43], 0
	s_waitcnt vmcnt(0)
	v_lshlrev_b32_e32 v1, 16, v1
	s_branch .LBB188_324
.LBB188_320:
	s_mov_b64 s[6:7], -1
                                        ; implicit-def: $vgpr1
	s_branch .LBB188_325
.LBB188_321:
	s_or_saveexec_b64 s[6:7], s[6:7]
	v_mov_b32_e32 v1, s10
	s_xor_b64 exec, exec, s[6:7]
	s_cbranch_execz .LBB188_302
.LBB188_322:
	v_cmp_ne_u16_e32 vcc, 0, v4
	s_andn2_b64 s[4:5], s[4:5], exec
	s_and_b64 s[8:9], vcc, exec
	v_mov_b32_e32 v1, 0
	s_or_b64 s[4:5], s[4:5], s[8:9]
	s_or_b64 exec, exec, s[6:7]
	s_and_saveexec_b64 s[6:7], s[4:5]
	s_cbranch_execnz .LBB188_303
	s_branch .LBB188_304
.LBB188_323:
	s_mov_b64 s[42:43], -1
                                        ; implicit-def: $vgpr1
.LBB188_324:
	s_mov_b64 s[6:7], 0
.LBB188_325:
	s_and_b64 vcc, exec, s[6:7]
	s_cbranch_vccz .LBB188_329
; %bb.326:
	v_mov_b32_e32 v1, 11
	v_cmp_eq_u16_sdwa s[6:7], v38, v1 src0_sel:BYTE_0 src1_sel:DWORD
	s_and_b64 vcc, exec, s[6:7]
	s_cbranch_vccz .LBB188_328
; %bb.327:
	global_load_ubyte v1, v[2:3], off
	s_mov_b64 s[4:5], -1
	s_mov_b64 s[42:43], 0
	s_waitcnt vmcnt(0)
	v_cmp_ne_u16_e32 vcc, 0, v1
	v_cndmask_b32_e64 v1, 0, 1.0, vcc
	s_branch .LBB188_329
.LBB188_328:
	s_mov_b64 s[42:43], -1
                                        ; implicit-def: $vgpr1
.LBB188_329:
	s_branch .LBB188_136
.LBB188_330:
	v_mov_b32_e32 v1, 5
	v_cmp_lt_i16_sdwa s[4:5], v38, v1 src0_sel:BYTE_0 src1_sel:DWORD
	s_and_b64 vcc, exec, s[4:5]
	s_cbranch_vccnz .LBB188_335
; %bb.331:
	v_mov_b32_e32 v1, 8
	v_cmp_lt_i16_sdwa s[4:5], v38, v1 src0_sel:BYTE_0 src1_sel:DWORD
	s_and_b64 vcc, exec, s[4:5]
	s_cbranch_vccnz .LBB188_336
; %bb.332:
	;; [unrolled: 5-line block ×3, first 2 shown]
	v_cmp_gt_i16_sdwa s[4:5], v38, v1 src0_sel:BYTE_0 src1_sel:DWORD
	s_and_b64 vcc, exec, s[4:5]
	s_cbranch_vccz .LBB188_338
; %bb.334:
	global_load_dwordx2 v[4:5], v[2:3], off
	s_mov_b64 s[4:5], 0
	s_waitcnt vmcnt(0)
	v_cvt_f32_f64_e32 v1, v[4:5]
	s_branch .LBB188_339
.LBB188_335:
	s_mov_b64 s[4:5], -1
                                        ; implicit-def: $vgpr1
	s_branch .LBB188_357
.LBB188_336:
	s_mov_b64 s[4:5], -1
                                        ; implicit-def: $vgpr1
	s_branch .LBB188_345
.LBB188_337:
	s_mov_b64 s[4:5], -1
                                        ; implicit-def: $vgpr1
	s_branch .LBB188_342
.LBB188_338:
	s_mov_b64 s[4:5], -1
                                        ; implicit-def: $vgpr1
.LBB188_339:
	s_andn2_b64 vcc, exec, s[4:5]
	s_cbranch_vccnz .LBB188_341
; %bb.340:
	global_load_dword v1, v[2:3], off
.LBB188_341:
	s_mov_b64 s[4:5], 0
.LBB188_342:
	s_andn2_b64 vcc, exec, s[4:5]
	s_cbranch_vccnz .LBB188_344
; %bb.343:
	global_load_dword v1, v[2:3], off
	s_waitcnt vmcnt(0)
	v_cvt_f32_f16_e32 v1, v1
.LBB188_344:
	s_mov_b64 s[4:5], 0
.LBB188_345:
	s_andn2_b64 vcc, exec, s[4:5]
	s_cbranch_vccnz .LBB188_356
; %bb.346:
	s_waitcnt vmcnt(0)
	v_mov_b32_e32 v1, 6
	v_cmp_lt_i16_sdwa s[4:5], v38, v1 src0_sel:BYTE_0 src1_sel:DWORD
	s_and_b64 vcc, exec, s[4:5]
	s_cbranch_vccnz .LBB188_349
; %bb.347:
	v_cmp_gt_i16_sdwa s[4:5], v38, v1 src0_sel:BYTE_0 src1_sel:DWORD
	s_and_b64 vcc, exec, s[4:5]
	s_cbranch_vccz .LBB188_350
; %bb.348:
	global_load_dwordx2 v[4:5], v[2:3], off
	s_mov_b64 s[4:5], 0
	s_waitcnt vmcnt(0)
	v_cvt_f32_f64_e32 v1, v[4:5]
	s_branch .LBB188_351
.LBB188_349:
	s_mov_b64 s[4:5], -1
                                        ; implicit-def: $vgpr1
	s_branch .LBB188_354
.LBB188_350:
	s_mov_b64 s[4:5], -1
                                        ; implicit-def: $vgpr1
.LBB188_351:
	s_andn2_b64 vcc, exec, s[4:5]
	s_cbranch_vccnz .LBB188_353
; %bb.352:
	global_load_dword v1, v[2:3], off
.LBB188_353:
	s_mov_b64 s[4:5], 0
.LBB188_354:
	s_andn2_b64 vcc, exec, s[4:5]
	s_cbranch_vccnz .LBB188_356
; %bb.355:
	global_load_ushort v1, v[2:3], off
	s_waitcnt vmcnt(0)
	v_cvt_f32_f16_e32 v1, v1
.LBB188_356:
	s_mov_b64 s[4:5], 0
.LBB188_357:
	s_andn2_b64 vcc, exec, s[4:5]
	s_cbranch_vccnz .LBB188_377
; %bb.358:
	s_waitcnt vmcnt(0)
	v_mov_b32_e32 v1, 2
	v_cmp_lt_i16_sdwa s[4:5], v38, v1 src0_sel:BYTE_0 src1_sel:DWORD
	s_and_b64 vcc, exec, s[4:5]
	s_cbranch_vccnz .LBB188_362
; %bb.359:
	v_mov_b32_e32 v1, 3
	v_cmp_lt_i16_sdwa s[4:5], v38, v1 src0_sel:BYTE_0 src1_sel:DWORD
	s_and_b64 vcc, exec, s[4:5]
	s_cbranch_vccnz .LBB188_363
; %bb.360:
	v_cmp_gt_i16_sdwa s[4:5], v38, v1 src0_sel:BYTE_0 src1_sel:DWORD
	s_and_b64 vcc, exec, s[4:5]
	s_cbranch_vccz .LBB188_364
; %bb.361:
	global_load_dwordx2 v[4:5], v[2:3], off
	s_mov_b64 s[4:5], 0
	s_waitcnt vmcnt(0)
	v_xor_b32_e32 v6, v4, v5
	v_ffbh_i32_e32 v1, v5
	v_ashrrev_i32_e32 v6, 31, v6
	v_add_u32_e32 v1, -1, v1
	v_add_u32_e32 v6, 32, v6
	v_min_u32_e32 v1, v1, v6
	v_lshlrev_b64 v[4:5], v1, v[4:5]
	v_min_u32_e32 v4, 1, v4
	v_or_b32_e32 v4, v5, v4
	v_cvt_f32_i32_e32 v4, v4
	v_sub_u32_e32 v1, 32, v1
	v_ldexp_f32 v1, v4, v1
	s_branch .LBB188_365
.LBB188_362:
	s_mov_b64 s[4:5], -1
                                        ; implicit-def: $vgpr1
	s_branch .LBB188_371
.LBB188_363:
	s_mov_b64 s[4:5], -1
                                        ; implicit-def: $vgpr1
	s_branch .LBB188_368
.LBB188_364:
	s_mov_b64 s[4:5], -1
                                        ; implicit-def: $vgpr1
.LBB188_365:
	s_andn2_b64 vcc, exec, s[4:5]
	s_cbranch_vccnz .LBB188_367
; %bb.366:
	global_load_dword v1, v[2:3], off
	s_waitcnt vmcnt(0)
	v_cvt_f32_i32_e32 v1, v1
.LBB188_367:
	s_mov_b64 s[4:5], 0
.LBB188_368:
	s_andn2_b64 vcc, exec, s[4:5]
	s_cbranch_vccnz .LBB188_370
; %bb.369:
	global_load_sshort v1, v[2:3], off
	s_waitcnt vmcnt(0)
	v_cvt_f32_i32_e32 v1, v1
.LBB188_370:
	s_mov_b64 s[4:5], 0
.LBB188_371:
	s_andn2_b64 vcc, exec, s[4:5]
	s_cbranch_vccnz .LBB188_377
; %bb.372:
	v_mov_b32_e32 v1, 0
	v_cmp_gt_i16_sdwa s[4:5], v38, v1 src0_sel:BYTE_0 src1_sel:DWORD
	s_and_b64 vcc, exec, s[4:5]
	s_cbranch_vccz .LBB188_374
; %bb.373:
	global_load_sbyte v1, v[2:3], off
	s_mov_b64 s[4:5], 0
	s_waitcnt vmcnt(0)
	v_cvt_f32_i32_e32 v1, v1
	s_branch .LBB188_375
.LBB188_374:
	s_mov_b64 s[4:5], -1
                                        ; implicit-def: $vgpr1
.LBB188_375:
	s_andn2_b64 vcc, exec, s[4:5]
	s_cbranch_vccnz .LBB188_377
; %bb.376:
	global_load_ubyte v1, v[2:3], off
	s_waitcnt vmcnt(0)
	v_cvt_f32_ubyte0_e32 v1, v1
.LBB188_377:
	s_branch .LBB188_137
.LBB188_378:
	s_mov_b64 s[4:5], 0
.LBB188_379:
	s_mov_b64 s[6:7], 0
                                        ; implicit-def: $vgpr37
.LBB188_380:
	s_and_b64 s[40:41], s[4:5], exec
	s_and_b64 s[42:43], s[42:43], exec
	s_and_b64 s[44:45], s[44:45], exec
	s_orn2_b64 s[4:5], s[6:7], exec
.LBB188_381:
	s_or_b64 exec, exec, s[46:47]
	s_mov_b64 s[8:9], 0
	s_mov_b64 s[6:7], 0
                                        ; implicit-def: $vgpr3
                                        ; implicit-def: $vgpr0_vgpr1
                                        ; implicit-def: $vgpr2
	s_and_saveexec_b64 s[46:47], s[4:5]
	s_cbranch_execz .LBB188_390
; %bb.382:
	v_cmp_gt_i32_e32 vcc, s33, v37
	s_mov_b64 s[4:5], -1
	s_mov_b64 s[48:49], s[44:45]
	s_mov_b64 s[50:51], s[42:43]
	;; [unrolled: 1-line block ×3, first 2 shown]
	s_and_saveexec_b64 s[54:55], vcc
	s_cbranch_execz .LBB188_771
; %bb.383:
	s_waitcnt vmcnt(0)
	v_mul_lo_u32 v0, v37, s37
	v_ashrrev_i32_e32 v1, 31, v0
	v_mov_b32_e32 v3, s27
	v_add_co_u32_e32 v2, vcc, s26, v0
	v_mov_b32_e32 v0, 11
	v_addc_co_u32_e32 v3, vcc, v3, v1, vcc
	v_cmp_lt_i16_sdwa s[4:5], v35, v0 src0_sel:BYTE_0 src1_sel:DWORD
	s_and_b64 vcc, exec, s[4:5]
	s_cbranch_vccnz .LBB188_393
; %bb.384:
	v_mov_b32_e32 v0, 25
	v_cmp_gt_i16_sdwa s[4:5], v35, v0 src0_sel:BYTE_0 src1_sel:DWORD
	s_and_b64 vcc, exec, s[4:5]
	s_cbranch_vccz .LBB188_402
; %bb.385:
	v_mov_b32_e32 v0, 28
	v_cmp_gt_i16_sdwa s[4:5], v35, v0 src0_sel:BYTE_0 src1_sel:DWORD
	s_and_b64 vcc, exec, s[4:5]
	s_cbranch_vccz .LBB188_404
	;; [unrolled: 5-line block ×4, first 2 shown]
; %bb.388:
	v_mov_b32_e32 v0, 46
	v_cmp_eq_u16_sdwa s[4:5], v35, v0 src0_sel:BYTE_0 src1_sel:DWORD
	s_and_b64 vcc, exec, s[4:5]
	s_cbranch_vccz .LBB188_412
; %bb.389:
	global_load_dword v0, v[2:3], off
	s_mov_b64 s[4:5], -1
	s_mov_b64 s[48:49], 0
	s_waitcnt vmcnt(0)
	v_lshlrev_b32_e32 v0, 16, v0
	s_branch .LBB188_413
.LBB188_390:
	s_or_b64 exec, exec, s[46:47]
	s_mov_b64 s[46:47], 0
	s_and_saveexec_b64 s[4:5], s[44:45]
	s_cbranch_execnz .LBB188_1246
.LBB188_391:
	s_or_b64 exec, exec, s[4:5]
	s_and_saveexec_b64 s[4:5], s[50:51]
	s_xor_b64 s[4:5], exec, s[4:5]
	s_cbranch_execz .LBB188_1247
.LBB188_392:
	s_waitcnt vmcnt(0)
	global_load_ubyte v2, v[0:1], off
	s_or_b64 s[6:7], s[6:7], exec
	s_waitcnt vmcnt(0)
	v_cmp_ne_u16_e32 vcc, 0, v2
	v_cndmask_b32_e64 v2, 0, 1.0, vcc
	s_or_b64 exec, exec, s[4:5]
	s_and_saveexec_b64 s[4:5], s[8:9]
	s_cbranch_execz .LBB188_1293
	s_branch .LBB188_1248
.LBB188_393:
	s_mov_b64 s[4:5], 0
                                        ; implicit-def: $vgpr0
	s_mov_b64 s[48:49], s[44:45]
	s_cbranch_execnz .LBB188_479
.LBB188_394:
	s_andn2_b64 vcc, exec, s[4:5]
	s_cbranch_vccnz .LBB188_527
.LBB188_395:
	v_mul_lo_u32 v1, v37, s38
	v_ashrrev_i32_e32 v3, 31, v1
	v_mov_b32_e32 v4, s23
	v_add_co_u32_e32 v2, vcc, s22, v1
	v_mov_b32_e32 v1, 11
	v_addc_co_u32_e32 v3, vcc, v4, v3, vcc
	v_cmp_lt_i16_sdwa s[4:5], v38, v1 src0_sel:BYTE_0 src1_sel:DWORD
	s_and_b64 vcc, exec, s[4:5]
	s_cbranch_vccnz .LBB188_403
; %bb.396:
	v_mov_b32_e32 v1, 25
	v_cmp_gt_i16_sdwa s[4:5], v38, v1 src0_sel:BYTE_0 src1_sel:DWORD
	s_and_b64 vcc, exec, s[4:5]
	s_cbranch_vccz .LBB188_405
; %bb.397:
	v_mov_b32_e32 v1, 28
	v_cmp_gt_i16_sdwa s[4:5], v38, v1 src0_sel:BYTE_0 src1_sel:DWORD
	s_and_b64 vcc, exec, s[4:5]
	s_cbranch_vccz .LBB188_407
	;; [unrolled: 5-line block ×4, first 2 shown]
; %bb.400:
	v_mov_b32_e32 v1, 46
	v_cmp_eq_u16_sdwa s[4:5], v38, v1 src0_sel:BYTE_0 src1_sel:DWORD
	s_mov_b64 s[6:7], 0
	s_and_b64 vcc, exec, s[4:5]
	s_cbranch_vccz .LBB188_531
; %bb.401:
	global_load_dword v1, v[2:3], off
	s_mov_b64 s[4:5], -1
	s_mov_b64 s[50:51], 0
	s_waitcnt vmcnt(0)
	v_lshlrev_b32_e32 v1, 16, v1
	s_branch .LBB188_532
.LBB188_402:
	s_mov_b64 s[6:7], -1
	s_mov_b64 s[4:5], 0
	s_mov_b64 s[48:49], s[44:45]
                                        ; implicit-def: $vgpr0
	s_branch .LBB188_443
.LBB188_403:
	s_mov_b64 s[6:7], -1
	s_mov_b64 s[4:5], 0
                                        ; implicit-def: $vgpr1
	s_mov_b64 s[50:51], s[42:43]
	s_branch .LBB188_597
.LBB188_404:
	s_mov_b64 s[6:7], -1
	s_mov_b64 s[4:5], 0
	s_mov_b64 s[48:49], s[44:45]
                                        ; implicit-def: $vgpr0
	s_branch .LBB188_424
.LBB188_405:
	s_mov_b64 s[6:7], -1
	s_mov_b64 s[4:5], 0
	s_mov_b64 s[50:51], s[42:43]
                                        ; implicit-def: $vgpr1
	s_branch .LBB188_561
.LBB188_406:
	s_mov_b64 s[6:7], -1
	s_mov_b64 s[4:5], 0
	s_mov_b64 s[48:49], s[44:45]
                                        ; implicit-def: $vgpr0
	s_branch .LBB188_419
.LBB188_407:
	s_mov_b64 s[6:7], -1
	s_mov_b64 s[4:5], 0
	s_mov_b64 s[50:51], s[42:43]
                                        ; implicit-def: $vgpr1
	s_branch .LBB188_542
.LBB188_408:
	s_mov_b64 s[6:7], -1
	s_mov_b64 s[4:5], 0
	s_mov_b64 s[48:49], s[44:45]
                                        ; implicit-def: $vgpr0
	s_branch .LBB188_413
.LBB188_409:
	s_mov_b64 s[6:7], -1
	s_mov_b64 s[4:5], 0
	s_mov_b64 s[50:51], s[42:43]
                                        ; implicit-def: $vgpr1
	s_branch .LBB188_537
.LBB188_410:
	s_or_saveexec_b64 s[10:11], s[10:11]
                                        ; implicit-def: $sgpr12
	s_xor_b64 exec, exec, s[10:11]
	s_cbranch_execz .LBB188_179
.LBB188_411:
	s_mov_b32 s12, 0x46000000
	v_add_f32_e64 v1, |v0|, s12
	v_and_b32_e32 v1, 0xff, v1
	v_cmp_ne_u32_e32 vcc, 0, v1
	s_andn2_b64 s[8:9], s[8:9], exec
	s_and_b64 s[14:15], vcc, exec
	s_mov_b32 s12, 0
	s_or_b64 s[8:9], s[8:9], s[14:15]
	s_or_b64 exec, exec, s[10:11]
	v_mov_b32_e32 v4, s12
	s_and_saveexec_b64 s[10:11], s[8:9]
	s_cbranch_execnz .LBB188_180
	s_branch .LBB188_181
.LBB188_412:
	s_mov_b64 s[48:49], -1
                                        ; implicit-def: $vgpr0
	s_mov_b64 s[4:5], 0
.LBB188_413:
	s_and_b64 vcc, exec, s[6:7]
	s_cbranch_vccz .LBB188_418
; %bb.414:
	v_mov_b32_e32 v0, 44
	v_cmp_eq_u16_sdwa s[6:7], v35, v0 src0_sel:BYTE_0 src1_sel:DWORD
	s_and_b64 vcc, exec, s[6:7]
	s_cbranch_vccz .LBB188_417
; %bb.415:
	global_load_ubyte v0, v[2:3], off
	s_movk_i32 s6, 0xff
	v_mov_b32_e32 v1, 0x7f800001
	v_mov_b32_e32 v4, 0x400000
	s_mov_b64 s[4:5], -1
	s_mov_b64 s[48:49], 0
	s_waitcnt vmcnt(0)
	v_lshlrev_b32_e32 v5, 23, v0
	v_cmp_ne_u32_e32 vcc, s6, v0
	v_cndmask_b32_e32 v1, v1, v5, vcc
	v_cmp_ne_u32_e32 vcc, 0, v0
	v_cndmask_b32_e32 v0, v4, v1, vcc
	s_branch .LBB188_418
.LBB188_416:
	s_mov_b64 s[6:7], -1
	s_mov_b64 s[4:5], 0
	s_mov_b64 s[50:51], s[42:43]
                                        ; implicit-def: $vgpr1
	s_branch .LBB188_532
.LBB188_417:
	s_mov_b64 s[48:49], -1
                                        ; implicit-def: $vgpr0
.LBB188_418:
	s_mov_b64 s[6:7], 0
.LBB188_419:
	s_and_b64 vcc, exec, s[6:7]
	s_cbranch_vccz .LBB188_423
; %bb.420:
	v_mov_b32_e32 v0, 29
	v_cmp_eq_u16_sdwa s[6:7], v35, v0 src0_sel:BYTE_0 src1_sel:DWORD
	s_and_b64 vcc, exec, s[6:7]
	s_cbranch_vccz .LBB188_422
; %bb.421:
	global_load_dwordx2 v[0:1], v[2:3], off
	s_mov_b64 s[4:5], -1
	s_mov_b64 s[48:49], 0
	s_mov_b64 s[6:7], 0
	s_waitcnt vmcnt(0)
	v_ffbh_u32_e32 v4, v1
	v_min_u32_e32 v4, 32, v4
	v_lshlrev_b64 v[0:1], v4, v[0:1]
	v_min_u32_e32 v0, 1, v0
	v_or_b32_e32 v0, v1, v0
	v_cvt_f32_u32_e32 v0, v0
	v_sub_u32_e32 v1, 32, v4
	v_ldexp_f32 v0, v0, v1
	s_branch .LBB188_424
.LBB188_422:
	s_mov_b64 s[48:49], -1
                                        ; implicit-def: $vgpr0
.LBB188_423:
	s_mov_b64 s[6:7], 0
.LBB188_424:
	s_and_b64 vcc, exec, s[6:7]
	s_cbranch_vccz .LBB188_442
; %bb.425:
	v_mov_b32_e32 v0, 27
	v_cmp_lt_i16_sdwa s[4:5], v35, v0 src0_sel:BYTE_0 src1_sel:DWORD
	s_and_b64 vcc, exec, s[4:5]
	s_cbranch_vccnz .LBB188_428
; %bb.426:
	v_cmp_gt_i16_sdwa s[4:5], v35, v0 src0_sel:BYTE_0 src1_sel:DWORD
	s_and_b64 vcc, exec, s[4:5]
	s_cbranch_vccz .LBB188_429
; %bb.427:
	global_load_dword v0, v[2:3], off
	s_mov_b64 s[4:5], 0
	s_waitcnt vmcnt(0)
	v_cvt_f32_u32_e32 v0, v0
	s_branch .LBB188_430
.LBB188_428:
	s_mov_b64 s[4:5], -1
                                        ; implicit-def: $vgpr0
	s_branch .LBB188_433
.LBB188_429:
	s_mov_b64 s[4:5], -1
                                        ; implicit-def: $vgpr0
.LBB188_430:
	s_andn2_b64 vcc, exec, s[4:5]
	s_cbranch_vccnz .LBB188_432
; %bb.431:
	global_load_ushort v0, v[2:3], off
	s_waitcnt vmcnt(0)
	v_cvt_f32_u32_e32 v0, v0
.LBB188_432:
	s_mov_b64 s[4:5], 0
.LBB188_433:
	s_andn2_b64 vcc, exec, s[4:5]
	s_cbranch_vccnz .LBB188_441
; %bb.434:
	global_load_ubyte v1, v[2:3], off
	s_movk_i32 s4, 0x7f
                                        ; implicit-def: $sgpr10
	s_waitcnt vmcnt(0)
	v_cmp_lt_i16_e32 vcc, s4, v1
	s_mov_b64 s[4:5], 0
	s_and_saveexec_b64 s[6:7], vcc
	s_xor_b64 s[6:7], exec, s[6:7]
	s_cbranch_execz .LBB188_455
; %bb.435:
	s_movk_i32 s4, 0x80
	v_cmp_eq_u16_e32 vcc, s4, v1
	s_mov_b64 s[4:5], -1
                                        ; implicit-def: $sgpr10
	s_and_saveexec_b64 s[8:9], vcc
; %bb.436:
	s_mov_b32 s10, 0x7f800001
	s_xor_b64 s[4:5], exec, -1
; %bb.437:
	s_or_b64 exec, exec, s[8:9]
	s_and_b64 s[4:5], s[4:5], exec
	s_or_saveexec_b64 s[6:7], s[6:7]
	v_mov_b32_e32 v0, s10
	s_xor_b64 exec, exec, s[6:7]
	s_cbranch_execnz .LBB188_456
.LBB188_438:
	s_or_b64 exec, exec, s[6:7]
	s_and_saveexec_b64 s[6:7], s[4:5]
	s_cbranch_execz .LBB188_440
.LBB188_439:
	v_lshlrev_b32_e32 v0, 24, v1
	v_and_b32_e32 v1, 0xffff, v1
	v_and_b32_e32 v4, 7, v1
	v_ffbh_u32_e32 v6, v4
	v_min_u32_e32 v6, 32, v6
	v_subrev_u32_e32 v7, 28, v6
	v_bfe_u32 v5, v1, 3, 4
	v_lshlrev_b32_e32 v1, v7, v1
	v_sub_u32_e32 v6, 29, v6
	v_and_b32_e32 v1, 7, v1
	v_cmp_eq_u32_e32 vcc, 0, v5
	v_cndmask_b32_e32 v5, v5, v6, vcc
	v_cndmask_b32_e32 v1, v4, v1, vcc
	v_mov_b32_e32 v4, 0x3b800000
	v_lshlrev_b32_e32 v1, 20, v1
	v_and_b32_e32 v0, 0x80000000, v0
	v_lshl_add_u32 v4, v5, 23, v4
	v_or3_b32 v0, v0, v4, v1
.LBB188_440:
	s_or_b64 exec, exec, s[6:7]
.LBB188_441:
	s_mov_b64 s[4:5], -1
.LBB188_442:
	s_mov_b64 s[6:7], 0
.LBB188_443:
	s_and_b64 vcc, exec, s[6:7]
	s_cbranch_vccz .LBB188_478
; %bb.444:
	v_mov_b32_e32 v0, 22
	v_cmp_gt_i16_sdwa s[6:7], v35, v0 src0_sel:BYTE_0 src1_sel:DWORD
	s_and_b64 vcc, exec, s[6:7]
	s_cbranch_vccz .LBB188_454
; %bb.445:
	v_mov_b32_e32 v0, 24
	v_cmp_lt_i16_sdwa s[4:5], v35, v0 src0_sel:BYTE_0 src1_sel:DWORD
	s_and_b64 vcc, exec, s[4:5]
	s_cbranch_vccnz .LBB188_457
; %bb.446:
	v_cmp_gt_i16_sdwa s[4:5], v35, v0 src0_sel:BYTE_0 src1_sel:DWORD
	s_and_b64 vcc, exec, s[4:5]
	s_cbranch_vccz .LBB188_458
; %bb.447:
	global_load_ubyte v1, v[2:3], off
	s_movk_i32 s4, 0x7f
                                        ; implicit-def: $sgpr10
	s_waitcnt vmcnt(0)
	v_cmp_lt_i16_e32 vcc, s4, v1
	s_mov_b64 s[4:5], 0
	s_and_saveexec_b64 s[6:7], vcc
	s_xor_b64 s[6:7], exec, s[6:7]
	s_cbranch_execz .LBB188_470
; %bb.448:
	s_movk_i32 s4, 0x80
	v_cmp_eq_u16_e32 vcc, s4, v1
	s_mov_b64 s[4:5], -1
                                        ; implicit-def: $sgpr10
	s_and_saveexec_b64 s[8:9], vcc
; %bb.449:
	s_mov_b32 s10, 0x7f800001
	s_xor_b64 s[4:5], exec, -1
; %bb.450:
	s_or_b64 exec, exec, s[8:9]
	s_and_b64 s[4:5], s[4:5], exec
	s_or_saveexec_b64 s[6:7], s[6:7]
	v_mov_b32_e32 v0, s10
	s_xor_b64 exec, exec, s[6:7]
	s_cbranch_execnz .LBB188_471
.LBB188_451:
	s_or_b64 exec, exec, s[6:7]
	s_and_saveexec_b64 s[6:7], s[4:5]
	s_cbranch_execz .LBB188_453
.LBB188_452:
	v_lshlrev_b32_e32 v0, 24, v1
	v_and_b32_e32 v1, 0xffff, v1
	v_and_b32_e32 v4, 3, v1
	v_ffbh_u32_e32 v6, v4
	v_min_u32_e32 v6, 32, v6
	v_subrev_u32_e32 v7, 29, v6
	v_bfe_u32 v5, v1, 2, 5
	v_lshlrev_b32_e32 v1, v7, v1
	v_sub_u32_e32 v6, 30, v6
	v_and_b32_e32 v1, 3, v1
	v_cmp_eq_u32_e32 vcc, 0, v5
	v_cndmask_b32_e32 v5, v5, v6, vcc
	v_cndmask_b32_e32 v1, v4, v1, vcc
	v_mov_b32_e32 v4, 0x37800000
	v_lshlrev_b32_e32 v1, 21, v1
	v_and_b32_e32 v0, 0x80000000, v0
	v_lshl_add_u32 v4, v5, 23, v4
	v_or3_b32 v0, v0, v4, v1
.LBB188_453:
	s_or_b64 exec, exec, s[6:7]
	s_mov_b64 s[4:5], 0
	s_branch .LBB188_459
.LBB188_454:
	s_mov_b64 s[6:7], -1
                                        ; implicit-def: $vgpr0
	s_branch .LBB188_465
.LBB188_455:
	s_or_saveexec_b64 s[6:7], s[6:7]
	v_mov_b32_e32 v0, s10
	s_xor_b64 exec, exec, s[6:7]
	s_cbranch_execz .LBB188_438
.LBB188_456:
	v_cmp_ne_u16_e32 vcc, 0, v1
	s_andn2_b64 s[4:5], s[4:5], exec
	s_and_b64 s[8:9], vcc, exec
	v_mov_b32_e32 v0, 0
	s_or_b64 s[4:5], s[4:5], s[8:9]
	s_or_b64 exec, exec, s[6:7]
	s_and_saveexec_b64 s[6:7], s[4:5]
	s_cbranch_execnz .LBB188_439
	s_branch .LBB188_440
.LBB188_457:
	s_mov_b64 s[4:5], -1
                                        ; implicit-def: $vgpr0
	s_branch .LBB188_462
.LBB188_458:
	s_mov_b64 s[4:5], -1
                                        ; implicit-def: $vgpr0
.LBB188_459:
	s_and_b64 vcc, exec, s[4:5]
	s_cbranch_vccz .LBB188_461
; %bb.460:
	global_load_ubyte v0, v[2:3], off
	s_mov_b32 s4, 0x7f800000
	s_waitcnt vmcnt(0)
	v_lshlrev_b32_e32 v0, 24, v0
	v_and_b32_e32 v1, 0x7f000000, v0
	v_ffbh_u32_e32 v4, v1
	v_min_u32_e32 v4, 32, v4
	v_sub_u32_e64 v4, v4, 4 clamp
	v_lshlrev_b32_e32 v6, v4, v1
	v_lshlrev_b32_e32 v4, 23, v4
	v_lshrrev_b32_e32 v6, 4, v6
	v_add_u32_e32 v5, 0x1000000, v1
	v_sub_u32_e32 v4, v6, v4
	v_ashrrev_i32_e32 v5, 8, v5
	v_add_u32_e32 v4, 0x3c000000, v4
	v_and_or_b32 v4, v5, s4, v4
	v_cmp_ne_u32_e32 vcc, 0, v1
	v_cndmask_b32_e32 v1, 0, v4, vcc
	s_brev_b32 s4, 1
	v_and_or_b32 v0, v0, s4, v1
.LBB188_461:
	s_mov_b64 s[4:5], 0
.LBB188_462:
	s_andn2_b64 vcc, exec, s[4:5]
	s_cbranch_vccnz .LBB188_464
; %bb.463:
	global_load_ubyte v0, v[2:3], off
	s_movk_i32 s4, 0x7f00
	s_brev_b32 s5, 16
	s_waitcnt vmcnt(0)
	v_lshlrev_b16_e32 v1, 8, v0
	v_lshlrev_b32_e32 v0, 25, v0
	v_lshrrev_b32_e32 v4, 4, v0
	v_and_or_b32 v5, v1, s4, 0.5
	v_or_b32_e32 v4, 0x70000000, v4
	v_add_f32_e32 v5, -0.5, v5
	v_mul_f32_e32 v4, 0x7800000, v4
	v_cmp_gt_u32_e32 vcc, s5, v0
	v_bfe_i32 v1, v1, 0, 16
	v_cndmask_b32_e32 v0, v4, v5, vcc
	s_brev_b32 s4, 1
	v_and_or_b32 v0, v1, s4, v0
.LBB188_464:
	s_mov_b64 s[6:7], 0
	s_mov_b64 s[4:5], -1
.LBB188_465:
	s_andn2_b64 vcc, exec, s[6:7]
	s_cbranch_vccnz .LBB188_478
; %bb.466:
	v_mov_b32_e32 v0, 14
	v_cmp_gt_i16_sdwa s[6:7], v35, v0 src0_sel:BYTE_0 src1_sel:DWORD
	s_and_b64 vcc, exec, s[6:7]
	s_cbranch_vccz .LBB188_469
; %bb.467:
	v_mov_b32_e32 v0, 15
	v_cmp_eq_u16_sdwa s[6:7], v35, v0 src0_sel:BYTE_0 src1_sel:DWORD
	s_and_b64 vcc, exec, s[6:7]
	s_cbranch_vccz .LBB188_472
; %bb.468:
	global_load_ushort v0, v[2:3], off
	s_mov_b64 s[4:5], -1
	s_mov_b64 s[48:49], 0
	s_waitcnt vmcnt(0)
	v_lshlrev_b32_e32 v0, 16, v0
	s_branch .LBB188_473
.LBB188_469:
	s_mov_b64 s[6:7], -1
                                        ; implicit-def: $vgpr0
	s_branch .LBB188_474
.LBB188_470:
	s_or_saveexec_b64 s[6:7], s[6:7]
	v_mov_b32_e32 v0, s10
	s_xor_b64 exec, exec, s[6:7]
	s_cbranch_execz .LBB188_451
.LBB188_471:
	v_cmp_ne_u16_e32 vcc, 0, v1
	s_andn2_b64 s[4:5], s[4:5], exec
	s_and_b64 s[8:9], vcc, exec
	v_mov_b32_e32 v0, 0
	s_or_b64 s[4:5], s[4:5], s[8:9]
	s_or_b64 exec, exec, s[6:7]
	s_and_saveexec_b64 s[6:7], s[4:5]
	s_cbranch_execnz .LBB188_452
	s_branch .LBB188_453
.LBB188_472:
	s_mov_b64 s[48:49], -1
                                        ; implicit-def: $vgpr0
.LBB188_473:
	s_mov_b64 s[6:7], 0
.LBB188_474:
	s_and_b64 vcc, exec, s[6:7]
	s_cbranch_vccz .LBB188_478
; %bb.475:
	v_mov_b32_e32 v0, 11
	v_cmp_eq_u16_sdwa s[6:7], v35, v0 src0_sel:BYTE_0 src1_sel:DWORD
	s_and_b64 vcc, exec, s[6:7]
	s_cbranch_vccz .LBB188_477
; %bb.476:
	global_load_ubyte v0, v[2:3], off
	s_mov_b64 s[4:5], -1
	s_mov_b64 s[48:49], 0
	s_waitcnt vmcnt(0)
	v_cmp_ne_u16_e32 vcc, 0, v0
	v_cndmask_b32_e64 v0, 0, 1.0, vcc
	s_branch .LBB188_478
.LBB188_477:
	s_mov_b64 s[48:49], -1
                                        ; implicit-def: $vgpr0
.LBB188_478:
	s_branch .LBB188_394
.LBB188_479:
	v_mov_b32_e32 v0, 5
	v_cmp_lt_i16_sdwa s[4:5], v35, v0 src0_sel:BYTE_0 src1_sel:DWORD
	s_and_b64 vcc, exec, s[4:5]
	s_cbranch_vccnz .LBB188_484
; %bb.480:
	v_mov_b32_e32 v0, 8
	v_cmp_lt_i16_sdwa s[4:5], v35, v0 src0_sel:BYTE_0 src1_sel:DWORD
	s_and_b64 vcc, exec, s[4:5]
	s_cbranch_vccnz .LBB188_485
; %bb.481:
	;; [unrolled: 5-line block ×3, first 2 shown]
	v_cmp_gt_i16_sdwa s[4:5], v35, v0 src0_sel:BYTE_0 src1_sel:DWORD
	s_and_b64 vcc, exec, s[4:5]
	s_cbranch_vccz .LBB188_487
; %bb.483:
	global_load_dwordx2 v[0:1], v[2:3], off
	s_mov_b64 s[4:5], 0
	s_waitcnt vmcnt(0)
	v_cvt_f32_f64_e32 v0, v[0:1]
	s_branch .LBB188_488
.LBB188_484:
	s_mov_b64 s[4:5], -1
                                        ; implicit-def: $vgpr0
	s_branch .LBB188_506
.LBB188_485:
	s_mov_b64 s[4:5], -1
                                        ; implicit-def: $vgpr0
	s_branch .LBB188_494
.LBB188_486:
	s_mov_b64 s[4:5], -1
                                        ; implicit-def: $vgpr0
	s_branch .LBB188_491
.LBB188_487:
	s_mov_b64 s[4:5], -1
                                        ; implicit-def: $vgpr0
.LBB188_488:
	s_andn2_b64 vcc, exec, s[4:5]
	s_cbranch_vccnz .LBB188_490
; %bb.489:
	global_load_dword v0, v[2:3], off
.LBB188_490:
	s_mov_b64 s[4:5], 0
.LBB188_491:
	s_andn2_b64 vcc, exec, s[4:5]
	s_cbranch_vccnz .LBB188_493
; %bb.492:
	global_load_dword v0, v[2:3], off
	s_waitcnt vmcnt(0)
	v_cvt_f32_f16_e32 v0, v0
.LBB188_493:
	s_mov_b64 s[4:5], 0
.LBB188_494:
	s_andn2_b64 vcc, exec, s[4:5]
	s_cbranch_vccnz .LBB188_505
; %bb.495:
	s_waitcnt vmcnt(0)
	v_mov_b32_e32 v0, 6
	v_cmp_lt_i16_sdwa s[4:5], v35, v0 src0_sel:BYTE_0 src1_sel:DWORD
	s_and_b64 vcc, exec, s[4:5]
	s_cbranch_vccnz .LBB188_498
; %bb.496:
	v_cmp_gt_i16_sdwa s[4:5], v35, v0 src0_sel:BYTE_0 src1_sel:DWORD
	s_and_b64 vcc, exec, s[4:5]
	s_cbranch_vccz .LBB188_499
; %bb.497:
	global_load_dwordx2 v[0:1], v[2:3], off
	s_mov_b64 s[4:5], 0
	s_waitcnt vmcnt(0)
	v_cvt_f32_f64_e32 v0, v[0:1]
	s_branch .LBB188_500
.LBB188_498:
	s_mov_b64 s[4:5], -1
                                        ; implicit-def: $vgpr0
	s_branch .LBB188_503
.LBB188_499:
	s_mov_b64 s[4:5], -1
                                        ; implicit-def: $vgpr0
.LBB188_500:
	s_andn2_b64 vcc, exec, s[4:5]
	s_cbranch_vccnz .LBB188_502
; %bb.501:
	global_load_dword v0, v[2:3], off
.LBB188_502:
	s_mov_b64 s[4:5], 0
.LBB188_503:
	s_andn2_b64 vcc, exec, s[4:5]
	s_cbranch_vccnz .LBB188_505
; %bb.504:
	global_load_ushort v0, v[2:3], off
	s_waitcnt vmcnt(0)
	v_cvt_f32_f16_e32 v0, v0
.LBB188_505:
	s_mov_b64 s[4:5], 0
.LBB188_506:
	s_andn2_b64 vcc, exec, s[4:5]
	s_cbranch_vccnz .LBB188_526
; %bb.507:
	s_waitcnt vmcnt(0)
	v_mov_b32_e32 v0, 2
	v_cmp_lt_i16_sdwa s[4:5], v35, v0 src0_sel:BYTE_0 src1_sel:DWORD
	s_and_b64 vcc, exec, s[4:5]
	s_cbranch_vccnz .LBB188_511
; %bb.508:
	v_mov_b32_e32 v0, 3
	v_cmp_lt_i16_sdwa s[4:5], v35, v0 src0_sel:BYTE_0 src1_sel:DWORD
	s_and_b64 vcc, exec, s[4:5]
	s_cbranch_vccnz .LBB188_512
; %bb.509:
	v_cmp_gt_i16_sdwa s[4:5], v35, v0 src0_sel:BYTE_0 src1_sel:DWORD
	s_and_b64 vcc, exec, s[4:5]
	s_cbranch_vccz .LBB188_513
; %bb.510:
	global_load_dwordx2 v[0:1], v[2:3], off
	s_mov_b64 s[4:5], 0
	s_waitcnt vmcnt(0)
	v_xor_b32_e32 v5, v0, v1
	v_ffbh_i32_e32 v4, v1
	v_ashrrev_i32_e32 v5, 31, v5
	v_add_u32_e32 v4, -1, v4
	v_add_u32_e32 v5, 32, v5
	v_min_u32_e32 v4, v4, v5
	v_lshlrev_b64 v[0:1], v4, v[0:1]
	v_min_u32_e32 v0, 1, v0
	v_or_b32_e32 v0, v1, v0
	v_cvt_f32_i32_e32 v0, v0
	v_sub_u32_e32 v1, 32, v4
	v_ldexp_f32 v0, v0, v1
	s_branch .LBB188_514
.LBB188_511:
	s_mov_b64 s[4:5], -1
                                        ; implicit-def: $vgpr0
	s_branch .LBB188_520
.LBB188_512:
	s_mov_b64 s[4:5], -1
                                        ; implicit-def: $vgpr0
	s_branch .LBB188_517
.LBB188_513:
	s_mov_b64 s[4:5], -1
                                        ; implicit-def: $vgpr0
.LBB188_514:
	s_andn2_b64 vcc, exec, s[4:5]
	s_cbranch_vccnz .LBB188_516
; %bb.515:
	global_load_dword v0, v[2:3], off
	s_waitcnt vmcnt(0)
	v_cvt_f32_i32_e32 v0, v0
.LBB188_516:
	s_mov_b64 s[4:5], 0
.LBB188_517:
	s_andn2_b64 vcc, exec, s[4:5]
	s_cbranch_vccnz .LBB188_519
; %bb.518:
	global_load_sshort v0, v[2:3], off
	s_waitcnt vmcnt(0)
	v_cvt_f32_i32_e32 v0, v0
.LBB188_519:
	s_mov_b64 s[4:5], 0
.LBB188_520:
	s_andn2_b64 vcc, exec, s[4:5]
	s_cbranch_vccnz .LBB188_526
; %bb.521:
	v_mov_b32_e32 v0, 0
	v_cmp_gt_i16_sdwa s[4:5], v35, v0 src0_sel:BYTE_0 src1_sel:DWORD
	s_and_b64 vcc, exec, s[4:5]
	s_cbranch_vccz .LBB188_523
; %bb.522:
	global_load_sbyte v0, v[2:3], off
	s_mov_b64 s[4:5], 0
	s_waitcnt vmcnt(0)
	v_cvt_f32_i32_e32 v0, v0
	s_branch .LBB188_524
.LBB188_523:
	s_mov_b64 s[4:5], -1
                                        ; implicit-def: $vgpr0
.LBB188_524:
	s_andn2_b64 vcc, exec, s[4:5]
	s_cbranch_vccnz .LBB188_526
; %bb.525:
	global_load_ubyte v0, v[2:3], off
	s_waitcnt vmcnt(0)
	v_cvt_f32_ubyte0_e32 v0, v0
.LBB188_526:
	s_branch .LBB188_395
.LBB188_527:
	s_mov_b64 s[6:7], 0
	s_mov_b64 s[4:5], s[40:41]
	;; [unrolled: 1-line block ×3, first 2 shown]
.LBB188_528:
                                        ; implicit-def: $vgpr37
	s_branch .LBB188_770
.LBB188_529:
	s_or_saveexec_b64 s[10:11], s[10:11]
                                        ; implicit-def: $sgpr12
	s_xor_b64 exec, exec, s[10:11]
	s_cbranch_execz .LBB188_192
.LBB188_530:
	s_mov_b32 s12, 0x42800000
	v_add_f32_e64 v1, |v0|, s12
	v_and_b32_e32 v1, 0xff, v1
	v_cmp_ne_u32_e32 vcc, 0, v1
	s_andn2_b64 s[8:9], s[8:9], exec
	s_and_b64 s[14:15], vcc, exec
	s_mov_b32 s12, 0
	s_or_b64 s[8:9], s[8:9], s[14:15]
	s_or_b64 exec, exec, s[10:11]
	v_mov_b32_e32 v4, s12
	s_and_saveexec_b64 s[10:11], s[8:9]
	s_cbranch_execnz .LBB188_193
	s_branch .LBB188_194
.LBB188_531:
	s_mov_b64 s[50:51], -1
                                        ; implicit-def: $vgpr1
	s_mov_b64 s[4:5], 0
.LBB188_532:
	s_and_b64 vcc, exec, s[6:7]
	s_cbranch_vccz .LBB188_536
; %bb.533:
	v_mov_b32_e32 v1, 44
	v_cmp_eq_u16_sdwa s[6:7], v38, v1 src0_sel:BYTE_0 src1_sel:DWORD
	s_and_b64 vcc, exec, s[6:7]
	s_cbranch_vccz .LBB188_535
; %bb.534:
	global_load_ubyte v1, v[2:3], off
	s_movk_i32 s6, 0xff
	v_mov_b32_e32 v4, 0x7f800001
	v_mov_b32_e32 v5, 0x400000
	s_mov_b64 s[4:5], -1
	s_mov_b64 s[50:51], 0
	s_waitcnt vmcnt(0)
	v_lshlrev_b32_e32 v6, 23, v1
	v_cmp_ne_u32_e32 vcc, s6, v1
	v_cndmask_b32_e32 v4, v4, v6, vcc
	v_cmp_ne_u32_e32 vcc, 0, v1
	v_cndmask_b32_e32 v1, v5, v4, vcc
	s_branch .LBB188_536
.LBB188_535:
	s_mov_b64 s[50:51], -1
                                        ; implicit-def: $vgpr1
.LBB188_536:
	s_mov_b64 s[6:7], 0
.LBB188_537:
	s_and_b64 vcc, exec, s[6:7]
	s_cbranch_vccz .LBB188_541
; %bb.538:
	v_mov_b32_e32 v1, 29
	v_cmp_eq_u16_sdwa s[6:7], v38, v1 src0_sel:BYTE_0 src1_sel:DWORD
	s_and_b64 vcc, exec, s[6:7]
	s_cbranch_vccz .LBB188_540
; %bb.539:
	global_load_dwordx2 v[4:5], v[2:3], off
	s_mov_b64 s[4:5], -1
	s_mov_b64 s[50:51], 0
	s_mov_b64 s[6:7], 0
	s_waitcnt vmcnt(0)
	v_ffbh_u32_e32 v1, v5
	v_min_u32_e32 v1, 32, v1
	v_lshlrev_b64 v[4:5], v1, v[4:5]
	v_min_u32_e32 v4, 1, v4
	v_or_b32_e32 v4, v5, v4
	v_cvt_f32_u32_e32 v4, v4
	v_sub_u32_e32 v1, 32, v1
	v_ldexp_f32 v1, v4, v1
	s_branch .LBB188_542
.LBB188_540:
	s_mov_b64 s[50:51], -1
                                        ; implicit-def: $vgpr1
.LBB188_541:
	s_mov_b64 s[6:7], 0
.LBB188_542:
	s_and_b64 vcc, exec, s[6:7]
	s_cbranch_vccz .LBB188_560
; %bb.543:
	v_mov_b32_e32 v1, 27
	v_cmp_lt_i16_sdwa s[4:5], v38, v1 src0_sel:BYTE_0 src1_sel:DWORD
	s_and_b64 vcc, exec, s[4:5]
	s_cbranch_vccnz .LBB188_546
; %bb.544:
	v_cmp_gt_i16_sdwa s[4:5], v38, v1 src0_sel:BYTE_0 src1_sel:DWORD
	s_and_b64 vcc, exec, s[4:5]
	s_cbranch_vccz .LBB188_547
; %bb.545:
	global_load_dword v1, v[2:3], off
	s_mov_b64 s[4:5], 0
	s_waitcnt vmcnt(0)
	v_cvt_f32_u32_e32 v1, v1
	s_branch .LBB188_548
.LBB188_546:
	s_mov_b64 s[4:5], -1
                                        ; implicit-def: $vgpr1
	s_branch .LBB188_551
.LBB188_547:
	s_mov_b64 s[4:5], -1
                                        ; implicit-def: $vgpr1
.LBB188_548:
	s_andn2_b64 vcc, exec, s[4:5]
	s_cbranch_vccnz .LBB188_550
; %bb.549:
	global_load_ushort v1, v[2:3], off
	s_waitcnt vmcnt(0)
	v_cvt_f32_u32_e32 v1, v1
.LBB188_550:
	s_mov_b64 s[4:5], 0
.LBB188_551:
	s_andn2_b64 vcc, exec, s[4:5]
	s_cbranch_vccnz .LBB188_559
; %bb.552:
	global_load_ubyte v4, v[2:3], off
	s_movk_i32 s4, 0x7f
                                        ; implicit-def: $sgpr10
	s_waitcnt vmcnt(0)
	v_cmp_lt_i16_e32 vcc, s4, v4
	s_mov_b64 s[4:5], 0
	s_and_saveexec_b64 s[6:7], vcc
	s_xor_b64 s[6:7], exec, s[6:7]
	s_cbranch_execz .LBB188_573
; %bb.553:
	s_movk_i32 s4, 0x80
	v_cmp_eq_u16_e32 vcc, s4, v4
	s_mov_b64 s[4:5], -1
                                        ; implicit-def: $sgpr10
	s_and_saveexec_b64 s[8:9], vcc
; %bb.554:
	s_mov_b32 s10, 0x7f800001
	s_xor_b64 s[4:5], exec, -1
; %bb.555:
	s_or_b64 exec, exec, s[8:9]
	s_and_b64 s[4:5], s[4:5], exec
	s_or_saveexec_b64 s[6:7], s[6:7]
	v_mov_b32_e32 v1, s10
	s_xor_b64 exec, exec, s[6:7]
	s_cbranch_execnz .LBB188_574
.LBB188_556:
	s_or_b64 exec, exec, s[6:7]
	s_and_saveexec_b64 s[6:7], s[4:5]
	s_cbranch_execz .LBB188_558
.LBB188_557:
	v_lshlrev_b32_e32 v1, 24, v4
	v_and_b32_e32 v4, 0xffff, v4
	v_and_b32_e32 v5, 7, v4
	v_ffbh_u32_e32 v7, v5
	v_min_u32_e32 v7, 32, v7
	v_subrev_u32_e32 v8, 28, v7
	v_bfe_u32 v6, v4, 3, 4
	v_lshlrev_b32_e32 v4, v8, v4
	v_sub_u32_e32 v7, 29, v7
	v_and_b32_e32 v4, 7, v4
	v_cmp_eq_u32_e32 vcc, 0, v6
	v_cndmask_b32_e32 v6, v6, v7, vcc
	v_cndmask_b32_e32 v4, v5, v4, vcc
	v_mov_b32_e32 v5, 0x3b800000
	v_lshlrev_b32_e32 v4, 20, v4
	v_and_b32_e32 v1, 0x80000000, v1
	v_lshl_add_u32 v5, v6, 23, v5
	v_or3_b32 v1, v1, v5, v4
.LBB188_558:
	s_or_b64 exec, exec, s[6:7]
.LBB188_559:
	s_mov_b64 s[4:5], -1
.LBB188_560:
	s_mov_b64 s[6:7], 0
.LBB188_561:
	s_and_b64 vcc, exec, s[6:7]
	s_cbranch_vccz .LBB188_596
; %bb.562:
	v_mov_b32_e32 v1, 22
	v_cmp_gt_i16_sdwa s[6:7], v38, v1 src0_sel:BYTE_0 src1_sel:DWORD
	s_and_b64 vcc, exec, s[6:7]
	s_cbranch_vccz .LBB188_572
; %bb.563:
	v_mov_b32_e32 v1, 24
	v_cmp_lt_i16_sdwa s[4:5], v38, v1 src0_sel:BYTE_0 src1_sel:DWORD
	s_and_b64 vcc, exec, s[4:5]
	s_cbranch_vccnz .LBB188_575
; %bb.564:
	v_cmp_gt_i16_sdwa s[4:5], v38, v1 src0_sel:BYTE_0 src1_sel:DWORD
	s_and_b64 vcc, exec, s[4:5]
	s_cbranch_vccz .LBB188_576
; %bb.565:
	global_load_ubyte v4, v[2:3], off
	s_movk_i32 s4, 0x7f
                                        ; implicit-def: $sgpr10
	s_waitcnt vmcnt(0)
	v_cmp_lt_i16_e32 vcc, s4, v4
	s_mov_b64 s[4:5], 0
	s_and_saveexec_b64 s[6:7], vcc
	s_xor_b64 s[6:7], exec, s[6:7]
	s_cbranch_execz .LBB188_588
; %bb.566:
	s_movk_i32 s4, 0x80
	v_cmp_eq_u16_e32 vcc, s4, v4
	s_mov_b64 s[4:5], -1
                                        ; implicit-def: $sgpr10
	s_and_saveexec_b64 s[8:9], vcc
; %bb.567:
	s_mov_b32 s10, 0x7f800001
	s_xor_b64 s[4:5], exec, -1
; %bb.568:
	s_or_b64 exec, exec, s[8:9]
	s_and_b64 s[4:5], s[4:5], exec
	s_or_saveexec_b64 s[6:7], s[6:7]
	v_mov_b32_e32 v1, s10
	s_xor_b64 exec, exec, s[6:7]
	s_cbranch_execnz .LBB188_589
.LBB188_569:
	s_or_b64 exec, exec, s[6:7]
	s_and_saveexec_b64 s[6:7], s[4:5]
	s_cbranch_execz .LBB188_571
.LBB188_570:
	v_lshlrev_b32_e32 v1, 24, v4
	v_and_b32_e32 v4, 0xffff, v4
	v_and_b32_e32 v5, 3, v4
	v_ffbh_u32_e32 v7, v5
	v_min_u32_e32 v7, 32, v7
	v_subrev_u32_e32 v8, 29, v7
	v_bfe_u32 v6, v4, 2, 5
	v_lshlrev_b32_e32 v4, v8, v4
	v_sub_u32_e32 v7, 30, v7
	v_and_b32_e32 v4, 3, v4
	v_cmp_eq_u32_e32 vcc, 0, v6
	v_cndmask_b32_e32 v6, v6, v7, vcc
	v_cndmask_b32_e32 v4, v5, v4, vcc
	v_mov_b32_e32 v5, 0x37800000
	v_lshlrev_b32_e32 v4, 21, v4
	v_and_b32_e32 v1, 0x80000000, v1
	v_lshl_add_u32 v5, v6, 23, v5
	v_or3_b32 v1, v1, v5, v4
.LBB188_571:
	s_or_b64 exec, exec, s[6:7]
	s_mov_b64 s[4:5], 0
	s_branch .LBB188_577
.LBB188_572:
	s_mov_b64 s[6:7], -1
                                        ; implicit-def: $vgpr1
	s_branch .LBB188_583
.LBB188_573:
	s_or_saveexec_b64 s[6:7], s[6:7]
	v_mov_b32_e32 v1, s10
	s_xor_b64 exec, exec, s[6:7]
	s_cbranch_execz .LBB188_556
.LBB188_574:
	v_cmp_ne_u16_e32 vcc, 0, v4
	s_andn2_b64 s[4:5], s[4:5], exec
	s_and_b64 s[8:9], vcc, exec
	v_mov_b32_e32 v1, 0
	s_or_b64 s[4:5], s[4:5], s[8:9]
	s_or_b64 exec, exec, s[6:7]
	s_and_saveexec_b64 s[6:7], s[4:5]
	s_cbranch_execnz .LBB188_557
	s_branch .LBB188_558
.LBB188_575:
	s_mov_b64 s[4:5], -1
                                        ; implicit-def: $vgpr1
	s_branch .LBB188_580
.LBB188_576:
	s_mov_b64 s[4:5], -1
                                        ; implicit-def: $vgpr1
.LBB188_577:
	s_and_b64 vcc, exec, s[4:5]
	s_cbranch_vccz .LBB188_579
; %bb.578:
	global_load_ubyte v1, v[2:3], off
	s_mov_b32 s4, 0x7f800000
	s_waitcnt vmcnt(0)
	v_lshlrev_b32_e32 v1, 24, v1
	v_and_b32_e32 v4, 0x7f000000, v1
	v_ffbh_u32_e32 v5, v4
	v_min_u32_e32 v5, 32, v5
	v_sub_u32_e64 v5, v5, 4 clamp
	v_lshlrev_b32_e32 v7, v5, v4
	v_lshlrev_b32_e32 v5, 23, v5
	v_lshrrev_b32_e32 v7, 4, v7
	v_add_u32_e32 v6, 0x1000000, v4
	v_sub_u32_e32 v5, v7, v5
	v_ashrrev_i32_e32 v6, 8, v6
	v_add_u32_e32 v5, 0x3c000000, v5
	v_and_or_b32 v5, v6, s4, v5
	v_cmp_ne_u32_e32 vcc, 0, v4
	v_cndmask_b32_e32 v4, 0, v5, vcc
	s_brev_b32 s4, 1
	v_and_or_b32 v1, v1, s4, v4
.LBB188_579:
	s_mov_b64 s[4:5], 0
.LBB188_580:
	s_andn2_b64 vcc, exec, s[4:5]
	s_cbranch_vccnz .LBB188_582
; %bb.581:
	global_load_ubyte v1, v[2:3], off
	s_movk_i32 s4, 0x7f00
	s_brev_b32 s5, 16
	s_waitcnt vmcnt(0)
	v_lshlrev_b16_e32 v4, 8, v1
	v_lshlrev_b32_e32 v1, 25, v1
	v_lshrrev_b32_e32 v5, 4, v1
	v_and_or_b32 v6, v4, s4, 0.5
	v_or_b32_e32 v5, 0x70000000, v5
	v_add_f32_e32 v6, -0.5, v6
	v_mul_f32_e32 v5, 0x7800000, v5
	v_cmp_gt_u32_e32 vcc, s5, v1
	v_bfe_i32 v4, v4, 0, 16
	v_cndmask_b32_e32 v1, v5, v6, vcc
	s_brev_b32 s4, 1
	v_and_or_b32 v1, v4, s4, v1
.LBB188_582:
	s_mov_b64 s[6:7], 0
	s_mov_b64 s[4:5], -1
.LBB188_583:
	s_andn2_b64 vcc, exec, s[6:7]
	s_cbranch_vccnz .LBB188_596
; %bb.584:
	v_mov_b32_e32 v1, 14
	v_cmp_gt_i16_sdwa s[6:7], v38, v1 src0_sel:BYTE_0 src1_sel:DWORD
	s_and_b64 vcc, exec, s[6:7]
	s_cbranch_vccz .LBB188_587
; %bb.585:
	v_mov_b32_e32 v1, 15
	v_cmp_eq_u16_sdwa s[6:7], v38, v1 src0_sel:BYTE_0 src1_sel:DWORD
	s_and_b64 vcc, exec, s[6:7]
	s_cbranch_vccz .LBB188_590
; %bb.586:
	global_load_ushort v1, v[2:3], off
	s_mov_b64 s[4:5], -1
	s_mov_b64 s[50:51], 0
	s_waitcnt vmcnt(0)
	v_lshlrev_b32_e32 v1, 16, v1
	s_branch .LBB188_591
.LBB188_587:
	s_mov_b64 s[6:7], -1
                                        ; implicit-def: $vgpr1
	s_branch .LBB188_592
.LBB188_588:
	s_or_saveexec_b64 s[6:7], s[6:7]
	v_mov_b32_e32 v1, s10
	s_xor_b64 exec, exec, s[6:7]
	s_cbranch_execz .LBB188_569
.LBB188_589:
	v_cmp_ne_u16_e32 vcc, 0, v4
	s_andn2_b64 s[4:5], s[4:5], exec
	s_and_b64 s[8:9], vcc, exec
	v_mov_b32_e32 v1, 0
	s_or_b64 s[4:5], s[4:5], s[8:9]
	s_or_b64 exec, exec, s[6:7]
	s_and_saveexec_b64 s[6:7], s[4:5]
	s_cbranch_execnz .LBB188_570
	s_branch .LBB188_571
.LBB188_590:
	s_mov_b64 s[50:51], -1
                                        ; implicit-def: $vgpr1
.LBB188_591:
	s_mov_b64 s[6:7], 0
.LBB188_592:
	s_and_b64 vcc, exec, s[6:7]
	s_cbranch_vccz .LBB188_596
; %bb.593:
	v_mov_b32_e32 v1, 11
	v_cmp_eq_u16_sdwa s[6:7], v38, v1 src0_sel:BYTE_0 src1_sel:DWORD
	s_and_b64 vcc, exec, s[6:7]
	s_cbranch_vccz .LBB188_595
; %bb.594:
	global_load_ubyte v1, v[2:3], off
	s_mov_b64 s[4:5], -1
	s_mov_b64 s[50:51], 0
	s_waitcnt vmcnt(0)
	v_cmp_ne_u16_e32 vcc, 0, v1
	v_cndmask_b32_e64 v1, 0, 1.0, vcc
	s_branch .LBB188_596
.LBB188_595:
	s_mov_b64 s[50:51], -1
                                        ; implicit-def: $vgpr1
.LBB188_596:
	s_mov_b64 s[6:7], 0
.LBB188_597:
	s_and_b64 vcc, exec, s[6:7]
	s_cbranch_vccz .LBB188_646
; %bb.598:
	v_mov_b32_e32 v1, 5
	v_cmp_lt_i16_sdwa s[4:5], v38, v1 src0_sel:BYTE_0 src1_sel:DWORD
	s_and_b64 vcc, exec, s[4:5]
	s_cbranch_vccnz .LBB188_603
; %bb.599:
	v_mov_b32_e32 v1, 8
	v_cmp_lt_i16_sdwa s[4:5], v38, v1 src0_sel:BYTE_0 src1_sel:DWORD
	s_and_b64 vcc, exec, s[4:5]
	s_cbranch_vccnz .LBB188_604
	;; [unrolled: 5-line block ×3, first 2 shown]
; %bb.601:
	v_cmp_gt_i16_sdwa s[4:5], v38, v1 src0_sel:BYTE_0 src1_sel:DWORD
	s_and_b64 vcc, exec, s[4:5]
	s_cbranch_vccz .LBB188_606
; %bb.602:
	global_load_dwordx2 v[4:5], v[2:3], off
	s_mov_b64 s[4:5], 0
	s_waitcnt vmcnt(0)
	v_cvt_f32_f64_e32 v1, v[4:5]
	s_branch .LBB188_607
.LBB188_603:
	s_mov_b64 s[4:5], -1
                                        ; implicit-def: $vgpr1
	s_branch .LBB188_625
.LBB188_604:
	s_mov_b64 s[4:5], -1
                                        ; implicit-def: $vgpr1
	s_branch .LBB188_613
.LBB188_605:
	s_mov_b64 s[4:5], -1
                                        ; implicit-def: $vgpr1
	s_branch .LBB188_610
.LBB188_606:
	s_mov_b64 s[4:5], -1
                                        ; implicit-def: $vgpr1
.LBB188_607:
	s_andn2_b64 vcc, exec, s[4:5]
	s_cbranch_vccnz .LBB188_609
; %bb.608:
	global_load_dword v1, v[2:3], off
.LBB188_609:
	s_mov_b64 s[4:5], 0
.LBB188_610:
	s_andn2_b64 vcc, exec, s[4:5]
	s_cbranch_vccnz .LBB188_612
; %bb.611:
	global_load_dword v1, v[2:3], off
	s_waitcnt vmcnt(0)
	v_cvt_f32_f16_e32 v1, v1
.LBB188_612:
	s_mov_b64 s[4:5], 0
.LBB188_613:
	s_andn2_b64 vcc, exec, s[4:5]
	s_cbranch_vccnz .LBB188_624
; %bb.614:
	s_waitcnt vmcnt(0)
	v_mov_b32_e32 v1, 6
	v_cmp_lt_i16_sdwa s[4:5], v38, v1 src0_sel:BYTE_0 src1_sel:DWORD
	s_and_b64 vcc, exec, s[4:5]
	s_cbranch_vccnz .LBB188_617
; %bb.615:
	v_cmp_gt_i16_sdwa s[4:5], v38, v1 src0_sel:BYTE_0 src1_sel:DWORD
	s_and_b64 vcc, exec, s[4:5]
	s_cbranch_vccz .LBB188_618
; %bb.616:
	global_load_dwordx2 v[4:5], v[2:3], off
	s_mov_b64 s[4:5], 0
	s_waitcnt vmcnt(0)
	v_cvt_f32_f64_e32 v1, v[4:5]
	s_branch .LBB188_619
.LBB188_617:
	s_mov_b64 s[4:5], -1
                                        ; implicit-def: $vgpr1
	s_branch .LBB188_622
.LBB188_618:
	s_mov_b64 s[4:5], -1
                                        ; implicit-def: $vgpr1
.LBB188_619:
	s_andn2_b64 vcc, exec, s[4:5]
	s_cbranch_vccnz .LBB188_621
; %bb.620:
	global_load_dword v1, v[2:3], off
.LBB188_621:
	s_mov_b64 s[4:5], 0
.LBB188_622:
	s_andn2_b64 vcc, exec, s[4:5]
	s_cbranch_vccnz .LBB188_624
; %bb.623:
	global_load_ushort v1, v[2:3], off
	s_waitcnt vmcnt(0)
	v_cvt_f32_f16_e32 v1, v1
.LBB188_624:
	s_mov_b64 s[4:5], 0
.LBB188_625:
	s_andn2_b64 vcc, exec, s[4:5]
	s_cbranch_vccnz .LBB188_645
; %bb.626:
	s_waitcnt vmcnt(0)
	v_mov_b32_e32 v1, 2
	v_cmp_lt_i16_sdwa s[4:5], v38, v1 src0_sel:BYTE_0 src1_sel:DWORD
	s_and_b64 vcc, exec, s[4:5]
	s_cbranch_vccnz .LBB188_630
; %bb.627:
	v_mov_b32_e32 v1, 3
	v_cmp_lt_i16_sdwa s[4:5], v38, v1 src0_sel:BYTE_0 src1_sel:DWORD
	s_and_b64 vcc, exec, s[4:5]
	s_cbranch_vccnz .LBB188_631
; %bb.628:
	v_cmp_gt_i16_sdwa s[4:5], v38, v1 src0_sel:BYTE_0 src1_sel:DWORD
	s_and_b64 vcc, exec, s[4:5]
	s_cbranch_vccz .LBB188_632
; %bb.629:
	global_load_dwordx2 v[4:5], v[2:3], off
	s_mov_b64 s[4:5], 0
	s_waitcnt vmcnt(0)
	v_xor_b32_e32 v6, v4, v5
	v_ffbh_i32_e32 v1, v5
	v_ashrrev_i32_e32 v6, 31, v6
	v_add_u32_e32 v1, -1, v1
	v_add_u32_e32 v6, 32, v6
	v_min_u32_e32 v1, v1, v6
	v_lshlrev_b64 v[4:5], v1, v[4:5]
	v_min_u32_e32 v4, 1, v4
	v_or_b32_e32 v4, v5, v4
	v_cvt_f32_i32_e32 v4, v4
	v_sub_u32_e32 v1, 32, v1
	v_ldexp_f32 v1, v4, v1
	s_branch .LBB188_633
.LBB188_630:
	s_mov_b64 s[4:5], -1
                                        ; implicit-def: $vgpr1
	s_branch .LBB188_639
.LBB188_631:
	s_mov_b64 s[4:5], -1
                                        ; implicit-def: $vgpr1
	s_branch .LBB188_636
.LBB188_632:
	s_mov_b64 s[4:5], -1
                                        ; implicit-def: $vgpr1
.LBB188_633:
	s_andn2_b64 vcc, exec, s[4:5]
	s_cbranch_vccnz .LBB188_635
; %bb.634:
	global_load_dword v1, v[2:3], off
	s_waitcnt vmcnt(0)
	v_cvt_f32_i32_e32 v1, v1
.LBB188_635:
	s_mov_b64 s[4:5], 0
.LBB188_636:
	s_andn2_b64 vcc, exec, s[4:5]
	s_cbranch_vccnz .LBB188_638
; %bb.637:
	global_load_sshort v1, v[2:3], off
	s_waitcnt vmcnt(0)
	v_cvt_f32_i32_e32 v1, v1
.LBB188_638:
	s_mov_b64 s[4:5], 0
.LBB188_639:
	s_andn2_b64 vcc, exec, s[4:5]
	s_cbranch_vccnz .LBB188_645
; %bb.640:
	v_mov_b32_e32 v1, 0
	v_cmp_gt_i16_sdwa s[4:5], v38, v1 src0_sel:BYTE_0 src1_sel:DWORD
	s_and_b64 vcc, exec, s[4:5]
	s_cbranch_vccz .LBB188_642
; %bb.641:
	global_load_sbyte v1, v[2:3], off
	s_mov_b64 s[4:5], 0
	s_waitcnt vmcnt(0)
	v_cvt_f32_i32_e32 v1, v1
	s_branch .LBB188_643
.LBB188_642:
	s_mov_b64 s[4:5], -1
                                        ; implicit-def: $vgpr1
.LBB188_643:
	s_andn2_b64 vcc, exec, s[4:5]
	s_cbranch_vccnz .LBB188_645
; %bb.644:
	global_load_ubyte v1, v[2:3], off
	s_waitcnt vmcnt(0)
	v_cvt_f32_ubyte0_e32 v1, v1
.LBB188_645:
	s_mov_b64 s[4:5], -1
.LBB188_646:
	s_andn2_b64 vcc, exec, s[4:5]
	s_cbranch_vccnz .LBB188_654
; %bb.647:
	s_getpc_b64 s[4:5]
	s_add_u32 s4, s4, _ZZZZN2at6native33launch_standard_gamma_grad_kernelERNS_18TensorIteratorBaseEENKUlvE_clEvENKUlvE0_clEvENKUlffE_clEff@rel32@lo+4
	s_addc_u32 s5, s5, _ZZZZN2at6native33launch_standard_gamma_grad_kernelERNS_18TensorIteratorBaseEENKUlvE_clEvENKUlvE0_clEvENKUlffE_clEff@rel32@hi+12
	s_swappc_b64 s[30:31], s[4:5]
	v_mul_lo_u32 v1, v37, s36
	v_ashrrev_i32_e32 v3, 31, v1
	v_mov_b32_e32 v4, s25
	v_add_co_u32_e32 v2, vcc, s24, v1
	v_mov_b32_e32 v1, 11
	v_addc_co_u32_e32 v3, vcc, v4, v3, vcc
	v_cmp_lt_i16_sdwa s[4:5], v36, v1 src0_sel:BYTE_0 src1_sel:DWORD
	s_and_b64 vcc, exec, s[4:5]
	s_cbranch_vccnz .LBB188_655
; %bb.648:
	v_mov_b32_e32 v1, 25
	v_cmp_gt_i16_sdwa s[4:5], v36, v1 src0_sel:BYTE_0 src1_sel:DWORD
	s_and_b64 vcc, exec, s[4:5]
	s_cbranch_vccz .LBB188_656
; %bb.649:
	v_mov_b32_e32 v1, 28
	v_cmp_gt_i16_sdwa s[4:5], v36, v1 src0_sel:BYTE_0 src1_sel:DWORD
	s_and_b64 vcc, exec, s[4:5]
	s_cbranch_vccz .LBB188_657
	;; [unrolled: 5-line block ×4, first 2 shown]
; %bb.652:
	v_mov_b32_e32 v1, 46
	v_cmp_eq_u16_sdwa s[6:7], v36, v1 src0_sel:BYTE_0 src1_sel:DWORD
	s_mov_b64 s[8:9], 0
	s_mov_b64 s[4:5], -1
	s_and_b64 vcc, exec, s[6:7]
	s_mov_b64 s[6:7], 0
	s_cbranch_vccz .LBB188_660
; %bb.653:
	v_bfe_u32 v1, v0, 16, 1
	s_movk_i32 s4, 0x7fff
	v_add3_u32 v1, v0, v1, s4
	v_lshrrev_b32_e32 v1, 16, v1
	v_mov_b32_e32 v4, 0x7fc0
	v_cmp_o_f32_e32 vcc, v0, v0
	v_cndmask_b32_e32 v1, v4, v1, vcc
	global_store_dword v[2:3], v1, off
	s_mov_b64 s[6:7], -1
	s_mov_b64 s[4:5], 0
	s_branch .LBB188_660
.LBB188_654:
	s_mov_b64 s[6:7], 0
                                        ; implicit-def: $vgpr37
	s_mov_b64 s[4:5], s[40:41]
	s_branch .LBB188_770
.LBB188_655:
	s_mov_b64 s[8:9], -1
	s_mov_b64 s[6:7], 0
	s_mov_b64 s[4:5], s[40:41]
	s_branch .LBB188_729
.LBB188_656:
	s_mov_b64 s[8:9], -1
	s_mov_b64 s[6:7], 0
	s_mov_b64 s[4:5], s[40:41]
	s_branch .LBB188_687
.LBB188_657:
	s_mov_b64 s[8:9], -1
	s_mov_b64 s[6:7], 0
	s_mov_b64 s[4:5], s[40:41]
	s_branch .LBB188_670
.LBB188_658:
	s_mov_b64 s[8:9], -1
	s_mov_b64 s[6:7], 0
	s_mov_b64 s[4:5], s[40:41]
	s_branch .LBB188_666
.LBB188_659:
	s_mov_b64 s[8:9], -1
	s_mov_b64 s[6:7], 0
	s_mov_b64 s[4:5], s[40:41]
.LBB188_660:
	s_and_b64 vcc, exec, s[8:9]
	s_cbranch_vccz .LBB188_665
; %bb.661:
	v_mov_b32_e32 v1, 44
	v_cmp_eq_u16_sdwa s[8:9], v36, v1 src0_sel:BYTE_0 src1_sel:DWORD
	s_mov_b64 s[4:5], -1
	s_and_b64 vcc, exec, s[8:9]
	s_cbranch_vccz .LBB188_665
; %bb.662:
	v_bfe_u32 v1, v0, 23, 8
	s_movk_i32 s4, 0xff
	v_cmp_ne_u32_e32 vcc, s4, v1
	v_mov_b32_e32 v4, 0xff
	s_and_saveexec_b64 s[6:7], vcc
; %bb.663:
	s_mov_b32 s4, 0x3fffff
	v_and_b32_e32 v5, 0x400000, v0
	v_and_or_b32 v1, v0, s4, v1
	v_cmp_ne_u32_e32 vcc, 0, v5
	v_cmp_ne_u32_e64 s[4:5], 0, v1
	s_and_b64 s[4:5], vcc, s[4:5]
	v_lshrrev_b32_e32 v4, 23, v0
	v_cndmask_b32_e64 v1, 0, 1, s[4:5]
	v_add_u32_e32 v4, v4, v1
; %bb.664:
	s_or_b64 exec, exec, s[6:7]
	s_mov_b64 s[6:7], -1
	s_mov_b64 s[4:5], 0
	global_store_byte v[2:3], v4, off
.LBB188_665:
	s_mov_b64 s[8:9], 0
.LBB188_666:
	s_and_b64 vcc, exec, s[8:9]
	s_cbranch_vccz .LBB188_669
; %bb.667:
	v_mov_b32_e32 v1, 29
	v_cmp_eq_u16_sdwa s[8:9], v36, v1 src0_sel:BYTE_0 src1_sel:DWORD
	s_mov_b64 s[4:5], -1
	s_and_b64 vcc, exec, s[8:9]
	s_cbranch_vccz .LBB188_669
; %bb.668:
	v_trunc_f32_e32 v1, v0
	v_mul_f32_e32 v4, 0x2f800000, v1
	v_floor_f32_e32 v4, v4
	v_fmac_f32_e32 v1, 0xcf800000, v4
	v_cvt_u32_f32_e32 v5, v4
	v_cvt_u32_f32_e32 v4, v1
	s_mov_b64 s[6:7], -1
	s_mov_b64 s[4:5], 0
	s_mov_b64 s[8:9], 0
	global_store_dwordx2 v[2:3], v[4:5], off
	s_branch .LBB188_670
.LBB188_669:
	s_mov_b64 s[8:9], 0
.LBB188_670:
	s_and_b64 vcc, exec, s[8:9]
	s_cbranch_vccz .LBB188_686
; %bb.671:
	v_mov_b32_e32 v1, 27
	v_cmp_lt_i16_sdwa s[8:9], v36, v1 src0_sel:BYTE_0 src1_sel:DWORD
	s_mov_b64 s[6:7], -1
	s_and_b64 vcc, exec, s[8:9]
	s_cbranch_vccnz .LBB188_677
; %bb.672:
	v_cmp_gt_i16_sdwa s[8:9], v36, v1 src0_sel:BYTE_0 src1_sel:DWORD
	v_cvt_u32_f32_e32 v1, v0
	s_and_b64 vcc, exec, s[8:9]
	s_cbranch_vccz .LBB188_674
; %bb.673:
	s_mov_b64 s[6:7], 0
	global_store_dword v[2:3], v1, off
.LBB188_674:
	s_andn2_b64 vcc, exec, s[6:7]
	s_cbranch_vccnz .LBB188_676
; %bb.675:
	global_store_short v[2:3], v1, off
.LBB188_676:
	s_mov_b64 s[6:7], 0
.LBB188_677:
	s_andn2_b64 vcc, exec, s[6:7]
	s_cbranch_vccnz .LBB188_685
; %bb.678:
	v_and_b32_e32 v1, 0x7fffffff, v0
	s_mov_b32 s6, 0x43800000
	v_cmp_gt_u32_e32 vcc, s6, v1
	v_mov_b32_e32 v4, 0x80
	s_and_saveexec_b64 s[6:7], vcc
	s_cbranch_execz .LBB188_684
; %bb.679:
	s_mov_b32 s8, 0x3bffffff
	v_cmp_lt_u32_e32 vcc, s8, v1
	s_mov_b64 s[8:9], 0
                                        ; implicit-def: $vgpr1
	s_and_saveexec_b64 s[10:11], vcc
	s_xor_b64 s[10:11], exec, s[10:11]
	s_cbranch_execz .LBB188_786
; %bb.680:
	v_bfe_u32 v1, v0, 20, 1
	s_mov_b32 s12, 0x487ffff
	v_add3_u32 v1, v0, v1, s12
	s_mov_b64 s[8:9], exec
	v_lshrrev_b32_e32 v1, 20, v1
	s_or_saveexec_b64 s[10:11], s[10:11]
                                        ; implicit-def: $sgpr12
	s_xor_b64 exec, exec, s[10:11]
	s_cbranch_execnz .LBB188_787
.LBB188_681:
	s_or_b64 exec, exec, s[10:11]
	v_mov_b32_e32 v4, s12
	s_and_saveexec_b64 s[10:11], s[8:9]
.LBB188_682:
	v_lshrrev_b32_e32 v4, 24, v0
	s_movk_i32 s8, 0x80
	v_and_or_b32 v4, v4, s8, v1
.LBB188_683:
	s_or_b64 exec, exec, s[10:11]
.LBB188_684:
	s_or_b64 exec, exec, s[6:7]
	global_store_byte v[2:3], v4, off
.LBB188_685:
	s_mov_b64 s[6:7], -1
.LBB188_686:
	s_mov_b64 s[8:9], 0
.LBB188_687:
	s_and_b64 vcc, exec, s[8:9]
	s_cbranch_vccz .LBB188_728
; %bb.688:
	v_mov_b32_e32 v1, 22
	v_cmp_gt_i16_sdwa s[10:11], v36, v1 src0_sel:BYTE_0 src1_sel:DWORD
	s_mov_b64 s[8:9], -1
	s_and_b64 vcc, exec, s[10:11]
	s_cbranch_vccz .LBB188_720
; %bb.689:
	v_mov_b32_e32 v1, 24
	v_cmp_lt_i16_sdwa s[8:9], v36, v1 src0_sel:BYTE_0 src1_sel:DWORD
	s_mov_b64 s[6:7], -1
	s_and_b64 vcc, exec, s[8:9]
	s_cbranch_vccnz .LBB188_709
; %bb.690:
	v_cmp_gt_i16_sdwa s[8:9], v36, v1 src0_sel:BYTE_0 src1_sel:DWORD
	s_and_b64 vcc, exec, s[8:9]
	s_cbranch_vccz .LBB188_698
; %bb.691:
	v_and_b32_e32 v1, 0x7fffffff, v0
	s_mov_b32 s6, 0x47800000
	v_cmp_gt_u32_e32 vcc, s6, v1
	v_mov_b32_e32 v4, 0x80
	s_and_saveexec_b64 s[6:7], vcc
	s_cbranch_execz .LBB188_697
; %bb.692:
	s_mov_b32 s8, 0x37ffffff
	v_cmp_lt_u32_e32 vcc, s8, v1
	s_mov_b64 s[8:9], 0
                                        ; implicit-def: $vgpr1
	s_and_saveexec_b64 s[10:11], vcc
	s_xor_b64 s[10:11], exec, s[10:11]
	s_cbranch_execz .LBB188_918
; %bb.693:
	v_bfe_u32 v1, v0, 21, 1
	s_mov_b32 s12, 0x88fffff
	v_add3_u32 v1, v0, v1, s12
	s_mov_b64 s[8:9], exec
	v_lshrrev_b32_e32 v1, 21, v1
	s_or_saveexec_b64 s[10:11], s[10:11]
                                        ; implicit-def: $sgpr12
	s_xor_b64 exec, exec, s[10:11]
	s_cbranch_execnz .LBB188_919
.LBB188_694:
	s_or_b64 exec, exec, s[10:11]
	v_mov_b32_e32 v4, s12
	s_and_saveexec_b64 s[10:11], s[8:9]
.LBB188_695:
	v_lshrrev_b32_e32 v4, 24, v0
	s_movk_i32 s8, 0x80
	v_and_or_b32 v4, v4, s8, v1
.LBB188_696:
	s_or_b64 exec, exec, s[10:11]
.LBB188_697:
	s_or_b64 exec, exec, s[6:7]
	s_mov_b64 s[6:7], 0
	global_store_byte v[2:3], v4, off
.LBB188_698:
	s_and_b64 vcc, exec, s[6:7]
	s_cbranch_vccz .LBB188_708
; %bb.699:
	v_and_b32_e32 v4, 0x7fffffff, v0
	s_mov_b32 s6, 0x43f00000
	v_cmp_gt_u32_e32 vcc, s6, v4
                                        ; implicit-def: $vgpr1
	s_and_saveexec_b64 s[6:7], vcc
	s_xor_b64 s[6:7], exec, s[6:7]
	s_cbranch_execz .LBB188_705
; %bb.700:
	s_mov_b32 s8, 0x3c7fffff
	v_cmp_lt_u32_e32 vcc, s8, v4
                                        ; implicit-def: $vgpr1
	s_and_saveexec_b64 s[8:9], vcc
	s_xor_b64 s[8:9], exec, s[8:9]
; %bb.701:
	v_bfe_u32 v1, v0, 20, 1
	s_mov_b32 s10, 0x407ffff
	v_add3_u32 v1, v0, v1, s10
	v_lshrrev_b32_e32 v4, 20, v1
	v_and_b32_e32 v1, 0xff00000, v1
	s_mov_b32 s10, 0x7f00000
	v_mov_b32_e32 v5, 0x7e
	v_cmp_ne_u32_e32 vcc, s10, v1
	v_cndmask_b32_e32 v1, v5, v4, vcc
; %bb.702:
	s_andn2_saveexec_b64 s[8:9], s[8:9]
; %bb.703:
	s_mov_b32 s10, 0x46800000
	v_add_f32_e64 v1, |v0|, s10
; %bb.704:
	s_or_b64 exec, exec, s[8:9]
                                        ; implicit-def: $vgpr4
.LBB188_705:
	s_andn2_saveexec_b64 s[6:7], s[6:7]
; %bb.706:
	s_mov_b32 s8, 0x7f800000
	v_mov_b32_e32 v1, 0x7e
	v_mov_b32_e32 v5, 0x7f
	v_cmp_lt_u32_e32 vcc, s8, v4
	v_cndmask_b32_e32 v1, v1, v5, vcc
; %bb.707:
	s_or_b64 exec, exec, s[6:7]
	v_lshrrev_b32_e32 v4, 24, v0
	s_movk_i32 s6, 0x80
	v_and_or_b32 v1, v4, s6, v1
	global_store_byte v[2:3], v1, off
.LBB188_708:
	s_mov_b64 s[6:7], 0
.LBB188_709:
	s_andn2_b64 vcc, exec, s[6:7]
	s_cbranch_vccnz .LBB188_719
; %bb.710:
	v_and_b32_e32 v4, 0x7fffffff, v0
	s_mov_b32 s6, 0x47800000
	v_cmp_gt_u32_e32 vcc, s6, v4
                                        ; implicit-def: $vgpr1
	s_and_saveexec_b64 s[6:7], vcc
	s_xor_b64 s[6:7], exec, s[6:7]
	s_cbranch_execz .LBB188_716
; %bb.711:
	s_mov_b32 s8, 0x387fffff
	v_cmp_lt_u32_e32 vcc, s8, v4
                                        ; implicit-def: $vgpr1
	s_and_saveexec_b64 s[8:9], vcc
	s_xor_b64 s[8:9], exec, s[8:9]
; %bb.712:
	v_bfe_u32 v1, v0, 21, 1
	s_mov_b32 s10, 0x80fffff
	v_add3_u32 v1, v0, v1, s10
	v_lshrrev_b32_e32 v1, 21, v1
; %bb.713:
	s_andn2_saveexec_b64 s[8:9], s[8:9]
; %bb.714:
	s_mov_b32 s10, 0x43000000
	v_add_f32_e64 v1, |v0|, s10
; %bb.715:
	s_or_b64 exec, exec, s[8:9]
                                        ; implicit-def: $vgpr4
.LBB188_716:
	s_andn2_saveexec_b64 s[6:7], s[6:7]
; %bb.717:
	s_mov_b32 s8, 0x7f800000
	v_mov_b32_e32 v1, 0x7c
	v_mov_b32_e32 v5, 0x7f
	v_cmp_lt_u32_e32 vcc, s8, v4
	v_cndmask_b32_e32 v1, v1, v5, vcc
; %bb.718:
	s_or_b64 exec, exec, s[6:7]
	v_lshrrev_b32_e32 v4, 24, v0
	s_movk_i32 s6, 0x80
	v_and_or_b32 v1, v4, s6, v1
	global_store_byte v[2:3], v1, off
.LBB188_719:
	s_mov_b64 s[8:9], 0
	s_mov_b64 s[6:7], -1
.LBB188_720:
	s_andn2_b64 vcc, exec, s[8:9]
	s_cbranch_vccnz .LBB188_728
; %bb.721:
	v_mov_b32_e32 v1, 14
	v_cmp_gt_i16_sdwa s[10:11], v36, v1 src0_sel:BYTE_0 src1_sel:DWORD
	s_mov_b64 s[8:9], -1
	s_and_b64 vcc, exec, s[10:11]
	s_cbranch_vccz .LBB188_725
; %bb.722:
	v_mov_b32_e32 v1, 15
	v_cmp_eq_u16_sdwa s[8:9], v36, v1 src0_sel:BYTE_0 src1_sel:DWORD
	s_mov_b64 s[4:5], -1
	s_and_b64 vcc, exec, s[8:9]
	s_cbranch_vccz .LBB188_724
; %bb.723:
	v_bfe_u32 v1, v0, 16, 1
	s_movk_i32 s4, 0x7fff
	v_add3_u32 v1, v0, v1, s4
	v_lshrrev_b32_e32 v1, 16, v1
	v_mov_b32_e32 v4, 0x7fc0
	v_cmp_o_f32_e32 vcc, v0, v0
	v_cndmask_b32_e32 v1, v4, v1, vcc
	global_store_short v[2:3], v1, off
	s_mov_b64 s[6:7], -1
	s_mov_b64 s[4:5], 0
.LBB188_724:
	s_mov_b64 s[8:9], 0
.LBB188_725:
	s_and_b64 vcc, exec, s[8:9]
	s_cbranch_vccz .LBB188_728
; %bb.726:
	v_mov_b32_e32 v1, 11
	v_cmp_eq_u16_sdwa s[8:9], v36, v1 src0_sel:BYTE_0 src1_sel:DWORD
	s_mov_b64 s[4:5], -1
	s_and_b64 vcc, exec, s[8:9]
	s_cbranch_vccz .LBB188_728
; %bb.727:
	v_cmp_neq_f32_e32 vcc, 0, v0
	v_cndmask_b32_e64 v1, 0, 1, vcc
	s_mov_b64 s[6:7], -1
	s_mov_b64 s[4:5], 0
	global_store_byte v[2:3], v1, off
.LBB188_728:
	s_mov_b64 s[8:9], 0
.LBB188_729:
	s_and_b64 vcc, exec, s[8:9]
	s_cbranch_vccz .LBB188_768
; %bb.730:
	v_mov_b32_e32 v1, 5
	v_cmp_lt_i16_sdwa s[8:9], v36, v1 src0_sel:BYTE_0 src1_sel:DWORD
	s_mov_b64 s[6:7], -1
	s_and_b64 vcc, exec, s[8:9]
	s_cbranch_vccnz .LBB188_751
; %bb.731:
	v_mov_b32_e32 v1, 8
	v_cmp_lt_i16_sdwa s[8:9], v36, v1 src0_sel:BYTE_0 src1_sel:DWORD
	s_and_b64 vcc, exec, s[8:9]
	s_cbranch_vccnz .LBB188_741
; %bb.732:
	v_mov_b32_e32 v1, 9
	v_cmp_lt_i16_sdwa s[8:9], v36, v1 src0_sel:BYTE_0 src1_sel:DWORD
	s_and_b64 vcc, exec, s[8:9]
	s_cbranch_vccnz .LBB188_738
; %bb.733:
	v_cmp_gt_i16_sdwa s[8:9], v36, v1 src0_sel:BYTE_0 src1_sel:DWORD
	s_and_b64 vcc, exec, s[8:9]
	s_cbranch_vccz .LBB188_735
; %bb.734:
	v_mov_b32_e32 v6, 0
	v_cvt_f64_f32_e32 v[4:5], v0
	v_mov_b32_e32 v7, v6
	s_mov_b64 s[6:7], 0
	global_store_dwordx4 v[2:3], v[4:7], off
.LBB188_735:
	s_andn2_b64 vcc, exec, s[6:7]
	s_cbranch_vccnz .LBB188_737
; %bb.736:
	v_mov_b32_e32 v1, 0
	global_store_dwordx2 v[2:3], v[0:1], off
.LBB188_737:
	s_mov_b64 s[6:7], 0
.LBB188_738:
	s_andn2_b64 vcc, exec, s[6:7]
	s_cbranch_vccnz .LBB188_740
; %bb.739:
	v_cvt_f16_f32_e32 v1, v0
	global_store_dword v[2:3], v1, off
.LBB188_740:
	s_mov_b64 s[6:7], 0
.LBB188_741:
	s_andn2_b64 vcc, exec, s[6:7]
	s_cbranch_vccnz .LBB188_750
; %bb.742:
	v_mov_b32_e32 v1, 6
	v_cmp_lt_i16_sdwa s[8:9], v36, v1 src0_sel:BYTE_0 src1_sel:DWORD
	s_mov_b64 s[6:7], -1
	s_and_b64 vcc, exec, s[8:9]
	s_cbranch_vccnz .LBB188_748
; %bb.743:
	v_cmp_gt_i16_sdwa s[8:9], v36, v1 src0_sel:BYTE_0 src1_sel:DWORD
	s_and_b64 vcc, exec, s[8:9]
	s_cbranch_vccz .LBB188_745
; %bb.744:
	v_cvt_f64_f32_e32 v[4:5], v0
	s_mov_b64 s[6:7], 0
	global_store_dwordx2 v[2:3], v[4:5], off
.LBB188_745:
	s_andn2_b64 vcc, exec, s[6:7]
	s_cbranch_vccnz .LBB188_747
; %bb.746:
	global_store_dword v[2:3], v0, off
.LBB188_747:
	s_mov_b64 s[6:7], 0
.LBB188_748:
	s_andn2_b64 vcc, exec, s[6:7]
	s_cbranch_vccnz .LBB188_750
; %bb.749:
	v_cvt_f16_f32_e32 v1, v0
	global_store_short v[2:3], v1, off
.LBB188_750:
	s_mov_b64 s[6:7], 0
.LBB188_751:
	s_andn2_b64 vcc, exec, s[6:7]
	s_cbranch_vccnz .LBB188_767
; %bb.752:
	v_mov_b32_e32 v1, 2
	v_cmp_lt_i16_sdwa s[8:9], v36, v1 src0_sel:BYTE_0 src1_sel:DWORD
	s_mov_b64 s[6:7], -1
	s_and_b64 vcc, exec, s[8:9]
	s_cbranch_vccnz .LBB188_762
; %bb.753:
	v_mov_b32_e32 v1, 3
	v_cmp_lt_i16_sdwa s[8:9], v36, v1 src0_sel:BYTE_0 src1_sel:DWORD
	s_and_b64 vcc, exec, s[8:9]
	s_cbranch_vccnz .LBB188_759
; %bb.754:
	v_cmp_gt_i16_sdwa s[8:9], v36, v1 src0_sel:BYTE_0 src1_sel:DWORD
	s_and_b64 vcc, exec, s[8:9]
	s_cbranch_vccz .LBB188_756
; %bb.755:
	v_trunc_f32_e32 v1, v0
	s_mov_b32 s6, 0x2f800000
	v_mul_f32_e64 v4, |v1|, s6
	v_floor_f32_e32 v4, v4
	s_mov_b32 s6, 0xcf800000
	v_cvt_u32_f32_e32 v5, v4
	v_fma_f32 v4, v4, s6, |v1|
	v_cvt_u32_f32_e32 v4, v4
	v_ashrrev_i32_e32 v1, 31, v1
	v_xor_b32_e32 v5, v5, v1
	s_mov_b64 s[6:7], 0
	v_xor_b32_e32 v4, v4, v1
	v_sub_co_u32_e32 v4, vcc, v4, v1
	v_subb_co_u32_e32 v5, vcc, v5, v1, vcc
	global_store_dwordx2 v[2:3], v[4:5], off
.LBB188_756:
	s_andn2_b64 vcc, exec, s[6:7]
	s_cbranch_vccnz .LBB188_758
; %bb.757:
	v_cvt_i32_f32_e32 v1, v0
	global_store_dword v[2:3], v1, off
.LBB188_758:
	s_mov_b64 s[6:7], 0
.LBB188_759:
	s_andn2_b64 vcc, exec, s[6:7]
	s_cbranch_vccnz .LBB188_761
; %bb.760:
	v_cvt_i32_f32_e32 v1, v0
	global_store_short v[2:3], v1, off
.LBB188_761:
	s_mov_b64 s[6:7], 0
.LBB188_762:
	s_andn2_b64 vcc, exec, s[6:7]
	s_cbranch_vccnz .LBB188_767
; %bb.763:
	v_mov_b32_e32 v1, 0
	v_cmp_gt_i16_sdwa s[8:9], v36, v1 src0_sel:BYTE_0 src1_sel:DWORD
	s_mov_b64 s[6:7], -1
	s_and_b64 vcc, exec, s[8:9]
	s_cbranch_vccz .LBB188_765
; %bb.764:
	v_cvt_i32_f32_e32 v1, v0
	s_mov_b64 s[6:7], 0
	global_store_byte v[2:3], v1, off
.LBB188_765:
	s_andn2_b64 vcc, exec, s[6:7]
	s_cbranch_vccnz .LBB188_767
; %bb.766:
	v_trunc_f32_e32 v0, v0
	s_mov_b32 s6, 0x2f800000
	v_mul_f32_e64 v1, |v0|, s6
	v_floor_f32_e32 v1, v1
	s_mov_b32 s6, 0xcf800000
	v_fma_f32 v1, v1, s6, |v0|
	v_cvt_u32_f32_e32 v1, v1
	v_ashrrev_i32_e32 v0, 31, v0
	v_xor_b32_e32 v1, v1, v0
	v_sub_u32_e32 v0, v1, v0
	global_store_byte v[2:3], v0, off
.LBB188_767:
	s_mov_b64 s[6:7], -1
.LBB188_768:
	s_andn2_b64 vcc, exec, s[6:7]
	s_cbranch_vccnz .LBB188_781
; %bb.769:
	v_add_u32_e32 v37, 0x80, v37
	s_mov_b64 s[6:7], -1
.LBB188_770:
	s_andn2_b64 s[8:9], s[40:41], exec
	s_and_b64 s[4:5], s[4:5], exec
	s_or_b64 s[52:53], s[8:9], s[4:5]
	s_andn2_b64 s[4:5], s[42:43], exec
	s_and_b64 s[8:9], s[50:51], exec
	s_or_b64 s[50:51], s[4:5], s[8:9]
	;; [unrolled: 3-line block ×3, first 2 shown]
	s_orn2_b64 s[4:5], s[6:7], exec
.LBB188_771:
	s_or_b64 exec, exec, s[54:55]
	s_mov_b64 s[10:11], 0
	s_mov_b64 s[8:9], 0
	;; [unrolled: 1-line block ×3, first 2 shown]
                                        ; implicit-def: $vgpr3
                                        ; implicit-def: $vgpr0_vgpr1
                                        ; implicit-def: $vgpr2
	s_and_saveexec_b64 s[54:55], s[4:5]
	s_cbranch_execz .LBB188_1245
; %bb.772:
	v_cmp_gt_i32_e32 vcc, s33, v37
	s_mov_b64 s[18:19], -1
	s_mov_b64 s[4:5], s[48:49]
	s_mov_b64 s[6:7], s[50:51]
	;; [unrolled: 1-line block ×3, first 2 shown]
	s_and_saveexec_b64 s[56:57], vcc
	s_cbranch_execz .LBB188_1160
; %bb.773:
	s_waitcnt vmcnt(0)
	v_mul_lo_u32 v0, v37, s37
	v_ashrrev_i32_e32 v1, 31, v0
	v_mov_b32_e32 v3, s27
	v_add_co_u32_e32 v2, vcc, s26, v0
	v_mov_b32_e32 v0, 11
	v_addc_co_u32_e32 v3, vcc, v3, v1, vcc
	v_cmp_lt_i16_sdwa s[4:5], v35, v0 src0_sel:BYTE_0 src1_sel:DWORD
	s_and_b64 vcc, exec, s[4:5]
	s_cbranch_vccnz .LBB188_780
; %bb.774:
	v_mov_b32_e32 v0, 25
	v_cmp_gt_i16_sdwa s[4:5], v35, v0 src0_sel:BYTE_0 src1_sel:DWORD
	s_and_b64 vcc, exec, s[4:5]
	s_cbranch_vccz .LBB188_782
; %bb.775:
	v_mov_b32_e32 v0, 28
	v_cmp_gt_i16_sdwa s[4:5], v35, v0 src0_sel:BYTE_0 src1_sel:DWORD
	s_and_b64 vcc, exec, s[4:5]
	s_cbranch_vccz .LBB188_783
	;; [unrolled: 5-line block ×4, first 2 shown]
; %bb.778:
	v_mov_b32_e32 v0, 46
	v_cmp_eq_u16_sdwa s[4:5], v35, v0 src0_sel:BYTE_0 src1_sel:DWORD
	s_mov_b64 s[6:7], 0
	s_and_b64 vcc, exec, s[4:5]
	s_cbranch_vccz .LBB188_788
; %bb.779:
	global_load_dword v0, v[2:3], off
	s_mov_b64 s[4:5], -1
	s_mov_b64 s[58:59], 0
	s_waitcnt vmcnt(0)
	v_lshlrev_b32_e32 v0, 16, v0
	s_branch .LBB188_789
.LBB188_780:
	s_mov_b64 s[6:7], -1
	s_mov_b64 s[4:5], 0
                                        ; implicit-def: $vgpr0
	s_mov_b64 s[58:59], s[48:49]
	s_branch .LBB188_854
.LBB188_781:
	s_mov_b64 s[6:7], 0
	s_branch .LBB188_528
.LBB188_782:
	s_mov_b64 s[6:7], -1
	s_mov_b64 s[4:5], 0
	s_mov_b64 s[58:59], s[48:49]
                                        ; implicit-def: $vgpr0
	s_branch .LBB188_818
.LBB188_783:
	s_mov_b64 s[6:7], -1
	s_mov_b64 s[4:5], 0
	s_mov_b64 s[58:59], s[48:49]
                                        ; implicit-def: $vgpr0
	s_branch .LBB188_799
.LBB188_784:
	s_mov_b64 s[6:7], -1
	s_mov_b64 s[4:5], 0
	s_mov_b64 s[58:59], s[48:49]
                                        ; implicit-def: $vgpr0
	s_branch .LBB188_794
.LBB188_785:
	s_mov_b64 s[6:7], -1
	s_mov_b64 s[4:5], 0
	s_mov_b64 s[58:59], s[48:49]
                                        ; implicit-def: $vgpr0
	s_branch .LBB188_789
.LBB188_786:
	s_or_saveexec_b64 s[10:11], s[10:11]
                                        ; implicit-def: $sgpr12
	s_xor_b64 exec, exec, s[10:11]
	s_cbranch_execz .LBB188_681
.LBB188_787:
	s_mov_b32 s12, 0x46000000
	v_add_f32_e64 v1, |v0|, s12
	v_and_b32_e32 v1, 0xff, v1
	v_cmp_ne_u32_e32 vcc, 0, v1
	s_andn2_b64 s[8:9], s[8:9], exec
	s_and_b64 s[14:15], vcc, exec
	s_mov_b32 s12, 0
	s_or_b64 s[8:9], s[8:9], s[14:15]
	s_or_b64 exec, exec, s[10:11]
	v_mov_b32_e32 v4, s12
	s_and_saveexec_b64 s[10:11], s[8:9]
	s_cbranch_execnz .LBB188_682
	s_branch .LBB188_683
.LBB188_788:
	s_mov_b64 s[58:59], -1
                                        ; implicit-def: $vgpr0
	s_mov_b64 s[4:5], 0
.LBB188_789:
	s_and_b64 vcc, exec, s[6:7]
	s_cbranch_vccz .LBB188_793
; %bb.790:
	v_mov_b32_e32 v0, 44
	v_cmp_eq_u16_sdwa s[6:7], v35, v0 src0_sel:BYTE_0 src1_sel:DWORD
	s_and_b64 vcc, exec, s[6:7]
	s_cbranch_vccz .LBB188_792
; %bb.791:
	global_load_ubyte v0, v[2:3], off
	s_movk_i32 s6, 0xff
	v_mov_b32_e32 v1, 0x7f800001
	v_mov_b32_e32 v4, 0x400000
	s_mov_b64 s[4:5], -1
	s_mov_b64 s[58:59], 0
	s_waitcnt vmcnt(0)
	v_lshlrev_b32_e32 v5, 23, v0
	v_cmp_ne_u32_e32 vcc, s6, v0
	v_cndmask_b32_e32 v1, v1, v5, vcc
	v_cmp_ne_u32_e32 vcc, 0, v0
	v_cndmask_b32_e32 v0, v4, v1, vcc
	s_branch .LBB188_793
.LBB188_792:
	s_mov_b64 s[58:59], -1
                                        ; implicit-def: $vgpr0
.LBB188_793:
	s_mov_b64 s[6:7], 0
.LBB188_794:
	s_and_b64 vcc, exec, s[6:7]
	s_cbranch_vccz .LBB188_798
; %bb.795:
	v_mov_b32_e32 v0, 29
	v_cmp_eq_u16_sdwa s[6:7], v35, v0 src0_sel:BYTE_0 src1_sel:DWORD
	s_and_b64 vcc, exec, s[6:7]
	s_cbranch_vccz .LBB188_797
; %bb.796:
	global_load_dwordx2 v[0:1], v[2:3], off
	s_mov_b64 s[4:5], -1
	s_mov_b64 s[58:59], 0
	s_mov_b64 s[6:7], 0
	s_waitcnt vmcnt(0)
	v_ffbh_u32_e32 v4, v1
	v_min_u32_e32 v4, 32, v4
	v_lshlrev_b64 v[0:1], v4, v[0:1]
	v_min_u32_e32 v0, 1, v0
	v_or_b32_e32 v0, v1, v0
	v_cvt_f32_u32_e32 v0, v0
	v_sub_u32_e32 v1, 32, v4
	v_ldexp_f32 v0, v0, v1
	s_branch .LBB188_799
.LBB188_797:
	s_mov_b64 s[58:59], -1
                                        ; implicit-def: $vgpr0
.LBB188_798:
	s_mov_b64 s[6:7], 0
.LBB188_799:
	s_and_b64 vcc, exec, s[6:7]
	s_cbranch_vccz .LBB188_817
; %bb.800:
	v_mov_b32_e32 v0, 27
	v_cmp_lt_i16_sdwa s[4:5], v35, v0 src0_sel:BYTE_0 src1_sel:DWORD
	s_and_b64 vcc, exec, s[4:5]
	s_cbranch_vccnz .LBB188_803
; %bb.801:
	v_cmp_gt_i16_sdwa s[4:5], v35, v0 src0_sel:BYTE_0 src1_sel:DWORD
	s_and_b64 vcc, exec, s[4:5]
	s_cbranch_vccz .LBB188_804
; %bb.802:
	global_load_dword v0, v[2:3], off
	s_mov_b64 s[4:5], 0
	s_waitcnt vmcnt(0)
	v_cvt_f32_u32_e32 v0, v0
	s_branch .LBB188_805
.LBB188_803:
	s_mov_b64 s[4:5], -1
                                        ; implicit-def: $vgpr0
	s_branch .LBB188_808
.LBB188_804:
	s_mov_b64 s[4:5], -1
                                        ; implicit-def: $vgpr0
.LBB188_805:
	s_andn2_b64 vcc, exec, s[4:5]
	s_cbranch_vccnz .LBB188_807
; %bb.806:
	global_load_ushort v0, v[2:3], off
	s_waitcnt vmcnt(0)
	v_cvt_f32_u32_e32 v0, v0
.LBB188_807:
	s_mov_b64 s[4:5], 0
.LBB188_808:
	s_andn2_b64 vcc, exec, s[4:5]
	s_cbranch_vccnz .LBB188_816
; %bb.809:
	global_load_ubyte v1, v[2:3], off
	s_movk_i32 s4, 0x7f
                                        ; implicit-def: $sgpr10
	s_waitcnt vmcnt(0)
	v_cmp_lt_i16_e32 vcc, s4, v1
	s_mov_b64 s[4:5], 0
	s_and_saveexec_b64 s[6:7], vcc
	s_xor_b64 s[6:7], exec, s[6:7]
	s_cbranch_execz .LBB188_830
; %bb.810:
	s_movk_i32 s4, 0x80
	v_cmp_eq_u16_e32 vcc, s4, v1
	s_mov_b64 s[4:5], -1
                                        ; implicit-def: $sgpr10
	s_and_saveexec_b64 s[8:9], vcc
; %bb.811:
	s_mov_b32 s10, 0x7f800001
	s_xor_b64 s[4:5], exec, -1
; %bb.812:
	s_or_b64 exec, exec, s[8:9]
	s_and_b64 s[4:5], s[4:5], exec
	s_or_saveexec_b64 s[6:7], s[6:7]
	v_mov_b32_e32 v0, s10
	s_xor_b64 exec, exec, s[6:7]
	s_cbranch_execnz .LBB188_831
.LBB188_813:
	s_or_b64 exec, exec, s[6:7]
	s_and_saveexec_b64 s[6:7], s[4:5]
	s_cbranch_execz .LBB188_815
.LBB188_814:
	v_lshlrev_b32_e32 v0, 24, v1
	v_and_b32_e32 v1, 0xffff, v1
	v_and_b32_e32 v4, 7, v1
	v_ffbh_u32_e32 v6, v4
	v_min_u32_e32 v6, 32, v6
	v_subrev_u32_e32 v7, 28, v6
	v_bfe_u32 v5, v1, 3, 4
	v_lshlrev_b32_e32 v1, v7, v1
	v_sub_u32_e32 v6, 29, v6
	v_and_b32_e32 v1, 7, v1
	v_cmp_eq_u32_e32 vcc, 0, v5
	v_cndmask_b32_e32 v5, v5, v6, vcc
	v_cndmask_b32_e32 v1, v4, v1, vcc
	v_mov_b32_e32 v4, 0x3b800000
	v_lshlrev_b32_e32 v1, 20, v1
	v_and_b32_e32 v0, 0x80000000, v0
	v_lshl_add_u32 v4, v5, 23, v4
	v_or3_b32 v0, v0, v4, v1
.LBB188_815:
	s_or_b64 exec, exec, s[6:7]
.LBB188_816:
	s_mov_b64 s[4:5], -1
.LBB188_817:
	s_mov_b64 s[6:7], 0
.LBB188_818:
	s_and_b64 vcc, exec, s[6:7]
	s_cbranch_vccz .LBB188_853
; %bb.819:
	v_mov_b32_e32 v0, 22
	v_cmp_gt_i16_sdwa s[6:7], v35, v0 src0_sel:BYTE_0 src1_sel:DWORD
	s_and_b64 vcc, exec, s[6:7]
	s_cbranch_vccz .LBB188_829
; %bb.820:
	v_mov_b32_e32 v0, 24
	v_cmp_lt_i16_sdwa s[4:5], v35, v0 src0_sel:BYTE_0 src1_sel:DWORD
	s_and_b64 vcc, exec, s[4:5]
	s_cbranch_vccnz .LBB188_832
; %bb.821:
	v_cmp_gt_i16_sdwa s[4:5], v35, v0 src0_sel:BYTE_0 src1_sel:DWORD
	s_and_b64 vcc, exec, s[4:5]
	s_cbranch_vccz .LBB188_833
; %bb.822:
	global_load_ubyte v1, v[2:3], off
	s_movk_i32 s4, 0x7f
                                        ; implicit-def: $sgpr10
	s_waitcnt vmcnt(0)
	v_cmp_lt_i16_e32 vcc, s4, v1
	s_mov_b64 s[4:5], 0
	s_and_saveexec_b64 s[6:7], vcc
	s_xor_b64 s[6:7], exec, s[6:7]
	s_cbranch_execz .LBB188_845
; %bb.823:
	s_movk_i32 s4, 0x80
	v_cmp_eq_u16_e32 vcc, s4, v1
	s_mov_b64 s[4:5], -1
                                        ; implicit-def: $sgpr10
	s_and_saveexec_b64 s[8:9], vcc
; %bb.824:
	s_mov_b32 s10, 0x7f800001
	s_xor_b64 s[4:5], exec, -1
; %bb.825:
	s_or_b64 exec, exec, s[8:9]
	s_and_b64 s[4:5], s[4:5], exec
	s_or_saveexec_b64 s[6:7], s[6:7]
	v_mov_b32_e32 v0, s10
	s_xor_b64 exec, exec, s[6:7]
	s_cbranch_execnz .LBB188_846
.LBB188_826:
	s_or_b64 exec, exec, s[6:7]
	s_and_saveexec_b64 s[6:7], s[4:5]
	s_cbranch_execz .LBB188_828
.LBB188_827:
	v_lshlrev_b32_e32 v0, 24, v1
	v_and_b32_e32 v1, 0xffff, v1
	v_and_b32_e32 v4, 3, v1
	v_ffbh_u32_e32 v6, v4
	v_min_u32_e32 v6, 32, v6
	v_subrev_u32_e32 v7, 29, v6
	v_bfe_u32 v5, v1, 2, 5
	v_lshlrev_b32_e32 v1, v7, v1
	v_sub_u32_e32 v6, 30, v6
	v_and_b32_e32 v1, 3, v1
	v_cmp_eq_u32_e32 vcc, 0, v5
	v_cndmask_b32_e32 v5, v5, v6, vcc
	v_cndmask_b32_e32 v1, v4, v1, vcc
	v_mov_b32_e32 v4, 0x37800000
	v_lshlrev_b32_e32 v1, 21, v1
	v_and_b32_e32 v0, 0x80000000, v0
	v_lshl_add_u32 v4, v5, 23, v4
	v_or3_b32 v0, v0, v4, v1
.LBB188_828:
	s_or_b64 exec, exec, s[6:7]
	s_mov_b64 s[4:5], 0
	s_branch .LBB188_834
.LBB188_829:
	s_mov_b64 s[6:7], -1
                                        ; implicit-def: $vgpr0
	s_branch .LBB188_840
.LBB188_830:
	s_or_saveexec_b64 s[6:7], s[6:7]
	v_mov_b32_e32 v0, s10
	s_xor_b64 exec, exec, s[6:7]
	s_cbranch_execz .LBB188_813
.LBB188_831:
	v_cmp_ne_u16_e32 vcc, 0, v1
	s_andn2_b64 s[4:5], s[4:5], exec
	s_and_b64 s[8:9], vcc, exec
	v_mov_b32_e32 v0, 0
	s_or_b64 s[4:5], s[4:5], s[8:9]
	s_or_b64 exec, exec, s[6:7]
	s_and_saveexec_b64 s[6:7], s[4:5]
	s_cbranch_execnz .LBB188_814
	s_branch .LBB188_815
.LBB188_832:
	s_mov_b64 s[4:5], -1
                                        ; implicit-def: $vgpr0
	s_branch .LBB188_837
.LBB188_833:
	s_mov_b64 s[4:5], -1
                                        ; implicit-def: $vgpr0
.LBB188_834:
	s_and_b64 vcc, exec, s[4:5]
	s_cbranch_vccz .LBB188_836
; %bb.835:
	global_load_ubyte v0, v[2:3], off
	s_mov_b32 s4, 0x7f800000
	s_waitcnt vmcnt(0)
	v_lshlrev_b32_e32 v0, 24, v0
	v_and_b32_e32 v1, 0x7f000000, v0
	v_ffbh_u32_e32 v4, v1
	v_min_u32_e32 v4, 32, v4
	v_sub_u32_e64 v4, v4, 4 clamp
	v_lshlrev_b32_e32 v6, v4, v1
	v_lshlrev_b32_e32 v4, 23, v4
	v_lshrrev_b32_e32 v6, 4, v6
	v_add_u32_e32 v5, 0x1000000, v1
	v_sub_u32_e32 v4, v6, v4
	v_ashrrev_i32_e32 v5, 8, v5
	v_add_u32_e32 v4, 0x3c000000, v4
	v_and_or_b32 v4, v5, s4, v4
	v_cmp_ne_u32_e32 vcc, 0, v1
	v_cndmask_b32_e32 v1, 0, v4, vcc
	s_brev_b32 s4, 1
	v_and_or_b32 v0, v0, s4, v1
.LBB188_836:
	s_mov_b64 s[4:5], 0
.LBB188_837:
	s_andn2_b64 vcc, exec, s[4:5]
	s_cbranch_vccnz .LBB188_839
; %bb.838:
	global_load_ubyte v0, v[2:3], off
	s_movk_i32 s4, 0x7f00
	s_brev_b32 s5, 16
	s_waitcnt vmcnt(0)
	v_lshlrev_b16_e32 v1, 8, v0
	v_lshlrev_b32_e32 v0, 25, v0
	v_lshrrev_b32_e32 v4, 4, v0
	v_and_or_b32 v5, v1, s4, 0.5
	v_or_b32_e32 v4, 0x70000000, v4
	v_add_f32_e32 v5, -0.5, v5
	v_mul_f32_e32 v4, 0x7800000, v4
	v_cmp_gt_u32_e32 vcc, s5, v0
	v_bfe_i32 v1, v1, 0, 16
	v_cndmask_b32_e32 v0, v4, v5, vcc
	s_brev_b32 s4, 1
	v_and_or_b32 v0, v1, s4, v0
.LBB188_839:
	s_mov_b64 s[6:7], 0
	s_mov_b64 s[4:5], -1
.LBB188_840:
	s_andn2_b64 vcc, exec, s[6:7]
	s_cbranch_vccnz .LBB188_853
; %bb.841:
	v_mov_b32_e32 v0, 14
	v_cmp_gt_i16_sdwa s[6:7], v35, v0 src0_sel:BYTE_0 src1_sel:DWORD
	s_and_b64 vcc, exec, s[6:7]
	s_cbranch_vccz .LBB188_844
; %bb.842:
	v_mov_b32_e32 v0, 15
	v_cmp_eq_u16_sdwa s[6:7], v35, v0 src0_sel:BYTE_0 src1_sel:DWORD
	s_and_b64 vcc, exec, s[6:7]
	s_cbranch_vccz .LBB188_847
; %bb.843:
	global_load_ushort v0, v[2:3], off
	s_mov_b64 s[4:5], -1
	s_mov_b64 s[58:59], 0
	s_waitcnt vmcnt(0)
	v_lshlrev_b32_e32 v0, 16, v0
	s_branch .LBB188_848
.LBB188_844:
	s_mov_b64 s[6:7], -1
                                        ; implicit-def: $vgpr0
	s_branch .LBB188_849
.LBB188_845:
	s_or_saveexec_b64 s[6:7], s[6:7]
	v_mov_b32_e32 v0, s10
	s_xor_b64 exec, exec, s[6:7]
	s_cbranch_execz .LBB188_826
.LBB188_846:
	v_cmp_ne_u16_e32 vcc, 0, v1
	s_andn2_b64 s[4:5], s[4:5], exec
	s_and_b64 s[8:9], vcc, exec
	v_mov_b32_e32 v0, 0
	s_or_b64 s[4:5], s[4:5], s[8:9]
	s_or_b64 exec, exec, s[6:7]
	s_and_saveexec_b64 s[6:7], s[4:5]
	s_cbranch_execnz .LBB188_827
	s_branch .LBB188_828
.LBB188_847:
	s_mov_b64 s[58:59], -1
                                        ; implicit-def: $vgpr0
.LBB188_848:
	s_mov_b64 s[6:7], 0
.LBB188_849:
	s_and_b64 vcc, exec, s[6:7]
	s_cbranch_vccz .LBB188_853
; %bb.850:
	v_mov_b32_e32 v0, 11
	v_cmp_eq_u16_sdwa s[6:7], v35, v0 src0_sel:BYTE_0 src1_sel:DWORD
	s_and_b64 vcc, exec, s[6:7]
	s_cbranch_vccz .LBB188_852
; %bb.851:
	global_load_ubyte v0, v[2:3], off
	s_mov_b64 s[4:5], -1
	s_mov_b64 s[58:59], 0
	s_waitcnt vmcnt(0)
	v_cmp_ne_u16_e32 vcc, 0, v0
	v_cndmask_b32_e64 v0, 0, 1.0, vcc
	s_branch .LBB188_853
.LBB188_852:
	s_mov_b64 s[58:59], -1
                                        ; implicit-def: $vgpr0
.LBB188_853:
	s_mov_b64 s[6:7], 0
.LBB188_854:
	s_and_b64 vcc, exec, s[6:7]
	s_cbranch_vccz .LBB188_903
; %bb.855:
	v_mov_b32_e32 v0, 5
	v_cmp_lt_i16_sdwa s[4:5], v35, v0 src0_sel:BYTE_0 src1_sel:DWORD
	s_and_b64 vcc, exec, s[4:5]
	s_cbranch_vccnz .LBB188_860
; %bb.856:
	v_mov_b32_e32 v0, 8
	v_cmp_lt_i16_sdwa s[4:5], v35, v0 src0_sel:BYTE_0 src1_sel:DWORD
	s_and_b64 vcc, exec, s[4:5]
	s_cbranch_vccnz .LBB188_861
	;; [unrolled: 5-line block ×3, first 2 shown]
; %bb.858:
	v_cmp_gt_i16_sdwa s[4:5], v35, v0 src0_sel:BYTE_0 src1_sel:DWORD
	s_and_b64 vcc, exec, s[4:5]
	s_cbranch_vccz .LBB188_863
; %bb.859:
	global_load_dwordx2 v[0:1], v[2:3], off
	s_mov_b64 s[4:5], 0
	s_waitcnt vmcnt(0)
	v_cvt_f32_f64_e32 v0, v[0:1]
	s_branch .LBB188_864
.LBB188_860:
	s_mov_b64 s[4:5], -1
                                        ; implicit-def: $vgpr0
	s_branch .LBB188_882
.LBB188_861:
	s_mov_b64 s[4:5], -1
                                        ; implicit-def: $vgpr0
	s_branch .LBB188_870
.LBB188_862:
	s_mov_b64 s[4:5], -1
                                        ; implicit-def: $vgpr0
	s_branch .LBB188_867
.LBB188_863:
	s_mov_b64 s[4:5], -1
                                        ; implicit-def: $vgpr0
.LBB188_864:
	s_andn2_b64 vcc, exec, s[4:5]
	s_cbranch_vccnz .LBB188_866
; %bb.865:
	global_load_dword v0, v[2:3], off
.LBB188_866:
	s_mov_b64 s[4:5], 0
.LBB188_867:
	s_andn2_b64 vcc, exec, s[4:5]
	s_cbranch_vccnz .LBB188_869
; %bb.868:
	global_load_dword v0, v[2:3], off
	s_waitcnt vmcnt(0)
	v_cvt_f32_f16_e32 v0, v0
.LBB188_869:
	s_mov_b64 s[4:5], 0
.LBB188_870:
	s_andn2_b64 vcc, exec, s[4:5]
	s_cbranch_vccnz .LBB188_881
; %bb.871:
	s_waitcnt vmcnt(0)
	v_mov_b32_e32 v0, 6
	v_cmp_lt_i16_sdwa s[4:5], v35, v0 src0_sel:BYTE_0 src1_sel:DWORD
	s_and_b64 vcc, exec, s[4:5]
	s_cbranch_vccnz .LBB188_874
; %bb.872:
	v_cmp_gt_i16_sdwa s[4:5], v35, v0 src0_sel:BYTE_0 src1_sel:DWORD
	s_and_b64 vcc, exec, s[4:5]
	s_cbranch_vccz .LBB188_875
; %bb.873:
	global_load_dwordx2 v[0:1], v[2:3], off
	s_mov_b64 s[4:5], 0
	s_waitcnt vmcnt(0)
	v_cvt_f32_f64_e32 v0, v[0:1]
	s_branch .LBB188_876
.LBB188_874:
	s_mov_b64 s[4:5], -1
                                        ; implicit-def: $vgpr0
	s_branch .LBB188_879
.LBB188_875:
	s_mov_b64 s[4:5], -1
                                        ; implicit-def: $vgpr0
.LBB188_876:
	s_andn2_b64 vcc, exec, s[4:5]
	s_cbranch_vccnz .LBB188_878
; %bb.877:
	global_load_dword v0, v[2:3], off
.LBB188_878:
	s_mov_b64 s[4:5], 0
.LBB188_879:
	s_andn2_b64 vcc, exec, s[4:5]
	s_cbranch_vccnz .LBB188_881
; %bb.880:
	global_load_ushort v0, v[2:3], off
	s_waitcnt vmcnt(0)
	v_cvt_f32_f16_e32 v0, v0
.LBB188_881:
	s_mov_b64 s[4:5], 0
.LBB188_882:
	s_andn2_b64 vcc, exec, s[4:5]
	s_cbranch_vccnz .LBB188_902
; %bb.883:
	s_waitcnt vmcnt(0)
	v_mov_b32_e32 v0, 2
	v_cmp_lt_i16_sdwa s[4:5], v35, v0 src0_sel:BYTE_0 src1_sel:DWORD
	s_and_b64 vcc, exec, s[4:5]
	s_cbranch_vccnz .LBB188_887
; %bb.884:
	v_mov_b32_e32 v0, 3
	v_cmp_lt_i16_sdwa s[4:5], v35, v0 src0_sel:BYTE_0 src1_sel:DWORD
	s_and_b64 vcc, exec, s[4:5]
	s_cbranch_vccnz .LBB188_888
; %bb.885:
	v_cmp_gt_i16_sdwa s[4:5], v35, v0 src0_sel:BYTE_0 src1_sel:DWORD
	s_and_b64 vcc, exec, s[4:5]
	s_cbranch_vccz .LBB188_889
; %bb.886:
	global_load_dwordx2 v[0:1], v[2:3], off
	s_mov_b64 s[4:5], 0
	s_waitcnt vmcnt(0)
	v_xor_b32_e32 v5, v0, v1
	v_ffbh_i32_e32 v4, v1
	v_ashrrev_i32_e32 v5, 31, v5
	v_add_u32_e32 v4, -1, v4
	v_add_u32_e32 v5, 32, v5
	v_min_u32_e32 v4, v4, v5
	v_lshlrev_b64 v[0:1], v4, v[0:1]
	v_min_u32_e32 v0, 1, v0
	v_or_b32_e32 v0, v1, v0
	v_cvt_f32_i32_e32 v0, v0
	v_sub_u32_e32 v1, 32, v4
	v_ldexp_f32 v0, v0, v1
	s_branch .LBB188_890
.LBB188_887:
	s_mov_b64 s[4:5], -1
                                        ; implicit-def: $vgpr0
	s_branch .LBB188_896
.LBB188_888:
	s_mov_b64 s[4:5], -1
                                        ; implicit-def: $vgpr0
	s_branch .LBB188_893
.LBB188_889:
	s_mov_b64 s[4:5], -1
                                        ; implicit-def: $vgpr0
.LBB188_890:
	s_andn2_b64 vcc, exec, s[4:5]
	s_cbranch_vccnz .LBB188_892
; %bb.891:
	global_load_dword v0, v[2:3], off
	s_waitcnt vmcnt(0)
	v_cvt_f32_i32_e32 v0, v0
.LBB188_892:
	s_mov_b64 s[4:5], 0
.LBB188_893:
	s_andn2_b64 vcc, exec, s[4:5]
	s_cbranch_vccnz .LBB188_895
; %bb.894:
	global_load_sshort v0, v[2:3], off
	s_waitcnt vmcnt(0)
	v_cvt_f32_i32_e32 v0, v0
.LBB188_895:
	s_mov_b64 s[4:5], 0
.LBB188_896:
	s_andn2_b64 vcc, exec, s[4:5]
	s_cbranch_vccnz .LBB188_902
; %bb.897:
	v_mov_b32_e32 v0, 0
	v_cmp_gt_i16_sdwa s[4:5], v35, v0 src0_sel:BYTE_0 src1_sel:DWORD
	s_and_b64 vcc, exec, s[4:5]
	s_cbranch_vccz .LBB188_899
; %bb.898:
	global_load_sbyte v0, v[2:3], off
	s_mov_b64 s[4:5], 0
	s_waitcnt vmcnt(0)
	v_cvt_f32_i32_e32 v0, v0
	s_branch .LBB188_900
.LBB188_899:
	s_mov_b64 s[4:5], -1
                                        ; implicit-def: $vgpr0
.LBB188_900:
	s_andn2_b64 vcc, exec, s[4:5]
	s_cbranch_vccnz .LBB188_902
; %bb.901:
	global_load_ubyte v0, v[2:3], off
	s_waitcnt vmcnt(0)
	v_cvt_f32_ubyte0_e32 v0, v0
.LBB188_902:
	s_mov_b64 s[4:5], -1
.LBB188_903:
	s_andn2_b64 vcc, exec, s[4:5]
	s_cbranch_vccnz .LBB188_911
; %bb.904:
	v_mul_lo_u32 v1, v37, s38
	v_ashrrev_i32_e32 v3, 31, v1
	v_mov_b32_e32 v4, s23
	v_add_co_u32_e32 v2, vcc, s22, v1
	v_mov_b32_e32 v1, 11
	v_addc_co_u32_e32 v3, vcc, v4, v3, vcc
	v_cmp_lt_i16_sdwa s[4:5], v38, v1 src0_sel:BYTE_0 src1_sel:DWORD
	s_and_b64 vcc, exec, s[4:5]
	s_cbranch_vccnz .LBB188_913
; %bb.905:
	v_mov_b32_e32 v1, 25
	v_cmp_gt_i16_sdwa s[4:5], v38, v1 src0_sel:BYTE_0 src1_sel:DWORD
	s_and_b64 vcc, exec, s[4:5]
	s_cbranch_vccz .LBB188_914
; %bb.906:
	v_mov_b32_e32 v1, 28
	v_cmp_gt_i16_sdwa s[4:5], v38, v1 src0_sel:BYTE_0 src1_sel:DWORD
	s_and_b64 vcc, exec, s[4:5]
	s_cbranch_vccz .LBB188_915
	;; [unrolled: 5-line block ×4, first 2 shown]
; %bb.909:
	v_mov_b32_e32 v1, 46
	v_cmp_eq_u16_sdwa s[4:5], v38, v1 src0_sel:BYTE_0 src1_sel:DWORD
	s_mov_b64 s[6:7], 0
	s_and_b64 vcc, exec, s[4:5]
	s_cbranch_vccz .LBB188_920
; %bb.910:
	global_load_dword v1, v[2:3], off
	s_mov_b64 s[4:5], -1
	s_mov_b64 s[60:61], 0
	s_waitcnt vmcnt(0)
	v_lshlrev_b32_e32 v1, 16, v1
	s_branch .LBB188_921
.LBB188_911:
	s_mov_b64 s[10:11], 0
	s_mov_b64 s[4:5], s[52:53]
	s_mov_b64 s[60:61], s[50:51]
.LBB188_912:
                                        ; implicit-def: $vgpr37
	s_branch .LBB188_1159
.LBB188_913:
	s_mov_b64 s[6:7], -1
	s_mov_b64 s[4:5], 0
                                        ; implicit-def: $vgpr1
	s_mov_b64 s[60:61], s[50:51]
	s_branch .LBB188_986
.LBB188_914:
	s_mov_b64 s[6:7], -1
	s_mov_b64 s[4:5], 0
	s_mov_b64 s[60:61], s[50:51]
                                        ; implicit-def: $vgpr1
	s_branch .LBB188_950
.LBB188_915:
	s_mov_b64 s[6:7], -1
	s_mov_b64 s[4:5], 0
	s_mov_b64 s[60:61], s[50:51]
                                        ; implicit-def: $vgpr1
	s_branch .LBB188_931
.LBB188_916:
	s_mov_b64 s[6:7], -1
	s_mov_b64 s[4:5], 0
	s_mov_b64 s[60:61], s[50:51]
                                        ; implicit-def: $vgpr1
	s_branch .LBB188_926
.LBB188_917:
	s_mov_b64 s[6:7], -1
	s_mov_b64 s[4:5], 0
	s_mov_b64 s[60:61], s[50:51]
                                        ; implicit-def: $vgpr1
	s_branch .LBB188_921
.LBB188_918:
	s_or_saveexec_b64 s[10:11], s[10:11]
                                        ; implicit-def: $sgpr12
	s_xor_b64 exec, exec, s[10:11]
	s_cbranch_execz .LBB188_694
.LBB188_919:
	s_mov_b32 s12, 0x42800000
	v_add_f32_e64 v1, |v0|, s12
	v_and_b32_e32 v1, 0xff, v1
	v_cmp_ne_u32_e32 vcc, 0, v1
	s_andn2_b64 s[8:9], s[8:9], exec
	s_and_b64 s[14:15], vcc, exec
	s_mov_b32 s12, 0
	s_or_b64 s[8:9], s[8:9], s[14:15]
	s_or_b64 exec, exec, s[10:11]
	v_mov_b32_e32 v4, s12
	s_and_saveexec_b64 s[10:11], s[8:9]
	s_cbranch_execnz .LBB188_695
	s_branch .LBB188_696
.LBB188_920:
	s_mov_b64 s[60:61], -1
                                        ; implicit-def: $vgpr1
	s_mov_b64 s[4:5], 0
.LBB188_921:
	s_and_b64 vcc, exec, s[6:7]
	s_cbranch_vccz .LBB188_925
; %bb.922:
	v_mov_b32_e32 v1, 44
	v_cmp_eq_u16_sdwa s[6:7], v38, v1 src0_sel:BYTE_0 src1_sel:DWORD
	s_and_b64 vcc, exec, s[6:7]
	s_cbranch_vccz .LBB188_924
; %bb.923:
	global_load_ubyte v1, v[2:3], off
	s_movk_i32 s6, 0xff
	v_mov_b32_e32 v4, 0x7f800001
	v_mov_b32_e32 v5, 0x400000
	s_mov_b64 s[4:5], -1
	s_mov_b64 s[60:61], 0
	s_waitcnt vmcnt(0)
	v_lshlrev_b32_e32 v6, 23, v1
	v_cmp_ne_u32_e32 vcc, s6, v1
	v_cndmask_b32_e32 v4, v4, v6, vcc
	v_cmp_ne_u32_e32 vcc, 0, v1
	v_cndmask_b32_e32 v1, v5, v4, vcc
	s_branch .LBB188_925
.LBB188_924:
	s_mov_b64 s[60:61], -1
                                        ; implicit-def: $vgpr1
.LBB188_925:
	s_mov_b64 s[6:7], 0
.LBB188_926:
	s_and_b64 vcc, exec, s[6:7]
	s_cbranch_vccz .LBB188_930
; %bb.927:
	v_mov_b32_e32 v1, 29
	v_cmp_eq_u16_sdwa s[6:7], v38, v1 src0_sel:BYTE_0 src1_sel:DWORD
	s_and_b64 vcc, exec, s[6:7]
	s_cbranch_vccz .LBB188_929
; %bb.928:
	global_load_dwordx2 v[4:5], v[2:3], off
	s_mov_b64 s[4:5], -1
	s_mov_b64 s[60:61], 0
	s_mov_b64 s[6:7], 0
	s_waitcnt vmcnt(0)
	v_ffbh_u32_e32 v1, v5
	v_min_u32_e32 v1, 32, v1
	v_lshlrev_b64 v[4:5], v1, v[4:5]
	v_min_u32_e32 v4, 1, v4
	v_or_b32_e32 v4, v5, v4
	v_cvt_f32_u32_e32 v4, v4
	v_sub_u32_e32 v1, 32, v1
	v_ldexp_f32 v1, v4, v1
	s_branch .LBB188_931
.LBB188_929:
	s_mov_b64 s[60:61], -1
                                        ; implicit-def: $vgpr1
.LBB188_930:
	s_mov_b64 s[6:7], 0
.LBB188_931:
	s_and_b64 vcc, exec, s[6:7]
	s_cbranch_vccz .LBB188_949
; %bb.932:
	v_mov_b32_e32 v1, 27
	v_cmp_lt_i16_sdwa s[4:5], v38, v1 src0_sel:BYTE_0 src1_sel:DWORD
	s_and_b64 vcc, exec, s[4:5]
	s_cbranch_vccnz .LBB188_935
; %bb.933:
	v_cmp_gt_i16_sdwa s[4:5], v38, v1 src0_sel:BYTE_0 src1_sel:DWORD
	s_and_b64 vcc, exec, s[4:5]
	s_cbranch_vccz .LBB188_936
; %bb.934:
	global_load_dword v1, v[2:3], off
	s_mov_b64 s[4:5], 0
	s_waitcnt vmcnt(0)
	v_cvt_f32_u32_e32 v1, v1
	s_branch .LBB188_937
.LBB188_935:
	s_mov_b64 s[4:5], -1
                                        ; implicit-def: $vgpr1
	s_branch .LBB188_940
.LBB188_936:
	s_mov_b64 s[4:5], -1
                                        ; implicit-def: $vgpr1
.LBB188_937:
	s_andn2_b64 vcc, exec, s[4:5]
	s_cbranch_vccnz .LBB188_939
; %bb.938:
	global_load_ushort v1, v[2:3], off
	s_waitcnt vmcnt(0)
	v_cvt_f32_u32_e32 v1, v1
.LBB188_939:
	s_mov_b64 s[4:5], 0
.LBB188_940:
	s_andn2_b64 vcc, exec, s[4:5]
	s_cbranch_vccnz .LBB188_948
; %bb.941:
	global_load_ubyte v4, v[2:3], off
	s_movk_i32 s4, 0x7f
                                        ; implicit-def: $sgpr10
	s_waitcnt vmcnt(0)
	v_cmp_lt_i16_e32 vcc, s4, v4
	s_mov_b64 s[4:5], 0
	s_and_saveexec_b64 s[6:7], vcc
	s_xor_b64 s[6:7], exec, s[6:7]
	s_cbranch_execz .LBB188_962
; %bb.942:
	s_movk_i32 s4, 0x80
	v_cmp_eq_u16_e32 vcc, s4, v4
	s_mov_b64 s[4:5], -1
                                        ; implicit-def: $sgpr10
	s_and_saveexec_b64 s[8:9], vcc
; %bb.943:
	s_mov_b32 s10, 0x7f800001
	s_xor_b64 s[4:5], exec, -1
; %bb.944:
	s_or_b64 exec, exec, s[8:9]
	s_and_b64 s[4:5], s[4:5], exec
	s_or_saveexec_b64 s[6:7], s[6:7]
	v_mov_b32_e32 v1, s10
	s_xor_b64 exec, exec, s[6:7]
	s_cbranch_execnz .LBB188_963
.LBB188_945:
	s_or_b64 exec, exec, s[6:7]
	s_and_saveexec_b64 s[6:7], s[4:5]
	s_cbranch_execz .LBB188_947
.LBB188_946:
	v_lshlrev_b32_e32 v1, 24, v4
	v_and_b32_e32 v4, 0xffff, v4
	v_and_b32_e32 v5, 7, v4
	v_ffbh_u32_e32 v7, v5
	v_min_u32_e32 v7, 32, v7
	v_subrev_u32_e32 v8, 28, v7
	v_bfe_u32 v6, v4, 3, 4
	v_lshlrev_b32_e32 v4, v8, v4
	v_sub_u32_e32 v7, 29, v7
	v_and_b32_e32 v4, 7, v4
	v_cmp_eq_u32_e32 vcc, 0, v6
	v_cndmask_b32_e32 v6, v6, v7, vcc
	v_cndmask_b32_e32 v4, v5, v4, vcc
	v_mov_b32_e32 v5, 0x3b800000
	v_lshlrev_b32_e32 v4, 20, v4
	v_and_b32_e32 v1, 0x80000000, v1
	v_lshl_add_u32 v5, v6, 23, v5
	v_or3_b32 v1, v1, v5, v4
.LBB188_947:
	s_or_b64 exec, exec, s[6:7]
.LBB188_948:
	s_mov_b64 s[4:5], -1
.LBB188_949:
	s_mov_b64 s[6:7], 0
.LBB188_950:
	s_and_b64 vcc, exec, s[6:7]
	s_cbranch_vccz .LBB188_985
; %bb.951:
	v_mov_b32_e32 v1, 22
	v_cmp_gt_i16_sdwa s[6:7], v38, v1 src0_sel:BYTE_0 src1_sel:DWORD
	s_and_b64 vcc, exec, s[6:7]
	s_cbranch_vccz .LBB188_961
; %bb.952:
	v_mov_b32_e32 v1, 24
	v_cmp_lt_i16_sdwa s[4:5], v38, v1 src0_sel:BYTE_0 src1_sel:DWORD
	s_and_b64 vcc, exec, s[4:5]
	s_cbranch_vccnz .LBB188_964
; %bb.953:
	v_cmp_gt_i16_sdwa s[4:5], v38, v1 src0_sel:BYTE_0 src1_sel:DWORD
	s_and_b64 vcc, exec, s[4:5]
	s_cbranch_vccz .LBB188_965
; %bb.954:
	global_load_ubyte v4, v[2:3], off
	s_movk_i32 s4, 0x7f
                                        ; implicit-def: $sgpr10
	s_waitcnt vmcnt(0)
	v_cmp_lt_i16_e32 vcc, s4, v4
	s_mov_b64 s[4:5], 0
	s_and_saveexec_b64 s[6:7], vcc
	s_xor_b64 s[6:7], exec, s[6:7]
	s_cbranch_execz .LBB188_977
; %bb.955:
	s_movk_i32 s4, 0x80
	v_cmp_eq_u16_e32 vcc, s4, v4
	s_mov_b64 s[4:5], -1
                                        ; implicit-def: $sgpr10
	s_and_saveexec_b64 s[8:9], vcc
; %bb.956:
	s_mov_b32 s10, 0x7f800001
	s_xor_b64 s[4:5], exec, -1
; %bb.957:
	s_or_b64 exec, exec, s[8:9]
	s_and_b64 s[4:5], s[4:5], exec
	s_or_saveexec_b64 s[6:7], s[6:7]
	v_mov_b32_e32 v1, s10
	s_xor_b64 exec, exec, s[6:7]
	s_cbranch_execnz .LBB188_978
.LBB188_958:
	s_or_b64 exec, exec, s[6:7]
	s_and_saveexec_b64 s[6:7], s[4:5]
	s_cbranch_execz .LBB188_960
.LBB188_959:
	v_lshlrev_b32_e32 v1, 24, v4
	v_and_b32_e32 v4, 0xffff, v4
	v_and_b32_e32 v5, 3, v4
	v_ffbh_u32_e32 v7, v5
	v_min_u32_e32 v7, 32, v7
	v_subrev_u32_e32 v8, 29, v7
	v_bfe_u32 v6, v4, 2, 5
	v_lshlrev_b32_e32 v4, v8, v4
	v_sub_u32_e32 v7, 30, v7
	v_and_b32_e32 v4, 3, v4
	v_cmp_eq_u32_e32 vcc, 0, v6
	v_cndmask_b32_e32 v6, v6, v7, vcc
	v_cndmask_b32_e32 v4, v5, v4, vcc
	v_mov_b32_e32 v5, 0x37800000
	v_lshlrev_b32_e32 v4, 21, v4
	v_and_b32_e32 v1, 0x80000000, v1
	v_lshl_add_u32 v5, v6, 23, v5
	v_or3_b32 v1, v1, v5, v4
.LBB188_960:
	s_or_b64 exec, exec, s[6:7]
	s_mov_b64 s[4:5], 0
	s_branch .LBB188_966
.LBB188_961:
	s_mov_b64 s[6:7], -1
                                        ; implicit-def: $vgpr1
	s_branch .LBB188_972
.LBB188_962:
	s_or_saveexec_b64 s[6:7], s[6:7]
	v_mov_b32_e32 v1, s10
	s_xor_b64 exec, exec, s[6:7]
	s_cbranch_execz .LBB188_945
.LBB188_963:
	v_cmp_ne_u16_e32 vcc, 0, v4
	s_andn2_b64 s[4:5], s[4:5], exec
	s_and_b64 s[8:9], vcc, exec
	v_mov_b32_e32 v1, 0
	s_or_b64 s[4:5], s[4:5], s[8:9]
	s_or_b64 exec, exec, s[6:7]
	s_and_saveexec_b64 s[6:7], s[4:5]
	s_cbranch_execnz .LBB188_946
	s_branch .LBB188_947
.LBB188_964:
	s_mov_b64 s[4:5], -1
                                        ; implicit-def: $vgpr1
	s_branch .LBB188_969
.LBB188_965:
	s_mov_b64 s[4:5], -1
                                        ; implicit-def: $vgpr1
.LBB188_966:
	s_and_b64 vcc, exec, s[4:5]
	s_cbranch_vccz .LBB188_968
; %bb.967:
	global_load_ubyte v1, v[2:3], off
	s_mov_b32 s4, 0x7f800000
	s_waitcnt vmcnt(0)
	v_lshlrev_b32_e32 v1, 24, v1
	v_and_b32_e32 v4, 0x7f000000, v1
	v_ffbh_u32_e32 v5, v4
	v_min_u32_e32 v5, 32, v5
	v_sub_u32_e64 v5, v5, 4 clamp
	v_lshlrev_b32_e32 v7, v5, v4
	v_lshlrev_b32_e32 v5, 23, v5
	v_lshrrev_b32_e32 v7, 4, v7
	v_add_u32_e32 v6, 0x1000000, v4
	v_sub_u32_e32 v5, v7, v5
	v_ashrrev_i32_e32 v6, 8, v6
	v_add_u32_e32 v5, 0x3c000000, v5
	v_and_or_b32 v5, v6, s4, v5
	v_cmp_ne_u32_e32 vcc, 0, v4
	v_cndmask_b32_e32 v4, 0, v5, vcc
	s_brev_b32 s4, 1
	v_and_or_b32 v1, v1, s4, v4
.LBB188_968:
	s_mov_b64 s[4:5], 0
.LBB188_969:
	s_andn2_b64 vcc, exec, s[4:5]
	s_cbranch_vccnz .LBB188_971
; %bb.970:
	global_load_ubyte v1, v[2:3], off
	s_movk_i32 s4, 0x7f00
	s_brev_b32 s5, 16
	s_waitcnt vmcnt(0)
	v_lshlrev_b16_e32 v4, 8, v1
	v_lshlrev_b32_e32 v1, 25, v1
	v_lshrrev_b32_e32 v5, 4, v1
	v_and_or_b32 v6, v4, s4, 0.5
	v_or_b32_e32 v5, 0x70000000, v5
	v_add_f32_e32 v6, -0.5, v6
	v_mul_f32_e32 v5, 0x7800000, v5
	v_cmp_gt_u32_e32 vcc, s5, v1
	v_bfe_i32 v4, v4, 0, 16
	v_cndmask_b32_e32 v1, v5, v6, vcc
	s_brev_b32 s4, 1
	v_and_or_b32 v1, v4, s4, v1
.LBB188_971:
	s_mov_b64 s[6:7], 0
	s_mov_b64 s[4:5], -1
.LBB188_972:
	s_andn2_b64 vcc, exec, s[6:7]
	s_cbranch_vccnz .LBB188_985
; %bb.973:
	v_mov_b32_e32 v1, 14
	v_cmp_gt_i16_sdwa s[6:7], v38, v1 src0_sel:BYTE_0 src1_sel:DWORD
	s_and_b64 vcc, exec, s[6:7]
	s_cbranch_vccz .LBB188_976
; %bb.974:
	v_mov_b32_e32 v1, 15
	v_cmp_eq_u16_sdwa s[6:7], v38, v1 src0_sel:BYTE_0 src1_sel:DWORD
	s_and_b64 vcc, exec, s[6:7]
	s_cbranch_vccz .LBB188_979
; %bb.975:
	global_load_ushort v1, v[2:3], off
	s_mov_b64 s[4:5], -1
	s_mov_b64 s[60:61], 0
	s_waitcnt vmcnt(0)
	v_lshlrev_b32_e32 v1, 16, v1
	s_branch .LBB188_980
.LBB188_976:
	s_mov_b64 s[6:7], -1
                                        ; implicit-def: $vgpr1
	s_branch .LBB188_981
.LBB188_977:
	s_or_saveexec_b64 s[6:7], s[6:7]
	v_mov_b32_e32 v1, s10
	s_xor_b64 exec, exec, s[6:7]
	s_cbranch_execz .LBB188_958
.LBB188_978:
	v_cmp_ne_u16_e32 vcc, 0, v4
	s_andn2_b64 s[4:5], s[4:5], exec
	s_and_b64 s[8:9], vcc, exec
	v_mov_b32_e32 v1, 0
	s_or_b64 s[4:5], s[4:5], s[8:9]
	s_or_b64 exec, exec, s[6:7]
	s_and_saveexec_b64 s[6:7], s[4:5]
	s_cbranch_execnz .LBB188_959
	s_branch .LBB188_960
.LBB188_979:
	s_mov_b64 s[60:61], -1
                                        ; implicit-def: $vgpr1
.LBB188_980:
	s_mov_b64 s[6:7], 0
.LBB188_981:
	s_and_b64 vcc, exec, s[6:7]
	s_cbranch_vccz .LBB188_985
; %bb.982:
	v_mov_b32_e32 v1, 11
	v_cmp_eq_u16_sdwa s[6:7], v38, v1 src0_sel:BYTE_0 src1_sel:DWORD
	s_and_b64 vcc, exec, s[6:7]
	s_cbranch_vccz .LBB188_984
; %bb.983:
	global_load_ubyte v1, v[2:3], off
	s_mov_b64 s[4:5], -1
	s_mov_b64 s[60:61], 0
	s_waitcnt vmcnt(0)
	v_cmp_ne_u16_e32 vcc, 0, v1
	v_cndmask_b32_e64 v1, 0, 1.0, vcc
	s_branch .LBB188_985
.LBB188_984:
	s_mov_b64 s[60:61], -1
                                        ; implicit-def: $vgpr1
.LBB188_985:
	s_mov_b64 s[6:7], 0
.LBB188_986:
	s_and_b64 vcc, exec, s[6:7]
	s_cbranch_vccz .LBB188_1035
; %bb.987:
	v_mov_b32_e32 v1, 5
	v_cmp_lt_i16_sdwa s[4:5], v38, v1 src0_sel:BYTE_0 src1_sel:DWORD
	s_and_b64 vcc, exec, s[4:5]
	s_cbranch_vccnz .LBB188_992
; %bb.988:
	v_mov_b32_e32 v1, 8
	v_cmp_lt_i16_sdwa s[4:5], v38, v1 src0_sel:BYTE_0 src1_sel:DWORD
	s_and_b64 vcc, exec, s[4:5]
	s_cbranch_vccnz .LBB188_993
	;; [unrolled: 5-line block ×3, first 2 shown]
; %bb.990:
	v_cmp_gt_i16_sdwa s[4:5], v38, v1 src0_sel:BYTE_0 src1_sel:DWORD
	s_and_b64 vcc, exec, s[4:5]
	s_cbranch_vccz .LBB188_995
; %bb.991:
	global_load_dwordx2 v[4:5], v[2:3], off
	s_mov_b64 s[4:5], 0
	s_waitcnt vmcnt(0)
	v_cvt_f32_f64_e32 v1, v[4:5]
	s_branch .LBB188_996
.LBB188_992:
	s_mov_b64 s[4:5], -1
                                        ; implicit-def: $vgpr1
	s_branch .LBB188_1014
.LBB188_993:
	s_mov_b64 s[4:5], -1
                                        ; implicit-def: $vgpr1
	s_branch .LBB188_1002
.LBB188_994:
	s_mov_b64 s[4:5], -1
                                        ; implicit-def: $vgpr1
	s_branch .LBB188_999
.LBB188_995:
	s_mov_b64 s[4:5], -1
                                        ; implicit-def: $vgpr1
.LBB188_996:
	s_andn2_b64 vcc, exec, s[4:5]
	s_cbranch_vccnz .LBB188_998
; %bb.997:
	global_load_dword v1, v[2:3], off
.LBB188_998:
	s_mov_b64 s[4:5], 0
.LBB188_999:
	s_andn2_b64 vcc, exec, s[4:5]
	s_cbranch_vccnz .LBB188_1001
; %bb.1000:
	global_load_dword v1, v[2:3], off
	s_waitcnt vmcnt(0)
	v_cvt_f32_f16_e32 v1, v1
.LBB188_1001:
	s_mov_b64 s[4:5], 0
.LBB188_1002:
	s_andn2_b64 vcc, exec, s[4:5]
	s_cbranch_vccnz .LBB188_1013
; %bb.1003:
	s_waitcnt vmcnt(0)
	v_mov_b32_e32 v1, 6
	v_cmp_lt_i16_sdwa s[4:5], v38, v1 src0_sel:BYTE_0 src1_sel:DWORD
	s_and_b64 vcc, exec, s[4:5]
	s_cbranch_vccnz .LBB188_1006
; %bb.1004:
	v_cmp_gt_i16_sdwa s[4:5], v38, v1 src0_sel:BYTE_0 src1_sel:DWORD
	s_and_b64 vcc, exec, s[4:5]
	s_cbranch_vccz .LBB188_1007
; %bb.1005:
	global_load_dwordx2 v[4:5], v[2:3], off
	s_mov_b64 s[4:5], 0
	s_waitcnt vmcnt(0)
	v_cvt_f32_f64_e32 v1, v[4:5]
	s_branch .LBB188_1008
.LBB188_1006:
	s_mov_b64 s[4:5], -1
                                        ; implicit-def: $vgpr1
	s_branch .LBB188_1011
.LBB188_1007:
	s_mov_b64 s[4:5], -1
                                        ; implicit-def: $vgpr1
.LBB188_1008:
	s_andn2_b64 vcc, exec, s[4:5]
	s_cbranch_vccnz .LBB188_1010
; %bb.1009:
	global_load_dword v1, v[2:3], off
.LBB188_1010:
	s_mov_b64 s[4:5], 0
.LBB188_1011:
	s_andn2_b64 vcc, exec, s[4:5]
	s_cbranch_vccnz .LBB188_1013
; %bb.1012:
	global_load_ushort v1, v[2:3], off
	s_waitcnt vmcnt(0)
	v_cvt_f32_f16_e32 v1, v1
.LBB188_1013:
	s_mov_b64 s[4:5], 0
.LBB188_1014:
	s_andn2_b64 vcc, exec, s[4:5]
	s_cbranch_vccnz .LBB188_1034
; %bb.1015:
	s_waitcnt vmcnt(0)
	v_mov_b32_e32 v1, 2
	v_cmp_lt_i16_sdwa s[4:5], v38, v1 src0_sel:BYTE_0 src1_sel:DWORD
	s_and_b64 vcc, exec, s[4:5]
	s_cbranch_vccnz .LBB188_1019
; %bb.1016:
	v_mov_b32_e32 v1, 3
	v_cmp_lt_i16_sdwa s[4:5], v38, v1 src0_sel:BYTE_0 src1_sel:DWORD
	s_and_b64 vcc, exec, s[4:5]
	s_cbranch_vccnz .LBB188_1020
; %bb.1017:
	v_cmp_gt_i16_sdwa s[4:5], v38, v1 src0_sel:BYTE_0 src1_sel:DWORD
	s_and_b64 vcc, exec, s[4:5]
	s_cbranch_vccz .LBB188_1021
; %bb.1018:
	global_load_dwordx2 v[4:5], v[2:3], off
	s_mov_b64 s[4:5], 0
	s_waitcnt vmcnt(0)
	v_xor_b32_e32 v6, v4, v5
	v_ffbh_i32_e32 v1, v5
	v_ashrrev_i32_e32 v6, 31, v6
	v_add_u32_e32 v1, -1, v1
	v_add_u32_e32 v6, 32, v6
	v_min_u32_e32 v1, v1, v6
	v_lshlrev_b64 v[4:5], v1, v[4:5]
	v_min_u32_e32 v4, 1, v4
	v_or_b32_e32 v4, v5, v4
	v_cvt_f32_i32_e32 v4, v4
	v_sub_u32_e32 v1, 32, v1
	v_ldexp_f32 v1, v4, v1
	s_branch .LBB188_1022
.LBB188_1019:
	s_mov_b64 s[4:5], -1
                                        ; implicit-def: $vgpr1
	s_branch .LBB188_1028
.LBB188_1020:
	s_mov_b64 s[4:5], -1
                                        ; implicit-def: $vgpr1
	s_branch .LBB188_1025
.LBB188_1021:
	s_mov_b64 s[4:5], -1
                                        ; implicit-def: $vgpr1
.LBB188_1022:
	s_andn2_b64 vcc, exec, s[4:5]
	s_cbranch_vccnz .LBB188_1024
; %bb.1023:
	global_load_dword v1, v[2:3], off
	s_waitcnt vmcnt(0)
	v_cvt_f32_i32_e32 v1, v1
.LBB188_1024:
	s_mov_b64 s[4:5], 0
.LBB188_1025:
	s_andn2_b64 vcc, exec, s[4:5]
	s_cbranch_vccnz .LBB188_1027
; %bb.1026:
	global_load_sshort v1, v[2:3], off
	s_waitcnt vmcnt(0)
	v_cvt_f32_i32_e32 v1, v1
.LBB188_1027:
	s_mov_b64 s[4:5], 0
.LBB188_1028:
	s_andn2_b64 vcc, exec, s[4:5]
	s_cbranch_vccnz .LBB188_1034
; %bb.1029:
	v_mov_b32_e32 v1, 0
	v_cmp_gt_i16_sdwa s[4:5], v38, v1 src0_sel:BYTE_0 src1_sel:DWORD
	s_and_b64 vcc, exec, s[4:5]
	s_cbranch_vccz .LBB188_1031
; %bb.1030:
	global_load_sbyte v1, v[2:3], off
	s_mov_b64 s[4:5], 0
	s_waitcnt vmcnt(0)
	v_cvt_f32_i32_e32 v1, v1
	s_branch .LBB188_1032
.LBB188_1031:
	s_mov_b64 s[4:5], -1
                                        ; implicit-def: $vgpr1
.LBB188_1032:
	s_andn2_b64 vcc, exec, s[4:5]
	s_cbranch_vccnz .LBB188_1034
; %bb.1033:
	global_load_ubyte v1, v[2:3], off
	s_waitcnt vmcnt(0)
	v_cvt_f32_ubyte0_e32 v1, v1
.LBB188_1034:
	s_mov_b64 s[4:5], -1
.LBB188_1035:
	s_andn2_b64 vcc, exec, s[4:5]
	s_cbranch_vccnz .LBB188_1043
; %bb.1036:
	s_getpc_b64 s[4:5]
	s_add_u32 s4, s4, _ZZZZN2at6native33launch_standard_gamma_grad_kernelERNS_18TensorIteratorBaseEENKUlvE_clEvENKUlvE0_clEvENKUlffE_clEff@rel32@lo+4
	s_addc_u32 s5, s5, _ZZZZN2at6native33launch_standard_gamma_grad_kernelERNS_18TensorIteratorBaseEENKUlvE_clEvENKUlvE0_clEvENKUlffE_clEff@rel32@hi+12
	s_swappc_b64 s[30:31], s[4:5]
	v_mul_lo_u32 v1, v37, s36
	v_ashrrev_i32_e32 v3, 31, v1
	v_mov_b32_e32 v4, s25
	v_add_co_u32_e32 v2, vcc, s24, v1
	v_mov_b32_e32 v1, 11
	v_addc_co_u32_e32 v3, vcc, v4, v3, vcc
	v_cmp_lt_i16_sdwa s[4:5], v36, v1 src0_sel:BYTE_0 src1_sel:DWORD
	s_and_b64 vcc, exec, s[4:5]
	s_cbranch_vccnz .LBB188_1044
; %bb.1037:
	v_mov_b32_e32 v1, 25
	v_cmp_gt_i16_sdwa s[4:5], v36, v1 src0_sel:BYTE_0 src1_sel:DWORD
	s_and_b64 vcc, exec, s[4:5]
	s_cbranch_vccz .LBB188_1045
; %bb.1038:
	v_mov_b32_e32 v1, 28
	v_cmp_gt_i16_sdwa s[4:5], v36, v1 src0_sel:BYTE_0 src1_sel:DWORD
	s_and_b64 vcc, exec, s[4:5]
	s_cbranch_vccz .LBB188_1046
	;; [unrolled: 5-line block ×4, first 2 shown]
; %bb.1041:
	v_mov_b32_e32 v1, 46
	v_cmp_eq_u16_sdwa s[6:7], v36, v1 src0_sel:BYTE_0 src1_sel:DWORD
	s_mov_b64 s[8:9], 0
	s_mov_b64 s[4:5], -1
	s_and_b64 vcc, exec, s[6:7]
	s_mov_b64 s[6:7], 0
	s_cbranch_vccz .LBB188_1049
; %bb.1042:
	v_bfe_u32 v1, v0, 16, 1
	s_movk_i32 s4, 0x7fff
	v_add3_u32 v1, v0, v1, s4
	v_lshrrev_b32_e32 v1, 16, v1
	v_mov_b32_e32 v4, 0x7fc0
	v_cmp_o_f32_e32 vcc, v0, v0
	v_cndmask_b32_e32 v1, v4, v1, vcc
	global_store_dword v[2:3], v1, off
	s_mov_b64 s[6:7], -1
	s_mov_b64 s[4:5], 0
	s_branch .LBB188_1049
.LBB188_1043:
	s_mov_b64 s[10:11], 0
                                        ; implicit-def: $vgpr37
	s_mov_b64 s[4:5], s[52:53]
	s_branch .LBB188_1159
.LBB188_1044:
	s_mov_b64 s[8:9], -1
	s_mov_b64 s[6:7], 0
	s_mov_b64 s[4:5], s[52:53]
	s_branch .LBB188_1118
.LBB188_1045:
	s_mov_b64 s[8:9], -1
	s_mov_b64 s[6:7], 0
	s_mov_b64 s[4:5], s[52:53]
	s_branch .LBB188_1076
.LBB188_1046:
	s_mov_b64 s[8:9], -1
	s_mov_b64 s[6:7], 0
	s_mov_b64 s[4:5], s[52:53]
	s_branch .LBB188_1059
.LBB188_1047:
	s_mov_b64 s[8:9], -1
	s_mov_b64 s[6:7], 0
	s_mov_b64 s[4:5], s[52:53]
	s_branch .LBB188_1055
.LBB188_1048:
	s_mov_b64 s[8:9], -1
	s_mov_b64 s[6:7], 0
	s_mov_b64 s[4:5], s[52:53]
.LBB188_1049:
	s_and_b64 vcc, exec, s[8:9]
	s_cbranch_vccz .LBB188_1054
; %bb.1050:
	v_mov_b32_e32 v1, 44
	v_cmp_eq_u16_sdwa s[8:9], v36, v1 src0_sel:BYTE_0 src1_sel:DWORD
	s_mov_b64 s[4:5], -1
	s_and_b64 vcc, exec, s[8:9]
	s_cbranch_vccz .LBB188_1054
; %bb.1051:
	v_bfe_u32 v1, v0, 23, 8
	s_movk_i32 s4, 0xff
	v_cmp_ne_u32_e32 vcc, s4, v1
	v_mov_b32_e32 v4, 0xff
	s_and_saveexec_b64 s[6:7], vcc
; %bb.1052:
	s_mov_b32 s4, 0x3fffff
	v_and_b32_e32 v5, 0x400000, v0
	v_and_or_b32 v1, v0, s4, v1
	v_cmp_ne_u32_e32 vcc, 0, v5
	v_cmp_ne_u32_e64 s[4:5], 0, v1
	s_and_b64 s[4:5], vcc, s[4:5]
	v_lshrrev_b32_e32 v4, 23, v0
	v_cndmask_b32_e64 v1, 0, 1, s[4:5]
	v_add_u32_e32 v4, v4, v1
; %bb.1053:
	s_or_b64 exec, exec, s[6:7]
	s_mov_b64 s[6:7], -1
	s_mov_b64 s[4:5], 0
	global_store_byte v[2:3], v4, off
.LBB188_1054:
	s_mov_b64 s[8:9], 0
.LBB188_1055:
	s_and_b64 vcc, exec, s[8:9]
	s_cbranch_vccz .LBB188_1058
; %bb.1056:
	v_mov_b32_e32 v1, 29
	v_cmp_eq_u16_sdwa s[8:9], v36, v1 src0_sel:BYTE_0 src1_sel:DWORD
	s_mov_b64 s[4:5], -1
	s_and_b64 vcc, exec, s[8:9]
	s_cbranch_vccz .LBB188_1058
; %bb.1057:
	v_trunc_f32_e32 v1, v0
	v_mul_f32_e32 v4, 0x2f800000, v1
	v_floor_f32_e32 v4, v4
	v_fmac_f32_e32 v1, 0xcf800000, v4
	v_cvt_u32_f32_e32 v5, v4
	v_cvt_u32_f32_e32 v4, v1
	s_mov_b64 s[6:7], -1
	s_mov_b64 s[4:5], 0
	s_mov_b64 s[8:9], 0
	global_store_dwordx2 v[2:3], v[4:5], off
	s_branch .LBB188_1059
.LBB188_1058:
	s_mov_b64 s[8:9], 0
.LBB188_1059:
	s_and_b64 vcc, exec, s[8:9]
	s_cbranch_vccz .LBB188_1075
; %bb.1060:
	v_mov_b32_e32 v1, 27
	v_cmp_lt_i16_sdwa s[8:9], v36, v1 src0_sel:BYTE_0 src1_sel:DWORD
	s_mov_b64 s[6:7], -1
	s_and_b64 vcc, exec, s[8:9]
	s_cbranch_vccnz .LBB188_1066
; %bb.1061:
	v_cmp_gt_i16_sdwa s[8:9], v36, v1 src0_sel:BYTE_0 src1_sel:DWORD
	v_cvt_u32_f32_e32 v1, v0
	s_and_b64 vcc, exec, s[8:9]
	s_cbranch_vccz .LBB188_1063
; %bb.1062:
	s_mov_b64 s[6:7], 0
	global_store_dword v[2:3], v1, off
.LBB188_1063:
	s_andn2_b64 vcc, exec, s[6:7]
	s_cbranch_vccnz .LBB188_1065
; %bb.1064:
	global_store_short v[2:3], v1, off
.LBB188_1065:
	s_mov_b64 s[6:7], 0
.LBB188_1066:
	s_andn2_b64 vcc, exec, s[6:7]
	s_cbranch_vccnz .LBB188_1074
; %bb.1067:
	v_and_b32_e32 v1, 0x7fffffff, v0
	s_mov_b32 s6, 0x43800000
	v_cmp_gt_u32_e32 vcc, s6, v1
	v_mov_b32_e32 v4, 0x80
	s_and_saveexec_b64 s[6:7], vcc
	s_cbranch_execz .LBB188_1073
; %bb.1068:
	s_mov_b32 s8, 0x3bffffff
	v_cmp_lt_u32_e32 vcc, s8, v1
	s_mov_b64 s[8:9], 0
                                        ; implicit-def: $vgpr1
	s_and_saveexec_b64 s[10:11], vcc
	s_xor_b64 s[10:11], exec, s[10:11]
	s_cbranch_execz .LBB188_1175
; %bb.1069:
	v_bfe_u32 v1, v0, 20, 1
	s_mov_b32 s12, 0x487ffff
	v_add3_u32 v1, v0, v1, s12
	s_mov_b64 s[8:9], exec
	v_lshrrev_b32_e32 v1, 20, v1
	s_or_saveexec_b64 s[10:11], s[10:11]
                                        ; implicit-def: $sgpr12
	s_xor_b64 exec, exec, s[10:11]
	s_cbranch_execnz .LBB188_1176
.LBB188_1070:
	s_or_b64 exec, exec, s[10:11]
	v_mov_b32_e32 v4, s12
	s_and_saveexec_b64 s[10:11], s[8:9]
.LBB188_1071:
	v_lshrrev_b32_e32 v4, 24, v0
	s_movk_i32 s8, 0x80
	v_and_or_b32 v4, v4, s8, v1
.LBB188_1072:
	s_or_b64 exec, exec, s[10:11]
.LBB188_1073:
	s_or_b64 exec, exec, s[6:7]
	global_store_byte v[2:3], v4, off
.LBB188_1074:
	s_mov_b64 s[6:7], -1
.LBB188_1075:
	s_mov_b64 s[8:9], 0
.LBB188_1076:
	s_and_b64 vcc, exec, s[8:9]
	s_cbranch_vccz .LBB188_1117
; %bb.1077:
	v_mov_b32_e32 v1, 22
	v_cmp_gt_i16_sdwa s[10:11], v36, v1 src0_sel:BYTE_0 src1_sel:DWORD
	s_mov_b64 s[8:9], -1
	s_and_b64 vcc, exec, s[10:11]
	s_cbranch_vccz .LBB188_1109
; %bb.1078:
	v_mov_b32_e32 v1, 24
	v_cmp_lt_i16_sdwa s[8:9], v36, v1 src0_sel:BYTE_0 src1_sel:DWORD
	s_mov_b64 s[6:7], -1
	s_and_b64 vcc, exec, s[8:9]
	s_cbranch_vccnz .LBB188_1098
; %bb.1079:
	v_cmp_gt_i16_sdwa s[8:9], v36, v1 src0_sel:BYTE_0 src1_sel:DWORD
	s_and_b64 vcc, exec, s[8:9]
	s_cbranch_vccz .LBB188_1087
; %bb.1080:
	v_and_b32_e32 v1, 0x7fffffff, v0
	s_mov_b32 s6, 0x47800000
	v_cmp_gt_u32_e32 vcc, s6, v1
	v_mov_b32_e32 v4, 0x80
	s_and_saveexec_b64 s[6:7], vcc
	s_cbranch_execz .LBB188_1086
; %bb.1081:
	s_mov_b32 s8, 0x37ffffff
	v_cmp_lt_u32_e32 vcc, s8, v1
	s_mov_b64 s[8:9], 0
                                        ; implicit-def: $vgpr1
	s_and_saveexec_b64 s[10:11], vcc
	s_xor_b64 s[10:11], exec, s[10:11]
	s_cbranch_execz .LBB188_2198
; %bb.1082:
	v_bfe_u32 v1, v0, 21, 1
	s_mov_b32 s12, 0x88fffff
	v_add3_u32 v1, v0, v1, s12
	s_mov_b64 s[8:9], exec
	v_lshrrev_b32_e32 v1, 21, v1
	s_or_saveexec_b64 s[10:11], s[10:11]
                                        ; implicit-def: $sgpr12
	s_xor_b64 exec, exec, s[10:11]
	s_cbranch_execnz .LBB188_2199
.LBB188_1083:
	s_or_b64 exec, exec, s[10:11]
	v_mov_b32_e32 v4, s12
	s_and_saveexec_b64 s[10:11], s[8:9]
.LBB188_1084:
	v_lshrrev_b32_e32 v4, 24, v0
	s_movk_i32 s8, 0x80
	v_and_or_b32 v4, v4, s8, v1
.LBB188_1085:
	s_or_b64 exec, exec, s[10:11]
.LBB188_1086:
	s_or_b64 exec, exec, s[6:7]
	s_mov_b64 s[6:7], 0
	global_store_byte v[2:3], v4, off
.LBB188_1087:
	s_and_b64 vcc, exec, s[6:7]
	s_cbranch_vccz .LBB188_1097
; %bb.1088:
	v_and_b32_e32 v4, 0x7fffffff, v0
	s_mov_b32 s6, 0x43f00000
	v_cmp_gt_u32_e32 vcc, s6, v4
                                        ; implicit-def: $vgpr1
	s_and_saveexec_b64 s[6:7], vcc
	s_xor_b64 s[6:7], exec, s[6:7]
	s_cbranch_execz .LBB188_1094
; %bb.1089:
	s_mov_b32 s8, 0x3c7fffff
	v_cmp_lt_u32_e32 vcc, s8, v4
                                        ; implicit-def: $vgpr1
	s_and_saveexec_b64 s[8:9], vcc
	s_xor_b64 s[8:9], exec, s[8:9]
; %bb.1090:
	v_bfe_u32 v1, v0, 20, 1
	s_mov_b32 s10, 0x407ffff
	v_add3_u32 v1, v0, v1, s10
	v_lshrrev_b32_e32 v4, 20, v1
	v_and_b32_e32 v1, 0xff00000, v1
	s_mov_b32 s10, 0x7f00000
	v_mov_b32_e32 v5, 0x7e
	v_cmp_ne_u32_e32 vcc, s10, v1
	v_cndmask_b32_e32 v1, v5, v4, vcc
; %bb.1091:
	s_andn2_saveexec_b64 s[8:9], s[8:9]
; %bb.1092:
	s_mov_b32 s10, 0x46800000
	v_add_f32_e64 v1, |v0|, s10
; %bb.1093:
	s_or_b64 exec, exec, s[8:9]
                                        ; implicit-def: $vgpr4
.LBB188_1094:
	s_andn2_saveexec_b64 s[6:7], s[6:7]
; %bb.1095:
	s_mov_b32 s8, 0x7f800000
	v_mov_b32_e32 v1, 0x7e
	v_mov_b32_e32 v5, 0x7f
	v_cmp_lt_u32_e32 vcc, s8, v4
	v_cndmask_b32_e32 v1, v1, v5, vcc
; %bb.1096:
	s_or_b64 exec, exec, s[6:7]
	v_lshrrev_b32_e32 v4, 24, v0
	s_movk_i32 s6, 0x80
	v_and_or_b32 v1, v4, s6, v1
	global_store_byte v[2:3], v1, off
.LBB188_1097:
	s_mov_b64 s[6:7], 0
.LBB188_1098:
	s_andn2_b64 vcc, exec, s[6:7]
	s_cbranch_vccnz .LBB188_1108
; %bb.1099:
	v_and_b32_e32 v4, 0x7fffffff, v0
	s_mov_b32 s6, 0x47800000
	v_cmp_gt_u32_e32 vcc, s6, v4
                                        ; implicit-def: $vgpr1
	s_and_saveexec_b64 s[6:7], vcc
	s_xor_b64 s[6:7], exec, s[6:7]
	s_cbranch_execz .LBB188_1105
; %bb.1100:
	s_mov_b32 s8, 0x387fffff
	v_cmp_lt_u32_e32 vcc, s8, v4
                                        ; implicit-def: $vgpr1
	s_and_saveexec_b64 s[8:9], vcc
	s_xor_b64 s[8:9], exec, s[8:9]
; %bb.1101:
	v_bfe_u32 v1, v0, 21, 1
	s_mov_b32 s10, 0x80fffff
	v_add3_u32 v1, v0, v1, s10
	v_lshrrev_b32_e32 v1, 21, v1
; %bb.1102:
	s_andn2_saveexec_b64 s[8:9], s[8:9]
; %bb.1103:
	s_mov_b32 s10, 0x43000000
	v_add_f32_e64 v1, |v0|, s10
; %bb.1104:
	s_or_b64 exec, exec, s[8:9]
                                        ; implicit-def: $vgpr4
.LBB188_1105:
	s_andn2_saveexec_b64 s[6:7], s[6:7]
; %bb.1106:
	s_mov_b32 s8, 0x7f800000
	v_mov_b32_e32 v1, 0x7c
	v_mov_b32_e32 v5, 0x7f
	v_cmp_lt_u32_e32 vcc, s8, v4
	v_cndmask_b32_e32 v1, v1, v5, vcc
; %bb.1107:
	s_or_b64 exec, exec, s[6:7]
	v_lshrrev_b32_e32 v4, 24, v0
	s_movk_i32 s6, 0x80
	v_and_or_b32 v1, v4, s6, v1
	global_store_byte v[2:3], v1, off
.LBB188_1108:
	s_mov_b64 s[8:9], 0
	s_mov_b64 s[6:7], -1
.LBB188_1109:
	s_andn2_b64 vcc, exec, s[8:9]
	s_cbranch_vccnz .LBB188_1117
; %bb.1110:
	v_mov_b32_e32 v1, 14
	v_cmp_gt_i16_sdwa s[10:11], v36, v1 src0_sel:BYTE_0 src1_sel:DWORD
	s_mov_b64 s[8:9], -1
	s_and_b64 vcc, exec, s[10:11]
	s_cbranch_vccz .LBB188_1114
; %bb.1111:
	v_mov_b32_e32 v1, 15
	v_cmp_eq_u16_sdwa s[8:9], v36, v1 src0_sel:BYTE_0 src1_sel:DWORD
	s_mov_b64 s[4:5], -1
	s_and_b64 vcc, exec, s[8:9]
	s_cbranch_vccz .LBB188_1113
; %bb.1112:
	v_bfe_u32 v1, v0, 16, 1
	s_movk_i32 s4, 0x7fff
	v_add3_u32 v1, v0, v1, s4
	v_lshrrev_b32_e32 v1, 16, v1
	v_mov_b32_e32 v4, 0x7fc0
	v_cmp_o_f32_e32 vcc, v0, v0
	v_cndmask_b32_e32 v1, v4, v1, vcc
	global_store_short v[2:3], v1, off
	s_mov_b64 s[6:7], -1
	s_mov_b64 s[4:5], 0
.LBB188_1113:
	s_mov_b64 s[8:9], 0
.LBB188_1114:
	s_and_b64 vcc, exec, s[8:9]
	s_cbranch_vccz .LBB188_1117
; %bb.1115:
	v_mov_b32_e32 v1, 11
	v_cmp_eq_u16_sdwa s[8:9], v36, v1 src0_sel:BYTE_0 src1_sel:DWORD
	s_mov_b64 s[4:5], -1
	s_and_b64 vcc, exec, s[8:9]
	s_cbranch_vccz .LBB188_1117
; %bb.1116:
	v_cmp_neq_f32_e32 vcc, 0, v0
	v_cndmask_b32_e64 v1, 0, 1, vcc
	s_mov_b64 s[6:7], -1
	s_mov_b64 s[4:5], 0
	global_store_byte v[2:3], v1, off
.LBB188_1117:
	s_mov_b64 s[8:9], 0
.LBB188_1118:
	s_and_b64 vcc, exec, s[8:9]
	s_cbranch_vccz .LBB188_1157
; %bb.1119:
	v_mov_b32_e32 v1, 5
	v_cmp_lt_i16_sdwa s[8:9], v36, v1 src0_sel:BYTE_0 src1_sel:DWORD
	s_mov_b64 s[6:7], -1
	s_and_b64 vcc, exec, s[8:9]
	s_cbranch_vccnz .LBB188_1140
; %bb.1120:
	v_mov_b32_e32 v1, 8
	v_cmp_lt_i16_sdwa s[8:9], v36, v1 src0_sel:BYTE_0 src1_sel:DWORD
	s_and_b64 vcc, exec, s[8:9]
	s_cbranch_vccnz .LBB188_1130
; %bb.1121:
	v_mov_b32_e32 v1, 9
	v_cmp_lt_i16_sdwa s[8:9], v36, v1 src0_sel:BYTE_0 src1_sel:DWORD
	s_and_b64 vcc, exec, s[8:9]
	s_cbranch_vccnz .LBB188_1127
; %bb.1122:
	v_cmp_gt_i16_sdwa s[8:9], v36, v1 src0_sel:BYTE_0 src1_sel:DWORD
	s_and_b64 vcc, exec, s[8:9]
	s_cbranch_vccz .LBB188_1124
; %bb.1123:
	v_mov_b32_e32 v6, 0
	v_cvt_f64_f32_e32 v[4:5], v0
	v_mov_b32_e32 v7, v6
	s_mov_b64 s[6:7], 0
	global_store_dwordx4 v[2:3], v[4:7], off
.LBB188_1124:
	s_andn2_b64 vcc, exec, s[6:7]
	s_cbranch_vccnz .LBB188_1126
; %bb.1125:
	v_mov_b32_e32 v1, 0
	global_store_dwordx2 v[2:3], v[0:1], off
.LBB188_1126:
	s_mov_b64 s[6:7], 0
.LBB188_1127:
	s_andn2_b64 vcc, exec, s[6:7]
	s_cbranch_vccnz .LBB188_1129
; %bb.1128:
	v_cvt_f16_f32_e32 v1, v0
	global_store_dword v[2:3], v1, off
.LBB188_1129:
	s_mov_b64 s[6:7], 0
.LBB188_1130:
	s_andn2_b64 vcc, exec, s[6:7]
	s_cbranch_vccnz .LBB188_1139
; %bb.1131:
	v_mov_b32_e32 v1, 6
	v_cmp_lt_i16_sdwa s[8:9], v36, v1 src0_sel:BYTE_0 src1_sel:DWORD
	s_mov_b64 s[6:7], -1
	s_and_b64 vcc, exec, s[8:9]
	s_cbranch_vccnz .LBB188_1137
; %bb.1132:
	v_cmp_gt_i16_sdwa s[8:9], v36, v1 src0_sel:BYTE_0 src1_sel:DWORD
	s_and_b64 vcc, exec, s[8:9]
	s_cbranch_vccz .LBB188_1134
; %bb.1133:
	v_cvt_f64_f32_e32 v[4:5], v0
	s_mov_b64 s[6:7], 0
	global_store_dwordx2 v[2:3], v[4:5], off
.LBB188_1134:
	s_andn2_b64 vcc, exec, s[6:7]
	s_cbranch_vccnz .LBB188_1136
; %bb.1135:
	global_store_dword v[2:3], v0, off
.LBB188_1136:
	s_mov_b64 s[6:7], 0
.LBB188_1137:
	s_andn2_b64 vcc, exec, s[6:7]
	s_cbranch_vccnz .LBB188_1139
; %bb.1138:
	v_cvt_f16_f32_e32 v1, v0
	global_store_short v[2:3], v1, off
.LBB188_1139:
	s_mov_b64 s[6:7], 0
.LBB188_1140:
	s_andn2_b64 vcc, exec, s[6:7]
	s_cbranch_vccnz .LBB188_1156
; %bb.1141:
	v_mov_b32_e32 v1, 2
	v_cmp_lt_i16_sdwa s[8:9], v36, v1 src0_sel:BYTE_0 src1_sel:DWORD
	s_mov_b64 s[6:7], -1
	s_and_b64 vcc, exec, s[8:9]
	s_cbranch_vccnz .LBB188_1151
; %bb.1142:
	v_mov_b32_e32 v1, 3
	v_cmp_lt_i16_sdwa s[8:9], v36, v1 src0_sel:BYTE_0 src1_sel:DWORD
	s_and_b64 vcc, exec, s[8:9]
	s_cbranch_vccnz .LBB188_1148
; %bb.1143:
	v_cmp_gt_i16_sdwa s[8:9], v36, v1 src0_sel:BYTE_0 src1_sel:DWORD
	s_and_b64 vcc, exec, s[8:9]
	s_cbranch_vccz .LBB188_1145
; %bb.1144:
	v_trunc_f32_e32 v1, v0
	s_mov_b32 s6, 0x2f800000
	v_mul_f32_e64 v4, |v1|, s6
	v_floor_f32_e32 v4, v4
	s_mov_b32 s6, 0xcf800000
	v_cvt_u32_f32_e32 v5, v4
	v_fma_f32 v4, v4, s6, |v1|
	v_cvt_u32_f32_e32 v4, v4
	v_ashrrev_i32_e32 v1, 31, v1
	v_xor_b32_e32 v5, v5, v1
	s_mov_b64 s[6:7], 0
	v_xor_b32_e32 v4, v4, v1
	v_sub_co_u32_e32 v4, vcc, v4, v1
	v_subb_co_u32_e32 v5, vcc, v5, v1, vcc
	global_store_dwordx2 v[2:3], v[4:5], off
.LBB188_1145:
	s_andn2_b64 vcc, exec, s[6:7]
	s_cbranch_vccnz .LBB188_1147
; %bb.1146:
	v_cvt_i32_f32_e32 v1, v0
	global_store_dword v[2:3], v1, off
.LBB188_1147:
	s_mov_b64 s[6:7], 0
.LBB188_1148:
	s_andn2_b64 vcc, exec, s[6:7]
	s_cbranch_vccnz .LBB188_1150
; %bb.1149:
	v_cvt_i32_f32_e32 v1, v0
	global_store_short v[2:3], v1, off
.LBB188_1150:
	s_mov_b64 s[6:7], 0
.LBB188_1151:
	s_andn2_b64 vcc, exec, s[6:7]
	s_cbranch_vccnz .LBB188_1156
; %bb.1152:
	v_mov_b32_e32 v1, 0
	v_cmp_gt_i16_sdwa s[8:9], v36, v1 src0_sel:BYTE_0 src1_sel:DWORD
	s_mov_b64 s[6:7], -1
	s_and_b64 vcc, exec, s[8:9]
	s_cbranch_vccz .LBB188_1154
; %bb.1153:
	v_cvt_i32_f32_e32 v1, v0
	s_mov_b64 s[6:7], 0
	global_store_byte v[2:3], v1, off
.LBB188_1154:
	s_andn2_b64 vcc, exec, s[6:7]
	s_cbranch_vccnz .LBB188_1156
; %bb.1155:
	v_trunc_f32_e32 v0, v0
	s_mov_b32 s6, 0x2f800000
	v_mul_f32_e64 v1, |v0|, s6
	v_floor_f32_e32 v1, v1
	s_mov_b32 s6, 0xcf800000
	v_fma_f32 v1, v1, s6, |v0|
	v_cvt_u32_f32_e32 v1, v1
	v_ashrrev_i32_e32 v0, 31, v0
	v_xor_b32_e32 v1, v1, v0
	v_sub_u32_e32 v0, v1, v0
	global_store_byte v[2:3], v0, off
.LBB188_1156:
	s_mov_b64 s[6:7], -1
.LBB188_1157:
	s_andn2_b64 vcc, exec, s[6:7]
	s_cbranch_vccnz .LBB188_1170
; %bb.1158:
	v_add_u32_e32 v37, 0x80, v37
	s_mov_b64 s[10:11], -1
.LBB188_1159:
	s_andn2_b64 s[6:7], s[52:53], exec
	s_and_b64 s[4:5], s[4:5], exec
	s_or_b64 s[8:9], s[6:7], s[4:5]
	s_andn2_b64 s[4:5], s[50:51], exec
	s_and_b64 s[6:7], s[60:61], exec
	s_or_b64 s[6:7], s[4:5], s[6:7]
	;; [unrolled: 3-line block ×3, first 2 shown]
	s_orn2_b64 s[18:19], s[10:11], exec
.LBB188_1160:
	s_or_b64 exec, exec, s[56:57]
	s_mov_b64 s[12:13], 0
	s_mov_b64 s[14:15], 0
	;; [unrolled: 1-line block ×3, first 2 shown]
                                        ; implicit-def: $vgpr3
                                        ; implicit-def: $vgpr0_vgpr1
                                        ; implicit-def: $vgpr2
	s_and_saveexec_b64 s[10:11], s[18:19]
	s_cbranch_execz .LBB188_1244
; %bb.1161:
	v_cmp_gt_i32_e32 vcc, s33, v37
	s_mov_b64 s[18:19], 0
	s_mov_b64 s[20:21], s[4:5]
	;; [unrolled: 1-line block ×4, first 2 shown]
                                        ; implicit-def: $vgpr3
                                        ; implicit-def: $vgpr0_vgpr1
                                        ; implicit-def: $vgpr2
	s_and_saveexec_b64 s[12:13], vcc
	s_cbranch_execz .LBB188_1243
; %bb.1162:
	s_waitcnt vmcnt(0)
	v_mul_lo_u32 v0, v37, s37
	v_ashrrev_i32_e32 v1, 31, v0
	v_mov_b32_e32 v2, s27
	v_add_co_u32_e32 v0, vcc, s26, v0
	v_addc_co_u32_e32 v1, vcc, v2, v1, vcc
	v_and_b32_e32 v3, 0xff, v35
	v_cmp_gt_i16_e32 vcc, 11, v3
	s_cbranch_vccnz .LBB188_1169
; %bb.1163:
	v_cmp_lt_i16_e32 vcc, 25, v3
	s_cbranch_vccz .LBB188_1171
; %bb.1164:
	v_cmp_lt_i16_e32 vcc, 28, v3
	s_cbranch_vccz .LBB188_1172
	;; [unrolled: 3-line block ×4, first 2 shown]
; %bb.1167:
	v_cmp_eq_u16_e32 vcc, 46, v3
	s_mov_b64 s[20:21], 0
	s_cbranch_vccz .LBB188_1177
; %bb.1168:
	global_load_dword v2, v[0:1], off
	s_mov_b64 s[18:19], -1
	s_waitcnt vmcnt(0)
	v_lshlrev_b32_e32 v2, 16, v2
	s_branch .LBB188_1179
.LBB188_1169:
	s_mov_b64 s[20:21], -1
                                        ; implicit-def: $vgpr2
	s_mov_b64 s[14:15], s[4:5]
	s_branch .LBB188_1242
.LBB188_1170:
	s_mov_b64 s[10:11], 0
	s_branch .LBB188_912
.LBB188_1171:
	s_mov_b64 s[20:21], -1
	s_mov_b64 s[14:15], s[4:5]
                                        ; implicit-def: $vgpr2
	s_branch .LBB188_1208
.LBB188_1172:
	s_mov_b64 s[20:21], -1
	s_mov_b64 s[14:15], s[4:5]
                                        ; implicit-def: $vgpr2
	s_branch .LBB188_1189
.LBB188_1173:
	s_mov_b64 s[20:21], -1
	s_mov_b64 s[14:15], s[4:5]
                                        ; implicit-def: $vgpr2
	s_branch .LBB188_1184
.LBB188_1174:
	s_mov_b64 s[20:21], -1
	s_mov_b64 s[14:15], s[4:5]
	s_branch .LBB188_1178
.LBB188_1175:
	s_or_saveexec_b64 s[10:11], s[10:11]
                                        ; implicit-def: $sgpr12
	s_xor_b64 exec, exec, s[10:11]
	s_cbranch_execz .LBB188_1070
.LBB188_1176:
	s_mov_b32 s12, 0x46000000
	v_add_f32_e64 v1, |v0|, s12
	v_and_b32_e32 v1, 0xff, v1
	v_cmp_ne_u32_e32 vcc, 0, v1
	s_andn2_b64 s[8:9], s[8:9], exec
	s_and_b64 s[14:15], vcc, exec
	s_mov_b32 s12, 0
	s_or_b64 s[8:9], s[8:9], s[14:15]
	s_or_b64 exec, exec, s[10:11]
	v_mov_b32_e32 v4, s12
	s_and_saveexec_b64 s[10:11], s[8:9]
	s_cbranch_execnz .LBB188_1071
	s_branch .LBB188_1072
.LBB188_1177:
	s_mov_b64 s[14:15], -1
.LBB188_1178:
                                        ; implicit-def: $vgpr2
.LBB188_1179:
	s_and_b64 vcc, exec, s[20:21]
	s_cbranch_vccz .LBB188_1183
; %bb.1180:
	v_cmp_eq_u16_e32 vcc, 44, v3
	s_cbranch_vccz .LBB188_1182
; %bb.1181:
	global_load_ubyte v2, v[0:1], off
	s_movk_i32 s18, 0xff
	v_mov_b32_e32 v4, 0x7f800001
	v_mov_b32_e32 v5, 0x400000
	s_mov_b64 s[14:15], 0
	s_waitcnt vmcnt(0)
	v_lshlrev_b32_e32 v6, 23, v2
	v_cmp_ne_u32_e32 vcc, s18, v2
	v_cndmask_b32_e32 v4, v4, v6, vcc
	v_cmp_ne_u32_e32 vcc, 0, v2
	v_cndmask_b32_e32 v2, v5, v4, vcc
	s_mov_b64 s[18:19], -1
	s_branch .LBB188_1183
.LBB188_1182:
	s_mov_b64 s[14:15], -1
                                        ; implicit-def: $vgpr2
.LBB188_1183:
	s_mov_b64 s[20:21], 0
.LBB188_1184:
	s_and_b64 vcc, exec, s[20:21]
	s_cbranch_vccz .LBB188_1188
; %bb.1185:
	v_cmp_eq_u16_e32 vcc, 29, v3
	s_cbranch_vccz .LBB188_1187
; %bb.1186:
	global_load_dwordx2 v[4:5], v[0:1], off
	s_mov_b64 s[14:15], 0
	s_mov_b64 s[18:19], -1
	s_mov_b64 s[20:21], 0
	s_waitcnt vmcnt(0)
	v_ffbh_u32_e32 v2, v5
	v_min_u32_e32 v2, 32, v2
	v_lshlrev_b64 v[4:5], v2, v[4:5]
	v_min_u32_e32 v4, 1, v4
	v_or_b32_e32 v4, v5, v4
	v_cvt_f32_u32_e32 v4, v4
	v_sub_u32_e32 v2, 32, v2
	v_ldexp_f32 v2, v4, v2
	s_branch .LBB188_1189
.LBB188_1187:
	s_mov_b64 s[14:15], -1
                                        ; implicit-def: $vgpr2
.LBB188_1188:
	s_mov_b64 s[20:21], 0
.LBB188_1189:
	s_and_b64 vcc, exec, s[20:21]
	s_cbranch_vccz .LBB188_1207
; %bb.1190:
	v_cmp_gt_i16_e32 vcc, 27, v3
	s_cbranch_vccnz .LBB188_1193
; %bb.1191:
	v_cmp_lt_i16_e32 vcc, 27, v3
	s_cbranch_vccz .LBB188_1194
; %bb.1192:
	global_load_dword v2, v[0:1], off
	s_mov_b64 s[18:19], 0
	s_waitcnt vmcnt(0)
	v_cvt_f32_u32_e32 v2, v2
	s_branch .LBB188_1195
.LBB188_1193:
	s_mov_b64 s[18:19], -1
                                        ; implicit-def: $vgpr2
	s_branch .LBB188_1198
.LBB188_1194:
	s_mov_b64 s[18:19], -1
                                        ; implicit-def: $vgpr2
.LBB188_1195:
	s_andn2_b64 vcc, exec, s[18:19]
	s_cbranch_vccnz .LBB188_1197
; %bb.1196:
	global_load_ushort v2, v[0:1], off
	s_waitcnt vmcnt(0)
	v_cvt_f32_u32_e32 v2, v2
.LBB188_1197:
	s_mov_b64 s[18:19], 0
.LBB188_1198:
	s_andn2_b64 vcc, exec, s[18:19]
	s_cbranch_vccnz .LBB188_1206
; %bb.1199:
	global_load_ubyte v4, v[0:1], off
	s_movk_i32 s18, 0x7f
                                        ; implicit-def: $sgpr33
	s_waitcnt vmcnt(0)
	v_cmp_lt_i16_e32 vcc, s18, v4
	s_mov_b64 s[18:19], 0
	s_and_saveexec_b64 s[20:21], vcc
	s_xor_b64 s[20:21], exec, s[20:21]
	s_cbranch_execz .LBB188_1220
; %bb.1200:
	s_movk_i32 s18, 0x80
	v_cmp_eq_u16_e32 vcc, s18, v4
	s_mov_b64 s[18:19], -1
                                        ; implicit-def: $sgpr33
	s_and_saveexec_b64 s[30:31], vcc
; %bb.1201:
	s_mov_b32 s33, 0x7f800001
	s_xor_b64 s[18:19], exec, -1
; %bb.1202:
	s_or_b64 exec, exec, s[30:31]
	s_and_b64 s[18:19], s[18:19], exec
	s_or_saveexec_b64 s[20:21], s[20:21]
	v_mov_b32_e32 v2, s33
	s_xor_b64 exec, exec, s[20:21]
	s_cbranch_execnz .LBB188_1221
.LBB188_1203:
	s_or_b64 exec, exec, s[20:21]
	s_and_saveexec_b64 s[20:21], s[18:19]
	s_cbranch_execz .LBB188_1205
.LBB188_1204:
	v_lshlrev_b32_e32 v2, 24, v4
	v_and_b32_e32 v4, 0xffff, v4
	v_and_b32_e32 v5, 7, v4
	v_ffbh_u32_e32 v7, v5
	v_min_u32_e32 v7, 32, v7
	v_subrev_u32_e32 v8, 28, v7
	v_bfe_u32 v6, v4, 3, 4
	v_lshlrev_b32_e32 v4, v8, v4
	v_sub_u32_e32 v7, 29, v7
	v_and_b32_e32 v4, 7, v4
	v_cmp_eq_u32_e32 vcc, 0, v6
	v_cndmask_b32_e32 v6, v6, v7, vcc
	v_cndmask_b32_e32 v4, v5, v4, vcc
	v_mov_b32_e32 v5, 0x3b800000
	v_lshlrev_b32_e32 v4, 20, v4
	v_and_b32_e32 v2, 0x80000000, v2
	v_lshl_add_u32 v5, v6, 23, v5
	v_or3_b32 v2, v2, v5, v4
.LBB188_1205:
	s_or_b64 exec, exec, s[20:21]
.LBB188_1206:
	s_mov_b64 s[18:19], -1
.LBB188_1207:
	s_mov_b64 s[20:21], 0
.LBB188_1208:
	s_and_b64 vcc, exec, s[20:21]
	s_cbranch_vccz .LBB188_1241
; %bb.1209:
	v_cmp_lt_i16_e32 vcc, 22, v3
	s_cbranch_vccz .LBB188_1219
; %bb.1210:
	v_cmp_gt_i16_e32 vcc, 24, v3
	s_cbranch_vccnz .LBB188_1222
; %bb.1211:
	v_cmp_lt_i16_e32 vcc, 24, v3
	s_cbranch_vccz .LBB188_1223
; %bb.1212:
	global_load_ubyte v4, v[0:1], off
	s_movk_i32 s16, 0x7f
                                        ; implicit-def: $sgpr30
	s_waitcnt vmcnt(0)
	v_cmp_lt_i16_e32 vcc, s16, v4
	s_mov_b64 s[16:17], 0
	s_and_saveexec_b64 s[18:19], vcc
	s_xor_b64 s[18:19], exec, s[18:19]
	s_cbranch_execz .LBB188_1235
; %bb.1213:
	s_movk_i32 s16, 0x80
	v_cmp_eq_u16_e32 vcc, s16, v4
	s_mov_b64 s[16:17], -1
                                        ; implicit-def: $sgpr30
	s_and_saveexec_b64 s[20:21], vcc
; %bb.1214:
	s_mov_b32 s30, 0x7f800001
	s_xor_b64 s[16:17], exec, -1
; %bb.1215:
	s_or_b64 exec, exec, s[20:21]
	s_and_b64 s[16:17], s[16:17], exec
	s_or_saveexec_b64 s[18:19], s[18:19]
	v_mov_b32_e32 v2, s30
	s_xor_b64 exec, exec, s[18:19]
	s_cbranch_execnz .LBB188_1236
.LBB188_1216:
	s_or_b64 exec, exec, s[18:19]
	s_and_saveexec_b64 s[18:19], s[16:17]
	s_cbranch_execz .LBB188_1218
.LBB188_1217:
	v_lshlrev_b32_e32 v2, 24, v4
	v_and_b32_e32 v4, 0xffff, v4
	v_and_b32_e32 v5, 3, v4
	v_ffbh_u32_e32 v7, v5
	v_min_u32_e32 v7, 32, v7
	v_subrev_u32_e32 v8, 29, v7
	v_bfe_u32 v6, v4, 2, 5
	v_lshlrev_b32_e32 v4, v8, v4
	v_sub_u32_e32 v7, 30, v7
	v_and_b32_e32 v4, 3, v4
	v_cmp_eq_u32_e32 vcc, 0, v6
	v_cndmask_b32_e32 v6, v6, v7, vcc
	v_cndmask_b32_e32 v4, v5, v4, vcc
	v_mov_b32_e32 v5, 0x37800000
	v_lshlrev_b32_e32 v4, 21, v4
	v_and_b32_e32 v2, 0x80000000, v2
	v_lshl_add_u32 v5, v6, 23, v5
	v_or3_b32 v2, v2, v5, v4
.LBB188_1218:
	s_or_b64 exec, exec, s[18:19]
	s_mov_b64 s[16:17], 0
	s_branch .LBB188_1224
.LBB188_1219:
	s_mov_b64 s[16:17], -1
                                        ; implicit-def: $vgpr2
	s_branch .LBB188_1230
.LBB188_1220:
	s_or_saveexec_b64 s[20:21], s[20:21]
	v_mov_b32_e32 v2, s33
	s_xor_b64 exec, exec, s[20:21]
	s_cbranch_execz .LBB188_1203
.LBB188_1221:
	v_cmp_ne_u16_e32 vcc, 0, v4
	s_andn2_b64 s[18:19], s[18:19], exec
	s_and_b64 s[30:31], vcc, exec
	v_mov_b32_e32 v2, 0
	s_or_b64 s[18:19], s[18:19], s[30:31]
	s_or_b64 exec, exec, s[20:21]
	s_and_saveexec_b64 s[20:21], s[18:19]
	s_cbranch_execnz .LBB188_1204
	s_branch .LBB188_1205
.LBB188_1222:
	s_mov_b64 s[16:17], -1
                                        ; implicit-def: $vgpr2
	s_branch .LBB188_1227
.LBB188_1223:
	s_mov_b64 s[16:17], -1
                                        ; implicit-def: $vgpr2
.LBB188_1224:
	s_and_b64 vcc, exec, s[16:17]
	s_cbranch_vccz .LBB188_1226
; %bb.1225:
	global_load_ubyte v2, v[0:1], off
	s_mov_b32 s16, 0x7f800000
	s_waitcnt vmcnt(0)
	v_lshlrev_b32_e32 v2, 24, v2
	v_and_b32_e32 v4, 0x7f000000, v2
	v_ffbh_u32_e32 v5, v4
	v_min_u32_e32 v5, 32, v5
	v_sub_u32_e64 v5, v5, 4 clamp
	v_lshlrev_b32_e32 v7, v5, v4
	v_lshlrev_b32_e32 v5, 23, v5
	v_lshrrev_b32_e32 v7, 4, v7
	v_add_u32_e32 v6, 0x1000000, v4
	v_sub_u32_e32 v5, v7, v5
	v_ashrrev_i32_e32 v6, 8, v6
	v_add_u32_e32 v5, 0x3c000000, v5
	v_and_or_b32 v5, v6, s16, v5
	v_cmp_ne_u32_e32 vcc, 0, v4
	v_cndmask_b32_e32 v4, 0, v5, vcc
	s_brev_b32 s16, 1
	v_and_or_b32 v2, v2, s16, v4
.LBB188_1226:
	s_mov_b64 s[16:17], 0
.LBB188_1227:
	s_andn2_b64 vcc, exec, s[16:17]
	s_cbranch_vccnz .LBB188_1229
; %bb.1228:
	global_load_ubyte v2, v[0:1], off
	s_movk_i32 s16, 0x7f00
	s_brev_b32 s17, 16
	s_waitcnt vmcnt(0)
	v_lshlrev_b16_e32 v4, 8, v2
	v_lshlrev_b32_e32 v2, 25, v2
	v_lshrrev_b32_e32 v5, 4, v2
	v_and_or_b32 v6, v4, s16, 0.5
	v_or_b32_e32 v5, 0x70000000, v5
	v_add_f32_e32 v6, -0.5, v6
	v_mul_f32_e32 v5, 0x7800000, v5
	v_cmp_gt_u32_e32 vcc, s17, v2
	v_bfe_i32 v4, v4, 0, 16
	v_cndmask_b32_e32 v2, v5, v6, vcc
	s_brev_b32 s16, 1
	v_and_or_b32 v2, v4, s16, v2
.LBB188_1229:
	s_mov_b64 s[16:17], 0
	s_mov_b64 s[18:19], -1
.LBB188_1230:
	s_andn2_b64 vcc, exec, s[16:17]
	s_mov_b64 s[16:17], 0
	s_cbranch_vccnz .LBB188_1241
; %bb.1231:
	v_cmp_lt_i16_e32 vcc, 14, v3
	s_cbranch_vccz .LBB188_1234
; %bb.1232:
	v_cmp_eq_u16_e32 vcc, 15, v3
	s_cbranch_vccz .LBB188_1237
; %bb.1233:
	global_load_ushort v2, v[0:1], off
	s_mov_b64 s[14:15], 0
	s_mov_b64 s[18:19], -1
	s_waitcnt vmcnt(0)
	v_lshlrev_b32_e32 v2, 16, v2
	s_branch .LBB188_1238
.LBB188_1234:
	s_mov_b64 s[20:21], -1
                                        ; implicit-def: $vgpr2
	s_branch .LBB188_1239
.LBB188_1235:
	s_or_saveexec_b64 s[18:19], s[18:19]
	v_mov_b32_e32 v2, s30
	s_xor_b64 exec, exec, s[18:19]
	s_cbranch_execz .LBB188_1216
.LBB188_1236:
	v_cmp_ne_u16_e32 vcc, 0, v4
	s_andn2_b64 s[16:17], s[16:17], exec
	s_and_b64 s[20:21], vcc, exec
	v_mov_b32_e32 v2, 0
	s_or_b64 s[16:17], s[16:17], s[20:21]
	s_or_b64 exec, exec, s[18:19]
	s_and_saveexec_b64 s[18:19], s[16:17]
	s_cbranch_execnz .LBB188_1217
	s_branch .LBB188_1218
.LBB188_1237:
	s_mov_b64 s[14:15], -1
                                        ; implicit-def: $vgpr2
.LBB188_1238:
	s_mov_b64 s[20:21], 0
.LBB188_1239:
	s_and_b64 vcc, exec, s[20:21]
	s_cbranch_vccz .LBB188_1241
; %bb.1240:
	v_cmp_ne_u16_e32 vcc, 11, v3
	s_andn2_b64 s[14:15], s[14:15], exec
	s_and_b64 s[20:21], vcc, exec
	s_mov_b64 s[16:17], -1
	s_or_b64 s[14:15], s[14:15], s[20:21]
                                        ; implicit-def: $vgpr2
.LBB188_1241:
	s_mov_b64 s[20:21], 0
.LBB188_1242:
	s_and_b64 s[56:57], s[18:19], exec
	s_and_b64 s[18:19], s[16:17], exec
	s_andn2_b64 s[16:17], s[4:5], exec
	s_and_b64 s[14:15], s[14:15], exec
	s_and_b64 s[30:31], s[20:21], exec
	s_or_b64 s[20:21], s[16:17], s[14:15]
.LBB188_1243:
	s_or_b64 exec, exec, s[12:13]
	s_and_b64 s[12:13], s[18:19], exec
	s_andn2_b64 s[4:5], s[4:5], exec
	s_and_b64 s[18:19], s[20:21], exec
	s_and_b64 s[16:17], s[56:57], exec
	;; [unrolled: 1-line block ×3, first 2 shown]
	s_or_b64 s[4:5], s[4:5], s[18:19]
.LBB188_1244:
	s_or_b64 exec, exec, s[10:11]
	s_andn2_b64 s[10:11], s[52:53], exec
	s_and_b64 s[8:9], s[8:9], exec
	s_or_b64 s[52:53], s[10:11], s[8:9]
	s_andn2_b64 s[8:9], s[50:51], exec
	s_and_b64 s[6:7], s[6:7], exec
	s_and_b64 s[10:11], s[12:13], exec
	s_andn2_b64 s[12:13], s[48:49], exec
	s_and_b64 s[4:5], s[4:5], exec
	s_or_b64 s[50:51], s[8:9], s[6:7]
	s_and_b64 s[6:7], s[16:17], exec
	s_and_b64 s[8:9], s[14:15], exec
	s_or_b64 s[48:49], s[12:13], s[4:5]
.LBB188_1245:
	s_or_b64 exec, exec, s[54:55]
	s_andn2_b64 s[4:5], s[40:41], exec
	s_and_b64 s[12:13], s[52:53], exec
	s_or_b64 s[40:41], s[4:5], s[12:13]
	s_andn2_b64 s[4:5], s[42:43], exec
	s_and_b64 s[12:13], s[50:51], exec
	s_or_b64 s[42:43], s[4:5], s[12:13]
	s_and_b64 s[50:51], s[10:11], exec
	s_andn2_b64 s[4:5], s[44:45], exec
	s_and_b64 s[10:11], s[48:49], exec
	s_and_b64 s[6:7], s[6:7], exec
	;; [unrolled: 1-line block ×3, first 2 shown]
	s_or_b64 s[44:45], s[4:5], s[10:11]
	s_or_b64 exec, exec, s[46:47]
	s_mov_b64 s[46:47], 0
	s_and_saveexec_b64 s[4:5], s[44:45]
	s_cbranch_execz .LBB188_391
.LBB188_1246:
	s_mov_b64 s[46:47], exec
	s_andn2_b64 s[50:51], s[50:51], exec
	s_trap 2
                                        ; implicit-def: $vgpr2
	s_or_b64 exec, exec, s[4:5]
	s_and_saveexec_b64 s[4:5], s[50:51]
	s_xor_b64 s[4:5], exec, s[4:5]
	s_cbranch_execnz .LBB188_392
.LBB188_1247:
	s_or_b64 exec, exec, s[4:5]
	s_and_saveexec_b64 s[4:5], s[8:9]
	s_cbranch_execz .LBB188_1293
.LBB188_1248:
	v_cmp_gt_i16_e32 vcc, 5, v3
	s_cbranch_vccnz .LBB188_1253
; %bb.1249:
	v_cmp_gt_i16_e32 vcc, 8, v3
	s_cbranch_vccnz .LBB188_1254
; %bb.1250:
	;; [unrolled: 3-line block ×3, first 2 shown]
	v_cmp_lt_i16_e32 vcc, 9, v3
	s_cbranch_vccz .LBB188_1256
; %bb.1252:
	s_waitcnt vmcnt(0)
	global_load_dwordx2 v[4:5], v[0:1], off
	s_mov_b64 s[8:9], 0
	s_waitcnt vmcnt(0)
	v_cvt_f32_f64_e32 v2, v[4:5]
	s_branch .LBB188_1257
.LBB188_1253:
                                        ; implicit-def: $vgpr2
	s_branch .LBB188_1274
.LBB188_1254:
                                        ; implicit-def: $vgpr2
	s_branch .LBB188_1263
.LBB188_1255:
	s_mov_b64 s[8:9], -1
                                        ; implicit-def: $vgpr2
	s_branch .LBB188_1260
.LBB188_1256:
	s_mov_b64 s[8:9], -1
                                        ; implicit-def: $vgpr2
.LBB188_1257:
	s_andn2_b64 vcc, exec, s[8:9]
	s_cbranch_vccnz .LBB188_1259
; %bb.1258:
	s_waitcnt vmcnt(0)
	global_load_dword v2, v[0:1], off
.LBB188_1259:
	s_mov_b64 s[8:9], 0
.LBB188_1260:
	s_andn2_b64 vcc, exec, s[8:9]
	s_cbranch_vccnz .LBB188_1262
; %bb.1261:
	s_waitcnt vmcnt(0)
	global_load_dword v2, v[0:1], off
	s_waitcnt vmcnt(0)
	v_cvt_f32_f16_e32 v2, v2
.LBB188_1262:
	s_cbranch_execnz .LBB188_1273
.LBB188_1263:
	v_cmp_gt_i16_e32 vcc, 6, v3
	s_cbranch_vccnz .LBB188_1266
; %bb.1264:
	v_cmp_lt_i16_e32 vcc, 6, v3
	s_cbranch_vccz .LBB188_1267
; %bb.1265:
	s_waitcnt vmcnt(0)
	global_load_dwordx2 v[4:5], v[0:1], off
	s_mov_b64 s[8:9], 0
	s_waitcnt vmcnt(0)
	v_cvt_f32_f64_e32 v2, v[4:5]
	s_branch .LBB188_1268
.LBB188_1266:
	s_mov_b64 s[8:9], -1
                                        ; implicit-def: $vgpr2
	s_branch .LBB188_1271
.LBB188_1267:
	s_mov_b64 s[8:9], -1
                                        ; implicit-def: $vgpr2
.LBB188_1268:
	s_andn2_b64 vcc, exec, s[8:9]
	s_cbranch_vccnz .LBB188_1270
; %bb.1269:
	s_waitcnt vmcnt(0)
	global_load_dword v2, v[0:1], off
.LBB188_1270:
	s_mov_b64 s[8:9], 0
.LBB188_1271:
	s_andn2_b64 vcc, exec, s[8:9]
	s_cbranch_vccnz .LBB188_1273
; %bb.1272:
	s_waitcnt vmcnt(0)
	global_load_ushort v2, v[0:1], off
	s_waitcnt vmcnt(0)
	v_cvt_f32_f16_e32 v2, v2
.LBB188_1273:
	s_cbranch_execnz .LBB188_1292
.LBB188_1274:
	v_cmp_gt_i16_e32 vcc, 2, v3
	s_cbranch_vccnz .LBB188_1278
; %bb.1275:
	v_cmp_gt_i16_e32 vcc, 3, v3
	s_cbranch_vccnz .LBB188_1279
; %bb.1276:
	v_cmp_lt_i16_e32 vcc, 3, v3
	s_cbranch_vccz .LBB188_1280
; %bb.1277:
	s_waitcnt vmcnt(0)
	global_load_dwordx2 v[4:5], v[0:1], off
	s_mov_b64 s[8:9], 0
	s_waitcnt vmcnt(0)
	v_xor_b32_e32 v6, v4, v5
	v_ffbh_i32_e32 v2, v5
	v_ashrrev_i32_e32 v6, 31, v6
	v_add_u32_e32 v2, -1, v2
	v_add_u32_e32 v6, 32, v6
	v_min_u32_e32 v2, v2, v6
	v_lshlrev_b64 v[4:5], v2, v[4:5]
	v_min_u32_e32 v4, 1, v4
	v_or_b32_e32 v4, v5, v4
	v_cvt_f32_i32_e32 v4, v4
	v_sub_u32_e32 v2, 32, v2
	v_ldexp_f32 v2, v4, v2
	s_branch .LBB188_1281
.LBB188_1278:
                                        ; implicit-def: $vgpr2
	s_branch .LBB188_1287
.LBB188_1279:
	s_mov_b64 s[8:9], -1
                                        ; implicit-def: $vgpr2
	s_branch .LBB188_1284
.LBB188_1280:
	s_mov_b64 s[8:9], -1
                                        ; implicit-def: $vgpr2
.LBB188_1281:
	s_andn2_b64 vcc, exec, s[8:9]
	s_cbranch_vccnz .LBB188_1283
; %bb.1282:
	s_waitcnt vmcnt(0)
	global_load_dword v2, v[0:1], off
	s_waitcnt vmcnt(0)
	v_cvt_f32_i32_e32 v2, v2
.LBB188_1283:
	s_mov_b64 s[8:9], 0
.LBB188_1284:
	s_andn2_b64 vcc, exec, s[8:9]
	s_cbranch_vccnz .LBB188_1286
; %bb.1285:
	s_waitcnt vmcnt(0)
	global_load_sshort v2, v[0:1], off
	s_waitcnt vmcnt(0)
	v_cvt_f32_i32_e32 v2, v2
.LBB188_1286:
	s_cbranch_execnz .LBB188_1292
.LBB188_1287:
	v_cmp_lt_i16_e32 vcc, 0, v3
	s_cbranch_vccz .LBB188_1289
; %bb.1288:
	s_waitcnt vmcnt(0)
	global_load_sbyte v2, v[0:1], off
	s_mov_b64 s[8:9], 0
	s_waitcnt vmcnt(0)
	v_cvt_f32_i32_e32 v2, v2
	s_branch .LBB188_1290
.LBB188_1289:
	s_mov_b64 s[8:9], -1
                                        ; implicit-def: $vgpr2
.LBB188_1290:
	s_andn2_b64 vcc, exec, s[8:9]
	s_cbranch_vccnz .LBB188_1292
; %bb.1291:
	s_waitcnt vmcnt(0)
	global_load_ubyte v0, v[0:1], off
	s_waitcnt vmcnt(0)
	v_cvt_f32_ubyte0_e32 v2, v0
.LBB188_1292:
	s_or_b64 s[6:7], s[6:7], exec
.LBB188_1293:
	s_or_b64 exec, exec, s[4:5]
	s_mov_b64 s[8:9], 0
	s_mov_b64 s[12:13], 0
	;; [unrolled: 1-line block ×3, first 2 shown]
                                        ; implicit-def: $vgpr0
                                        ; implicit-def: $vgpr4_vgpr5
                                        ; implicit-def: $vgpr1
	s_and_saveexec_b64 s[4:5], s[6:7]
	s_cbranch_execz .LBB188_1301
; %bb.1294:
	s_waitcnt vmcnt(0)
	v_mul_lo_u32 v0, v37, s38
	v_ashrrev_i32_e32 v1, 31, v0
	v_mov_b32_e32 v3, s23
	v_add_co_u32_e32 v4, vcc, s22, v0
	v_addc_co_u32_e32 v5, vcc, v3, v1, vcc
	v_and_b32_e32 v0, 0xff, v38
	v_cmp_gt_i16_e32 vcc, 11, v0
	s_cbranch_vccnz .LBB188_1304
; %bb.1295:
	v_cmp_lt_i16_e32 vcc, 25, v0
	s_cbranch_vccz .LBB188_1305
; %bb.1296:
	v_cmp_lt_i16_e32 vcc, 28, v0
	s_cbranch_vccz .LBB188_1306
	;; [unrolled: 3-line block ×4, first 2 shown]
; %bb.1299:
	v_cmp_eq_u16_e32 vcc, 46, v0
	s_cbranch_vccz .LBB188_1309
; %bb.1300:
	global_load_dword v1, v[4:5], off
	s_mov_b64 s[6:7], 0
	s_mov_b64 s[10:11], -1
	s_waitcnt vmcnt(0)
	v_lshlrev_b32_e32 v1, 16, v1
	s_branch .LBB188_1311
.LBB188_1301:
	s_or_b64 exec, exec, s[4:5]
	s_and_saveexec_b64 s[4:5], s[42:43]
	s_cbranch_execnz .LBB188_1374
.LBB188_1302:
	s_or_b64 exec, exec, s[4:5]
	s_and_saveexec_b64 s[4:5], s[8:9]
	s_xor_b64 s[4:5], exec, s[4:5]
	s_cbranch_execz .LBB188_1375
.LBB188_1303:
	global_load_ubyte v1, v[4:5], off
	s_or_b64 s[10:11], s[10:11], exec
	s_waitcnt vmcnt(0)
	v_cmp_ne_u16_e32 vcc, 0, v1
	v_cndmask_b32_e64 v1, 0, 1.0, vcc
	s_or_b64 exec, exec, s[4:5]
	s_and_saveexec_b64 s[4:5], s[12:13]
	s_cbranch_execz .LBB188_1421
	s_branch .LBB188_1376
.LBB188_1304:
	s_mov_b64 s[12:13], -1
                                        ; implicit-def: $vgpr1
	s_mov_b64 s[6:7], s[42:43]
	s_branch .LBB188_1373
.LBB188_1305:
	s_mov_b64 s[6:7], s[42:43]
                                        ; implicit-def: $vgpr1
	s_cbranch_execnz .LBB188_1340
	s_branch .LBB188_1372
.LBB188_1306:
	s_mov_b64 s[12:13], -1
	s_mov_b64 s[6:7], s[42:43]
                                        ; implicit-def: $vgpr1
	s_branch .LBB188_1321
.LBB188_1307:
	s_mov_b64 s[12:13], -1
	s_mov_b64 s[6:7], s[42:43]
                                        ; implicit-def: $vgpr1
	s_branch .LBB188_1316
.LBB188_1308:
	s_mov_b64 s[12:13], -1
	s_mov_b64 s[6:7], s[42:43]
	s_branch .LBB188_1310
.LBB188_1309:
	s_mov_b64 s[6:7], -1
.LBB188_1310:
                                        ; implicit-def: $vgpr1
.LBB188_1311:
	s_and_b64 vcc, exec, s[12:13]
	s_cbranch_vccz .LBB188_1315
; %bb.1312:
	v_cmp_eq_u16_e32 vcc, 44, v0
	s_cbranch_vccz .LBB188_1314
; %bb.1313:
	global_load_ubyte v1, v[4:5], off
	s_movk_i32 s10, 0xff
	v_mov_b32_e32 v3, 0x7f800001
	v_mov_b32_e32 v6, 0x400000
	s_mov_b64 s[6:7], 0
	s_waitcnt vmcnt(0)
	v_lshlrev_b32_e32 v7, 23, v1
	v_cmp_ne_u32_e32 vcc, s10, v1
	v_cndmask_b32_e32 v3, v3, v7, vcc
	v_cmp_ne_u32_e32 vcc, 0, v1
	v_cndmask_b32_e32 v1, v6, v3, vcc
	s_mov_b64 s[10:11], -1
	s_branch .LBB188_1315
.LBB188_1314:
	s_mov_b64 s[6:7], -1
                                        ; implicit-def: $vgpr1
.LBB188_1315:
	s_mov_b64 s[12:13], 0
.LBB188_1316:
	s_and_b64 vcc, exec, s[12:13]
	s_cbranch_vccz .LBB188_1320
; %bb.1317:
	v_cmp_eq_u16_e32 vcc, 29, v0
	s_cbranch_vccz .LBB188_1319
; %bb.1318:
	global_load_dwordx2 v[6:7], v[4:5], off
	s_mov_b64 s[6:7], 0
	s_mov_b64 s[10:11], -1
	s_mov_b64 s[12:13], 0
	s_waitcnt vmcnt(0)
	v_ffbh_u32_e32 v1, v7
	v_min_u32_e32 v1, 32, v1
	v_lshlrev_b64 v[6:7], v1, v[6:7]
	v_min_u32_e32 v3, 1, v6
	v_or_b32_e32 v3, v7, v3
	v_cvt_f32_u32_e32 v3, v3
	v_sub_u32_e32 v1, 32, v1
	v_ldexp_f32 v1, v3, v1
	s_branch .LBB188_1321
.LBB188_1319:
	s_mov_b64 s[6:7], -1
                                        ; implicit-def: $vgpr1
.LBB188_1320:
	s_mov_b64 s[12:13], 0
.LBB188_1321:
	s_and_b64 vcc, exec, s[12:13]
	s_cbranch_vccz .LBB188_1339
; %bb.1322:
	v_cmp_gt_i16_e32 vcc, 27, v0
	s_cbranch_vccnz .LBB188_1325
; %bb.1323:
	v_cmp_lt_i16_e32 vcc, 27, v0
	s_cbranch_vccz .LBB188_1326
; %bb.1324:
	global_load_dword v1, v[4:5], off
	s_mov_b64 s[10:11], 0
	s_waitcnt vmcnt(0)
	v_cvt_f32_u32_e32 v1, v1
	s_branch .LBB188_1327
.LBB188_1325:
	s_mov_b64 s[10:11], -1
                                        ; implicit-def: $vgpr1
	s_branch .LBB188_1330
.LBB188_1326:
	s_mov_b64 s[10:11], -1
                                        ; implicit-def: $vgpr1
.LBB188_1327:
	s_andn2_b64 vcc, exec, s[10:11]
	s_cbranch_vccnz .LBB188_1329
; %bb.1328:
	global_load_ushort v1, v[4:5], off
	s_waitcnt vmcnt(0)
	v_cvt_f32_u32_e32 v1, v1
.LBB188_1329:
	s_mov_b64 s[10:11], 0
.LBB188_1330:
	s_andn2_b64 vcc, exec, s[10:11]
	s_cbranch_vccnz .LBB188_1338
; %bb.1331:
	global_load_ubyte v3, v[4:5], off
	s_movk_i32 s10, 0x7f
                                        ; implicit-def: $sgpr16
	s_waitcnt vmcnt(0)
	v_cmp_lt_i16_e32 vcc, s10, v3
	s_mov_b64 s[10:11], 0
	s_and_saveexec_b64 s[12:13], vcc
	s_xor_b64 s[12:13], exec, s[12:13]
	s_cbranch_execz .LBB188_1351
; %bb.1332:
	s_movk_i32 s10, 0x80
	v_cmp_eq_u16_e32 vcc, s10, v3
	s_mov_b64 s[10:11], -1
                                        ; implicit-def: $sgpr16
	s_and_saveexec_b64 s[14:15], vcc
; %bb.1333:
	s_mov_b32 s16, 0x7f800001
	s_xor_b64 s[10:11], exec, -1
; %bb.1334:
	s_or_b64 exec, exec, s[14:15]
	s_and_b64 s[10:11], s[10:11], exec
	s_or_saveexec_b64 s[12:13], s[12:13]
	v_mov_b32_e32 v1, s16
	s_xor_b64 exec, exec, s[12:13]
	s_cbranch_execnz .LBB188_1352
.LBB188_1335:
	s_or_b64 exec, exec, s[12:13]
	s_and_saveexec_b64 s[12:13], s[10:11]
	s_cbranch_execz .LBB188_1337
.LBB188_1336:
	v_lshlrev_b32_e32 v1, 24, v3
	v_and_b32_e32 v3, 0xffff, v3
	v_and_b32_e32 v6, 7, v3
	v_ffbh_u32_e32 v8, v6
	v_min_u32_e32 v8, 32, v8
	v_subrev_u32_e32 v9, 28, v8
	v_bfe_u32 v7, v3, 3, 4
	v_lshlrev_b32_e32 v3, v9, v3
	v_sub_u32_e32 v8, 29, v8
	v_and_b32_e32 v3, 7, v3
	v_cmp_eq_u32_e32 vcc, 0, v7
	v_cndmask_b32_e32 v7, v7, v8, vcc
	v_cndmask_b32_e32 v3, v6, v3, vcc
	v_mov_b32_e32 v6, 0x3b800000
	v_lshlrev_b32_e32 v3, 20, v3
	v_and_b32_e32 v1, 0x80000000, v1
	v_lshl_add_u32 v6, v7, 23, v6
	v_or3_b32 v1, v1, v6, v3
.LBB188_1337:
	s_or_b64 exec, exec, s[12:13]
.LBB188_1338:
	s_mov_b64 s[10:11], -1
.LBB188_1339:
	s_branch .LBB188_1372
.LBB188_1340:
	v_cmp_lt_i16_e32 vcc, 22, v0
	s_cbranch_vccz .LBB188_1350
; %bb.1341:
	v_cmp_gt_i16_e32 vcc, 24, v0
	s_cbranch_vccnz .LBB188_1353
; %bb.1342:
	v_cmp_lt_i16_e32 vcc, 24, v0
	s_cbranch_vccz .LBB188_1354
; %bb.1343:
	global_load_ubyte v3, v[4:5], off
	s_movk_i32 s8, 0x7f
                                        ; implicit-def: $sgpr14
	s_waitcnt vmcnt(0)
	v_cmp_lt_i16_e32 vcc, s8, v3
	s_mov_b64 s[8:9], 0
	s_and_saveexec_b64 s[10:11], vcc
	s_xor_b64 s[10:11], exec, s[10:11]
	s_cbranch_execz .LBB188_1366
; %bb.1344:
	s_movk_i32 s8, 0x80
	v_cmp_eq_u16_e32 vcc, s8, v3
	s_mov_b64 s[8:9], -1
                                        ; implicit-def: $sgpr14
	s_and_saveexec_b64 s[12:13], vcc
; %bb.1345:
	s_mov_b32 s14, 0x7f800001
	s_xor_b64 s[8:9], exec, -1
; %bb.1346:
	s_or_b64 exec, exec, s[12:13]
	s_and_b64 s[8:9], s[8:9], exec
	s_or_saveexec_b64 s[10:11], s[10:11]
	v_mov_b32_e32 v1, s14
	s_xor_b64 exec, exec, s[10:11]
	s_cbranch_execnz .LBB188_1367
.LBB188_1347:
	s_or_b64 exec, exec, s[10:11]
	s_and_saveexec_b64 s[10:11], s[8:9]
	s_cbranch_execz .LBB188_1349
.LBB188_1348:
	v_lshlrev_b32_e32 v1, 24, v3
	v_and_b32_e32 v3, 0xffff, v3
	v_and_b32_e32 v6, 3, v3
	v_ffbh_u32_e32 v8, v6
	v_min_u32_e32 v8, 32, v8
	v_subrev_u32_e32 v9, 29, v8
	v_bfe_u32 v7, v3, 2, 5
	v_lshlrev_b32_e32 v3, v9, v3
	v_sub_u32_e32 v8, 30, v8
	v_and_b32_e32 v3, 3, v3
	v_cmp_eq_u32_e32 vcc, 0, v7
	v_cndmask_b32_e32 v7, v7, v8, vcc
	v_cndmask_b32_e32 v3, v6, v3, vcc
	v_mov_b32_e32 v6, 0x37800000
	v_lshlrev_b32_e32 v3, 21, v3
	v_and_b32_e32 v1, 0x80000000, v1
	v_lshl_add_u32 v6, v7, 23, v6
	v_or3_b32 v1, v1, v6, v3
.LBB188_1349:
	s_or_b64 exec, exec, s[10:11]
	s_mov_b64 s[8:9], 0
	s_branch .LBB188_1355
.LBB188_1350:
	s_mov_b64 s[8:9], -1
                                        ; implicit-def: $vgpr1
	s_branch .LBB188_1361
.LBB188_1351:
	s_or_saveexec_b64 s[12:13], s[12:13]
	v_mov_b32_e32 v1, s16
	s_xor_b64 exec, exec, s[12:13]
	s_cbranch_execz .LBB188_1335
.LBB188_1352:
	v_cmp_ne_u16_e32 vcc, 0, v3
	s_andn2_b64 s[10:11], s[10:11], exec
	s_and_b64 s[14:15], vcc, exec
	v_mov_b32_e32 v1, 0
	s_or_b64 s[10:11], s[10:11], s[14:15]
	s_or_b64 exec, exec, s[12:13]
	s_and_saveexec_b64 s[12:13], s[10:11]
	s_cbranch_execnz .LBB188_1336
	s_branch .LBB188_1337
.LBB188_1353:
	s_mov_b64 s[8:9], -1
                                        ; implicit-def: $vgpr1
	s_branch .LBB188_1358
.LBB188_1354:
	s_mov_b64 s[8:9], -1
                                        ; implicit-def: $vgpr1
.LBB188_1355:
	s_and_b64 vcc, exec, s[8:9]
	s_cbranch_vccz .LBB188_1357
; %bb.1356:
	global_load_ubyte v1, v[4:5], off
	s_mov_b32 s8, 0x7f800000
	s_waitcnt vmcnt(0)
	v_lshlrev_b32_e32 v1, 24, v1
	v_and_b32_e32 v3, 0x7f000000, v1
	v_ffbh_u32_e32 v6, v3
	v_min_u32_e32 v6, 32, v6
	v_sub_u32_e64 v6, v6, 4 clamp
	v_lshlrev_b32_e32 v8, v6, v3
	v_lshlrev_b32_e32 v6, 23, v6
	v_lshrrev_b32_e32 v8, 4, v8
	v_add_u32_e32 v7, 0x1000000, v3
	v_sub_u32_e32 v6, v8, v6
	v_ashrrev_i32_e32 v7, 8, v7
	v_add_u32_e32 v6, 0x3c000000, v6
	v_and_or_b32 v6, v7, s8, v6
	v_cmp_ne_u32_e32 vcc, 0, v3
	v_cndmask_b32_e32 v3, 0, v6, vcc
	s_brev_b32 s8, 1
	v_and_or_b32 v1, v1, s8, v3
.LBB188_1357:
	s_mov_b64 s[8:9], 0
.LBB188_1358:
	s_andn2_b64 vcc, exec, s[8:9]
	s_cbranch_vccnz .LBB188_1360
; %bb.1359:
	global_load_ubyte v1, v[4:5], off
	s_movk_i32 s8, 0x7f00
	s_brev_b32 s9, 16
	s_waitcnt vmcnt(0)
	v_lshlrev_b16_e32 v3, 8, v1
	v_lshlrev_b32_e32 v1, 25, v1
	v_lshrrev_b32_e32 v6, 4, v1
	v_and_or_b32 v7, v3, s8, 0.5
	v_or_b32_e32 v6, 0x70000000, v6
	v_add_f32_e32 v7, -0.5, v7
	v_mul_f32_e32 v6, 0x7800000, v6
	v_cmp_gt_u32_e32 vcc, s9, v1
	v_bfe_i32 v3, v3, 0, 16
	v_cndmask_b32_e32 v1, v6, v7, vcc
	s_brev_b32 s8, 1
	v_and_or_b32 v1, v3, s8, v1
.LBB188_1360:
	s_mov_b64 s[8:9], 0
	s_mov_b64 s[10:11], -1
.LBB188_1361:
	s_andn2_b64 vcc, exec, s[8:9]
	s_mov_b64 s[8:9], 0
	s_cbranch_vccnz .LBB188_1372
; %bb.1362:
	v_cmp_lt_i16_e32 vcc, 14, v0
	s_cbranch_vccz .LBB188_1365
; %bb.1363:
	v_cmp_eq_u16_e32 vcc, 15, v0
	s_cbranch_vccz .LBB188_1368
; %bb.1364:
	global_load_ushort v1, v[4:5], off
	s_mov_b64 s[6:7], 0
	s_mov_b64 s[10:11], -1
	s_waitcnt vmcnt(0)
	v_lshlrev_b32_e32 v1, 16, v1
	s_branch .LBB188_1369
.LBB188_1365:
	s_mov_b64 s[12:13], -1
                                        ; implicit-def: $vgpr1
	s_branch .LBB188_1370
.LBB188_1366:
	s_or_saveexec_b64 s[10:11], s[10:11]
	v_mov_b32_e32 v1, s14
	s_xor_b64 exec, exec, s[10:11]
	s_cbranch_execz .LBB188_1347
.LBB188_1367:
	v_cmp_ne_u16_e32 vcc, 0, v3
	s_andn2_b64 s[8:9], s[8:9], exec
	s_and_b64 s[12:13], vcc, exec
	v_mov_b32_e32 v1, 0
	s_or_b64 s[8:9], s[8:9], s[12:13]
	s_or_b64 exec, exec, s[10:11]
	s_and_saveexec_b64 s[10:11], s[8:9]
	s_cbranch_execnz .LBB188_1348
	s_branch .LBB188_1349
.LBB188_1368:
	s_mov_b64 s[6:7], -1
                                        ; implicit-def: $vgpr1
.LBB188_1369:
	s_mov_b64 s[12:13], 0
.LBB188_1370:
	s_and_b64 vcc, exec, s[12:13]
	s_cbranch_vccz .LBB188_1372
; %bb.1371:
	v_cmp_ne_u16_e32 vcc, 11, v0
	s_andn2_b64 s[6:7], s[6:7], exec
	s_and_b64 s[12:13], vcc, exec
	s_mov_b64 s[8:9], -1
	s_or_b64 s[6:7], s[6:7], s[12:13]
                                        ; implicit-def: $vgpr1
.LBB188_1372:
	s_mov_b64 s[12:13], 0
.LBB188_1373:
	s_andn2_b64 s[14:15], s[42:43], exec
	s_and_b64 s[6:7], s[6:7], exec
	s_and_b64 s[10:11], s[10:11], exec
	;; [unrolled: 1-line block ×4, first 2 shown]
	s_or_b64 s[42:43], s[14:15], s[6:7]
	s_or_b64 exec, exec, s[4:5]
	s_and_saveexec_b64 s[4:5], s[42:43]
	s_cbranch_execz .LBB188_1302
.LBB188_1374:
	s_or_b64 s[46:47], s[46:47], exec
	s_andn2_b64 s[8:9], s[8:9], exec
	s_trap 2
                                        ; implicit-def: $vgpr1
	s_or_b64 exec, exec, s[4:5]
	s_and_saveexec_b64 s[4:5], s[8:9]
	s_xor_b64 s[4:5], exec, s[4:5]
	s_cbranch_execnz .LBB188_1303
.LBB188_1375:
	s_or_b64 exec, exec, s[4:5]
	s_and_saveexec_b64 s[4:5], s[12:13]
	s_cbranch_execz .LBB188_1421
.LBB188_1376:
	s_waitcnt vmcnt(0)
	v_cmp_gt_i16_e32 vcc, 5, v0
	s_cbranch_vccnz .LBB188_1381
; %bb.1377:
	v_cmp_gt_i16_e32 vcc, 8, v0
	s_cbranch_vccnz .LBB188_1382
; %bb.1378:
	;; [unrolled: 3-line block ×3, first 2 shown]
	v_cmp_lt_i16_e32 vcc, 9, v0
	s_cbranch_vccz .LBB188_1384
; %bb.1380:
	global_load_dwordx2 v[6:7], v[4:5], off
	s_mov_b64 s[6:7], 0
	s_waitcnt vmcnt(0)
	v_cvt_f32_f64_e32 v1, v[6:7]
	s_branch .LBB188_1385
.LBB188_1381:
                                        ; implicit-def: $vgpr1
	s_branch .LBB188_1402
.LBB188_1382:
                                        ; implicit-def: $vgpr1
	s_branch .LBB188_1391
.LBB188_1383:
	s_mov_b64 s[6:7], -1
                                        ; implicit-def: $vgpr1
	s_branch .LBB188_1388
.LBB188_1384:
	s_mov_b64 s[6:7], -1
                                        ; implicit-def: $vgpr1
.LBB188_1385:
	s_andn2_b64 vcc, exec, s[6:7]
	s_cbranch_vccnz .LBB188_1387
; %bb.1386:
	global_load_dword v1, v[4:5], off
.LBB188_1387:
	s_mov_b64 s[6:7], 0
.LBB188_1388:
	s_andn2_b64 vcc, exec, s[6:7]
	s_cbranch_vccnz .LBB188_1390
; %bb.1389:
	global_load_dword v1, v[4:5], off
	s_waitcnt vmcnt(0)
	v_cvt_f32_f16_e32 v1, v1
.LBB188_1390:
	s_cbranch_execnz .LBB188_1401
.LBB188_1391:
	v_cmp_gt_i16_e32 vcc, 6, v0
	s_cbranch_vccnz .LBB188_1394
; %bb.1392:
	v_cmp_lt_i16_e32 vcc, 6, v0
	s_cbranch_vccz .LBB188_1395
; %bb.1393:
	global_load_dwordx2 v[6:7], v[4:5], off
	s_mov_b64 s[6:7], 0
	s_waitcnt vmcnt(0)
	v_cvt_f32_f64_e32 v1, v[6:7]
	s_branch .LBB188_1396
.LBB188_1394:
	s_mov_b64 s[6:7], -1
                                        ; implicit-def: $vgpr1
	s_branch .LBB188_1399
.LBB188_1395:
	s_mov_b64 s[6:7], -1
                                        ; implicit-def: $vgpr1
.LBB188_1396:
	s_andn2_b64 vcc, exec, s[6:7]
	s_cbranch_vccnz .LBB188_1398
; %bb.1397:
	global_load_dword v1, v[4:5], off
.LBB188_1398:
	s_mov_b64 s[6:7], 0
.LBB188_1399:
	s_andn2_b64 vcc, exec, s[6:7]
	s_cbranch_vccnz .LBB188_1401
; %bb.1400:
	global_load_ushort v1, v[4:5], off
	s_waitcnt vmcnt(0)
	v_cvt_f32_f16_e32 v1, v1
.LBB188_1401:
	s_cbranch_execnz .LBB188_1420
.LBB188_1402:
	v_cmp_gt_i16_e32 vcc, 2, v0
	s_cbranch_vccnz .LBB188_1406
; %bb.1403:
	v_cmp_gt_i16_e32 vcc, 3, v0
	s_cbranch_vccnz .LBB188_1407
; %bb.1404:
	v_cmp_lt_i16_e32 vcc, 3, v0
	s_cbranch_vccz .LBB188_1408
; %bb.1405:
	global_load_dwordx2 v[6:7], v[4:5], off
	s_mov_b64 s[6:7], 0
	s_waitcnt vmcnt(0)
	v_xor_b32_e32 v3, v6, v7
	v_ffbh_i32_e32 v1, v7
	v_ashrrev_i32_e32 v3, 31, v3
	v_add_u32_e32 v1, -1, v1
	v_add_u32_e32 v3, 32, v3
	v_min_u32_e32 v1, v1, v3
	v_lshlrev_b64 v[6:7], v1, v[6:7]
	v_min_u32_e32 v3, 1, v6
	v_or_b32_e32 v3, v7, v3
	v_cvt_f32_i32_e32 v3, v3
	v_sub_u32_e32 v1, 32, v1
	v_ldexp_f32 v1, v3, v1
	s_branch .LBB188_1409
.LBB188_1406:
                                        ; implicit-def: $vgpr1
	s_branch .LBB188_1415
.LBB188_1407:
	s_mov_b64 s[6:7], -1
                                        ; implicit-def: $vgpr1
	s_branch .LBB188_1412
.LBB188_1408:
	s_mov_b64 s[6:7], -1
                                        ; implicit-def: $vgpr1
.LBB188_1409:
	s_andn2_b64 vcc, exec, s[6:7]
	s_cbranch_vccnz .LBB188_1411
; %bb.1410:
	global_load_dword v1, v[4:5], off
	s_waitcnt vmcnt(0)
	v_cvt_f32_i32_e32 v1, v1
.LBB188_1411:
	s_mov_b64 s[6:7], 0
.LBB188_1412:
	s_andn2_b64 vcc, exec, s[6:7]
	s_cbranch_vccnz .LBB188_1414
; %bb.1413:
	global_load_sshort v1, v[4:5], off
	s_waitcnt vmcnt(0)
	v_cvt_f32_i32_e32 v1, v1
.LBB188_1414:
	s_cbranch_execnz .LBB188_1420
.LBB188_1415:
	v_cmp_lt_i16_e32 vcc, 0, v0
	s_cbranch_vccz .LBB188_1417
; %bb.1416:
	global_load_sbyte v0, v[4:5], off
	s_mov_b64 s[6:7], 0
	s_waitcnt vmcnt(0)
	v_cvt_f32_i32_e32 v1, v0
	s_branch .LBB188_1418
.LBB188_1417:
	s_mov_b64 s[6:7], -1
                                        ; implicit-def: $vgpr1
.LBB188_1418:
	s_andn2_b64 vcc, exec, s[6:7]
	s_cbranch_vccnz .LBB188_1420
; %bb.1419:
	global_load_ubyte v0, v[4:5], off
	s_waitcnt vmcnt(0)
	v_cvt_f32_ubyte0_e32 v1, v0
.LBB188_1420:
	s_or_b64 s[10:11], s[10:11], exec
.LBB188_1421:
	s_or_b64 exec, exec, s[4:5]
	s_mov_b64 s[8:9], 0
	s_mov_b64 s[6:7], 0
                                        ; implicit-def: $vgpr3
                                        ; implicit-def: $vgpr4_vgpr5
                                        ; implicit-def: $vgpr0
	s_and_saveexec_b64 s[42:43], s[10:11]
	s_cbranch_execz .LBB188_1439
; %bb.1422:
	s_waitcnt vmcnt(0)
	v_mov_b32_e32 v0, v2
	s_getpc_b64 s[4:5]
	s_add_u32 s4, s4, _ZZZZN2at6native33launch_standard_gamma_grad_kernelERNS_18TensorIteratorBaseEENKUlvE_clEvENKUlvE0_clEvENKUlffE_clEff@rel32@lo+4
	s_addc_u32 s5, s5, _ZZZZN2at6native33launch_standard_gamma_grad_kernelERNS_18TensorIteratorBaseEENKUlvE_clEvENKUlvE0_clEvENKUlffE_clEff@rel32@hi+12
	s_swappc_b64 s[30:31], s[4:5]
	v_mul_lo_u32 v1, v37, s36
	v_ashrrev_i32_e32 v2, 31, v1
	v_mov_b32_e32 v3, s25
	v_add_co_u32_e32 v4, vcc, s24, v1
	v_addc_co_u32_e32 v5, vcc, v3, v2, vcc
	v_and_b32_e32 v3, 0xff, v36
	v_cmp_gt_i16_e32 vcc, 11, v3
	s_cbranch_vccnz .LBB188_1442
; %bb.1423:
	v_cmp_lt_i16_e32 vcc, 25, v3
	s_mov_b64 s[8:9], -1
	s_mov_b64 s[4:5], s[40:41]
	s_cbranch_vccz .LBB188_1460
; %bb.1424:
	v_cmp_lt_i16_e32 vcc, 28, v3
	s_mov_b64 s[6:7], -1
	s_mov_b64 s[4:5], s[40:41]
	s_cbranch_vccz .LBB188_1444
; %bb.1425:
	v_cmp_lt_i16_e32 vcc, 43, v3
	s_mov_b64 s[4:5], s[40:41]
	s_cbranch_vccz .LBB188_1436
; %bb.1426:
	v_cmp_lt_i16_e32 vcc, 45, v3
	s_mov_b64 s[4:5], s[40:41]
	s_cbranch_vccz .LBB188_1430
; %bb.1427:
	v_cmp_eq_u16_e32 vcc, 46, v3
	s_mov_b64 s[4:5], -1
	s_cbranch_vccz .LBB188_1429
; %bb.1428:
	v_bfe_u32 v1, v0, 16, 1
	s_movk_i32 s4, 0x7fff
	v_add3_u32 v1, v0, v1, s4
	v_lshrrev_b32_e32 v1, 16, v1
	v_mov_b32_e32 v2, 0x7fc0
	v_cmp_o_f32_e32 vcc, v0, v0
	v_cndmask_b32_e32 v1, v2, v1, vcc
	global_store_dword v[4:5], v1, off
	s_mov_b64 s[4:5], 0
.LBB188_1429:
	s_mov_b64 s[6:7], 0
.LBB188_1430:
	s_and_b64 vcc, exec, s[6:7]
	s_cbranch_vccz .LBB188_1435
; %bb.1431:
	v_cmp_eq_u16_e32 vcc, 44, v3
	s_mov_b64 s[4:5], -1
	s_cbranch_vccz .LBB188_1435
; %bb.1432:
	v_bfe_u32 v1, v0, 23, 8
	s_movk_i32 s4, 0xff
	v_cmp_ne_u32_e32 vcc, s4, v1
	v_mov_b32_e32 v2, 0xff
	s_and_saveexec_b64 s[6:7], vcc
; %bb.1433:
	s_mov_b32 s4, 0x3fffff
	v_and_b32_e32 v6, 0x400000, v0
	v_and_or_b32 v1, v0, s4, v1
	v_cmp_ne_u32_e32 vcc, 0, v6
	v_cmp_ne_u32_e64 s[4:5], 0, v1
	s_and_b64 s[4:5], vcc, s[4:5]
	v_lshrrev_b32_e32 v2, 23, v0
	v_cndmask_b32_e64 v1, 0, 1, s[4:5]
	v_add_u32_e32 v2, v2, v1
; %bb.1434:
	s_or_b64 exec, exec, s[6:7]
	s_mov_b64 s[4:5], 0
	global_store_byte v[4:5], v2, off
.LBB188_1435:
	s_mov_b64 s[6:7], 0
.LBB188_1436:
	s_and_b64 vcc, exec, s[6:7]
	s_cbranch_vccz .LBB188_1443
; %bb.1437:
	v_cmp_eq_u16_e32 vcc, 29, v3
	s_mov_b64 s[4:5], -1
	s_cbranch_vccz .LBB188_1443
; %bb.1438:
	v_trunc_f32_e32 v1, v0
	v_mul_f32_e32 v2, 0x2f800000, v1
	v_floor_f32_e32 v2, v2
	v_fmac_f32_e32 v1, 0xcf800000, v2
	v_cvt_u32_f32_e32 v7, v2
	v_cvt_u32_f32_e32 v6, v1
	s_mov_b64 s[4:5], 0
	s_mov_b64 s[6:7], 0
	global_store_dwordx2 v[4:5], v[6:7], off
	s_branch .LBB188_1444
.LBB188_1439:
	s_or_b64 exec, exec, s[42:43]
	s_and_saveexec_b64 s[4:5], s[40:41]
	s_cbranch_execnz .LBB188_1502
.LBB188_1440:
	s_or_b64 exec, exec, s[4:5]
	s_and_saveexec_b64 s[4:5], s[8:9]
	s_xor_b64 s[4:5], exec, s[4:5]
	s_cbranch_execz .LBB188_1503
.LBB188_1441:
	s_waitcnt vmcnt(0)
	v_cmp_neq_f32_e32 vcc, 0, v0
	v_cndmask_b32_e64 v1, 0, 1, vcc
	global_store_byte v[4:5], v1, off
	s_or_b64 exec, exec, s[4:5]
	s_and_saveexec_b64 s[4:5], s[6:7]
	s_xor_b64 s[4:5], exec, s[4:5]
	s_cbranch_execz .LBB188_1541
	s_branch .LBB188_1504
.LBB188_1442:
	s_mov_b64 s[8:9], 0
	s_mov_b64 s[6:7], -1
	s_mov_b64 s[4:5], s[40:41]
	s_branch .LBB188_1501
.LBB188_1443:
	s_mov_b64 s[6:7], 0
.LBB188_1444:
	s_and_b64 vcc, exec, s[6:7]
	s_cbranch_vccz .LBB188_1459
; %bb.1445:
	v_cmp_gt_i16_e32 vcc, 27, v3
	s_mov_b64 s[6:7], -1
	s_cbranch_vccnz .LBB188_1451
; %bb.1446:
	v_cvt_u32_f32_e32 v1, v0
	v_cmp_lt_i16_e32 vcc, 27, v3
	s_cbranch_vccz .LBB188_1448
; %bb.1447:
	s_mov_b64 s[6:7], 0
	global_store_dword v[4:5], v1, off
.LBB188_1448:
	s_andn2_b64 vcc, exec, s[6:7]
	s_cbranch_vccnz .LBB188_1450
; %bb.1449:
	global_store_short v[4:5], v1, off
.LBB188_1450:
	s_mov_b64 s[6:7], 0
.LBB188_1451:
	s_andn2_b64 vcc, exec, s[6:7]
	s_cbranch_vccnz .LBB188_1459
; %bb.1452:
	v_and_b32_e32 v1, 0x7fffffff, v0
	s_mov_b32 s6, 0x43800000
	v_cmp_gt_u32_e32 vcc, s6, v1
	v_mov_b32_e32 v2, 0x80
	s_and_saveexec_b64 s[6:7], vcc
	s_cbranch_execz .LBB188_1458
; %bb.1453:
	s_mov_b32 s8, 0x3bffffff
	v_cmp_lt_u32_e32 vcc, s8, v1
	s_mov_b64 s[8:9], 0
                                        ; implicit-def: $vgpr1
	s_and_saveexec_b64 s[10:11], vcc
	s_xor_b64 s[10:11], exec, s[10:11]
	s_cbranch_execz .LBB188_1556
; %bb.1454:
	v_bfe_u32 v1, v0, 20, 1
	s_mov_b32 s12, 0x487ffff
	v_add3_u32 v1, v0, v1, s12
	s_mov_b64 s[8:9], exec
	v_lshrrev_b32_e32 v1, 20, v1
	s_or_saveexec_b64 s[10:11], s[10:11]
                                        ; implicit-def: $sgpr12
	s_xor_b64 exec, exec, s[10:11]
	s_cbranch_execnz .LBB188_1557
.LBB188_1455:
	s_or_b64 exec, exec, s[10:11]
	v_mov_b32_e32 v2, s12
	s_and_saveexec_b64 s[10:11], s[8:9]
.LBB188_1456:
	v_lshrrev_b32_e32 v2, 24, v0
	s_movk_i32 s8, 0x80
	v_and_or_b32 v2, v2, s8, v1
.LBB188_1457:
	s_or_b64 exec, exec, s[10:11]
.LBB188_1458:
	s_or_b64 exec, exec, s[6:7]
	global_store_byte v[4:5], v2, off
.LBB188_1459:
	s_mov_b64 s[8:9], 0
.LBB188_1460:
	s_mov_b64 s[6:7], 0
	s_and_b64 vcc, exec, s[8:9]
	s_cbranch_vccz .LBB188_1500
; %bb.1461:
	v_cmp_lt_i16_e32 vcc, 22, v3
	s_mov_b64 s[8:9], -1
	s_cbranch_vccz .LBB188_1493
; %bb.1462:
	v_cmp_gt_i16_e32 vcc, 24, v3
	s_cbranch_vccnz .LBB188_1482
; %bb.1463:
	v_cmp_lt_i16_e32 vcc, 24, v3
	s_cbranch_vccz .LBB188_1471
; %bb.1464:
	v_and_b32_e32 v1, 0x7fffffff, v0
	s_mov_b32 s8, 0x47800000
	v_cmp_gt_u32_e32 vcc, s8, v1
	v_mov_b32_e32 v2, 0x80
	s_and_saveexec_b64 s[8:9], vcc
	s_cbranch_execz .LBB188_1470
; %bb.1465:
	s_mov_b32 s10, 0x37ffffff
	v_cmp_lt_u32_e32 vcc, s10, v1
	s_mov_b64 s[10:11], 0
                                        ; implicit-def: $vgpr1
	s_and_saveexec_b64 s[12:13], vcc
	s_xor_b64 s[12:13], exec, s[12:13]
	s_cbranch_execz .LBB188_1681
; %bb.1466:
	v_bfe_u32 v1, v0, 21, 1
	s_mov_b32 s14, 0x88fffff
	v_add3_u32 v1, v0, v1, s14
	s_mov_b64 s[10:11], exec
	v_lshrrev_b32_e32 v1, 21, v1
	s_or_saveexec_b64 s[12:13], s[12:13]
                                        ; implicit-def: $sgpr14
	s_xor_b64 exec, exec, s[12:13]
	s_cbranch_execnz .LBB188_1682
.LBB188_1467:
	s_or_b64 exec, exec, s[12:13]
	v_mov_b32_e32 v2, s14
	s_and_saveexec_b64 s[12:13], s[10:11]
.LBB188_1468:
	v_lshrrev_b32_e32 v2, 24, v0
	s_movk_i32 s10, 0x80
	v_and_or_b32 v2, v2, s10, v1
.LBB188_1469:
	s_or_b64 exec, exec, s[12:13]
.LBB188_1470:
	s_or_b64 exec, exec, s[8:9]
	s_mov_b64 s[8:9], 0
	global_store_byte v[4:5], v2, off
.LBB188_1471:
	s_and_b64 vcc, exec, s[8:9]
	s_cbranch_vccz .LBB188_1481
; %bb.1472:
	v_and_b32_e32 v2, 0x7fffffff, v0
	s_mov_b32 s8, 0x43f00000
	v_cmp_gt_u32_e32 vcc, s8, v2
                                        ; implicit-def: $vgpr1
	s_and_saveexec_b64 s[8:9], vcc
	s_xor_b64 s[8:9], exec, s[8:9]
	s_cbranch_execz .LBB188_1478
; %bb.1473:
	s_mov_b32 s10, 0x3c7fffff
	v_cmp_lt_u32_e32 vcc, s10, v2
                                        ; implicit-def: $vgpr1
	s_and_saveexec_b64 s[10:11], vcc
	s_xor_b64 s[10:11], exec, s[10:11]
; %bb.1474:
	v_bfe_u32 v1, v0, 20, 1
	s_mov_b32 s12, 0x407ffff
	v_add3_u32 v1, v0, v1, s12
	v_lshrrev_b32_e32 v2, 20, v1
	v_and_b32_e32 v1, 0xff00000, v1
	s_mov_b32 s12, 0x7f00000
	v_mov_b32_e32 v6, 0x7e
	v_cmp_ne_u32_e32 vcc, s12, v1
	v_cndmask_b32_e32 v1, v6, v2, vcc
; %bb.1475:
	s_andn2_saveexec_b64 s[10:11], s[10:11]
; %bb.1476:
	s_mov_b32 s12, 0x46800000
	v_add_f32_e64 v1, |v0|, s12
; %bb.1477:
	s_or_b64 exec, exec, s[10:11]
                                        ; implicit-def: $vgpr2
.LBB188_1478:
	s_andn2_saveexec_b64 s[8:9], s[8:9]
; %bb.1479:
	s_mov_b32 s10, 0x7f800000
	v_mov_b32_e32 v1, 0x7e
	v_mov_b32_e32 v6, 0x7f
	v_cmp_lt_u32_e32 vcc, s10, v2
	v_cndmask_b32_e32 v1, v1, v6, vcc
; %bb.1480:
	s_or_b64 exec, exec, s[8:9]
	v_lshrrev_b32_e32 v2, 24, v0
	s_movk_i32 s8, 0x80
	v_and_or_b32 v1, v2, s8, v1
	global_store_byte v[4:5], v1, off
.LBB188_1481:
	s_mov_b64 s[8:9], 0
.LBB188_1482:
	s_andn2_b64 vcc, exec, s[8:9]
	s_cbranch_vccnz .LBB188_1492
; %bb.1483:
	v_and_b32_e32 v2, 0x7fffffff, v0
	s_mov_b32 s8, 0x47800000
	v_cmp_gt_u32_e32 vcc, s8, v2
                                        ; implicit-def: $vgpr1
	s_and_saveexec_b64 s[8:9], vcc
	s_xor_b64 s[8:9], exec, s[8:9]
	s_cbranch_execz .LBB188_1489
; %bb.1484:
	s_mov_b32 s10, 0x387fffff
	v_cmp_lt_u32_e32 vcc, s10, v2
                                        ; implicit-def: $vgpr1
	s_and_saveexec_b64 s[10:11], vcc
	s_xor_b64 s[10:11], exec, s[10:11]
; %bb.1485:
	v_bfe_u32 v1, v0, 21, 1
	s_mov_b32 s12, 0x80fffff
	v_add3_u32 v1, v0, v1, s12
	v_lshrrev_b32_e32 v1, 21, v1
; %bb.1486:
	s_andn2_saveexec_b64 s[10:11], s[10:11]
; %bb.1487:
	s_mov_b32 s12, 0x43000000
	v_add_f32_e64 v1, |v0|, s12
; %bb.1488:
	s_or_b64 exec, exec, s[10:11]
                                        ; implicit-def: $vgpr2
.LBB188_1489:
	s_andn2_saveexec_b64 s[8:9], s[8:9]
; %bb.1490:
	s_mov_b32 s10, 0x7f800000
	v_mov_b32_e32 v1, 0x7c
	v_mov_b32_e32 v6, 0x7f
	v_cmp_lt_u32_e32 vcc, s10, v2
	v_cndmask_b32_e32 v1, v1, v6, vcc
; %bb.1491:
	s_or_b64 exec, exec, s[8:9]
	v_lshrrev_b32_e32 v2, 24, v0
	s_movk_i32 s8, 0x80
	v_and_or_b32 v1, v2, s8, v1
	global_store_byte v[4:5], v1, off
.LBB188_1492:
	s_mov_b64 s[8:9], 0
.LBB188_1493:
	s_andn2_b64 vcc, exec, s[8:9]
	s_mov_b64 s[8:9], 0
	s_cbranch_vccnz .LBB188_1501
; %bb.1494:
	v_cmp_lt_i16_e32 vcc, 14, v3
	s_mov_b64 s[10:11], -1
	s_cbranch_vccz .LBB188_1498
; %bb.1495:
	v_cmp_eq_u16_e32 vcc, 15, v3
	s_mov_b64 s[4:5], -1
	s_cbranch_vccz .LBB188_1497
; %bb.1496:
	v_bfe_u32 v1, v0, 16, 1
	s_movk_i32 s4, 0x7fff
	v_add3_u32 v1, v0, v1, s4
	v_lshrrev_b32_e32 v1, 16, v1
	v_mov_b32_e32 v2, 0x7fc0
	v_cmp_o_f32_e32 vcc, v0, v0
	v_cndmask_b32_e32 v1, v2, v1, vcc
	global_store_short v[4:5], v1, off
	s_mov_b64 s[4:5], 0
.LBB188_1497:
	s_mov_b64 s[10:11], 0
.LBB188_1498:
	s_and_b64 vcc, exec, s[10:11]
	s_cbranch_vccz .LBB188_1501
; %bb.1499:
	v_cmp_ne_u16_e32 vcc, 11, v3
	s_andn2_b64 s[4:5], s[4:5], exec
	s_and_b64 s[10:11], vcc, exec
	s_mov_b64 s[8:9], -1
	s_or_b64 s[4:5], s[4:5], s[10:11]
	s_branch .LBB188_1501
.LBB188_1500:
	s_mov_b64 s[8:9], 0
.LBB188_1501:
	s_andn2_b64 s[10:11], s[40:41], exec
	s_and_b64 s[4:5], s[4:5], exec
	s_and_b64 s[6:7], s[6:7], exec
	s_and_b64 s[8:9], s[8:9], exec
	s_or_b64 s[40:41], s[10:11], s[4:5]
	s_or_b64 exec, exec, s[42:43]
	s_and_saveexec_b64 s[4:5], s[40:41]
	s_cbranch_execz .LBB188_1440
.LBB188_1502:
	s_or_b64 s[46:47], s[46:47], exec
	s_andn2_b64 s[8:9], s[8:9], exec
	s_trap 2
	s_or_b64 exec, exec, s[4:5]
	s_and_saveexec_b64 s[4:5], s[8:9]
	s_xor_b64 s[4:5], exec, s[4:5]
	s_cbranch_execnz .LBB188_1441
.LBB188_1503:
	s_or_b64 exec, exec, s[4:5]
	s_and_saveexec_b64 s[4:5], s[6:7]
	s_xor_b64 s[4:5], exec, s[4:5]
	s_cbranch_execz .LBB188_1541
.LBB188_1504:
	v_cmp_gt_i16_e32 vcc, 5, v3
	s_mov_b64 s[6:7], -1
	s_cbranch_vccnz .LBB188_1525
; %bb.1505:
	v_cmp_gt_i16_e32 vcc, 8, v3
	s_cbranch_vccnz .LBB188_1515
; %bb.1506:
	v_cmp_gt_i16_e32 vcc, 9, v3
	s_cbranch_vccnz .LBB188_1512
; %bb.1507:
	v_cmp_lt_i16_e32 vcc, 9, v3
	s_cbranch_vccz .LBB188_1509
; %bb.1508:
	v_mov_b32_e32 v8, 0
	s_waitcnt vmcnt(0)
	v_cvt_f64_f32_e32 v[6:7], v0
	v_mov_b32_e32 v9, v8
	s_mov_b64 s[6:7], 0
	global_store_dwordx4 v[4:5], v[6:9], off
.LBB188_1509:
	s_andn2_b64 vcc, exec, s[6:7]
	s_cbranch_vccnz .LBB188_1511
; %bb.1510:
	s_waitcnt vmcnt(0)
	v_mov_b32_e32 v1, 0
	global_store_dwordx2 v[4:5], v[0:1], off
.LBB188_1511:
	s_mov_b64 s[6:7], 0
.LBB188_1512:
	s_andn2_b64 vcc, exec, s[6:7]
	s_cbranch_vccnz .LBB188_1514
; %bb.1513:
	s_waitcnt vmcnt(0)
	v_cvt_f16_f32_e32 v1, v0
	global_store_dword v[4:5], v1, off
.LBB188_1514:
	s_mov_b64 s[6:7], 0
.LBB188_1515:
	s_andn2_b64 vcc, exec, s[6:7]
	s_cbranch_vccnz .LBB188_1524
; %bb.1516:
	v_cmp_gt_i16_e32 vcc, 6, v3
	s_mov_b64 s[6:7], -1
	s_cbranch_vccnz .LBB188_1522
; %bb.1517:
	v_cmp_lt_i16_e32 vcc, 6, v3
	s_cbranch_vccz .LBB188_1519
; %bb.1518:
	s_waitcnt vmcnt(0)
	v_cvt_f64_f32_e32 v[6:7], v0
	s_mov_b64 s[6:7], 0
	global_store_dwordx2 v[4:5], v[6:7], off
.LBB188_1519:
	s_andn2_b64 vcc, exec, s[6:7]
	s_cbranch_vccnz .LBB188_1521
; %bb.1520:
	s_waitcnt vmcnt(0)
	global_store_dword v[4:5], v0, off
.LBB188_1521:
	s_mov_b64 s[6:7], 0
.LBB188_1522:
	s_andn2_b64 vcc, exec, s[6:7]
	s_cbranch_vccnz .LBB188_1524
; %bb.1523:
	s_waitcnt vmcnt(0)
	v_cvt_f16_f32_e32 v1, v0
	global_store_short v[4:5], v1, off
.LBB188_1524:
	s_mov_b64 s[6:7], 0
.LBB188_1525:
	s_andn2_b64 vcc, exec, s[6:7]
	s_cbranch_vccnz .LBB188_1541
; %bb.1526:
	v_cmp_gt_i16_e32 vcc, 2, v3
	s_mov_b64 s[6:7], -1
	s_cbranch_vccnz .LBB188_1536
; %bb.1527:
	v_cmp_gt_i16_e32 vcc, 3, v3
	s_cbranch_vccnz .LBB188_1533
; %bb.1528:
	v_cmp_lt_i16_e32 vcc, 3, v3
	s_cbranch_vccz .LBB188_1530
; %bb.1529:
	s_waitcnt vmcnt(0)
	v_trunc_f32_e32 v1, v0
	s_mov_b32 s6, 0x2f800000
	v_mul_f32_e64 v2, |v1|, s6
	v_floor_f32_e32 v2, v2
	s_mov_b32 s6, 0xcf800000
	v_cvt_u32_f32_e32 v6, v2
	v_fma_f32 v2, v2, s6, |v1|
	v_cvt_u32_f32_e32 v2, v2
	v_ashrrev_i32_e32 v1, 31, v1
	v_xor_b32_e32 v7, v6, v1
	s_mov_b64 s[6:7], 0
	v_xor_b32_e32 v2, v2, v1
	v_sub_co_u32_e32 v6, vcc, v2, v1
	v_subb_co_u32_e32 v7, vcc, v7, v1, vcc
	global_store_dwordx2 v[4:5], v[6:7], off
.LBB188_1530:
	s_andn2_b64 vcc, exec, s[6:7]
	s_cbranch_vccnz .LBB188_1532
; %bb.1531:
	s_waitcnt vmcnt(0)
	v_cvt_i32_f32_e32 v1, v0
	global_store_dword v[4:5], v1, off
.LBB188_1532:
	s_mov_b64 s[6:7], 0
.LBB188_1533:
	s_andn2_b64 vcc, exec, s[6:7]
	s_cbranch_vccnz .LBB188_1535
; %bb.1534:
	s_waitcnt vmcnt(0)
	v_cvt_i32_f32_e32 v1, v0
	global_store_short v[4:5], v1, off
.LBB188_1535:
	s_mov_b64 s[6:7], 0
.LBB188_1536:
	s_andn2_b64 vcc, exec, s[6:7]
	s_cbranch_vccnz .LBB188_1541
; %bb.1537:
	v_cmp_lt_i16_e32 vcc, 0, v3
	s_mov_b64 s[6:7], -1
	s_cbranch_vccz .LBB188_1539
; %bb.1538:
	s_waitcnt vmcnt(0)
	v_cvt_i32_f32_e32 v1, v0
	s_mov_b64 s[6:7], 0
	global_store_byte v[4:5], v1, off
.LBB188_1539:
	s_andn2_b64 vcc, exec, s[6:7]
	s_cbranch_vccnz .LBB188_1541
; %bb.1540:
	s_waitcnt vmcnt(0)
	v_trunc_f32_e32 v0, v0
	s_mov_b32 s6, 0x2f800000
	v_mul_f32_e64 v1, |v0|, s6
	v_floor_f32_e32 v1, v1
	s_mov_b32 s6, 0xcf800000
	v_fma_f32 v1, v1, s6, |v0|
	v_cvt_u32_f32_e32 v1, v1
	v_ashrrev_i32_e32 v0, 31, v0
	v_xor_b32_e32 v1, v1, v0
	v_sub_u32_e32 v0, v1, v0
	global_store_byte v[4:5], v0, off
.LBB188_1541:
	s_or_b64 exec, exec, s[4:5]
	s_and_b64 s[40:41], s[46:47], exec
                                        ; implicit-def: $vgpr37
                                        ; implicit-def: $vgpr35
                                        ; implicit-def: $vgpr38
                                        ; implicit-def: $vgpr36
.LBB188_1542:
	s_or_saveexec_b64 s[34:35], s[34:35]
	s_mov_b64 s[4:5], 0
                                        ; implicit-def: $vgpr4
                                        ; implicit-def: $vgpr2_vgpr3
                                        ; implicit-def: $vgpr0
	s_xor_b64 exec, exec, s[34:35]
	s_cbranch_execz .LBB188_3032
; %bb.1543:
	v_mul_lo_u32 v5, s37, v37
	s_waitcnt vmcnt(0)
	v_ashrrev_i32_e32 v0, 31, v5
	v_mov_b32_e32 v1, s27
	v_add_co_u32_e32 v2, vcc, s26, v5
	v_addc_co_u32_e32 v3, vcc, v1, v0, vcc
	v_mov_b32_e32 v0, 11
	v_cmp_lt_i16_sdwa s[4:5], v35, v0 src0_sel:BYTE_0 src1_sel:DWORD
	s_and_b64 vcc, exec, s[4:5]
	s_cbranch_vccnz .LBB188_1550
; %bb.1544:
	v_mov_b32_e32 v0, 25
	v_cmp_gt_i16_sdwa s[4:5], v35, v0 src0_sel:BYTE_0 src1_sel:DWORD
	s_mov_b64 s[6:7], 0
	s_and_b64 vcc, exec, s[4:5]
	s_cbranch_vccz .LBB188_1552
; %bb.1545:
	v_mov_b32_e32 v0, 28
	v_cmp_gt_i16_sdwa s[4:5], v35, v0 src0_sel:BYTE_0 src1_sel:DWORD
	s_and_b64 vcc, exec, s[4:5]
	s_cbranch_vccz .LBB188_1553
; %bb.1546:
	v_mov_b32_e32 v0, 43
	v_cmp_gt_i16_sdwa s[4:5], v35, v0 src0_sel:BYTE_0 src1_sel:DWORD
	;; [unrolled: 5-line block ×3, first 2 shown]
	s_and_b64 vcc, exec, s[4:5]
	s_cbranch_vccz .LBB188_1555
; %bb.1548:
	v_mov_b32_e32 v0, 46
	v_cmp_eq_u16_sdwa s[4:5], v35, v0 src0_sel:BYTE_0 src1_sel:DWORD
	s_mov_b64 s[10:11], 0
	s_and_b64 vcc, exec, s[4:5]
	s_cbranch_vccz .LBB188_1558
; %bb.1549:
	global_load_dword v0, v[2:3], off
	s_mov_b64 s[4:5], 0
	s_mov_b64 s[8:9], -1
	s_waitcnt vmcnt(0)
	v_lshlrev_b32_e32 v0, 16, v0
	s_branch .LBB188_1559
.LBB188_1550:
	s_mov_b64 s[8:9], 0
                                        ; implicit-def: $vgpr0
	s_mov_b64 s[42:43], s[40:41]
	s_cbranch_execnz .LBB188_1622
.LBB188_1551:
	s_andn2_b64 vcc, exec, s[8:9]
	s_cbranch_vccz .LBB188_1667
	s_branch .LBB188_3030
.LBB188_1552:
	s_mov_b64 s[8:9], 0
	s_mov_b64 s[4:5], 0
                                        ; implicit-def: $vgpr0
	s_cbranch_execnz .LBB188_1587
	s_branch .LBB188_1618
.LBB188_1553:
	s_mov_b64 s[10:11], -1
	s_mov_b64 s[8:9], 0
	s_mov_b64 s[4:5], 0
                                        ; implicit-def: $vgpr0
	s_branch .LBB188_1568
.LBB188_1554:
	s_mov_b64 s[8:9], 0
	s_mov_b64 s[4:5], 0
                                        ; implicit-def: $vgpr0
	s_cbranch_execnz .LBB188_1564
	s_branch .LBB188_1567
.LBB188_1555:
	s_mov_b64 s[10:11], -1
	s_mov_b64 s[8:9], 0
	s_mov_b64 s[4:5], 0
                                        ; implicit-def: $vgpr0
	s_branch .LBB188_1559
.LBB188_1556:
	s_or_saveexec_b64 s[10:11], s[10:11]
                                        ; implicit-def: $sgpr12
	s_xor_b64 exec, exec, s[10:11]
	s_cbranch_execz .LBB188_1455
.LBB188_1557:
	s_mov_b32 s12, 0x46000000
	v_add_f32_e64 v1, |v0|, s12
	v_and_b32_e32 v1, 0xff, v1
	v_cmp_ne_u32_e32 vcc, 0, v1
	s_andn2_b64 s[8:9], s[8:9], exec
	s_and_b64 s[14:15], vcc, exec
	s_mov_b32 s12, 0
	s_or_b64 s[8:9], s[8:9], s[14:15]
	s_or_b64 exec, exec, s[10:11]
	v_mov_b32_e32 v2, s12
	s_and_saveexec_b64 s[10:11], s[8:9]
	s_cbranch_execnz .LBB188_1456
	s_branch .LBB188_1457
.LBB188_1558:
	s_mov_b64 s[4:5], -1
                                        ; implicit-def: $vgpr0
	s_mov_b64 s[8:9], 0
.LBB188_1559:
	s_and_b64 vcc, exec, s[10:11]
	s_cbranch_vccz .LBB188_1562
; %bb.1560:
	v_mov_b32_e32 v0, 44
	v_cmp_eq_u16_sdwa s[4:5], v35, v0 src0_sel:BYTE_0 src1_sel:DWORD
	s_and_b64 vcc, exec, s[4:5]
	s_cbranch_vccz .LBB188_1563
; %bb.1561:
	global_load_ubyte v0, v[2:3], off
	s_movk_i32 s8, 0xff
	v_mov_b32_e32 v1, 0x7f800001
	v_mov_b32_e32 v4, 0x400000
	s_mov_b64 s[4:5], 0
	s_waitcnt vmcnt(0)
	v_lshlrev_b32_e32 v6, 23, v0
	v_cmp_ne_u32_e32 vcc, s8, v0
	v_cndmask_b32_e32 v1, v1, v6, vcc
	v_cmp_ne_u32_e32 vcc, 0, v0
	v_cndmask_b32_e32 v0, v4, v1, vcc
	s_mov_b64 s[8:9], -1
.LBB188_1562:
	s_branch .LBB188_1567
.LBB188_1563:
	s_mov_b64 s[4:5], -1
                                        ; implicit-def: $vgpr0
	s_branch .LBB188_1567
.LBB188_1564:
	v_mov_b32_e32 v0, 29
	v_cmp_eq_u16_sdwa s[4:5], v35, v0 src0_sel:BYTE_0 src1_sel:DWORD
	s_and_b64 vcc, exec, s[4:5]
	s_cbranch_vccz .LBB188_1566
; %bb.1565:
	global_load_dwordx2 v[0:1], v[2:3], off
	s_mov_b64 s[4:5], 0
	s_mov_b64 s[8:9], -1
	s_mov_b64 s[10:11], 0
	s_waitcnt vmcnt(0)
	v_ffbh_u32_e32 v4, v1
	v_min_u32_e32 v4, 32, v4
	v_lshlrev_b64 v[0:1], v4, v[0:1]
	v_min_u32_e32 v0, 1, v0
	v_or_b32_e32 v0, v1, v0
	v_cvt_f32_u32_e32 v0, v0
	v_sub_u32_e32 v1, 32, v4
	v_ldexp_f32 v0, v0, v1
	s_branch .LBB188_1568
.LBB188_1566:
	s_mov_b64 s[4:5], -1
                                        ; implicit-def: $vgpr0
.LBB188_1567:
	s_mov_b64 s[10:11], 0
.LBB188_1568:
	s_and_b64 vcc, exec, s[10:11]
	s_cbranch_vccz .LBB188_1586
; %bb.1569:
	v_mov_b32_e32 v0, 27
	v_cmp_lt_i16_sdwa s[8:9], v35, v0 src0_sel:BYTE_0 src1_sel:DWORD
	s_and_b64 vcc, exec, s[8:9]
	s_cbranch_vccnz .LBB188_1572
; %bb.1570:
	v_cmp_gt_i16_sdwa s[8:9], v35, v0 src0_sel:BYTE_0 src1_sel:DWORD
	s_and_b64 vcc, exec, s[8:9]
	s_cbranch_vccz .LBB188_1573
; %bb.1571:
	global_load_dword v0, v[2:3], off
	s_mov_b64 s[8:9], 0
	s_waitcnt vmcnt(0)
	v_cvt_f32_u32_e32 v0, v0
	s_branch .LBB188_1574
.LBB188_1572:
	s_mov_b64 s[8:9], -1
                                        ; implicit-def: $vgpr0
	s_branch .LBB188_1577
.LBB188_1573:
	s_mov_b64 s[8:9], -1
                                        ; implicit-def: $vgpr0
.LBB188_1574:
	s_andn2_b64 vcc, exec, s[8:9]
	s_cbranch_vccnz .LBB188_1576
; %bb.1575:
	global_load_ushort v0, v[2:3], off
	s_waitcnt vmcnt(0)
	v_cvt_f32_u32_e32 v0, v0
.LBB188_1576:
	s_mov_b64 s[8:9], 0
.LBB188_1577:
	s_andn2_b64 vcc, exec, s[8:9]
	s_cbranch_vccnz .LBB188_1585
; %bb.1578:
	global_load_ubyte v1, v[2:3], off
	s_movk_i32 s8, 0x7f
                                        ; implicit-def: $sgpr14
	s_waitcnt vmcnt(0)
	v_cmp_lt_i16_e32 vcc, s8, v1
	s_mov_b64 s[8:9], 0
	s_and_saveexec_b64 s[10:11], vcc
	s_xor_b64 s[10:11], exec, s[10:11]
	s_cbranch_execz .LBB188_1598
; %bb.1579:
	s_movk_i32 s8, 0x80
	v_cmp_eq_u16_e32 vcc, s8, v1
	s_mov_b64 s[8:9], -1
                                        ; implicit-def: $sgpr14
	s_and_saveexec_b64 s[12:13], vcc
; %bb.1580:
	s_mov_b32 s14, 0x7f800001
	s_xor_b64 s[8:9], exec, -1
; %bb.1581:
	s_or_b64 exec, exec, s[12:13]
	s_and_b64 s[8:9], s[8:9], exec
	s_or_saveexec_b64 s[10:11], s[10:11]
	v_mov_b32_e32 v0, s14
	s_xor_b64 exec, exec, s[10:11]
	s_cbranch_execnz .LBB188_1599
.LBB188_1582:
	s_or_b64 exec, exec, s[10:11]
	s_and_saveexec_b64 s[10:11], s[8:9]
	s_cbranch_execz .LBB188_1584
.LBB188_1583:
	v_lshlrev_b32_e32 v0, 24, v1
	v_and_b32_e32 v1, 0xffff, v1
	v_and_b32_e32 v4, 7, v1
	v_ffbh_u32_e32 v7, v4
	v_min_u32_e32 v7, 32, v7
	v_subrev_u32_e32 v8, 28, v7
	v_bfe_u32 v6, v1, 3, 4
	v_lshlrev_b32_e32 v1, v8, v1
	v_sub_u32_e32 v7, 29, v7
	v_and_b32_e32 v1, 7, v1
	v_cmp_eq_u32_e32 vcc, 0, v6
	v_cndmask_b32_e32 v6, v6, v7, vcc
	v_cndmask_b32_e32 v1, v4, v1, vcc
	v_mov_b32_e32 v4, 0x3b800000
	v_lshlrev_b32_e32 v1, 20, v1
	v_and_b32_e32 v0, 0x80000000, v0
	v_lshl_add_u32 v4, v6, 23, v4
	v_or3_b32 v0, v0, v4, v1
.LBB188_1584:
	s_or_b64 exec, exec, s[10:11]
.LBB188_1585:
	s_mov_b64 s[8:9], -1
.LBB188_1586:
	s_branch .LBB188_1618
.LBB188_1587:
	v_mov_b32_e32 v0, 22
	v_cmp_gt_i16_sdwa s[6:7], v35, v0 src0_sel:BYTE_0 src1_sel:DWORD
	s_and_b64 vcc, exec, s[6:7]
	s_cbranch_vccz .LBB188_1597
; %bb.1588:
	v_mov_b32_e32 v0, 24
	v_cmp_lt_i16_sdwa s[6:7], v35, v0 src0_sel:BYTE_0 src1_sel:DWORD
	s_and_b64 vcc, exec, s[6:7]
	s_cbranch_vccnz .LBB188_1600
; %bb.1589:
	v_cmp_gt_i16_sdwa s[6:7], v35, v0 src0_sel:BYTE_0 src1_sel:DWORD
	s_and_b64 vcc, exec, s[6:7]
	s_cbranch_vccz .LBB188_1601
; %bb.1590:
	global_load_ubyte v1, v[2:3], off
	s_movk_i32 s6, 0x7f
                                        ; implicit-def: $sgpr12
	s_waitcnt vmcnt(0)
	v_cmp_lt_i16_e32 vcc, s6, v1
	s_mov_b64 s[6:7], 0
	s_and_saveexec_b64 s[8:9], vcc
	s_xor_b64 s[8:9], exec, s[8:9]
	s_cbranch_execz .LBB188_1612
; %bb.1591:
	s_movk_i32 s6, 0x80
	v_cmp_eq_u16_e32 vcc, s6, v1
	s_mov_b64 s[6:7], -1
                                        ; implicit-def: $sgpr12
	s_and_saveexec_b64 s[10:11], vcc
; %bb.1592:
	s_mov_b32 s12, 0x7f800001
	s_xor_b64 s[6:7], exec, -1
; %bb.1593:
	s_or_b64 exec, exec, s[10:11]
	s_and_b64 s[6:7], s[6:7], exec
	s_or_saveexec_b64 s[8:9], s[8:9]
	v_mov_b32_e32 v0, s12
	s_xor_b64 exec, exec, s[8:9]
	s_cbranch_execnz .LBB188_1613
.LBB188_1594:
	s_or_b64 exec, exec, s[8:9]
	s_and_saveexec_b64 s[8:9], s[6:7]
	s_cbranch_execz .LBB188_1596
.LBB188_1595:
	v_lshlrev_b32_e32 v0, 24, v1
	v_and_b32_e32 v1, 0xffff, v1
	v_and_b32_e32 v4, 3, v1
	v_ffbh_u32_e32 v7, v4
	v_min_u32_e32 v7, 32, v7
	v_subrev_u32_e32 v8, 29, v7
	v_bfe_u32 v6, v1, 2, 5
	v_lshlrev_b32_e32 v1, v8, v1
	v_sub_u32_e32 v7, 30, v7
	v_and_b32_e32 v1, 3, v1
	v_cmp_eq_u32_e32 vcc, 0, v6
	v_cndmask_b32_e32 v6, v6, v7, vcc
	v_cndmask_b32_e32 v1, v4, v1, vcc
	v_mov_b32_e32 v4, 0x37800000
	v_lshlrev_b32_e32 v1, 21, v1
	v_and_b32_e32 v0, 0x80000000, v0
	v_lshl_add_u32 v4, v6, 23, v4
	v_or3_b32 v0, v0, v4, v1
.LBB188_1596:
	s_or_b64 exec, exec, s[8:9]
	s_mov_b64 s[6:7], 0
	s_branch .LBB188_1602
.LBB188_1597:
                                        ; implicit-def: $vgpr0
	s_mov_b64 s[6:7], 0
	s_branch .LBB188_1608
.LBB188_1598:
	s_or_saveexec_b64 s[10:11], s[10:11]
	v_mov_b32_e32 v0, s14
	s_xor_b64 exec, exec, s[10:11]
	s_cbranch_execz .LBB188_1582
.LBB188_1599:
	v_cmp_ne_u16_e32 vcc, 0, v1
	s_andn2_b64 s[8:9], s[8:9], exec
	s_and_b64 s[12:13], vcc, exec
	v_mov_b32_e32 v0, 0
	s_or_b64 s[8:9], s[8:9], s[12:13]
	s_or_b64 exec, exec, s[10:11]
	s_and_saveexec_b64 s[10:11], s[8:9]
	s_cbranch_execnz .LBB188_1583
	s_branch .LBB188_1584
.LBB188_1600:
	s_mov_b64 s[6:7], -1
                                        ; implicit-def: $vgpr0
	s_branch .LBB188_1605
.LBB188_1601:
	s_mov_b64 s[6:7], -1
                                        ; implicit-def: $vgpr0
.LBB188_1602:
	s_and_b64 vcc, exec, s[6:7]
	s_cbranch_vccz .LBB188_1604
; %bb.1603:
	global_load_ubyte v0, v[2:3], off
	s_mov_b32 s6, 0x7f800000
	s_waitcnt vmcnt(0)
	v_lshlrev_b32_e32 v0, 24, v0
	v_and_b32_e32 v1, 0x7f000000, v0
	v_ffbh_u32_e32 v4, v1
	v_min_u32_e32 v4, 32, v4
	v_sub_u32_e64 v4, v4, 4 clamp
	v_lshlrev_b32_e32 v7, v4, v1
	v_lshlrev_b32_e32 v4, 23, v4
	v_lshrrev_b32_e32 v7, 4, v7
	v_add_u32_e32 v6, 0x1000000, v1
	v_sub_u32_e32 v4, v7, v4
	v_ashrrev_i32_e32 v6, 8, v6
	v_add_u32_e32 v4, 0x3c000000, v4
	v_and_or_b32 v4, v6, s6, v4
	v_cmp_ne_u32_e32 vcc, 0, v1
	v_cndmask_b32_e32 v1, 0, v4, vcc
	s_brev_b32 s6, 1
	v_and_or_b32 v0, v0, s6, v1
.LBB188_1604:
	s_mov_b64 s[6:7], 0
.LBB188_1605:
	s_andn2_b64 vcc, exec, s[6:7]
	s_cbranch_vccnz .LBB188_1607
; %bb.1606:
	global_load_ubyte v0, v[2:3], off
	s_movk_i32 s6, 0x7f00
	s_brev_b32 s7, 16
	s_waitcnt vmcnt(0)
	v_lshlrev_b16_e32 v1, 8, v0
	v_lshlrev_b32_e32 v0, 25, v0
	v_lshrrev_b32_e32 v4, 4, v0
	v_and_or_b32 v6, v1, s6, 0.5
	v_or_b32_e32 v4, 0x70000000, v4
	v_add_f32_e32 v6, -0.5, v6
	v_mul_f32_e32 v4, 0x7800000, v4
	v_cmp_gt_u32_e32 vcc, s7, v0
	v_bfe_i32 v1, v1, 0, 16
	v_cndmask_b32_e32 v0, v4, v6, vcc
	s_brev_b32 s6, 1
	v_and_or_b32 v0, v1, s6, v0
.LBB188_1607:
	s_mov_b64 s[8:9], -1
	s_mov_b64 s[6:7], 0
	s_cbranch_execnz .LBB188_1618
.LBB188_1608:
	v_mov_b32_e32 v0, 14
	v_cmp_gt_i16_sdwa s[6:7], v35, v0 src0_sel:BYTE_0 src1_sel:DWORD
	s_and_b64 vcc, exec, s[6:7]
	s_cbranch_vccz .LBB188_1611
; %bb.1609:
	v_mov_b32_e32 v0, 15
	v_cmp_eq_u16_sdwa s[4:5], v35, v0 src0_sel:BYTE_0 src1_sel:DWORD
	s_and_b64 vcc, exec, s[4:5]
	s_cbranch_vccz .LBB188_1614
; %bb.1610:
	global_load_ushort v0, v[2:3], off
	s_mov_b64 s[4:5], 0
	s_mov_b64 s[8:9], -1
	s_waitcnt vmcnt(0)
	v_lshlrev_b32_e32 v0, 16, v0
	s_branch .LBB188_1615
.LBB188_1611:
	s_mov_b64 s[10:11], -1
                                        ; implicit-def: $vgpr0
	s_branch .LBB188_1616
.LBB188_1612:
	s_or_saveexec_b64 s[8:9], s[8:9]
	v_mov_b32_e32 v0, s12
	s_xor_b64 exec, exec, s[8:9]
	s_cbranch_execz .LBB188_1594
.LBB188_1613:
	v_cmp_ne_u16_e32 vcc, 0, v1
	s_andn2_b64 s[6:7], s[6:7], exec
	s_and_b64 s[10:11], vcc, exec
	v_mov_b32_e32 v0, 0
	s_or_b64 s[6:7], s[6:7], s[10:11]
	s_or_b64 exec, exec, s[8:9]
	s_and_saveexec_b64 s[8:9], s[6:7]
	s_cbranch_execnz .LBB188_1595
	s_branch .LBB188_1596
.LBB188_1614:
	s_mov_b64 s[4:5], -1
                                        ; implicit-def: $vgpr0
.LBB188_1615:
	s_mov_b64 s[10:11], 0
.LBB188_1616:
	s_mov_b64 s[6:7], 0
	s_and_b64 vcc, exec, s[10:11]
	s_cbranch_vccz .LBB188_1618
; %bb.1617:
	v_mov_b32_e32 v0, 11
	v_cmp_ne_u16_sdwa s[4:5], v35, v0 src0_sel:BYTE_0 src1_sel:DWORD
	s_mov_b64 s[6:7], -1
                                        ; implicit-def: $vgpr0
.LBB188_1618:
	s_and_b64 vcc, exec, s[4:5]
	s_mov_b64 s[42:43], s[40:41]
	s_cbranch_vccnz .LBB188_1679
; %bb.1619:
	s_andn2_b64 vcc, exec, s[6:7]
	s_cbranch_vccnz .LBB188_1621
.LBB188_1620:
	global_load_ubyte v0, v[2:3], off
	s_mov_b64 s[8:9], -1
	s_waitcnt vmcnt(0)
	v_cmp_ne_u16_e32 vcc, 0, v0
	v_cndmask_b32_e64 v0, 0, 1.0, vcc
.LBB188_1621:
	s_branch .LBB188_1551
.LBB188_1622:
	v_mov_b32_e32 v0, 5
	v_cmp_lt_i16_sdwa s[4:5], v35, v0 src0_sel:BYTE_0 src1_sel:DWORD
	s_and_b64 vcc, exec, s[4:5]
	s_cbranch_vccnz .LBB188_1627
; %bb.1623:
	v_mov_b32_e32 v0, 8
	v_cmp_lt_i16_sdwa s[4:5], v35, v0 src0_sel:BYTE_0 src1_sel:DWORD
	s_and_b64 vcc, exec, s[4:5]
	s_cbranch_vccnz .LBB188_1628
; %bb.1624:
	;; [unrolled: 5-line block ×3, first 2 shown]
	v_cmp_gt_i16_sdwa s[4:5], v35, v0 src0_sel:BYTE_0 src1_sel:DWORD
	s_and_b64 vcc, exec, s[4:5]
	s_cbranch_vccz .LBB188_1630
; %bb.1626:
	global_load_dwordx2 v[0:1], v[2:3], off
	s_mov_b64 s[4:5], 0
	s_waitcnt vmcnt(0)
	v_cvt_f32_f64_e32 v0, v[0:1]
	s_branch .LBB188_1631
.LBB188_1627:
                                        ; implicit-def: $vgpr0
	s_branch .LBB188_1648
.LBB188_1628:
                                        ; implicit-def: $vgpr0
	s_branch .LBB188_1637
.LBB188_1629:
	s_mov_b64 s[4:5], -1
                                        ; implicit-def: $vgpr0
	s_branch .LBB188_1634
.LBB188_1630:
	s_mov_b64 s[4:5], -1
                                        ; implicit-def: $vgpr0
.LBB188_1631:
	s_andn2_b64 vcc, exec, s[4:5]
	s_cbranch_vccnz .LBB188_1633
; %bb.1632:
	global_load_dword v0, v[2:3], off
.LBB188_1633:
	s_mov_b64 s[4:5], 0
.LBB188_1634:
	s_andn2_b64 vcc, exec, s[4:5]
	s_cbranch_vccnz .LBB188_1636
; %bb.1635:
	global_load_dword v0, v[2:3], off
	s_waitcnt vmcnt(0)
	v_cvt_f32_f16_e32 v0, v0
.LBB188_1636:
	s_cbranch_execnz .LBB188_1647
.LBB188_1637:
	s_waitcnt vmcnt(0)
	v_mov_b32_e32 v0, 6
	v_cmp_lt_i16_sdwa s[4:5], v35, v0 src0_sel:BYTE_0 src1_sel:DWORD
	s_and_b64 vcc, exec, s[4:5]
	s_cbranch_vccnz .LBB188_1640
; %bb.1638:
	v_cmp_gt_i16_sdwa s[4:5], v35, v0 src0_sel:BYTE_0 src1_sel:DWORD
	s_and_b64 vcc, exec, s[4:5]
	s_cbranch_vccz .LBB188_1641
; %bb.1639:
	global_load_dwordx2 v[0:1], v[2:3], off
	s_mov_b64 s[4:5], 0
	s_waitcnt vmcnt(0)
	v_cvt_f32_f64_e32 v0, v[0:1]
	s_branch .LBB188_1642
.LBB188_1640:
	s_mov_b64 s[4:5], -1
                                        ; implicit-def: $vgpr0
	s_branch .LBB188_1645
.LBB188_1641:
	s_mov_b64 s[4:5], -1
                                        ; implicit-def: $vgpr0
.LBB188_1642:
	s_andn2_b64 vcc, exec, s[4:5]
	s_cbranch_vccnz .LBB188_1644
; %bb.1643:
	global_load_dword v0, v[2:3], off
.LBB188_1644:
	s_mov_b64 s[4:5], 0
.LBB188_1645:
	s_andn2_b64 vcc, exec, s[4:5]
	s_cbranch_vccnz .LBB188_1647
; %bb.1646:
	global_load_ushort v0, v[2:3], off
	s_waitcnt vmcnt(0)
	v_cvt_f32_f16_e32 v0, v0
.LBB188_1647:
	s_cbranch_execnz .LBB188_1666
.LBB188_1648:
	s_waitcnt vmcnt(0)
	v_mov_b32_e32 v0, 2
	v_cmp_lt_i16_sdwa s[4:5], v35, v0 src0_sel:BYTE_0 src1_sel:DWORD
	s_and_b64 vcc, exec, s[4:5]
	s_cbranch_vccnz .LBB188_1652
; %bb.1649:
	v_mov_b32_e32 v0, 3
	v_cmp_lt_i16_sdwa s[4:5], v35, v0 src0_sel:BYTE_0 src1_sel:DWORD
	s_and_b64 vcc, exec, s[4:5]
	s_cbranch_vccnz .LBB188_1653
; %bb.1650:
	v_cmp_gt_i16_sdwa s[4:5], v35, v0 src0_sel:BYTE_0 src1_sel:DWORD
	s_and_b64 vcc, exec, s[4:5]
	s_cbranch_vccz .LBB188_1654
; %bb.1651:
	global_load_dwordx2 v[0:1], v[2:3], off
	s_mov_b64 s[4:5], 0
	s_waitcnt vmcnt(0)
	v_xor_b32_e32 v6, v0, v1
	v_ffbh_i32_e32 v4, v1
	v_ashrrev_i32_e32 v6, 31, v6
	v_add_u32_e32 v4, -1, v4
	v_add_u32_e32 v6, 32, v6
	v_min_u32_e32 v4, v4, v6
	v_lshlrev_b64 v[0:1], v4, v[0:1]
	v_min_u32_e32 v0, 1, v0
	v_or_b32_e32 v0, v1, v0
	v_cvt_f32_i32_e32 v0, v0
	v_sub_u32_e32 v1, 32, v4
	v_ldexp_f32 v0, v0, v1
	s_branch .LBB188_1655
.LBB188_1652:
                                        ; implicit-def: $vgpr0
	s_branch .LBB188_1661
.LBB188_1653:
	s_mov_b64 s[4:5], -1
                                        ; implicit-def: $vgpr0
	s_branch .LBB188_1658
.LBB188_1654:
	s_mov_b64 s[4:5], -1
                                        ; implicit-def: $vgpr0
.LBB188_1655:
	s_andn2_b64 vcc, exec, s[4:5]
	s_cbranch_vccnz .LBB188_1657
; %bb.1656:
	global_load_dword v0, v[2:3], off
	s_waitcnt vmcnt(0)
	v_cvt_f32_i32_e32 v0, v0
.LBB188_1657:
	s_mov_b64 s[4:5], 0
.LBB188_1658:
	s_andn2_b64 vcc, exec, s[4:5]
	s_cbranch_vccnz .LBB188_1660
; %bb.1659:
	global_load_sshort v0, v[2:3], off
	s_waitcnt vmcnt(0)
	v_cvt_f32_i32_e32 v0, v0
.LBB188_1660:
	s_cbranch_execnz .LBB188_1666
.LBB188_1661:
	v_mov_b32_e32 v0, 0
	v_cmp_gt_i16_sdwa s[4:5], v35, v0 src0_sel:BYTE_0 src1_sel:DWORD
	s_and_b64 vcc, exec, s[4:5]
	s_cbranch_vccz .LBB188_1663
; %bb.1662:
	global_load_sbyte v0, v[2:3], off
	s_mov_b64 s[4:5], 0
	s_waitcnt vmcnt(0)
	v_cvt_f32_i32_e32 v0, v0
	s_branch .LBB188_1664
.LBB188_1663:
	s_mov_b64 s[4:5], -1
                                        ; implicit-def: $vgpr0
.LBB188_1664:
	s_andn2_b64 vcc, exec, s[4:5]
	s_cbranch_vccnz .LBB188_1666
; %bb.1665:
	global_load_ubyte v0, v[2:3], off
	s_waitcnt vmcnt(0)
	v_cvt_f32_ubyte0_e32 v0, v0
.LBB188_1666:
.LBB188_1667:
	v_mul_lo_u32 v4, s38, v37
	v_ashrrev_i32_e32 v1, 31, v4
	v_mov_b32_e32 v3, s23
	v_add_co_u32_e32 v2, vcc, s22, v4
	v_addc_co_u32_e32 v3, vcc, v3, v1, vcc
	v_mov_b32_e32 v1, 11
	v_cmp_lt_i16_sdwa s[4:5], v38, v1 src0_sel:BYTE_0 src1_sel:DWORD
	s_and_b64 vcc, exec, s[4:5]
	s_cbranch_vccnz .LBB188_1674
; %bb.1668:
	v_mov_b32_e32 v1, 25
	v_cmp_gt_i16_sdwa s[4:5], v38, v1 src0_sel:BYTE_0 src1_sel:DWORD
	s_mov_b64 s[6:7], 0
	s_and_b64 vcc, exec, s[4:5]
	s_cbranch_vccz .LBB188_1676
; %bb.1669:
	v_mov_b32_e32 v1, 28
	v_cmp_gt_i16_sdwa s[4:5], v38, v1 src0_sel:BYTE_0 src1_sel:DWORD
	s_and_b64 vcc, exec, s[4:5]
	s_cbranch_vccz .LBB188_1677
; %bb.1670:
	v_mov_b32_e32 v1, 43
	v_cmp_gt_i16_sdwa s[4:5], v38, v1 src0_sel:BYTE_0 src1_sel:DWORD
	;; [unrolled: 5-line block ×3, first 2 shown]
	s_and_b64 vcc, exec, s[4:5]
	s_cbranch_vccz .LBB188_1680
; %bb.1672:
	v_mov_b32_e32 v1, 46
	v_cmp_eq_u16_sdwa s[4:5], v38, v1 src0_sel:BYTE_0 src1_sel:DWORD
	s_mov_b64 s[10:11], 0
	s_and_b64 vcc, exec, s[4:5]
	s_cbranch_vccz .LBB188_1683
; %bb.1673:
	global_load_dword v1, v[2:3], off
	s_mov_b64 s[4:5], 0
	s_mov_b64 s[8:9], -1
	s_waitcnt vmcnt(0)
	v_lshlrev_b32_e32 v1, 16, v1
	s_branch .LBB188_1684
.LBB188_1674:
	s_mov_b64 s[8:9], 0
                                        ; implicit-def: $vgpr1
	s_cbranch_execnz .LBB188_1749
.LBB188_1675:
	s_andn2_b64 vcc, exec, s[8:9]
	s_cbranch_vccnz .LBB188_3030
	s_branch .LBB188_1796
.LBB188_1676:
	s_mov_b64 s[8:9], 0
	s_mov_b64 s[4:5], 0
                                        ; implicit-def: $vgpr1
	s_cbranch_execnz .LBB188_1713
	s_branch .LBB188_1745
.LBB188_1677:
	s_mov_b64 s[10:11], -1
	s_mov_b64 s[8:9], 0
	s_mov_b64 s[4:5], 0
                                        ; implicit-def: $vgpr1
	s_branch .LBB188_1694
.LBB188_1678:
	s_mov_b64 s[10:11], -1
	s_mov_b64 s[8:9], 0
	s_mov_b64 s[4:5], 0
                                        ; implicit-def: $vgpr1
	s_branch .LBB188_1689
.LBB188_1679:
	s_or_b64 s[42:43], s[40:41], exec
	s_trap 2
                                        ; implicit-def: $vgpr0
	s_cbranch_execz .LBB188_1620
	s_branch .LBB188_1621
.LBB188_1680:
	s_mov_b64 s[10:11], -1
	s_mov_b64 s[8:9], 0
	s_mov_b64 s[4:5], 0
                                        ; implicit-def: $vgpr1
	s_branch .LBB188_1684
.LBB188_1681:
	s_or_saveexec_b64 s[12:13], s[12:13]
                                        ; implicit-def: $sgpr14
	s_xor_b64 exec, exec, s[12:13]
	s_cbranch_execz .LBB188_1467
.LBB188_1682:
	s_mov_b32 s14, 0x42800000
	v_add_f32_e64 v1, |v0|, s14
	v_and_b32_e32 v1, 0xff, v1
	v_cmp_ne_u32_e32 vcc, 0, v1
	s_andn2_b64 s[10:11], s[10:11], exec
	s_and_b64 s[16:17], vcc, exec
	s_mov_b32 s14, 0
	s_or_b64 s[10:11], s[10:11], s[16:17]
	s_or_b64 exec, exec, s[12:13]
	v_mov_b32_e32 v2, s14
	s_and_saveexec_b64 s[12:13], s[10:11]
	s_cbranch_execnz .LBB188_1468
	s_branch .LBB188_1469
.LBB188_1683:
	s_mov_b64 s[4:5], -1
                                        ; implicit-def: $vgpr1
	s_mov_b64 s[8:9], 0
.LBB188_1684:
	s_and_b64 vcc, exec, s[10:11]
	s_cbranch_vccz .LBB188_1688
; %bb.1685:
	v_mov_b32_e32 v1, 44
	v_cmp_eq_u16_sdwa s[4:5], v38, v1 src0_sel:BYTE_0 src1_sel:DWORD
	s_and_b64 vcc, exec, s[4:5]
	s_cbranch_vccz .LBB188_1687
; %bb.1686:
	global_load_ubyte v1, v[2:3], off
	s_movk_i32 s8, 0xff
	v_mov_b32_e32 v6, 0x7f800001
	v_mov_b32_e32 v7, 0x400000
	s_mov_b64 s[4:5], 0
	s_waitcnt vmcnt(0)
	v_lshlrev_b32_e32 v8, 23, v1
	v_cmp_ne_u32_e32 vcc, s8, v1
	v_cndmask_b32_e32 v6, v6, v8, vcc
	v_cmp_ne_u32_e32 vcc, 0, v1
	v_cndmask_b32_e32 v1, v7, v6, vcc
	s_mov_b64 s[8:9], -1
	s_branch .LBB188_1688
.LBB188_1687:
	s_mov_b64 s[4:5], -1
                                        ; implicit-def: $vgpr1
.LBB188_1688:
	s_mov_b64 s[10:11], 0
.LBB188_1689:
	s_and_b64 vcc, exec, s[10:11]
	s_cbranch_vccz .LBB188_1693
; %bb.1690:
	v_mov_b32_e32 v1, 29
	v_cmp_eq_u16_sdwa s[4:5], v38, v1 src0_sel:BYTE_0 src1_sel:DWORD
	s_and_b64 vcc, exec, s[4:5]
	s_cbranch_vccz .LBB188_1692
; %bb.1691:
	global_load_dwordx2 v[6:7], v[2:3], off
	s_mov_b64 s[4:5], 0
	s_mov_b64 s[8:9], -1
	s_mov_b64 s[10:11], 0
	s_waitcnt vmcnt(0)
	v_ffbh_u32_e32 v1, v7
	v_min_u32_e32 v1, 32, v1
	v_lshlrev_b64 v[6:7], v1, v[6:7]
	v_min_u32_e32 v6, 1, v6
	v_or_b32_e32 v6, v7, v6
	v_cvt_f32_u32_e32 v6, v6
	v_sub_u32_e32 v1, 32, v1
	v_ldexp_f32 v1, v6, v1
	s_branch .LBB188_1694
.LBB188_1692:
	s_mov_b64 s[4:5], -1
                                        ; implicit-def: $vgpr1
.LBB188_1693:
	s_mov_b64 s[10:11], 0
.LBB188_1694:
	s_and_b64 vcc, exec, s[10:11]
	s_cbranch_vccz .LBB188_1712
; %bb.1695:
	v_mov_b32_e32 v1, 27
	v_cmp_lt_i16_sdwa s[8:9], v38, v1 src0_sel:BYTE_0 src1_sel:DWORD
	s_and_b64 vcc, exec, s[8:9]
	s_cbranch_vccnz .LBB188_1698
; %bb.1696:
	v_cmp_gt_i16_sdwa s[8:9], v38, v1 src0_sel:BYTE_0 src1_sel:DWORD
	s_and_b64 vcc, exec, s[8:9]
	s_cbranch_vccz .LBB188_1699
; %bb.1697:
	global_load_dword v1, v[2:3], off
	s_mov_b64 s[8:9], 0
	s_waitcnt vmcnt(0)
	v_cvt_f32_u32_e32 v1, v1
	s_branch .LBB188_1700
.LBB188_1698:
	s_mov_b64 s[8:9], -1
                                        ; implicit-def: $vgpr1
	s_branch .LBB188_1703
.LBB188_1699:
	s_mov_b64 s[8:9], -1
                                        ; implicit-def: $vgpr1
.LBB188_1700:
	s_andn2_b64 vcc, exec, s[8:9]
	s_cbranch_vccnz .LBB188_1702
; %bb.1701:
	global_load_ushort v1, v[2:3], off
	s_waitcnt vmcnt(0)
	v_cvt_f32_u32_e32 v1, v1
.LBB188_1702:
	s_mov_b64 s[8:9], 0
.LBB188_1703:
	s_andn2_b64 vcc, exec, s[8:9]
	s_cbranch_vccnz .LBB188_1711
; %bb.1704:
	global_load_ubyte v6, v[2:3], off
	s_movk_i32 s8, 0x7f
                                        ; implicit-def: $sgpr14
	s_waitcnt vmcnt(0)
	v_cmp_lt_i16_e32 vcc, s8, v6
	s_mov_b64 s[8:9], 0
	s_and_saveexec_b64 s[10:11], vcc
	s_xor_b64 s[10:11], exec, s[10:11]
	s_cbranch_execz .LBB188_1724
; %bb.1705:
	s_movk_i32 s8, 0x80
	v_cmp_eq_u16_e32 vcc, s8, v6
	s_mov_b64 s[8:9], -1
                                        ; implicit-def: $sgpr14
	s_and_saveexec_b64 s[12:13], vcc
; %bb.1706:
	s_mov_b32 s14, 0x7f800001
	s_xor_b64 s[8:9], exec, -1
; %bb.1707:
	s_or_b64 exec, exec, s[12:13]
	s_and_b64 s[8:9], s[8:9], exec
	s_or_saveexec_b64 s[10:11], s[10:11]
	v_mov_b32_e32 v1, s14
	s_xor_b64 exec, exec, s[10:11]
	s_cbranch_execnz .LBB188_1725
.LBB188_1708:
	s_or_b64 exec, exec, s[10:11]
	s_and_saveexec_b64 s[10:11], s[8:9]
	s_cbranch_execz .LBB188_1710
.LBB188_1709:
	v_lshlrev_b32_e32 v1, 24, v6
	v_and_b32_e32 v6, 0xffff, v6
	v_and_b32_e32 v7, 7, v6
	v_ffbh_u32_e32 v9, v7
	v_min_u32_e32 v9, 32, v9
	v_subrev_u32_e32 v10, 28, v9
	v_bfe_u32 v8, v6, 3, 4
	v_lshlrev_b32_e32 v6, v10, v6
	v_sub_u32_e32 v9, 29, v9
	v_and_b32_e32 v6, 7, v6
	v_cmp_eq_u32_e32 vcc, 0, v8
	v_cndmask_b32_e32 v8, v8, v9, vcc
	v_cndmask_b32_e32 v6, v7, v6, vcc
	v_mov_b32_e32 v7, 0x3b800000
	v_lshlrev_b32_e32 v6, 20, v6
	v_and_b32_e32 v1, 0x80000000, v1
	v_lshl_add_u32 v7, v8, 23, v7
	v_or3_b32 v1, v1, v7, v6
.LBB188_1710:
	s_or_b64 exec, exec, s[10:11]
.LBB188_1711:
	s_mov_b64 s[8:9], -1
.LBB188_1712:
	s_branch .LBB188_1745
.LBB188_1713:
	v_mov_b32_e32 v1, 22
	v_cmp_gt_i16_sdwa s[6:7], v38, v1 src0_sel:BYTE_0 src1_sel:DWORD
	s_and_b64 vcc, exec, s[6:7]
	s_cbranch_vccz .LBB188_1723
; %bb.1714:
	v_mov_b32_e32 v1, 24
	v_cmp_lt_i16_sdwa s[6:7], v38, v1 src0_sel:BYTE_0 src1_sel:DWORD
	s_and_b64 vcc, exec, s[6:7]
	s_cbranch_vccnz .LBB188_1726
; %bb.1715:
	v_cmp_gt_i16_sdwa s[6:7], v38, v1 src0_sel:BYTE_0 src1_sel:DWORD
	s_and_b64 vcc, exec, s[6:7]
	s_cbranch_vccz .LBB188_1727
; %bb.1716:
	global_load_ubyte v6, v[2:3], off
	s_movk_i32 s6, 0x7f
                                        ; implicit-def: $sgpr12
	s_waitcnt vmcnt(0)
	v_cmp_lt_i16_e32 vcc, s6, v6
	s_mov_b64 s[6:7], 0
	s_and_saveexec_b64 s[8:9], vcc
	s_xor_b64 s[8:9], exec, s[8:9]
	s_cbranch_execz .LBB188_1739
; %bb.1717:
	s_movk_i32 s6, 0x80
	v_cmp_eq_u16_e32 vcc, s6, v6
	s_mov_b64 s[6:7], -1
                                        ; implicit-def: $sgpr12
	s_and_saveexec_b64 s[10:11], vcc
; %bb.1718:
	s_mov_b32 s12, 0x7f800001
	s_xor_b64 s[6:7], exec, -1
; %bb.1719:
	s_or_b64 exec, exec, s[10:11]
	s_and_b64 s[6:7], s[6:7], exec
	s_or_saveexec_b64 s[8:9], s[8:9]
	v_mov_b32_e32 v1, s12
	s_xor_b64 exec, exec, s[8:9]
	s_cbranch_execnz .LBB188_1740
.LBB188_1720:
	s_or_b64 exec, exec, s[8:9]
	s_and_saveexec_b64 s[8:9], s[6:7]
	s_cbranch_execz .LBB188_1722
.LBB188_1721:
	v_lshlrev_b32_e32 v1, 24, v6
	v_and_b32_e32 v6, 0xffff, v6
	v_and_b32_e32 v7, 3, v6
	v_ffbh_u32_e32 v9, v7
	v_min_u32_e32 v9, 32, v9
	v_subrev_u32_e32 v10, 29, v9
	v_bfe_u32 v8, v6, 2, 5
	v_lshlrev_b32_e32 v6, v10, v6
	v_sub_u32_e32 v9, 30, v9
	v_and_b32_e32 v6, 3, v6
	v_cmp_eq_u32_e32 vcc, 0, v8
	v_cndmask_b32_e32 v8, v8, v9, vcc
	v_cndmask_b32_e32 v6, v7, v6, vcc
	v_mov_b32_e32 v7, 0x37800000
	v_lshlrev_b32_e32 v6, 21, v6
	v_and_b32_e32 v1, 0x80000000, v1
	v_lshl_add_u32 v7, v8, 23, v7
	v_or3_b32 v1, v1, v7, v6
.LBB188_1722:
	s_or_b64 exec, exec, s[8:9]
	s_mov_b64 s[6:7], 0
	s_branch .LBB188_1728
.LBB188_1723:
	s_mov_b64 s[6:7], -1
                                        ; implicit-def: $vgpr1
	s_branch .LBB188_1734
.LBB188_1724:
	s_or_saveexec_b64 s[10:11], s[10:11]
	v_mov_b32_e32 v1, s14
	s_xor_b64 exec, exec, s[10:11]
	s_cbranch_execz .LBB188_1708
.LBB188_1725:
	v_cmp_ne_u16_e32 vcc, 0, v6
	s_andn2_b64 s[8:9], s[8:9], exec
	s_and_b64 s[12:13], vcc, exec
	v_mov_b32_e32 v1, 0
	s_or_b64 s[8:9], s[8:9], s[12:13]
	s_or_b64 exec, exec, s[10:11]
	s_and_saveexec_b64 s[10:11], s[8:9]
	s_cbranch_execnz .LBB188_1709
	s_branch .LBB188_1710
.LBB188_1726:
	s_mov_b64 s[6:7], -1
                                        ; implicit-def: $vgpr1
	s_branch .LBB188_1731
.LBB188_1727:
	s_mov_b64 s[6:7], -1
                                        ; implicit-def: $vgpr1
.LBB188_1728:
	s_and_b64 vcc, exec, s[6:7]
	s_cbranch_vccz .LBB188_1730
; %bb.1729:
	global_load_ubyte v1, v[2:3], off
	s_mov_b32 s6, 0x7f800000
	s_waitcnt vmcnt(0)
	v_lshlrev_b32_e32 v1, 24, v1
	v_and_b32_e32 v6, 0x7f000000, v1
	v_ffbh_u32_e32 v7, v6
	v_min_u32_e32 v7, 32, v7
	v_sub_u32_e64 v7, v7, 4 clamp
	v_lshlrev_b32_e32 v9, v7, v6
	v_lshlrev_b32_e32 v7, 23, v7
	v_lshrrev_b32_e32 v9, 4, v9
	v_add_u32_e32 v8, 0x1000000, v6
	v_sub_u32_e32 v7, v9, v7
	v_ashrrev_i32_e32 v8, 8, v8
	v_add_u32_e32 v7, 0x3c000000, v7
	v_and_or_b32 v7, v8, s6, v7
	v_cmp_ne_u32_e32 vcc, 0, v6
	v_cndmask_b32_e32 v6, 0, v7, vcc
	s_brev_b32 s6, 1
	v_and_or_b32 v1, v1, s6, v6
.LBB188_1730:
	s_mov_b64 s[6:7], 0
.LBB188_1731:
	s_andn2_b64 vcc, exec, s[6:7]
	s_cbranch_vccnz .LBB188_1733
; %bb.1732:
	global_load_ubyte v1, v[2:3], off
	s_movk_i32 s6, 0x7f00
	s_brev_b32 s7, 16
	s_waitcnt vmcnt(0)
	v_lshlrev_b16_e32 v6, 8, v1
	v_lshlrev_b32_e32 v1, 25, v1
	v_lshrrev_b32_e32 v7, 4, v1
	v_and_or_b32 v8, v6, s6, 0.5
	v_or_b32_e32 v7, 0x70000000, v7
	v_add_f32_e32 v8, -0.5, v8
	v_mul_f32_e32 v7, 0x7800000, v7
	v_cmp_gt_u32_e32 vcc, s7, v1
	v_bfe_i32 v6, v6, 0, 16
	v_cndmask_b32_e32 v1, v7, v8, vcc
	s_brev_b32 s6, 1
	v_and_or_b32 v1, v6, s6, v1
.LBB188_1733:
	s_mov_b64 s[6:7], 0
	s_mov_b64 s[8:9], -1
.LBB188_1734:
	s_andn2_b64 vcc, exec, s[6:7]
	s_mov_b64 s[6:7], 0
	s_cbranch_vccnz .LBB188_1745
; %bb.1735:
	v_mov_b32_e32 v1, 14
	v_cmp_gt_i16_sdwa s[6:7], v38, v1 src0_sel:BYTE_0 src1_sel:DWORD
	s_and_b64 vcc, exec, s[6:7]
	s_cbranch_vccz .LBB188_1738
; %bb.1736:
	v_mov_b32_e32 v1, 15
	v_cmp_eq_u16_sdwa s[4:5], v38, v1 src0_sel:BYTE_0 src1_sel:DWORD
	s_and_b64 vcc, exec, s[4:5]
	s_cbranch_vccz .LBB188_1741
; %bb.1737:
	global_load_ushort v1, v[2:3], off
	s_mov_b64 s[4:5], 0
	s_mov_b64 s[8:9], -1
	s_waitcnt vmcnt(0)
	v_lshlrev_b32_e32 v1, 16, v1
	s_branch .LBB188_1742
.LBB188_1738:
	s_mov_b64 s[10:11], -1
                                        ; implicit-def: $vgpr1
	s_branch .LBB188_1743
.LBB188_1739:
	s_or_saveexec_b64 s[8:9], s[8:9]
	v_mov_b32_e32 v1, s12
	s_xor_b64 exec, exec, s[8:9]
	s_cbranch_execz .LBB188_1720
.LBB188_1740:
	v_cmp_ne_u16_e32 vcc, 0, v6
	s_andn2_b64 s[6:7], s[6:7], exec
	s_and_b64 s[10:11], vcc, exec
	v_mov_b32_e32 v1, 0
	s_or_b64 s[6:7], s[6:7], s[10:11]
	s_or_b64 exec, exec, s[8:9]
	s_and_saveexec_b64 s[8:9], s[6:7]
	s_cbranch_execnz .LBB188_1721
	s_branch .LBB188_1722
.LBB188_1741:
	s_mov_b64 s[4:5], -1
                                        ; implicit-def: $vgpr1
.LBB188_1742:
	s_mov_b64 s[10:11], 0
.LBB188_1743:
	s_mov_b64 s[6:7], 0
	s_and_b64 vcc, exec, s[10:11]
	s_cbranch_vccz .LBB188_1745
; %bb.1744:
	v_mov_b32_e32 v1, 11
	v_cmp_ne_u16_sdwa s[4:5], v38, v1 src0_sel:BYTE_0 src1_sel:DWORD
	s_mov_b64 s[6:7], -1
                                        ; implicit-def: $vgpr1
.LBB188_1745:
	s_and_b64 vcc, exec, s[4:5]
	s_cbranch_vccnz .LBB188_1808
; %bb.1746:
	s_andn2_b64 vcc, exec, s[6:7]
	s_cbranch_vccnz .LBB188_1748
.LBB188_1747:
	global_load_ubyte v1, v[2:3], off
	s_mov_b64 s[8:9], -1
	s_waitcnt vmcnt(0)
	v_cmp_ne_u16_e32 vcc, 0, v1
	v_cndmask_b32_e64 v1, 0, 1.0, vcc
.LBB188_1748:
	s_branch .LBB188_1675
.LBB188_1749:
	v_mov_b32_e32 v1, 5
	v_cmp_lt_i16_sdwa s[4:5], v38, v1 src0_sel:BYTE_0 src1_sel:DWORD
	s_and_b64 vcc, exec, s[4:5]
	s_cbranch_vccnz .LBB188_1754
; %bb.1750:
	v_mov_b32_e32 v1, 8
	v_cmp_lt_i16_sdwa s[4:5], v38, v1 src0_sel:BYTE_0 src1_sel:DWORD
	s_and_b64 vcc, exec, s[4:5]
	s_cbranch_vccnz .LBB188_1755
; %bb.1751:
	;; [unrolled: 5-line block ×3, first 2 shown]
	v_cmp_gt_i16_sdwa s[4:5], v38, v1 src0_sel:BYTE_0 src1_sel:DWORD
	s_and_b64 vcc, exec, s[4:5]
	s_cbranch_vccz .LBB188_1757
; %bb.1753:
	global_load_dwordx2 v[6:7], v[2:3], off
	s_mov_b64 s[4:5], 0
	s_waitcnt vmcnt(0)
	v_cvt_f32_f64_e32 v1, v[6:7]
	s_branch .LBB188_1758
.LBB188_1754:
                                        ; implicit-def: $vgpr1
	s_branch .LBB188_1776
.LBB188_1755:
	s_mov_b64 s[4:5], -1
                                        ; implicit-def: $vgpr1
	s_branch .LBB188_1764
.LBB188_1756:
	s_mov_b64 s[4:5], -1
                                        ; implicit-def: $vgpr1
	s_branch .LBB188_1761
.LBB188_1757:
	s_mov_b64 s[4:5], -1
                                        ; implicit-def: $vgpr1
.LBB188_1758:
	s_andn2_b64 vcc, exec, s[4:5]
	s_cbranch_vccnz .LBB188_1760
; %bb.1759:
	global_load_dword v1, v[2:3], off
.LBB188_1760:
	s_mov_b64 s[4:5], 0
.LBB188_1761:
	s_andn2_b64 vcc, exec, s[4:5]
	s_cbranch_vccnz .LBB188_1763
; %bb.1762:
	global_load_dword v1, v[2:3], off
	s_waitcnt vmcnt(0)
	v_cvt_f32_f16_e32 v1, v1
.LBB188_1763:
	s_mov_b64 s[4:5], 0
.LBB188_1764:
	s_andn2_b64 vcc, exec, s[4:5]
	s_cbranch_vccnz .LBB188_1775
; %bb.1765:
	s_waitcnt vmcnt(0)
	v_mov_b32_e32 v1, 6
	v_cmp_lt_i16_sdwa s[4:5], v38, v1 src0_sel:BYTE_0 src1_sel:DWORD
	s_and_b64 vcc, exec, s[4:5]
	s_cbranch_vccnz .LBB188_1768
; %bb.1766:
	v_cmp_gt_i16_sdwa s[4:5], v38, v1 src0_sel:BYTE_0 src1_sel:DWORD
	s_and_b64 vcc, exec, s[4:5]
	s_cbranch_vccz .LBB188_1769
; %bb.1767:
	global_load_dwordx2 v[6:7], v[2:3], off
	s_mov_b64 s[4:5], 0
	s_waitcnt vmcnt(0)
	v_cvt_f32_f64_e32 v1, v[6:7]
	s_branch .LBB188_1770
.LBB188_1768:
	s_mov_b64 s[4:5], -1
                                        ; implicit-def: $vgpr1
	s_branch .LBB188_1773
.LBB188_1769:
	s_mov_b64 s[4:5], -1
                                        ; implicit-def: $vgpr1
.LBB188_1770:
	s_andn2_b64 vcc, exec, s[4:5]
	s_cbranch_vccnz .LBB188_1772
; %bb.1771:
	global_load_dword v1, v[2:3], off
.LBB188_1772:
	s_mov_b64 s[4:5], 0
.LBB188_1773:
	s_andn2_b64 vcc, exec, s[4:5]
	s_cbranch_vccnz .LBB188_1775
; %bb.1774:
	global_load_ushort v1, v[2:3], off
	s_waitcnt vmcnt(0)
	v_cvt_f32_f16_e32 v1, v1
.LBB188_1775:
	s_cbranch_execnz .LBB188_1795
.LBB188_1776:
	s_waitcnt vmcnt(0)
	v_mov_b32_e32 v1, 2
	v_cmp_lt_i16_sdwa s[4:5], v38, v1 src0_sel:BYTE_0 src1_sel:DWORD
	s_and_b64 vcc, exec, s[4:5]
	s_cbranch_vccnz .LBB188_1780
; %bb.1777:
	v_mov_b32_e32 v1, 3
	v_cmp_lt_i16_sdwa s[4:5], v38, v1 src0_sel:BYTE_0 src1_sel:DWORD
	s_and_b64 vcc, exec, s[4:5]
	s_cbranch_vccnz .LBB188_1781
; %bb.1778:
	v_cmp_gt_i16_sdwa s[4:5], v38, v1 src0_sel:BYTE_0 src1_sel:DWORD
	s_and_b64 vcc, exec, s[4:5]
	s_cbranch_vccz .LBB188_1782
; %bb.1779:
	global_load_dwordx2 v[6:7], v[2:3], off
	s_mov_b64 s[4:5], 0
	s_waitcnt vmcnt(0)
	v_xor_b32_e32 v8, v6, v7
	v_ffbh_i32_e32 v1, v7
	v_ashrrev_i32_e32 v8, 31, v8
	v_add_u32_e32 v1, -1, v1
	v_add_u32_e32 v8, 32, v8
	v_min_u32_e32 v1, v1, v8
	v_lshlrev_b64 v[6:7], v1, v[6:7]
	v_min_u32_e32 v6, 1, v6
	v_or_b32_e32 v6, v7, v6
	v_cvt_f32_i32_e32 v6, v6
	v_sub_u32_e32 v1, 32, v1
	v_ldexp_f32 v1, v6, v1
	s_branch .LBB188_1783
.LBB188_1780:
	s_mov_b64 s[4:5], -1
                                        ; implicit-def: $vgpr1
	s_branch .LBB188_1789
.LBB188_1781:
	s_mov_b64 s[4:5], -1
                                        ; implicit-def: $vgpr1
	s_branch .LBB188_1786
.LBB188_1782:
	s_mov_b64 s[4:5], -1
                                        ; implicit-def: $vgpr1
.LBB188_1783:
	s_andn2_b64 vcc, exec, s[4:5]
	s_cbranch_vccnz .LBB188_1785
; %bb.1784:
	global_load_dword v1, v[2:3], off
	s_waitcnt vmcnt(0)
	v_cvt_f32_i32_e32 v1, v1
.LBB188_1785:
	s_mov_b64 s[4:5], 0
.LBB188_1786:
	s_andn2_b64 vcc, exec, s[4:5]
	s_cbranch_vccnz .LBB188_1788
; %bb.1787:
	global_load_sshort v1, v[2:3], off
	s_waitcnt vmcnt(0)
	v_cvt_f32_i32_e32 v1, v1
.LBB188_1788:
	s_mov_b64 s[4:5], 0
.LBB188_1789:
	s_andn2_b64 vcc, exec, s[4:5]
	s_cbranch_vccnz .LBB188_1795
; %bb.1790:
	v_mov_b32_e32 v1, 0
	v_cmp_gt_i16_sdwa s[4:5], v38, v1 src0_sel:BYTE_0 src1_sel:DWORD
	s_and_b64 vcc, exec, s[4:5]
	s_cbranch_vccz .LBB188_1792
; %bb.1791:
	global_load_sbyte v1, v[2:3], off
	s_mov_b64 s[4:5], 0
	s_waitcnt vmcnt(0)
	v_cvt_f32_i32_e32 v1, v1
	s_branch .LBB188_1793
.LBB188_1792:
	s_mov_b64 s[4:5], -1
                                        ; implicit-def: $vgpr1
.LBB188_1793:
	s_andn2_b64 vcc, exec, s[4:5]
	s_cbranch_vccnz .LBB188_1795
; %bb.1794:
	global_load_ubyte v1, v[2:3], off
	s_waitcnt vmcnt(0)
	v_cvt_f32_ubyte0_e32 v1, v1
.LBB188_1795:
.LBB188_1796:
	s_lshl_b32 s14, s37, 7
	v_add_u32_e32 v5, s14, v5
	v_ashrrev_i32_e32 v3, 31, v5
	v_mov_b32_e32 v6, s27
	v_add_co_u32_e32 v2, vcc, s26, v5
	v_addc_co_u32_e32 v3, vcc, v6, v3, vcc
	v_mov_b32_e32 v6, 11
	v_cmp_lt_i16_sdwa s[4:5], v35, v6 src0_sel:BYTE_0 src1_sel:DWORD
	s_and_b64 vcc, exec, s[4:5]
	s_cbranch_vccnz .LBB188_1803
; %bb.1797:
	v_mov_b32_e32 v6, 25
	v_cmp_gt_i16_sdwa s[4:5], v35, v6 src0_sel:BYTE_0 src1_sel:DWORD
	s_mov_b64 s[6:7], 0
	s_and_b64 vcc, exec, s[4:5]
	s_cbranch_vccz .LBB188_1805
; %bb.1798:
	v_mov_b32_e32 v6, 28
	v_cmp_gt_i16_sdwa s[4:5], v35, v6 src0_sel:BYTE_0 src1_sel:DWORD
	s_and_b64 vcc, exec, s[4:5]
	s_cbranch_vccz .LBB188_1806
; %bb.1799:
	v_mov_b32_e32 v6, 43
	v_cmp_gt_i16_sdwa s[4:5], v35, v6 src0_sel:BYTE_0 src1_sel:DWORD
	;; [unrolled: 5-line block ×3, first 2 shown]
	s_and_b64 vcc, exec, s[4:5]
	s_cbranch_vccz .LBB188_1809
; %bb.1801:
	v_mov_b32_e32 v6, 46
	v_cmp_eq_u16_sdwa s[4:5], v35, v6 src0_sel:BYTE_0 src1_sel:DWORD
	s_mov_b64 s[10:11], 0
	s_and_b64 vcc, exec, s[4:5]
	s_cbranch_vccz .LBB188_1810
; %bb.1802:
	global_load_dword v6, v[2:3], off
	s_mov_b64 s[4:5], 0
	s_mov_b64 s[8:9], -1
	s_waitcnt vmcnt(0)
	v_lshlrev_b32_e32 v30, 16, v6
	s_branch .LBB188_1811
.LBB188_1803:
	s_mov_b64 s[8:9], 0
                                        ; implicit-def: $vgpr30
	s_cbranch_execnz .LBB188_1877
.LBB188_1804:
	s_andn2_b64 vcc, exec, s[8:9]
	s_cbranch_vccnz .LBB188_3030
	s_branch .LBB188_1925
.LBB188_1805:
	s_mov_b64 s[10:11], -1
	s_mov_b64 s[8:9], 0
	s_mov_b64 s[4:5], 0
                                        ; implicit-def: $vgpr30
	s_branch .LBB188_1840
.LBB188_1806:
	s_mov_b64 s[10:11], -1
	s_mov_b64 s[8:9], 0
	s_mov_b64 s[4:5], 0
                                        ; implicit-def: $vgpr30
	s_branch .LBB188_1821
.LBB188_1807:
	s_mov_b64 s[10:11], -1
	s_mov_b64 s[8:9], 0
	s_mov_b64 s[4:5], 0
                                        ; implicit-def: $vgpr30
	s_branch .LBB188_1816
.LBB188_1808:
	s_trap 2
	s_or_b64 s[42:43], s[42:43], exec
                                        ; implicit-def: $vgpr1
	s_cbranch_execz .LBB188_1747
	s_branch .LBB188_1748
.LBB188_1809:
	s_mov_b64 s[10:11], -1
	s_mov_b64 s[8:9], 0
	s_mov_b64 s[4:5], 0
                                        ; implicit-def: $vgpr30
	s_branch .LBB188_1811
.LBB188_1810:
	s_mov_b64 s[4:5], -1
                                        ; implicit-def: $vgpr30
	s_mov_b64 s[8:9], 0
.LBB188_1811:
	s_and_b64 vcc, exec, s[10:11]
	s_cbranch_vccz .LBB188_1815
; %bb.1812:
	v_mov_b32_e32 v6, 44
	v_cmp_eq_u16_sdwa s[4:5], v35, v6 src0_sel:BYTE_0 src1_sel:DWORD
	s_and_b64 vcc, exec, s[4:5]
	s_cbranch_vccz .LBB188_1814
; %bb.1813:
	global_load_ubyte v6, v[2:3], off
	s_movk_i32 s8, 0xff
	v_mov_b32_e32 v7, 0x7f800001
	v_mov_b32_e32 v8, 0x400000
	s_mov_b64 s[4:5], 0
	s_waitcnt vmcnt(0)
	v_lshlrev_b32_e32 v9, 23, v6
	v_cmp_ne_u32_e32 vcc, s8, v6
	v_cndmask_b32_e32 v7, v7, v9, vcc
	v_cmp_ne_u32_e32 vcc, 0, v6
	v_cndmask_b32_e32 v30, v8, v7, vcc
	s_mov_b64 s[8:9], -1
	s_branch .LBB188_1815
.LBB188_1814:
	s_mov_b64 s[4:5], -1
                                        ; implicit-def: $vgpr30
.LBB188_1815:
	s_mov_b64 s[10:11], 0
.LBB188_1816:
	s_and_b64 vcc, exec, s[10:11]
	s_cbranch_vccz .LBB188_1820
; %bb.1817:
	v_mov_b32_e32 v6, 29
	v_cmp_eq_u16_sdwa s[4:5], v35, v6 src0_sel:BYTE_0 src1_sel:DWORD
	s_and_b64 vcc, exec, s[4:5]
	s_cbranch_vccz .LBB188_1819
; %bb.1818:
	global_load_dwordx2 v[6:7], v[2:3], off
	s_mov_b64 s[4:5], 0
	s_mov_b64 s[8:9], -1
	s_mov_b64 s[10:11], 0
	s_waitcnt vmcnt(0)
	v_ffbh_u32_e32 v8, v7
	v_min_u32_e32 v8, 32, v8
	v_lshlrev_b64 v[6:7], v8, v[6:7]
	v_min_u32_e32 v6, 1, v6
	v_or_b32_e32 v6, v7, v6
	v_cvt_f32_u32_e32 v6, v6
	v_sub_u32_e32 v7, 32, v8
	v_ldexp_f32 v30, v6, v7
	s_branch .LBB188_1821
.LBB188_1819:
	s_mov_b64 s[4:5], -1
                                        ; implicit-def: $vgpr30
.LBB188_1820:
	s_mov_b64 s[10:11], 0
.LBB188_1821:
	s_and_b64 vcc, exec, s[10:11]
	s_cbranch_vccz .LBB188_1839
; %bb.1822:
	v_mov_b32_e32 v6, 27
	v_cmp_lt_i16_sdwa s[8:9], v35, v6 src0_sel:BYTE_0 src1_sel:DWORD
	s_and_b64 vcc, exec, s[8:9]
	s_cbranch_vccnz .LBB188_1825
; %bb.1823:
	v_cmp_gt_i16_sdwa s[8:9], v35, v6 src0_sel:BYTE_0 src1_sel:DWORD
	s_and_b64 vcc, exec, s[8:9]
	s_cbranch_vccz .LBB188_1826
; %bb.1824:
	global_load_dword v6, v[2:3], off
	s_mov_b64 s[8:9], 0
	s_waitcnt vmcnt(0)
	v_cvt_f32_u32_e32 v30, v6
	s_branch .LBB188_1827
.LBB188_1825:
	s_mov_b64 s[8:9], -1
                                        ; implicit-def: $vgpr30
	s_branch .LBB188_1830
.LBB188_1826:
	s_mov_b64 s[8:9], -1
                                        ; implicit-def: $vgpr30
.LBB188_1827:
	s_andn2_b64 vcc, exec, s[8:9]
	s_cbranch_vccnz .LBB188_1829
; %bb.1828:
	global_load_ushort v6, v[2:3], off
	s_waitcnt vmcnt(0)
	v_cvt_f32_u32_e32 v30, v6
.LBB188_1829:
	s_mov_b64 s[8:9], 0
.LBB188_1830:
	s_andn2_b64 vcc, exec, s[8:9]
	s_cbranch_vccnz .LBB188_1838
; %bb.1831:
	global_load_ubyte v6, v[2:3], off
	s_movk_i32 s8, 0x7f
                                        ; implicit-def: $sgpr15
	s_waitcnt vmcnt(0)
	v_cmp_lt_i16_e32 vcc, s8, v6
	s_mov_b64 s[8:9], 0
	s_and_saveexec_b64 s[10:11], vcc
	s_xor_b64 s[10:11], exec, s[10:11]
	s_cbranch_execz .LBB188_1852
; %bb.1832:
	s_movk_i32 s8, 0x80
	v_cmp_eq_u16_e32 vcc, s8, v6
	s_mov_b64 s[8:9], -1
                                        ; implicit-def: $sgpr15
	s_and_saveexec_b64 s[12:13], vcc
; %bb.1833:
	s_mov_b32 s15, 0x7f800001
	s_xor_b64 s[8:9], exec, -1
; %bb.1834:
	s_or_b64 exec, exec, s[12:13]
	s_and_b64 s[8:9], s[8:9], exec
	s_or_saveexec_b64 s[10:11], s[10:11]
	v_mov_b32_e32 v30, s15
	s_xor_b64 exec, exec, s[10:11]
	s_cbranch_execnz .LBB188_1853
.LBB188_1835:
	s_or_b64 exec, exec, s[10:11]
	s_and_saveexec_b64 s[10:11], s[8:9]
	s_cbranch_execz .LBB188_1837
.LBB188_1836:
	v_lshlrev_b32_e32 v7, 24, v6
	v_and_b32_e32 v6, 0xffff, v6
	v_and_b32_e32 v8, 7, v6
	v_ffbh_u32_e32 v10, v8
	v_min_u32_e32 v10, 32, v10
	v_subrev_u32_e32 v11, 28, v10
	v_bfe_u32 v9, v6, 3, 4
	v_lshlrev_b32_e32 v6, v11, v6
	v_sub_u32_e32 v10, 29, v10
	v_and_b32_e32 v6, 7, v6
	v_cmp_eq_u32_e32 vcc, 0, v9
	v_cndmask_b32_e32 v9, v9, v10, vcc
	v_cndmask_b32_e32 v6, v8, v6, vcc
	v_mov_b32_e32 v8, 0x3b800000
	v_lshlrev_b32_e32 v6, 20, v6
	v_and_b32_e32 v7, 0x80000000, v7
	v_lshl_add_u32 v8, v9, 23, v8
	v_or3_b32 v30, v7, v8, v6
.LBB188_1837:
	s_or_b64 exec, exec, s[10:11]
.LBB188_1838:
	s_mov_b64 s[8:9], -1
.LBB188_1839:
	s_mov_b64 s[10:11], 0
.LBB188_1840:
	s_and_b64 vcc, exec, s[10:11]
	s_cbranch_vccz .LBB188_1873
; %bb.1841:
	v_mov_b32_e32 v6, 22
	v_cmp_gt_i16_sdwa s[6:7], v35, v6 src0_sel:BYTE_0 src1_sel:DWORD
	s_and_b64 vcc, exec, s[6:7]
	s_cbranch_vccz .LBB188_1851
; %bb.1842:
	v_mov_b32_e32 v6, 24
	v_cmp_lt_i16_sdwa s[6:7], v35, v6 src0_sel:BYTE_0 src1_sel:DWORD
	s_and_b64 vcc, exec, s[6:7]
	s_cbranch_vccnz .LBB188_1854
; %bb.1843:
	v_cmp_gt_i16_sdwa s[6:7], v35, v6 src0_sel:BYTE_0 src1_sel:DWORD
	s_and_b64 vcc, exec, s[6:7]
	s_cbranch_vccz .LBB188_1855
; %bb.1844:
	global_load_ubyte v6, v[2:3], off
	s_movk_i32 s6, 0x7f
                                        ; implicit-def: $sgpr12
	s_waitcnt vmcnt(0)
	v_cmp_lt_i16_e32 vcc, s6, v6
	s_mov_b64 s[6:7], 0
	s_and_saveexec_b64 s[8:9], vcc
	s_xor_b64 s[8:9], exec, s[8:9]
	s_cbranch_execz .LBB188_1867
; %bb.1845:
	s_movk_i32 s6, 0x80
	v_cmp_eq_u16_e32 vcc, s6, v6
	s_mov_b64 s[6:7], -1
                                        ; implicit-def: $sgpr12
	s_and_saveexec_b64 s[10:11], vcc
; %bb.1846:
	s_mov_b32 s12, 0x7f800001
	s_xor_b64 s[6:7], exec, -1
; %bb.1847:
	s_or_b64 exec, exec, s[10:11]
	s_and_b64 s[6:7], s[6:7], exec
	s_or_saveexec_b64 s[8:9], s[8:9]
	v_mov_b32_e32 v30, s12
	s_xor_b64 exec, exec, s[8:9]
	s_cbranch_execnz .LBB188_1868
.LBB188_1848:
	s_or_b64 exec, exec, s[8:9]
	s_and_saveexec_b64 s[8:9], s[6:7]
	s_cbranch_execz .LBB188_1850
.LBB188_1849:
	v_lshlrev_b32_e32 v7, 24, v6
	v_and_b32_e32 v6, 0xffff, v6
	v_and_b32_e32 v8, 3, v6
	v_ffbh_u32_e32 v10, v8
	v_min_u32_e32 v10, 32, v10
	v_subrev_u32_e32 v11, 29, v10
	v_bfe_u32 v9, v6, 2, 5
	v_lshlrev_b32_e32 v6, v11, v6
	v_sub_u32_e32 v10, 30, v10
	v_and_b32_e32 v6, 3, v6
	v_cmp_eq_u32_e32 vcc, 0, v9
	v_cndmask_b32_e32 v9, v9, v10, vcc
	v_cndmask_b32_e32 v6, v8, v6, vcc
	v_mov_b32_e32 v8, 0x37800000
	v_lshlrev_b32_e32 v6, 21, v6
	v_and_b32_e32 v7, 0x80000000, v7
	v_lshl_add_u32 v8, v9, 23, v8
	v_or3_b32 v30, v7, v8, v6
.LBB188_1850:
	s_or_b64 exec, exec, s[8:9]
	s_mov_b64 s[6:7], 0
	s_branch .LBB188_1856
.LBB188_1851:
	s_mov_b64 s[6:7], -1
                                        ; implicit-def: $vgpr30
	s_branch .LBB188_1862
.LBB188_1852:
	s_or_saveexec_b64 s[10:11], s[10:11]
	v_mov_b32_e32 v30, s15
	s_xor_b64 exec, exec, s[10:11]
	s_cbranch_execz .LBB188_1835
.LBB188_1853:
	v_cmp_ne_u16_e32 vcc, 0, v6
	s_andn2_b64 s[8:9], s[8:9], exec
	s_and_b64 s[12:13], vcc, exec
	v_mov_b32_e32 v30, 0
	s_or_b64 s[8:9], s[8:9], s[12:13]
	s_or_b64 exec, exec, s[10:11]
	s_and_saveexec_b64 s[10:11], s[8:9]
	s_cbranch_execnz .LBB188_1836
	s_branch .LBB188_1837
.LBB188_1854:
	s_mov_b64 s[6:7], -1
                                        ; implicit-def: $vgpr30
	s_branch .LBB188_1859
.LBB188_1855:
	s_mov_b64 s[6:7], -1
                                        ; implicit-def: $vgpr30
.LBB188_1856:
	s_and_b64 vcc, exec, s[6:7]
	s_cbranch_vccz .LBB188_1858
; %bb.1857:
	global_load_ubyte v6, v[2:3], off
	s_mov_b32 s6, 0x7f800000
	s_waitcnt vmcnt(0)
	v_lshlrev_b32_e32 v6, 24, v6
	v_and_b32_e32 v7, 0x7f000000, v6
	v_ffbh_u32_e32 v8, v7
	v_min_u32_e32 v8, 32, v8
	v_sub_u32_e64 v8, v8, 4 clamp
	v_lshlrev_b32_e32 v10, v8, v7
	v_lshlrev_b32_e32 v8, 23, v8
	v_lshrrev_b32_e32 v10, 4, v10
	v_add_u32_e32 v9, 0x1000000, v7
	v_sub_u32_e32 v8, v10, v8
	v_ashrrev_i32_e32 v9, 8, v9
	v_add_u32_e32 v8, 0x3c000000, v8
	v_and_or_b32 v8, v9, s6, v8
	v_cmp_ne_u32_e32 vcc, 0, v7
	v_cndmask_b32_e32 v7, 0, v8, vcc
	s_brev_b32 s6, 1
	v_and_or_b32 v30, v6, s6, v7
.LBB188_1858:
	s_mov_b64 s[6:7], 0
.LBB188_1859:
	s_andn2_b64 vcc, exec, s[6:7]
	s_cbranch_vccnz .LBB188_1861
; %bb.1860:
	global_load_ubyte v6, v[2:3], off
	s_movk_i32 s6, 0x7f00
	s_brev_b32 s7, 16
	s_waitcnt vmcnt(0)
	v_lshlrev_b16_e32 v7, 8, v6
	v_lshlrev_b32_e32 v6, 25, v6
	v_lshrrev_b32_e32 v8, 4, v6
	v_and_or_b32 v9, v7, s6, 0.5
	v_or_b32_e32 v8, 0x70000000, v8
	v_add_f32_e32 v9, -0.5, v9
	v_mul_f32_e32 v8, 0x7800000, v8
	v_cmp_gt_u32_e32 vcc, s7, v6
	v_bfe_i32 v7, v7, 0, 16
	v_cndmask_b32_e32 v6, v8, v9, vcc
	s_brev_b32 s6, 1
	v_and_or_b32 v30, v7, s6, v6
.LBB188_1861:
	s_mov_b64 s[6:7], 0
	s_mov_b64 s[8:9], -1
.LBB188_1862:
	s_andn2_b64 vcc, exec, s[6:7]
	s_mov_b64 s[6:7], 0
	s_cbranch_vccnz .LBB188_1873
; %bb.1863:
	v_mov_b32_e32 v6, 14
	v_cmp_gt_i16_sdwa s[6:7], v35, v6 src0_sel:BYTE_0 src1_sel:DWORD
	s_and_b64 vcc, exec, s[6:7]
	s_cbranch_vccz .LBB188_1866
; %bb.1864:
	v_mov_b32_e32 v6, 15
	v_cmp_eq_u16_sdwa s[4:5], v35, v6 src0_sel:BYTE_0 src1_sel:DWORD
	s_and_b64 vcc, exec, s[4:5]
	s_cbranch_vccz .LBB188_1869
; %bb.1865:
	global_load_ushort v6, v[2:3], off
	s_mov_b64 s[4:5], 0
	s_mov_b64 s[8:9], -1
	s_waitcnt vmcnt(0)
	v_lshlrev_b32_e32 v30, 16, v6
	s_branch .LBB188_1870
.LBB188_1866:
	s_mov_b64 s[10:11], -1
                                        ; implicit-def: $vgpr30
	s_branch .LBB188_1871
.LBB188_1867:
	s_or_saveexec_b64 s[8:9], s[8:9]
	v_mov_b32_e32 v30, s12
	s_xor_b64 exec, exec, s[8:9]
	s_cbranch_execz .LBB188_1848
.LBB188_1868:
	v_cmp_ne_u16_e32 vcc, 0, v6
	s_andn2_b64 s[6:7], s[6:7], exec
	s_and_b64 s[10:11], vcc, exec
	v_mov_b32_e32 v30, 0
	s_or_b64 s[6:7], s[6:7], s[10:11]
	s_or_b64 exec, exec, s[8:9]
	s_and_saveexec_b64 s[8:9], s[6:7]
	s_cbranch_execnz .LBB188_1849
	s_branch .LBB188_1850
.LBB188_1869:
	s_mov_b64 s[4:5], -1
                                        ; implicit-def: $vgpr30
.LBB188_1870:
	s_mov_b64 s[10:11], 0
.LBB188_1871:
	s_mov_b64 s[6:7], 0
	s_and_b64 vcc, exec, s[10:11]
	s_cbranch_vccz .LBB188_1873
; %bb.1872:
	v_mov_b32_e32 v6, 11
	v_cmp_ne_u16_sdwa s[4:5], v35, v6 src0_sel:BYTE_0 src1_sel:DWORD
	s_mov_b64 s[6:7], -1
                                        ; implicit-def: $vgpr30
.LBB188_1873:
	s_and_b64 vcc, exec, s[4:5]
	s_cbranch_vccnz .LBB188_1936
; %bb.1874:
	s_andn2_b64 vcc, exec, s[6:7]
	s_cbranch_vccnz .LBB188_1876
.LBB188_1875:
	global_load_ubyte v6, v[2:3], off
	s_mov_b64 s[8:9], -1
	s_waitcnt vmcnt(0)
	v_cmp_ne_u16_e32 vcc, 0, v6
	v_cndmask_b32_e64 v30, 0, 1.0, vcc
.LBB188_1876:
	s_branch .LBB188_1804
.LBB188_1877:
	v_mov_b32_e32 v6, 5
	v_cmp_lt_i16_sdwa s[4:5], v35, v6 src0_sel:BYTE_0 src1_sel:DWORD
	s_and_b64 vcc, exec, s[4:5]
	s_cbranch_vccnz .LBB188_1882
; %bb.1878:
	v_mov_b32_e32 v6, 8
	v_cmp_lt_i16_sdwa s[4:5], v35, v6 src0_sel:BYTE_0 src1_sel:DWORD
	s_and_b64 vcc, exec, s[4:5]
	s_cbranch_vccnz .LBB188_1883
; %bb.1879:
	v_mov_b32_e32 v6, 9
	v_cmp_lt_i16_sdwa s[4:5], v35, v6 src0_sel:BYTE_0 src1_sel:DWORD
	s_and_b64 vcc, exec, s[4:5]
	s_cbranch_vccnz .LBB188_1884
; %bb.1880:
	v_cmp_gt_i16_sdwa s[4:5], v35, v6 src0_sel:BYTE_0 src1_sel:DWORD
	s_and_b64 vcc, exec, s[4:5]
	s_cbranch_vccz .LBB188_1885
; %bb.1881:
	global_load_dwordx2 v[6:7], v[2:3], off
	s_mov_b64 s[4:5], 0
	s_waitcnt vmcnt(0)
	v_cvt_f32_f64_e32 v30, v[6:7]
	s_branch .LBB188_1886
.LBB188_1882:
	s_mov_b64 s[4:5], -1
                                        ; implicit-def: $vgpr30
	s_branch .LBB188_1904
.LBB188_1883:
	s_mov_b64 s[4:5], -1
                                        ; implicit-def: $vgpr30
	s_branch .LBB188_1892
.LBB188_1884:
	s_mov_b64 s[4:5], -1
                                        ; implicit-def: $vgpr30
	s_branch .LBB188_1889
.LBB188_1885:
	s_mov_b64 s[4:5], -1
                                        ; implicit-def: $vgpr30
.LBB188_1886:
	s_andn2_b64 vcc, exec, s[4:5]
	s_cbranch_vccnz .LBB188_1888
; %bb.1887:
	global_load_dword v30, v[2:3], off
.LBB188_1888:
	s_mov_b64 s[4:5], 0
.LBB188_1889:
	s_andn2_b64 vcc, exec, s[4:5]
	s_cbranch_vccnz .LBB188_1891
; %bb.1890:
	global_load_dword v6, v[2:3], off
	s_waitcnt vmcnt(0)
	v_cvt_f32_f16_e32 v30, v6
.LBB188_1891:
	s_mov_b64 s[4:5], 0
.LBB188_1892:
	s_andn2_b64 vcc, exec, s[4:5]
	s_cbranch_vccnz .LBB188_1903
; %bb.1893:
	v_mov_b32_e32 v6, 6
	v_cmp_lt_i16_sdwa s[4:5], v35, v6 src0_sel:BYTE_0 src1_sel:DWORD
	s_and_b64 vcc, exec, s[4:5]
	s_cbranch_vccnz .LBB188_1896
; %bb.1894:
	v_cmp_gt_i16_sdwa s[4:5], v35, v6 src0_sel:BYTE_0 src1_sel:DWORD
	s_and_b64 vcc, exec, s[4:5]
	s_cbranch_vccz .LBB188_1897
; %bb.1895:
	global_load_dwordx2 v[6:7], v[2:3], off
	s_mov_b64 s[4:5], 0
	s_waitcnt vmcnt(0)
	v_cvt_f32_f64_e32 v30, v[6:7]
	s_branch .LBB188_1898
.LBB188_1896:
	s_mov_b64 s[4:5], -1
                                        ; implicit-def: $vgpr30
	s_branch .LBB188_1901
.LBB188_1897:
	s_mov_b64 s[4:5], -1
                                        ; implicit-def: $vgpr30
.LBB188_1898:
	s_andn2_b64 vcc, exec, s[4:5]
	s_cbranch_vccnz .LBB188_1900
; %bb.1899:
	global_load_dword v30, v[2:3], off
.LBB188_1900:
	s_mov_b64 s[4:5], 0
.LBB188_1901:
	s_andn2_b64 vcc, exec, s[4:5]
	s_cbranch_vccnz .LBB188_1903
; %bb.1902:
	global_load_ushort v6, v[2:3], off
	s_waitcnt vmcnt(0)
	v_cvt_f32_f16_e32 v30, v6
.LBB188_1903:
	s_mov_b64 s[4:5], 0
.LBB188_1904:
	s_andn2_b64 vcc, exec, s[4:5]
	s_cbranch_vccnz .LBB188_1924
; %bb.1905:
	v_mov_b32_e32 v6, 2
	v_cmp_lt_i16_sdwa s[4:5], v35, v6 src0_sel:BYTE_0 src1_sel:DWORD
	s_and_b64 vcc, exec, s[4:5]
	s_cbranch_vccnz .LBB188_1909
; %bb.1906:
	v_mov_b32_e32 v6, 3
	v_cmp_lt_i16_sdwa s[4:5], v35, v6 src0_sel:BYTE_0 src1_sel:DWORD
	s_and_b64 vcc, exec, s[4:5]
	s_cbranch_vccnz .LBB188_1910
; %bb.1907:
	v_cmp_gt_i16_sdwa s[4:5], v35, v6 src0_sel:BYTE_0 src1_sel:DWORD
	s_and_b64 vcc, exec, s[4:5]
	s_cbranch_vccz .LBB188_1911
; %bb.1908:
	global_load_dwordx2 v[6:7], v[2:3], off
	s_mov_b64 s[4:5], 0
	s_waitcnt vmcnt(0)
	v_xor_b32_e32 v9, v6, v7
	v_ffbh_i32_e32 v8, v7
	v_ashrrev_i32_e32 v9, 31, v9
	v_add_u32_e32 v8, -1, v8
	v_add_u32_e32 v9, 32, v9
	v_min_u32_e32 v8, v8, v9
	v_lshlrev_b64 v[6:7], v8, v[6:7]
	v_min_u32_e32 v6, 1, v6
	v_or_b32_e32 v6, v7, v6
	v_cvt_f32_i32_e32 v6, v6
	v_sub_u32_e32 v7, 32, v8
	v_ldexp_f32 v30, v6, v7
	s_branch .LBB188_1912
.LBB188_1909:
	s_mov_b64 s[4:5], -1
                                        ; implicit-def: $vgpr30
	s_branch .LBB188_1918
.LBB188_1910:
	s_mov_b64 s[4:5], -1
                                        ; implicit-def: $vgpr30
	s_branch .LBB188_1915
.LBB188_1911:
	s_mov_b64 s[4:5], -1
                                        ; implicit-def: $vgpr30
.LBB188_1912:
	s_andn2_b64 vcc, exec, s[4:5]
	s_cbranch_vccnz .LBB188_1914
; %bb.1913:
	global_load_dword v6, v[2:3], off
	s_waitcnt vmcnt(0)
	v_cvt_f32_i32_e32 v30, v6
.LBB188_1914:
	s_mov_b64 s[4:5], 0
.LBB188_1915:
	s_andn2_b64 vcc, exec, s[4:5]
	s_cbranch_vccnz .LBB188_1917
; %bb.1916:
	global_load_sshort v6, v[2:3], off
	s_waitcnt vmcnt(0)
	v_cvt_f32_i32_e32 v30, v6
.LBB188_1917:
	s_mov_b64 s[4:5], 0
.LBB188_1918:
	s_andn2_b64 vcc, exec, s[4:5]
	s_cbranch_vccnz .LBB188_1924
; %bb.1919:
	v_mov_b32_e32 v6, 0
	v_cmp_gt_i16_sdwa s[4:5], v35, v6 src0_sel:BYTE_0 src1_sel:DWORD
	s_and_b64 vcc, exec, s[4:5]
	s_cbranch_vccz .LBB188_1921
; %bb.1920:
	global_load_sbyte v6, v[2:3], off
	s_mov_b64 s[4:5], 0
	s_waitcnt vmcnt(0)
	v_cvt_f32_i32_e32 v30, v6
	s_branch .LBB188_1922
.LBB188_1921:
	s_mov_b64 s[4:5], -1
                                        ; implicit-def: $vgpr30
.LBB188_1922:
	s_andn2_b64 vcc, exec, s[4:5]
	s_cbranch_vccnz .LBB188_1924
; %bb.1923:
	global_load_ubyte v2, v[2:3], off
	s_waitcnt vmcnt(0)
	v_cvt_f32_ubyte0_e32 v30, v2
.LBB188_1924:
.LBB188_1925:
	s_lshl_b32 s15, s38, 7
	v_add_u32_e32 v4, s15, v4
	v_ashrrev_i32_e32 v3, 31, v4
	v_mov_b32_e32 v6, s23
	v_add_co_u32_e32 v2, vcc, s22, v4
	v_addc_co_u32_e32 v3, vcc, v6, v3, vcc
	v_mov_b32_e32 v6, 11
	v_cmp_lt_i16_sdwa s[4:5], v38, v6 src0_sel:BYTE_0 src1_sel:DWORD
	s_and_b64 vcc, exec, s[4:5]
	s_cbranch_vccnz .LBB188_1932
; %bb.1926:
	v_mov_b32_e32 v6, 25
	v_cmp_gt_i16_sdwa s[4:5], v38, v6 src0_sel:BYTE_0 src1_sel:DWORD
	s_mov_b64 s[6:7], 0
	s_and_b64 vcc, exec, s[4:5]
	s_cbranch_vccz .LBB188_1933
; %bb.1927:
	v_mov_b32_e32 v6, 28
	v_cmp_gt_i16_sdwa s[4:5], v38, v6 src0_sel:BYTE_0 src1_sel:DWORD
	s_and_b64 vcc, exec, s[4:5]
	s_cbranch_vccz .LBB188_1934
; %bb.1928:
	v_mov_b32_e32 v6, 43
	v_cmp_gt_i16_sdwa s[4:5], v38, v6 src0_sel:BYTE_0 src1_sel:DWORD
	;; [unrolled: 5-line block ×3, first 2 shown]
	s_and_b64 vcc, exec, s[4:5]
	s_cbranch_vccz .LBB188_1937
; %bb.1930:
	v_mov_b32_e32 v6, 46
	v_cmp_eq_u16_sdwa s[4:5], v38, v6 src0_sel:BYTE_0 src1_sel:DWORD
	s_mov_b64 s[10:11], 0
	s_and_b64 vcc, exec, s[4:5]
	s_cbranch_vccz .LBB188_1938
; %bb.1931:
	global_load_dword v6, v[2:3], off
	s_mov_b64 s[4:5], 0
	s_mov_b64 s[8:9], -1
	s_waitcnt vmcnt(0)
	v_lshlrev_b32_e32 v31, 16, v6
	s_branch .LBB188_1939
.LBB188_1932:
	s_mov_b64 s[4:5], -1
	s_mov_b64 s[8:9], 0
                                        ; implicit-def: $vgpr31
	s_branch .LBB188_2005
.LBB188_1933:
	s_mov_b64 s[10:11], -1
	s_mov_b64 s[8:9], 0
	s_mov_b64 s[4:5], 0
                                        ; implicit-def: $vgpr31
	s_branch .LBB188_1968
.LBB188_1934:
	s_mov_b64 s[10:11], -1
	s_mov_b64 s[8:9], 0
	s_mov_b64 s[4:5], 0
                                        ; implicit-def: $vgpr31
	s_branch .LBB188_1949
.LBB188_1935:
	s_mov_b64 s[10:11], -1
	s_mov_b64 s[8:9], 0
	s_mov_b64 s[4:5], 0
                                        ; implicit-def: $vgpr31
	s_branch .LBB188_1944
.LBB188_1936:
	s_trap 2
	s_or_b64 s[42:43], s[42:43], exec
                                        ; implicit-def: $vgpr30
	s_cbranch_execz .LBB188_1875
	s_branch .LBB188_1876
.LBB188_1937:
	s_mov_b64 s[10:11], -1
	s_mov_b64 s[8:9], 0
	s_mov_b64 s[4:5], 0
                                        ; implicit-def: $vgpr31
	s_branch .LBB188_1939
.LBB188_1938:
	s_mov_b64 s[4:5], -1
                                        ; implicit-def: $vgpr31
	s_mov_b64 s[8:9], 0
.LBB188_1939:
	s_and_b64 vcc, exec, s[10:11]
	s_cbranch_vccz .LBB188_1943
; %bb.1940:
	v_mov_b32_e32 v6, 44
	v_cmp_eq_u16_sdwa s[4:5], v38, v6 src0_sel:BYTE_0 src1_sel:DWORD
	s_and_b64 vcc, exec, s[4:5]
	s_cbranch_vccz .LBB188_1942
; %bb.1941:
	global_load_ubyte v6, v[2:3], off
	s_movk_i32 s8, 0xff
	v_mov_b32_e32 v7, 0x7f800001
	v_mov_b32_e32 v8, 0x400000
	s_mov_b64 s[4:5], 0
	s_waitcnt vmcnt(0)
	v_lshlrev_b32_e32 v9, 23, v6
	v_cmp_ne_u32_e32 vcc, s8, v6
	v_cndmask_b32_e32 v7, v7, v9, vcc
	v_cmp_ne_u32_e32 vcc, 0, v6
	v_cndmask_b32_e32 v31, v8, v7, vcc
	s_mov_b64 s[8:9], -1
	s_branch .LBB188_1943
.LBB188_1942:
	s_mov_b64 s[4:5], -1
                                        ; implicit-def: $vgpr31
.LBB188_1943:
	s_mov_b64 s[10:11], 0
.LBB188_1944:
	s_and_b64 vcc, exec, s[10:11]
	s_cbranch_vccz .LBB188_1948
; %bb.1945:
	v_mov_b32_e32 v6, 29
	v_cmp_eq_u16_sdwa s[4:5], v38, v6 src0_sel:BYTE_0 src1_sel:DWORD
	s_and_b64 vcc, exec, s[4:5]
	s_cbranch_vccz .LBB188_1947
; %bb.1946:
	global_load_dwordx2 v[6:7], v[2:3], off
	s_mov_b64 s[4:5], 0
	s_mov_b64 s[8:9], -1
	s_mov_b64 s[10:11], 0
	s_waitcnt vmcnt(0)
	v_ffbh_u32_e32 v8, v7
	v_min_u32_e32 v8, 32, v8
	v_lshlrev_b64 v[6:7], v8, v[6:7]
	v_min_u32_e32 v6, 1, v6
	v_or_b32_e32 v6, v7, v6
	v_cvt_f32_u32_e32 v6, v6
	v_sub_u32_e32 v7, 32, v8
	v_ldexp_f32 v31, v6, v7
	s_branch .LBB188_1949
.LBB188_1947:
	s_mov_b64 s[4:5], -1
                                        ; implicit-def: $vgpr31
.LBB188_1948:
	s_mov_b64 s[10:11], 0
.LBB188_1949:
	s_and_b64 vcc, exec, s[10:11]
	s_cbranch_vccz .LBB188_1967
; %bb.1950:
	v_mov_b32_e32 v6, 27
	v_cmp_lt_i16_sdwa s[8:9], v38, v6 src0_sel:BYTE_0 src1_sel:DWORD
	s_and_b64 vcc, exec, s[8:9]
	s_cbranch_vccnz .LBB188_1953
; %bb.1951:
	v_cmp_gt_i16_sdwa s[8:9], v38, v6 src0_sel:BYTE_0 src1_sel:DWORD
	s_and_b64 vcc, exec, s[8:9]
	s_cbranch_vccz .LBB188_1954
; %bb.1952:
	global_load_dword v6, v[2:3], off
	s_mov_b64 s[8:9], 0
	s_waitcnt vmcnt(0)
	v_cvt_f32_u32_e32 v31, v6
	s_branch .LBB188_1955
.LBB188_1953:
	s_mov_b64 s[8:9], -1
                                        ; implicit-def: $vgpr31
	s_branch .LBB188_1958
.LBB188_1954:
	s_mov_b64 s[8:9], -1
                                        ; implicit-def: $vgpr31
.LBB188_1955:
	s_andn2_b64 vcc, exec, s[8:9]
	s_cbranch_vccnz .LBB188_1957
; %bb.1956:
	global_load_ushort v6, v[2:3], off
	s_waitcnt vmcnt(0)
	v_cvt_f32_u32_e32 v31, v6
.LBB188_1957:
	s_mov_b64 s[8:9], 0
.LBB188_1958:
	s_andn2_b64 vcc, exec, s[8:9]
	s_cbranch_vccnz .LBB188_1966
; %bb.1959:
	global_load_ubyte v6, v[2:3], off
	s_movk_i32 s8, 0x7f
                                        ; implicit-def: $sgpr16
	s_waitcnt vmcnt(0)
	v_cmp_lt_i16_e32 vcc, s8, v6
	s_mov_b64 s[8:9], 0
	s_and_saveexec_b64 s[10:11], vcc
	s_xor_b64 s[10:11], exec, s[10:11]
	s_cbranch_execz .LBB188_1980
; %bb.1960:
	s_movk_i32 s8, 0x80
	v_cmp_eq_u16_e32 vcc, s8, v6
	s_mov_b64 s[8:9], -1
                                        ; implicit-def: $sgpr16
	s_and_saveexec_b64 s[12:13], vcc
; %bb.1961:
	s_mov_b32 s16, 0x7f800001
	s_xor_b64 s[8:9], exec, -1
; %bb.1962:
	s_or_b64 exec, exec, s[12:13]
	s_and_b64 s[8:9], s[8:9], exec
	s_or_saveexec_b64 s[10:11], s[10:11]
	v_mov_b32_e32 v31, s16
	s_xor_b64 exec, exec, s[10:11]
	s_cbranch_execnz .LBB188_1981
.LBB188_1963:
	s_or_b64 exec, exec, s[10:11]
	s_and_saveexec_b64 s[10:11], s[8:9]
	s_cbranch_execz .LBB188_1965
.LBB188_1964:
	v_lshlrev_b32_e32 v7, 24, v6
	v_and_b32_e32 v6, 0xffff, v6
	v_and_b32_e32 v8, 7, v6
	v_ffbh_u32_e32 v10, v8
	v_min_u32_e32 v10, 32, v10
	v_subrev_u32_e32 v11, 28, v10
	v_bfe_u32 v9, v6, 3, 4
	v_lshlrev_b32_e32 v6, v11, v6
	v_sub_u32_e32 v10, 29, v10
	v_and_b32_e32 v6, 7, v6
	v_cmp_eq_u32_e32 vcc, 0, v9
	v_cndmask_b32_e32 v9, v9, v10, vcc
	v_cndmask_b32_e32 v6, v8, v6, vcc
	v_mov_b32_e32 v8, 0x3b800000
	v_lshlrev_b32_e32 v6, 20, v6
	v_and_b32_e32 v7, 0x80000000, v7
	v_lshl_add_u32 v8, v9, 23, v8
	v_or3_b32 v31, v7, v8, v6
.LBB188_1965:
	s_or_b64 exec, exec, s[10:11]
.LBB188_1966:
	s_mov_b64 s[8:9], -1
.LBB188_1967:
	s_mov_b64 s[10:11], 0
.LBB188_1968:
	s_and_b64 vcc, exec, s[10:11]
	s_cbranch_vccz .LBB188_2001
; %bb.1969:
	v_mov_b32_e32 v6, 22
	v_cmp_gt_i16_sdwa s[6:7], v38, v6 src0_sel:BYTE_0 src1_sel:DWORD
	s_and_b64 vcc, exec, s[6:7]
	s_cbranch_vccz .LBB188_1979
; %bb.1970:
	v_mov_b32_e32 v6, 24
	v_cmp_lt_i16_sdwa s[6:7], v38, v6 src0_sel:BYTE_0 src1_sel:DWORD
	s_and_b64 vcc, exec, s[6:7]
	s_cbranch_vccnz .LBB188_1982
; %bb.1971:
	v_cmp_gt_i16_sdwa s[6:7], v38, v6 src0_sel:BYTE_0 src1_sel:DWORD
	s_and_b64 vcc, exec, s[6:7]
	s_cbranch_vccz .LBB188_1983
; %bb.1972:
	global_load_ubyte v6, v[2:3], off
	s_movk_i32 s6, 0x7f
                                        ; implicit-def: $sgpr12
	s_waitcnt vmcnt(0)
	v_cmp_lt_i16_e32 vcc, s6, v6
	s_mov_b64 s[6:7], 0
	s_and_saveexec_b64 s[8:9], vcc
	s_xor_b64 s[8:9], exec, s[8:9]
	s_cbranch_execz .LBB188_1995
; %bb.1973:
	s_movk_i32 s6, 0x80
	v_cmp_eq_u16_e32 vcc, s6, v6
	s_mov_b64 s[6:7], -1
                                        ; implicit-def: $sgpr12
	s_and_saveexec_b64 s[10:11], vcc
; %bb.1974:
	s_mov_b32 s12, 0x7f800001
	s_xor_b64 s[6:7], exec, -1
; %bb.1975:
	s_or_b64 exec, exec, s[10:11]
	s_and_b64 s[6:7], s[6:7], exec
	s_or_saveexec_b64 s[8:9], s[8:9]
	v_mov_b32_e32 v31, s12
	s_xor_b64 exec, exec, s[8:9]
	s_cbranch_execnz .LBB188_1996
.LBB188_1976:
	s_or_b64 exec, exec, s[8:9]
	s_and_saveexec_b64 s[8:9], s[6:7]
	s_cbranch_execz .LBB188_1978
.LBB188_1977:
	v_lshlrev_b32_e32 v7, 24, v6
	v_and_b32_e32 v6, 0xffff, v6
	v_and_b32_e32 v8, 3, v6
	v_ffbh_u32_e32 v10, v8
	v_min_u32_e32 v10, 32, v10
	v_subrev_u32_e32 v11, 29, v10
	v_bfe_u32 v9, v6, 2, 5
	v_lshlrev_b32_e32 v6, v11, v6
	v_sub_u32_e32 v10, 30, v10
	v_and_b32_e32 v6, 3, v6
	v_cmp_eq_u32_e32 vcc, 0, v9
	v_cndmask_b32_e32 v9, v9, v10, vcc
	v_cndmask_b32_e32 v6, v8, v6, vcc
	v_mov_b32_e32 v8, 0x37800000
	v_lshlrev_b32_e32 v6, 21, v6
	v_and_b32_e32 v7, 0x80000000, v7
	v_lshl_add_u32 v8, v9, 23, v8
	v_or3_b32 v31, v7, v8, v6
.LBB188_1978:
	s_or_b64 exec, exec, s[8:9]
	s_mov_b64 s[6:7], 0
	s_branch .LBB188_1984
.LBB188_1979:
	s_mov_b64 s[6:7], -1
                                        ; implicit-def: $vgpr31
	s_branch .LBB188_1990
.LBB188_1980:
	s_or_saveexec_b64 s[10:11], s[10:11]
	v_mov_b32_e32 v31, s16
	s_xor_b64 exec, exec, s[10:11]
	s_cbranch_execz .LBB188_1963
.LBB188_1981:
	v_cmp_ne_u16_e32 vcc, 0, v6
	s_andn2_b64 s[8:9], s[8:9], exec
	s_and_b64 s[12:13], vcc, exec
	v_mov_b32_e32 v31, 0
	s_or_b64 s[8:9], s[8:9], s[12:13]
	s_or_b64 exec, exec, s[10:11]
	s_and_saveexec_b64 s[10:11], s[8:9]
	s_cbranch_execnz .LBB188_1964
	s_branch .LBB188_1965
.LBB188_1982:
	s_mov_b64 s[6:7], -1
                                        ; implicit-def: $vgpr31
	s_branch .LBB188_1987
.LBB188_1983:
	s_mov_b64 s[6:7], -1
                                        ; implicit-def: $vgpr31
.LBB188_1984:
	s_and_b64 vcc, exec, s[6:7]
	s_cbranch_vccz .LBB188_1986
; %bb.1985:
	global_load_ubyte v6, v[2:3], off
	s_mov_b32 s6, 0x7f800000
	s_waitcnt vmcnt(0)
	v_lshlrev_b32_e32 v6, 24, v6
	v_and_b32_e32 v7, 0x7f000000, v6
	v_ffbh_u32_e32 v8, v7
	v_min_u32_e32 v8, 32, v8
	v_sub_u32_e64 v8, v8, 4 clamp
	v_lshlrev_b32_e32 v10, v8, v7
	v_lshlrev_b32_e32 v8, 23, v8
	v_lshrrev_b32_e32 v10, 4, v10
	v_add_u32_e32 v9, 0x1000000, v7
	v_sub_u32_e32 v8, v10, v8
	v_ashrrev_i32_e32 v9, 8, v9
	v_add_u32_e32 v8, 0x3c000000, v8
	v_and_or_b32 v8, v9, s6, v8
	v_cmp_ne_u32_e32 vcc, 0, v7
	v_cndmask_b32_e32 v7, 0, v8, vcc
	s_brev_b32 s6, 1
	v_and_or_b32 v31, v6, s6, v7
.LBB188_1986:
	s_mov_b64 s[6:7], 0
.LBB188_1987:
	s_andn2_b64 vcc, exec, s[6:7]
	s_cbranch_vccnz .LBB188_1989
; %bb.1988:
	global_load_ubyte v6, v[2:3], off
	s_movk_i32 s6, 0x7f00
	s_brev_b32 s7, 16
	s_waitcnt vmcnt(0)
	v_lshlrev_b16_e32 v7, 8, v6
	v_lshlrev_b32_e32 v6, 25, v6
	v_lshrrev_b32_e32 v8, 4, v6
	v_and_or_b32 v9, v7, s6, 0.5
	v_or_b32_e32 v8, 0x70000000, v8
	v_add_f32_e32 v9, -0.5, v9
	v_mul_f32_e32 v8, 0x7800000, v8
	v_cmp_gt_u32_e32 vcc, s7, v6
	v_bfe_i32 v7, v7, 0, 16
	v_cndmask_b32_e32 v6, v8, v9, vcc
	s_brev_b32 s6, 1
	v_and_or_b32 v31, v7, s6, v6
.LBB188_1989:
	s_mov_b64 s[6:7], 0
	s_mov_b64 s[8:9], -1
.LBB188_1990:
	s_andn2_b64 vcc, exec, s[6:7]
	s_mov_b64 s[6:7], 0
	s_cbranch_vccnz .LBB188_2001
; %bb.1991:
	v_mov_b32_e32 v6, 14
	v_cmp_gt_i16_sdwa s[6:7], v38, v6 src0_sel:BYTE_0 src1_sel:DWORD
	s_and_b64 vcc, exec, s[6:7]
	s_cbranch_vccz .LBB188_1994
; %bb.1992:
	v_mov_b32_e32 v6, 15
	v_cmp_eq_u16_sdwa s[4:5], v38, v6 src0_sel:BYTE_0 src1_sel:DWORD
	s_and_b64 vcc, exec, s[4:5]
	s_cbranch_vccz .LBB188_1997
; %bb.1993:
	global_load_ushort v6, v[2:3], off
	s_mov_b64 s[4:5], 0
	s_mov_b64 s[8:9], -1
	s_waitcnt vmcnt(0)
	v_lshlrev_b32_e32 v31, 16, v6
	s_branch .LBB188_1998
.LBB188_1994:
	s_mov_b64 s[10:11], -1
                                        ; implicit-def: $vgpr31
	s_branch .LBB188_1999
.LBB188_1995:
	s_or_saveexec_b64 s[8:9], s[8:9]
	v_mov_b32_e32 v31, s12
	s_xor_b64 exec, exec, s[8:9]
	s_cbranch_execz .LBB188_1976
.LBB188_1996:
	v_cmp_ne_u16_e32 vcc, 0, v6
	s_andn2_b64 s[6:7], s[6:7], exec
	s_and_b64 s[10:11], vcc, exec
	v_mov_b32_e32 v31, 0
	s_or_b64 s[6:7], s[6:7], s[10:11]
	s_or_b64 exec, exec, s[8:9]
	s_and_saveexec_b64 s[8:9], s[6:7]
	s_cbranch_execnz .LBB188_1977
	s_branch .LBB188_1978
.LBB188_1997:
	s_mov_b64 s[4:5], -1
                                        ; implicit-def: $vgpr31
.LBB188_1998:
	s_mov_b64 s[10:11], 0
.LBB188_1999:
	s_mov_b64 s[6:7], 0
	s_and_b64 vcc, exec, s[10:11]
	s_cbranch_vccz .LBB188_2001
; %bb.2000:
	v_mov_b32_e32 v6, 11
	v_cmp_ne_u16_sdwa s[4:5], v38, v6 src0_sel:BYTE_0 src1_sel:DWORD
	s_mov_b64 s[6:7], -1
                                        ; implicit-def: $vgpr31
.LBB188_2001:
	s_and_b64 vcc, exec, s[4:5]
	s_cbranch_vccnz .LBB188_2066
; %bb.2002:
	s_andn2_b64 vcc, exec, s[6:7]
	s_cbranch_vccnz .LBB188_2004
.LBB188_2003:
	global_load_ubyte v6, v[2:3], off
	s_mov_b64 s[8:9], -1
	s_waitcnt vmcnt(0)
	v_cmp_ne_u16_e32 vcc, 0, v6
	v_cndmask_b32_e64 v31, 0, 1.0, vcc
.LBB188_2004:
	s_mov_b64 s[4:5], 0
.LBB188_2005:
	s_and_b64 vcc, exec, s[4:5]
	s_cbranch_vccz .LBB188_2054
; %bb.2006:
	v_mov_b32_e32 v6, 5
	v_cmp_lt_i16_sdwa s[4:5], v38, v6 src0_sel:BYTE_0 src1_sel:DWORD
	s_and_b64 vcc, exec, s[4:5]
	s_cbranch_vccnz .LBB188_2011
; %bb.2007:
	v_mov_b32_e32 v6, 8
	v_cmp_lt_i16_sdwa s[4:5], v38, v6 src0_sel:BYTE_0 src1_sel:DWORD
	s_and_b64 vcc, exec, s[4:5]
	s_cbranch_vccnz .LBB188_2012
	;; [unrolled: 5-line block ×3, first 2 shown]
; %bb.2009:
	v_cmp_gt_i16_sdwa s[4:5], v38, v6 src0_sel:BYTE_0 src1_sel:DWORD
	s_and_b64 vcc, exec, s[4:5]
	s_cbranch_vccz .LBB188_2014
; %bb.2010:
	global_load_dwordx2 v[6:7], v[2:3], off
	s_mov_b64 s[4:5], 0
	s_waitcnt vmcnt(0)
	v_cvt_f32_f64_e32 v31, v[6:7]
	s_branch .LBB188_2015
.LBB188_2011:
	s_mov_b64 s[4:5], -1
                                        ; implicit-def: $vgpr31
	s_branch .LBB188_2033
.LBB188_2012:
	s_mov_b64 s[4:5], -1
                                        ; implicit-def: $vgpr31
	s_branch .LBB188_2021
.LBB188_2013:
	s_mov_b64 s[4:5], -1
                                        ; implicit-def: $vgpr31
	s_branch .LBB188_2018
.LBB188_2014:
	s_mov_b64 s[4:5], -1
                                        ; implicit-def: $vgpr31
.LBB188_2015:
	s_andn2_b64 vcc, exec, s[4:5]
	s_cbranch_vccnz .LBB188_2017
; %bb.2016:
	global_load_dword v31, v[2:3], off
.LBB188_2017:
	s_mov_b64 s[4:5], 0
.LBB188_2018:
	s_andn2_b64 vcc, exec, s[4:5]
	s_cbranch_vccnz .LBB188_2020
; %bb.2019:
	global_load_dword v6, v[2:3], off
	s_waitcnt vmcnt(0)
	v_cvt_f32_f16_e32 v31, v6
.LBB188_2020:
	s_mov_b64 s[4:5], 0
.LBB188_2021:
	s_andn2_b64 vcc, exec, s[4:5]
	s_cbranch_vccnz .LBB188_2032
; %bb.2022:
	v_mov_b32_e32 v6, 6
	v_cmp_lt_i16_sdwa s[4:5], v38, v6 src0_sel:BYTE_0 src1_sel:DWORD
	s_and_b64 vcc, exec, s[4:5]
	s_cbranch_vccnz .LBB188_2025
; %bb.2023:
	v_cmp_gt_i16_sdwa s[4:5], v38, v6 src0_sel:BYTE_0 src1_sel:DWORD
	s_and_b64 vcc, exec, s[4:5]
	s_cbranch_vccz .LBB188_2026
; %bb.2024:
	global_load_dwordx2 v[6:7], v[2:3], off
	s_mov_b64 s[4:5], 0
	s_waitcnt vmcnt(0)
	v_cvt_f32_f64_e32 v31, v[6:7]
	s_branch .LBB188_2027
.LBB188_2025:
	s_mov_b64 s[4:5], -1
                                        ; implicit-def: $vgpr31
	s_branch .LBB188_2030
.LBB188_2026:
	s_mov_b64 s[4:5], -1
                                        ; implicit-def: $vgpr31
.LBB188_2027:
	s_andn2_b64 vcc, exec, s[4:5]
	s_cbranch_vccnz .LBB188_2029
; %bb.2028:
	global_load_dword v31, v[2:3], off
.LBB188_2029:
	s_mov_b64 s[4:5], 0
.LBB188_2030:
	s_andn2_b64 vcc, exec, s[4:5]
	s_cbranch_vccnz .LBB188_2032
; %bb.2031:
	global_load_ushort v6, v[2:3], off
	s_waitcnt vmcnt(0)
	v_cvt_f32_f16_e32 v31, v6
.LBB188_2032:
	s_mov_b64 s[4:5], 0
.LBB188_2033:
	s_andn2_b64 vcc, exec, s[4:5]
	s_cbranch_vccnz .LBB188_2053
; %bb.2034:
	v_mov_b32_e32 v6, 2
	v_cmp_lt_i16_sdwa s[4:5], v38, v6 src0_sel:BYTE_0 src1_sel:DWORD
	s_and_b64 vcc, exec, s[4:5]
	s_cbranch_vccnz .LBB188_2038
; %bb.2035:
	v_mov_b32_e32 v6, 3
	v_cmp_lt_i16_sdwa s[4:5], v38, v6 src0_sel:BYTE_0 src1_sel:DWORD
	s_and_b64 vcc, exec, s[4:5]
	s_cbranch_vccnz .LBB188_2039
; %bb.2036:
	v_cmp_gt_i16_sdwa s[4:5], v38, v6 src0_sel:BYTE_0 src1_sel:DWORD
	s_and_b64 vcc, exec, s[4:5]
	s_cbranch_vccz .LBB188_2040
; %bb.2037:
	global_load_dwordx2 v[6:7], v[2:3], off
	s_mov_b64 s[4:5], 0
	s_waitcnt vmcnt(0)
	v_xor_b32_e32 v9, v6, v7
	v_ffbh_i32_e32 v8, v7
	v_ashrrev_i32_e32 v9, 31, v9
	v_add_u32_e32 v8, -1, v8
	v_add_u32_e32 v9, 32, v9
	v_min_u32_e32 v8, v8, v9
	v_lshlrev_b64 v[6:7], v8, v[6:7]
	v_min_u32_e32 v6, 1, v6
	v_or_b32_e32 v6, v7, v6
	v_cvt_f32_i32_e32 v6, v6
	v_sub_u32_e32 v7, 32, v8
	v_ldexp_f32 v31, v6, v7
	s_branch .LBB188_2041
.LBB188_2038:
	s_mov_b64 s[4:5], -1
                                        ; implicit-def: $vgpr31
	s_branch .LBB188_2047
.LBB188_2039:
	s_mov_b64 s[4:5], -1
                                        ; implicit-def: $vgpr31
	s_branch .LBB188_2044
.LBB188_2040:
	s_mov_b64 s[4:5], -1
                                        ; implicit-def: $vgpr31
.LBB188_2041:
	s_andn2_b64 vcc, exec, s[4:5]
	s_cbranch_vccnz .LBB188_2043
; %bb.2042:
	global_load_dword v6, v[2:3], off
	s_waitcnt vmcnt(0)
	v_cvt_f32_i32_e32 v31, v6
.LBB188_2043:
	s_mov_b64 s[4:5], 0
.LBB188_2044:
	s_andn2_b64 vcc, exec, s[4:5]
	s_cbranch_vccnz .LBB188_2046
; %bb.2045:
	global_load_sshort v6, v[2:3], off
	s_waitcnt vmcnt(0)
	v_cvt_f32_i32_e32 v31, v6
.LBB188_2046:
	s_mov_b64 s[4:5], 0
.LBB188_2047:
	s_andn2_b64 vcc, exec, s[4:5]
	s_cbranch_vccnz .LBB188_2053
; %bb.2048:
	v_mov_b32_e32 v6, 0
	v_cmp_gt_i16_sdwa s[4:5], v38, v6 src0_sel:BYTE_0 src1_sel:DWORD
	s_and_b64 vcc, exec, s[4:5]
	s_cbranch_vccz .LBB188_2050
; %bb.2049:
	global_load_sbyte v6, v[2:3], off
	s_mov_b64 s[4:5], 0
	s_waitcnt vmcnt(0)
	v_cvt_f32_i32_e32 v31, v6
	s_branch .LBB188_2051
.LBB188_2050:
	s_mov_b64 s[4:5], -1
                                        ; implicit-def: $vgpr31
.LBB188_2051:
	s_andn2_b64 vcc, exec, s[4:5]
	s_cbranch_vccnz .LBB188_2053
; %bb.2052:
	global_load_ubyte v2, v[2:3], off
	s_waitcnt vmcnt(0)
	v_cvt_f32_ubyte0_e32 v31, v2
.LBB188_2053:
	s_mov_b64 s[8:9], -1
.LBB188_2054:
	s_andn2_b64 vcc, exec, s[8:9]
	s_cbranch_vccnz .LBB188_3030
; %bb.2055:
	v_add_u32_e32 v5, s14, v5
	v_ashrrev_i32_e32 v3, 31, v5
	v_mov_b32_e32 v6, s27
	v_add_co_u32_e32 v2, vcc, s26, v5
	v_addc_co_u32_e32 v3, vcc, v6, v3, vcc
	v_mov_b32_e32 v6, 11
	v_cmp_lt_i16_sdwa s[4:5], v35, v6 src0_sel:BYTE_0 src1_sel:DWORD
	s_and_b64 vcc, exec, s[4:5]
	s_cbranch_vccnz .LBB188_2062
; %bb.2056:
	v_mov_b32_e32 v6, 25
	v_cmp_gt_i16_sdwa s[4:5], v35, v6 src0_sel:BYTE_0 src1_sel:DWORD
	s_mov_b64 s[6:7], 0
	s_and_b64 vcc, exec, s[4:5]
	s_cbranch_vccz .LBB188_2063
; %bb.2057:
	v_mov_b32_e32 v6, 28
	v_cmp_gt_i16_sdwa s[4:5], v35, v6 src0_sel:BYTE_0 src1_sel:DWORD
	s_and_b64 vcc, exec, s[4:5]
	s_cbranch_vccz .LBB188_2064
; %bb.2058:
	v_mov_b32_e32 v6, 43
	v_cmp_gt_i16_sdwa s[4:5], v35, v6 src0_sel:BYTE_0 src1_sel:DWORD
	;; [unrolled: 5-line block ×3, first 2 shown]
	s_and_b64 vcc, exec, s[4:5]
	s_cbranch_vccz .LBB188_2067
; %bb.2060:
	v_mov_b32_e32 v6, 46
	v_cmp_eq_u16_sdwa s[4:5], v35, v6 src0_sel:BYTE_0 src1_sel:DWORD
	s_mov_b64 s[10:11], 0
	s_and_b64 vcc, exec, s[4:5]
	s_cbranch_vccz .LBB188_2068
; %bb.2061:
	global_load_dword v6, v[2:3], off
	s_mov_b64 s[4:5], 0
	s_mov_b64 s[8:9], -1
	s_waitcnt vmcnt(0)
	v_lshlrev_b32_e32 v32, 16, v6
	s_branch .LBB188_2069
.LBB188_2062:
	s_mov_b64 s[4:5], -1
	s_mov_b64 s[8:9], 0
                                        ; implicit-def: $vgpr32
	s_branch .LBB188_2135
.LBB188_2063:
	s_mov_b64 s[10:11], -1
	s_mov_b64 s[8:9], 0
	s_mov_b64 s[4:5], 0
                                        ; implicit-def: $vgpr32
	s_branch .LBB188_2098
.LBB188_2064:
	s_mov_b64 s[10:11], -1
	s_mov_b64 s[8:9], 0
	s_mov_b64 s[4:5], 0
                                        ; implicit-def: $vgpr32
	s_branch .LBB188_2079
.LBB188_2065:
	s_mov_b64 s[10:11], -1
	s_mov_b64 s[8:9], 0
	s_mov_b64 s[4:5], 0
                                        ; implicit-def: $vgpr32
	s_branch .LBB188_2074
.LBB188_2066:
	s_trap 2
	s_or_b64 s[42:43], s[42:43], exec
                                        ; implicit-def: $vgpr31
	s_cbranch_execz .LBB188_2003
	s_branch .LBB188_2004
.LBB188_2067:
	s_mov_b64 s[10:11], -1
	s_mov_b64 s[8:9], 0
	s_mov_b64 s[4:5], 0
                                        ; implicit-def: $vgpr32
	s_branch .LBB188_2069
.LBB188_2068:
	s_mov_b64 s[4:5], -1
                                        ; implicit-def: $vgpr32
	s_mov_b64 s[8:9], 0
.LBB188_2069:
	s_and_b64 vcc, exec, s[10:11]
	s_cbranch_vccz .LBB188_2073
; %bb.2070:
	v_mov_b32_e32 v6, 44
	v_cmp_eq_u16_sdwa s[4:5], v35, v6 src0_sel:BYTE_0 src1_sel:DWORD
	s_and_b64 vcc, exec, s[4:5]
	s_cbranch_vccz .LBB188_2072
; %bb.2071:
	global_load_ubyte v6, v[2:3], off
	s_movk_i32 s8, 0xff
	v_mov_b32_e32 v7, 0x7f800001
	v_mov_b32_e32 v8, 0x400000
	s_mov_b64 s[4:5], 0
	s_waitcnt vmcnt(0)
	v_lshlrev_b32_e32 v9, 23, v6
	v_cmp_ne_u32_e32 vcc, s8, v6
	v_cndmask_b32_e32 v7, v7, v9, vcc
	v_cmp_ne_u32_e32 vcc, 0, v6
	v_cndmask_b32_e32 v32, v8, v7, vcc
	s_mov_b64 s[8:9], -1
	s_branch .LBB188_2073
.LBB188_2072:
	s_mov_b64 s[4:5], -1
                                        ; implicit-def: $vgpr32
.LBB188_2073:
	s_mov_b64 s[10:11], 0
.LBB188_2074:
	s_and_b64 vcc, exec, s[10:11]
	s_cbranch_vccz .LBB188_2078
; %bb.2075:
	v_mov_b32_e32 v6, 29
	v_cmp_eq_u16_sdwa s[4:5], v35, v6 src0_sel:BYTE_0 src1_sel:DWORD
	s_and_b64 vcc, exec, s[4:5]
	s_cbranch_vccz .LBB188_2077
; %bb.2076:
	global_load_dwordx2 v[6:7], v[2:3], off
	s_mov_b64 s[4:5], 0
	s_mov_b64 s[8:9], -1
	s_mov_b64 s[10:11], 0
	s_waitcnt vmcnt(0)
	v_ffbh_u32_e32 v8, v7
	v_min_u32_e32 v8, 32, v8
	v_lshlrev_b64 v[6:7], v8, v[6:7]
	v_min_u32_e32 v6, 1, v6
	v_or_b32_e32 v6, v7, v6
	v_cvt_f32_u32_e32 v6, v6
	v_sub_u32_e32 v7, 32, v8
	v_ldexp_f32 v32, v6, v7
	s_branch .LBB188_2079
.LBB188_2077:
	s_mov_b64 s[4:5], -1
                                        ; implicit-def: $vgpr32
.LBB188_2078:
	s_mov_b64 s[10:11], 0
.LBB188_2079:
	s_and_b64 vcc, exec, s[10:11]
	s_cbranch_vccz .LBB188_2097
; %bb.2080:
	v_mov_b32_e32 v6, 27
	v_cmp_lt_i16_sdwa s[8:9], v35, v6 src0_sel:BYTE_0 src1_sel:DWORD
	s_and_b64 vcc, exec, s[8:9]
	s_cbranch_vccnz .LBB188_2083
; %bb.2081:
	v_cmp_gt_i16_sdwa s[8:9], v35, v6 src0_sel:BYTE_0 src1_sel:DWORD
	s_and_b64 vcc, exec, s[8:9]
	s_cbranch_vccz .LBB188_2084
; %bb.2082:
	global_load_dword v6, v[2:3], off
	s_mov_b64 s[8:9], 0
	s_waitcnt vmcnt(0)
	v_cvt_f32_u32_e32 v32, v6
	s_branch .LBB188_2085
.LBB188_2083:
	s_mov_b64 s[8:9], -1
                                        ; implicit-def: $vgpr32
	s_branch .LBB188_2088
.LBB188_2084:
	s_mov_b64 s[8:9], -1
                                        ; implicit-def: $vgpr32
.LBB188_2085:
	s_andn2_b64 vcc, exec, s[8:9]
	s_cbranch_vccnz .LBB188_2087
; %bb.2086:
	global_load_ushort v6, v[2:3], off
	s_waitcnt vmcnt(0)
	v_cvt_f32_u32_e32 v32, v6
.LBB188_2087:
	s_mov_b64 s[8:9], 0
.LBB188_2088:
	s_andn2_b64 vcc, exec, s[8:9]
	s_cbranch_vccnz .LBB188_2096
; %bb.2089:
	global_load_ubyte v6, v[2:3], off
	s_movk_i32 s8, 0x7f
                                        ; implicit-def: $sgpr16
	s_waitcnt vmcnt(0)
	v_cmp_lt_i16_e32 vcc, s8, v6
	s_mov_b64 s[8:9], 0
	s_and_saveexec_b64 s[10:11], vcc
	s_xor_b64 s[10:11], exec, s[10:11]
	s_cbranch_execz .LBB188_2110
; %bb.2090:
	s_movk_i32 s8, 0x80
	v_cmp_eq_u16_e32 vcc, s8, v6
	s_mov_b64 s[8:9], -1
                                        ; implicit-def: $sgpr16
	s_and_saveexec_b64 s[12:13], vcc
; %bb.2091:
	s_mov_b32 s16, 0x7f800001
	s_xor_b64 s[8:9], exec, -1
; %bb.2092:
	s_or_b64 exec, exec, s[12:13]
	s_and_b64 s[8:9], s[8:9], exec
	s_or_saveexec_b64 s[10:11], s[10:11]
	v_mov_b32_e32 v32, s16
	s_xor_b64 exec, exec, s[10:11]
	s_cbranch_execnz .LBB188_2111
.LBB188_2093:
	s_or_b64 exec, exec, s[10:11]
	s_and_saveexec_b64 s[10:11], s[8:9]
	s_cbranch_execz .LBB188_2095
.LBB188_2094:
	v_lshlrev_b32_e32 v7, 24, v6
	v_and_b32_e32 v6, 0xffff, v6
	v_and_b32_e32 v8, 7, v6
	v_ffbh_u32_e32 v10, v8
	v_min_u32_e32 v10, 32, v10
	v_subrev_u32_e32 v11, 28, v10
	v_bfe_u32 v9, v6, 3, 4
	v_lshlrev_b32_e32 v6, v11, v6
	v_sub_u32_e32 v10, 29, v10
	v_and_b32_e32 v6, 7, v6
	v_cmp_eq_u32_e32 vcc, 0, v9
	v_cndmask_b32_e32 v9, v9, v10, vcc
	v_cndmask_b32_e32 v6, v8, v6, vcc
	v_mov_b32_e32 v8, 0x3b800000
	v_lshlrev_b32_e32 v6, 20, v6
	v_and_b32_e32 v7, 0x80000000, v7
	v_lshl_add_u32 v8, v9, 23, v8
	v_or3_b32 v32, v7, v8, v6
.LBB188_2095:
	s_or_b64 exec, exec, s[10:11]
.LBB188_2096:
	s_mov_b64 s[8:9], -1
.LBB188_2097:
	s_mov_b64 s[10:11], 0
.LBB188_2098:
	s_and_b64 vcc, exec, s[10:11]
	s_cbranch_vccz .LBB188_2131
; %bb.2099:
	v_mov_b32_e32 v6, 22
	v_cmp_gt_i16_sdwa s[6:7], v35, v6 src0_sel:BYTE_0 src1_sel:DWORD
	s_and_b64 vcc, exec, s[6:7]
	s_cbranch_vccz .LBB188_2109
; %bb.2100:
	v_mov_b32_e32 v6, 24
	v_cmp_lt_i16_sdwa s[6:7], v35, v6 src0_sel:BYTE_0 src1_sel:DWORD
	s_and_b64 vcc, exec, s[6:7]
	s_cbranch_vccnz .LBB188_2112
; %bb.2101:
	v_cmp_gt_i16_sdwa s[6:7], v35, v6 src0_sel:BYTE_0 src1_sel:DWORD
	s_and_b64 vcc, exec, s[6:7]
	s_cbranch_vccz .LBB188_2113
; %bb.2102:
	global_load_ubyte v6, v[2:3], off
	s_movk_i32 s6, 0x7f
                                        ; implicit-def: $sgpr12
	s_waitcnt vmcnt(0)
	v_cmp_lt_i16_e32 vcc, s6, v6
	s_mov_b64 s[6:7], 0
	s_and_saveexec_b64 s[8:9], vcc
	s_xor_b64 s[8:9], exec, s[8:9]
	s_cbranch_execz .LBB188_2125
; %bb.2103:
	s_movk_i32 s6, 0x80
	v_cmp_eq_u16_e32 vcc, s6, v6
	s_mov_b64 s[6:7], -1
                                        ; implicit-def: $sgpr12
	s_and_saveexec_b64 s[10:11], vcc
; %bb.2104:
	s_mov_b32 s12, 0x7f800001
	s_xor_b64 s[6:7], exec, -1
; %bb.2105:
	s_or_b64 exec, exec, s[10:11]
	s_and_b64 s[6:7], s[6:7], exec
	s_or_saveexec_b64 s[8:9], s[8:9]
	v_mov_b32_e32 v32, s12
	s_xor_b64 exec, exec, s[8:9]
	s_cbranch_execnz .LBB188_2126
.LBB188_2106:
	s_or_b64 exec, exec, s[8:9]
	s_and_saveexec_b64 s[8:9], s[6:7]
	s_cbranch_execz .LBB188_2108
.LBB188_2107:
	v_lshlrev_b32_e32 v7, 24, v6
	v_and_b32_e32 v6, 0xffff, v6
	v_and_b32_e32 v8, 3, v6
	v_ffbh_u32_e32 v10, v8
	v_min_u32_e32 v10, 32, v10
	v_subrev_u32_e32 v11, 29, v10
	v_bfe_u32 v9, v6, 2, 5
	v_lshlrev_b32_e32 v6, v11, v6
	v_sub_u32_e32 v10, 30, v10
	v_and_b32_e32 v6, 3, v6
	v_cmp_eq_u32_e32 vcc, 0, v9
	v_cndmask_b32_e32 v9, v9, v10, vcc
	v_cndmask_b32_e32 v6, v8, v6, vcc
	v_mov_b32_e32 v8, 0x37800000
	v_lshlrev_b32_e32 v6, 21, v6
	v_and_b32_e32 v7, 0x80000000, v7
	v_lshl_add_u32 v8, v9, 23, v8
	v_or3_b32 v32, v7, v8, v6
.LBB188_2108:
	s_or_b64 exec, exec, s[8:9]
	s_mov_b64 s[6:7], 0
	s_branch .LBB188_2114
.LBB188_2109:
	s_mov_b64 s[6:7], -1
                                        ; implicit-def: $vgpr32
	s_branch .LBB188_2120
.LBB188_2110:
	s_or_saveexec_b64 s[10:11], s[10:11]
	v_mov_b32_e32 v32, s16
	s_xor_b64 exec, exec, s[10:11]
	s_cbranch_execz .LBB188_2093
.LBB188_2111:
	v_cmp_ne_u16_e32 vcc, 0, v6
	s_andn2_b64 s[8:9], s[8:9], exec
	s_and_b64 s[12:13], vcc, exec
	v_mov_b32_e32 v32, 0
	s_or_b64 s[8:9], s[8:9], s[12:13]
	s_or_b64 exec, exec, s[10:11]
	s_and_saveexec_b64 s[10:11], s[8:9]
	s_cbranch_execnz .LBB188_2094
	s_branch .LBB188_2095
.LBB188_2112:
	s_mov_b64 s[6:7], -1
                                        ; implicit-def: $vgpr32
	s_branch .LBB188_2117
.LBB188_2113:
	s_mov_b64 s[6:7], -1
                                        ; implicit-def: $vgpr32
.LBB188_2114:
	s_and_b64 vcc, exec, s[6:7]
	s_cbranch_vccz .LBB188_2116
; %bb.2115:
	global_load_ubyte v6, v[2:3], off
	s_mov_b32 s6, 0x7f800000
	s_waitcnt vmcnt(0)
	v_lshlrev_b32_e32 v6, 24, v6
	v_and_b32_e32 v7, 0x7f000000, v6
	v_ffbh_u32_e32 v8, v7
	v_min_u32_e32 v8, 32, v8
	v_sub_u32_e64 v8, v8, 4 clamp
	v_lshlrev_b32_e32 v10, v8, v7
	v_lshlrev_b32_e32 v8, 23, v8
	v_lshrrev_b32_e32 v10, 4, v10
	v_add_u32_e32 v9, 0x1000000, v7
	v_sub_u32_e32 v8, v10, v8
	v_ashrrev_i32_e32 v9, 8, v9
	v_add_u32_e32 v8, 0x3c000000, v8
	v_and_or_b32 v8, v9, s6, v8
	v_cmp_ne_u32_e32 vcc, 0, v7
	v_cndmask_b32_e32 v7, 0, v8, vcc
	s_brev_b32 s6, 1
	v_and_or_b32 v32, v6, s6, v7
.LBB188_2116:
	s_mov_b64 s[6:7], 0
.LBB188_2117:
	s_andn2_b64 vcc, exec, s[6:7]
	s_cbranch_vccnz .LBB188_2119
; %bb.2118:
	global_load_ubyte v6, v[2:3], off
	s_movk_i32 s6, 0x7f00
	s_brev_b32 s7, 16
	s_waitcnt vmcnt(0)
	v_lshlrev_b16_e32 v7, 8, v6
	v_lshlrev_b32_e32 v6, 25, v6
	v_lshrrev_b32_e32 v8, 4, v6
	v_and_or_b32 v9, v7, s6, 0.5
	v_or_b32_e32 v8, 0x70000000, v8
	v_add_f32_e32 v9, -0.5, v9
	v_mul_f32_e32 v8, 0x7800000, v8
	v_cmp_gt_u32_e32 vcc, s7, v6
	v_bfe_i32 v7, v7, 0, 16
	v_cndmask_b32_e32 v6, v8, v9, vcc
	s_brev_b32 s6, 1
	v_and_or_b32 v32, v7, s6, v6
.LBB188_2119:
	s_mov_b64 s[6:7], 0
	s_mov_b64 s[8:9], -1
.LBB188_2120:
	s_andn2_b64 vcc, exec, s[6:7]
	s_mov_b64 s[6:7], 0
	s_cbranch_vccnz .LBB188_2131
; %bb.2121:
	v_mov_b32_e32 v6, 14
	v_cmp_gt_i16_sdwa s[6:7], v35, v6 src0_sel:BYTE_0 src1_sel:DWORD
	s_and_b64 vcc, exec, s[6:7]
	s_cbranch_vccz .LBB188_2124
; %bb.2122:
	v_mov_b32_e32 v6, 15
	v_cmp_eq_u16_sdwa s[4:5], v35, v6 src0_sel:BYTE_0 src1_sel:DWORD
	s_and_b64 vcc, exec, s[4:5]
	s_cbranch_vccz .LBB188_2127
; %bb.2123:
	global_load_ushort v6, v[2:3], off
	s_mov_b64 s[4:5], 0
	s_mov_b64 s[8:9], -1
	s_waitcnt vmcnt(0)
	v_lshlrev_b32_e32 v32, 16, v6
	s_branch .LBB188_2128
.LBB188_2124:
	s_mov_b64 s[10:11], -1
                                        ; implicit-def: $vgpr32
	s_branch .LBB188_2129
.LBB188_2125:
	s_or_saveexec_b64 s[8:9], s[8:9]
	v_mov_b32_e32 v32, s12
	s_xor_b64 exec, exec, s[8:9]
	s_cbranch_execz .LBB188_2106
.LBB188_2126:
	v_cmp_ne_u16_e32 vcc, 0, v6
	s_andn2_b64 s[6:7], s[6:7], exec
	s_and_b64 s[10:11], vcc, exec
	v_mov_b32_e32 v32, 0
	s_or_b64 s[6:7], s[6:7], s[10:11]
	s_or_b64 exec, exec, s[8:9]
	s_and_saveexec_b64 s[8:9], s[6:7]
	s_cbranch_execnz .LBB188_2107
	s_branch .LBB188_2108
.LBB188_2127:
	s_mov_b64 s[4:5], -1
                                        ; implicit-def: $vgpr32
.LBB188_2128:
	s_mov_b64 s[10:11], 0
.LBB188_2129:
	s_mov_b64 s[6:7], 0
	s_and_b64 vcc, exec, s[10:11]
	s_cbranch_vccz .LBB188_2131
; %bb.2130:
	v_mov_b32_e32 v6, 11
	v_cmp_ne_u16_sdwa s[4:5], v35, v6 src0_sel:BYTE_0 src1_sel:DWORD
	s_mov_b64 s[6:7], -1
                                        ; implicit-def: $vgpr32
.LBB188_2131:
	s_and_b64 vcc, exec, s[4:5]
	s_cbranch_vccnz .LBB188_2196
; %bb.2132:
	s_andn2_b64 vcc, exec, s[6:7]
	s_cbranch_vccnz .LBB188_2134
.LBB188_2133:
	global_load_ubyte v6, v[2:3], off
	s_mov_b64 s[8:9], -1
	s_waitcnt vmcnt(0)
	v_cmp_ne_u16_e32 vcc, 0, v6
	v_cndmask_b32_e64 v32, 0, 1.0, vcc
.LBB188_2134:
	s_mov_b64 s[4:5], 0
.LBB188_2135:
	s_and_b64 vcc, exec, s[4:5]
	s_cbranch_vccz .LBB188_2184
; %bb.2136:
	v_mov_b32_e32 v6, 5
	v_cmp_lt_i16_sdwa s[4:5], v35, v6 src0_sel:BYTE_0 src1_sel:DWORD
	s_and_b64 vcc, exec, s[4:5]
	s_cbranch_vccnz .LBB188_2141
; %bb.2137:
	v_mov_b32_e32 v6, 8
	v_cmp_lt_i16_sdwa s[4:5], v35, v6 src0_sel:BYTE_0 src1_sel:DWORD
	s_and_b64 vcc, exec, s[4:5]
	s_cbranch_vccnz .LBB188_2142
	;; [unrolled: 5-line block ×3, first 2 shown]
; %bb.2139:
	v_cmp_gt_i16_sdwa s[4:5], v35, v6 src0_sel:BYTE_0 src1_sel:DWORD
	s_and_b64 vcc, exec, s[4:5]
	s_cbranch_vccz .LBB188_2144
; %bb.2140:
	global_load_dwordx2 v[6:7], v[2:3], off
	s_mov_b64 s[4:5], 0
	s_waitcnt vmcnt(0)
	v_cvt_f32_f64_e32 v32, v[6:7]
	s_branch .LBB188_2145
.LBB188_2141:
	s_mov_b64 s[4:5], -1
                                        ; implicit-def: $vgpr32
	s_branch .LBB188_2163
.LBB188_2142:
	s_mov_b64 s[4:5], -1
                                        ; implicit-def: $vgpr32
	s_branch .LBB188_2151
.LBB188_2143:
	s_mov_b64 s[4:5], -1
                                        ; implicit-def: $vgpr32
	s_branch .LBB188_2148
.LBB188_2144:
	s_mov_b64 s[4:5], -1
                                        ; implicit-def: $vgpr32
.LBB188_2145:
	s_andn2_b64 vcc, exec, s[4:5]
	s_cbranch_vccnz .LBB188_2147
; %bb.2146:
	global_load_dword v32, v[2:3], off
.LBB188_2147:
	s_mov_b64 s[4:5], 0
.LBB188_2148:
	s_andn2_b64 vcc, exec, s[4:5]
	s_cbranch_vccnz .LBB188_2150
; %bb.2149:
	global_load_dword v6, v[2:3], off
	s_waitcnt vmcnt(0)
	v_cvt_f32_f16_e32 v32, v6
.LBB188_2150:
	s_mov_b64 s[4:5], 0
.LBB188_2151:
	s_andn2_b64 vcc, exec, s[4:5]
	s_cbranch_vccnz .LBB188_2162
; %bb.2152:
	v_mov_b32_e32 v6, 6
	v_cmp_lt_i16_sdwa s[4:5], v35, v6 src0_sel:BYTE_0 src1_sel:DWORD
	s_and_b64 vcc, exec, s[4:5]
	s_cbranch_vccnz .LBB188_2155
; %bb.2153:
	v_cmp_gt_i16_sdwa s[4:5], v35, v6 src0_sel:BYTE_0 src1_sel:DWORD
	s_and_b64 vcc, exec, s[4:5]
	s_cbranch_vccz .LBB188_2156
; %bb.2154:
	global_load_dwordx2 v[6:7], v[2:3], off
	s_mov_b64 s[4:5], 0
	s_waitcnt vmcnt(0)
	v_cvt_f32_f64_e32 v32, v[6:7]
	s_branch .LBB188_2157
.LBB188_2155:
	s_mov_b64 s[4:5], -1
                                        ; implicit-def: $vgpr32
	s_branch .LBB188_2160
.LBB188_2156:
	s_mov_b64 s[4:5], -1
                                        ; implicit-def: $vgpr32
.LBB188_2157:
	s_andn2_b64 vcc, exec, s[4:5]
	s_cbranch_vccnz .LBB188_2159
; %bb.2158:
	global_load_dword v32, v[2:3], off
.LBB188_2159:
	s_mov_b64 s[4:5], 0
.LBB188_2160:
	s_andn2_b64 vcc, exec, s[4:5]
	s_cbranch_vccnz .LBB188_2162
; %bb.2161:
	global_load_ushort v6, v[2:3], off
	s_waitcnt vmcnt(0)
	v_cvt_f32_f16_e32 v32, v6
.LBB188_2162:
	s_mov_b64 s[4:5], 0
.LBB188_2163:
	s_andn2_b64 vcc, exec, s[4:5]
	s_cbranch_vccnz .LBB188_2183
; %bb.2164:
	v_mov_b32_e32 v6, 2
	v_cmp_lt_i16_sdwa s[4:5], v35, v6 src0_sel:BYTE_0 src1_sel:DWORD
	s_and_b64 vcc, exec, s[4:5]
	s_cbranch_vccnz .LBB188_2168
; %bb.2165:
	v_mov_b32_e32 v6, 3
	v_cmp_lt_i16_sdwa s[4:5], v35, v6 src0_sel:BYTE_0 src1_sel:DWORD
	s_and_b64 vcc, exec, s[4:5]
	s_cbranch_vccnz .LBB188_2169
; %bb.2166:
	v_cmp_gt_i16_sdwa s[4:5], v35, v6 src0_sel:BYTE_0 src1_sel:DWORD
	s_and_b64 vcc, exec, s[4:5]
	s_cbranch_vccz .LBB188_2170
; %bb.2167:
	global_load_dwordx2 v[6:7], v[2:3], off
	s_mov_b64 s[4:5], 0
	s_waitcnt vmcnt(0)
	v_xor_b32_e32 v9, v6, v7
	v_ffbh_i32_e32 v8, v7
	v_ashrrev_i32_e32 v9, 31, v9
	v_add_u32_e32 v8, -1, v8
	v_add_u32_e32 v9, 32, v9
	v_min_u32_e32 v8, v8, v9
	v_lshlrev_b64 v[6:7], v8, v[6:7]
	v_min_u32_e32 v6, 1, v6
	v_or_b32_e32 v6, v7, v6
	v_cvt_f32_i32_e32 v6, v6
	v_sub_u32_e32 v7, 32, v8
	v_ldexp_f32 v32, v6, v7
	s_branch .LBB188_2171
.LBB188_2168:
	s_mov_b64 s[4:5], -1
                                        ; implicit-def: $vgpr32
	s_branch .LBB188_2177
.LBB188_2169:
	s_mov_b64 s[4:5], -1
                                        ; implicit-def: $vgpr32
	s_branch .LBB188_2174
.LBB188_2170:
	s_mov_b64 s[4:5], -1
                                        ; implicit-def: $vgpr32
.LBB188_2171:
	s_andn2_b64 vcc, exec, s[4:5]
	s_cbranch_vccnz .LBB188_2173
; %bb.2172:
	global_load_dword v6, v[2:3], off
	s_waitcnt vmcnt(0)
	v_cvt_f32_i32_e32 v32, v6
.LBB188_2173:
	s_mov_b64 s[4:5], 0
.LBB188_2174:
	s_andn2_b64 vcc, exec, s[4:5]
	s_cbranch_vccnz .LBB188_2176
; %bb.2175:
	global_load_sshort v6, v[2:3], off
	s_waitcnt vmcnt(0)
	v_cvt_f32_i32_e32 v32, v6
.LBB188_2176:
	s_mov_b64 s[4:5], 0
.LBB188_2177:
	s_andn2_b64 vcc, exec, s[4:5]
	s_cbranch_vccnz .LBB188_2183
; %bb.2178:
	v_mov_b32_e32 v6, 0
	v_cmp_gt_i16_sdwa s[4:5], v35, v6 src0_sel:BYTE_0 src1_sel:DWORD
	s_and_b64 vcc, exec, s[4:5]
	s_cbranch_vccz .LBB188_2180
; %bb.2179:
	global_load_sbyte v6, v[2:3], off
	s_mov_b64 s[4:5], 0
	s_waitcnt vmcnt(0)
	v_cvt_f32_i32_e32 v32, v6
	s_branch .LBB188_2181
.LBB188_2180:
	s_mov_b64 s[4:5], -1
                                        ; implicit-def: $vgpr32
.LBB188_2181:
	s_andn2_b64 vcc, exec, s[4:5]
	s_cbranch_vccnz .LBB188_2183
; %bb.2182:
	global_load_ubyte v2, v[2:3], off
	s_waitcnt vmcnt(0)
	v_cvt_f32_ubyte0_e32 v32, v2
.LBB188_2183:
	s_mov_b64 s[8:9], -1
.LBB188_2184:
	s_andn2_b64 vcc, exec, s[8:9]
	s_cbranch_vccnz .LBB188_3030
; %bb.2185:
	v_add_u32_e32 v4, s15, v4
	v_ashrrev_i32_e32 v3, 31, v4
	v_mov_b32_e32 v6, s23
	v_add_co_u32_e32 v2, vcc, s22, v4
	v_addc_co_u32_e32 v3, vcc, v6, v3, vcc
	v_mov_b32_e32 v6, 11
	v_cmp_lt_i16_sdwa s[4:5], v38, v6 src0_sel:BYTE_0 src1_sel:DWORD
	s_and_b64 vcc, exec, s[4:5]
	s_cbranch_vccnz .LBB188_2192
; %bb.2186:
	v_mov_b32_e32 v6, 25
	v_cmp_gt_i16_sdwa s[4:5], v38, v6 src0_sel:BYTE_0 src1_sel:DWORD
	s_mov_b64 s[6:7], 0
	s_and_b64 vcc, exec, s[4:5]
	s_cbranch_vccz .LBB188_2193
; %bb.2187:
	v_mov_b32_e32 v6, 28
	v_cmp_gt_i16_sdwa s[4:5], v38, v6 src0_sel:BYTE_0 src1_sel:DWORD
	s_and_b64 vcc, exec, s[4:5]
	s_cbranch_vccz .LBB188_2194
; %bb.2188:
	v_mov_b32_e32 v6, 43
	v_cmp_gt_i16_sdwa s[4:5], v38, v6 src0_sel:BYTE_0 src1_sel:DWORD
	;; [unrolled: 5-line block ×3, first 2 shown]
	s_and_b64 vcc, exec, s[4:5]
	s_cbranch_vccz .LBB188_2197
; %bb.2190:
	v_mov_b32_e32 v6, 46
	v_cmp_eq_u16_sdwa s[4:5], v38, v6 src0_sel:BYTE_0 src1_sel:DWORD
	s_mov_b64 s[10:11], 0
	s_and_b64 vcc, exec, s[4:5]
	s_cbranch_vccz .LBB188_2200
; %bb.2191:
	global_load_dword v6, v[2:3], off
	s_mov_b64 s[4:5], 0
	s_mov_b64 s[8:9], -1
	s_waitcnt vmcnt(0)
	v_lshlrev_b32_e32 v33, 16, v6
	s_branch .LBB188_2201
.LBB188_2192:
	s_mov_b64 s[4:5], -1
	s_mov_b64 s[8:9], 0
                                        ; implicit-def: $vgpr33
	s_branch .LBB188_2267
.LBB188_2193:
	s_mov_b64 s[10:11], -1
	s_mov_b64 s[8:9], 0
	s_mov_b64 s[4:5], 0
                                        ; implicit-def: $vgpr33
	s_branch .LBB188_2230
.LBB188_2194:
	s_mov_b64 s[10:11], -1
	s_mov_b64 s[8:9], 0
	s_mov_b64 s[4:5], 0
                                        ; implicit-def: $vgpr33
	s_branch .LBB188_2211
.LBB188_2195:
	s_mov_b64 s[10:11], -1
	s_mov_b64 s[8:9], 0
	s_mov_b64 s[4:5], 0
                                        ; implicit-def: $vgpr33
	s_branch .LBB188_2206
.LBB188_2196:
	s_trap 2
	s_or_b64 s[42:43], s[42:43], exec
                                        ; implicit-def: $vgpr32
	s_cbranch_execz .LBB188_2133
	s_branch .LBB188_2134
.LBB188_2197:
	s_mov_b64 s[10:11], -1
	s_mov_b64 s[8:9], 0
	s_mov_b64 s[4:5], 0
                                        ; implicit-def: $vgpr33
	s_branch .LBB188_2201
.LBB188_2198:
	s_or_saveexec_b64 s[10:11], s[10:11]
                                        ; implicit-def: $sgpr12
	s_xor_b64 exec, exec, s[10:11]
	s_cbranch_execz .LBB188_1083
.LBB188_2199:
	s_mov_b32 s12, 0x42800000
	v_add_f32_e64 v1, |v0|, s12
	v_and_b32_e32 v1, 0xff, v1
	v_cmp_ne_u32_e32 vcc, 0, v1
	s_andn2_b64 s[8:9], s[8:9], exec
	s_and_b64 s[14:15], vcc, exec
	s_mov_b32 s12, 0
	s_or_b64 s[8:9], s[8:9], s[14:15]
	s_or_b64 exec, exec, s[10:11]
	v_mov_b32_e32 v4, s12
	s_and_saveexec_b64 s[10:11], s[8:9]
	s_cbranch_execnz .LBB188_1084
	s_branch .LBB188_1085
.LBB188_2200:
	s_mov_b64 s[4:5], -1
                                        ; implicit-def: $vgpr33
	s_mov_b64 s[8:9], 0
.LBB188_2201:
	s_and_b64 vcc, exec, s[10:11]
	s_cbranch_vccz .LBB188_2205
; %bb.2202:
	v_mov_b32_e32 v6, 44
	v_cmp_eq_u16_sdwa s[4:5], v38, v6 src0_sel:BYTE_0 src1_sel:DWORD
	s_and_b64 vcc, exec, s[4:5]
	s_cbranch_vccz .LBB188_2204
; %bb.2203:
	global_load_ubyte v6, v[2:3], off
	s_movk_i32 s8, 0xff
	v_mov_b32_e32 v7, 0x7f800001
	v_mov_b32_e32 v8, 0x400000
	s_mov_b64 s[4:5], 0
	s_waitcnt vmcnt(0)
	v_lshlrev_b32_e32 v9, 23, v6
	v_cmp_ne_u32_e32 vcc, s8, v6
	v_cndmask_b32_e32 v7, v7, v9, vcc
	v_cmp_ne_u32_e32 vcc, 0, v6
	v_cndmask_b32_e32 v33, v8, v7, vcc
	s_mov_b64 s[8:9], -1
	s_branch .LBB188_2205
.LBB188_2204:
	s_mov_b64 s[4:5], -1
                                        ; implicit-def: $vgpr33
.LBB188_2205:
	s_mov_b64 s[10:11], 0
.LBB188_2206:
	s_and_b64 vcc, exec, s[10:11]
	s_cbranch_vccz .LBB188_2210
; %bb.2207:
	v_mov_b32_e32 v6, 29
	v_cmp_eq_u16_sdwa s[4:5], v38, v6 src0_sel:BYTE_0 src1_sel:DWORD
	s_and_b64 vcc, exec, s[4:5]
	s_cbranch_vccz .LBB188_2209
; %bb.2208:
	global_load_dwordx2 v[6:7], v[2:3], off
	s_mov_b64 s[4:5], 0
	s_mov_b64 s[8:9], -1
	s_mov_b64 s[10:11], 0
	s_waitcnt vmcnt(0)
	v_ffbh_u32_e32 v8, v7
	v_min_u32_e32 v8, 32, v8
	v_lshlrev_b64 v[6:7], v8, v[6:7]
	v_min_u32_e32 v6, 1, v6
	v_or_b32_e32 v6, v7, v6
	v_cvt_f32_u32_e32 v6, v6
	v_sub_u32_e32 v7, 32, v8
	v_ldexp_f32 v33, v6, v7
	s_branch .LBB188_2211
.LBB188_2209:
	s_mov_b64 s[4:5], -1
                                        ; implicit-def: $vgpr33
.LBB188_2210:
	s_mov_b64 s[10:11], 0
.LBB188_2211:
	s_and_b64 vcc, exec, s[10:11]
	s_cbranch_vccz .LBB188_2229
; %bb.2212:
	v_mov_b32_e32 v6, 27
	v_cmp_lt_i16_sdwa s[8:9], v38, v6 src0_sel:BYTE_0 src1_sel:DWORD
	s_and_b64 vcc, exec, s[8:9]
	s_cbranch_vccnz .LBB188_2215
; %bb.2213:
	v_cmp_gt_i16_sdwa s[8:9], v38, v6 src0_sel:BYTE_0 src1_sel:DWORD
	s_and_b64 vcc, exec, s[8:9]
	s_cbranch_vccz .LBB188_2216
; %bb.2214:
	global_load_dword v6, v[2:3], off
	s_mov_b64 s[8:9], 0
	s_waitcnt vmcnt(0)
	v_cvt_f32_u32_e32 v33, v6
	s_branch .LBB188_2217
.LBB188_2215:
	s_mov_b64 s[8:9], -1
                                        ; implicit-def: $vgpr33
	s_branch .LBB188_2220
.LBB188_2216:
	s_mov_b64 s[8:9], -1
                                        ; implicit-def: $vgpr33
.LBB188_2217:
	s_andn2_b64 vcc, exec, s[8:9]
	s_cbranch_vccnz .LBB188_2219
; %bb.2218:
	global_load_ushort v6, v[2:3], off
	s_waitcnt vmcnt(0)
	v_cvt_f32_u32_e32 v33, v6
.LBB188_2219:
	s_mov_b64 s[8:9], 0
.LBB188_2220:
	s_andn2_b64 vcc, exec, s[8:9]
	s_cbranch_vccnz .LBB188_2228
; %bb.2221:
	global_load_ubyte v6, v[2:3], off
	s_movk_i32 s8, 0x7f
                                        ; implicit-def: $sgpr16
	s_waitcnt vmcnt(0)
	v_cmp_lt_i16_e32 vcc, s8, v6
	s_mov_b64 s[8:9], 0
	s_and_saveexec_b64 s[10:11], vcc
	s_xor_b64 s[10:11], exec, s[10:11]
	s_cbranch_execz .LBB188_2242
; %bb.2222:
	s_movk_i32 s8, 0x80
	v_cmp_eq_u16_e32 vcc, s8, v6
	s_mov_b64 s[8:9], -1
                                        ; implicit-def: $sgpr16
	s_and_saveexec_b64 s[12:13], vcc
; %bb.2223:
	s_mov_b32 s16, 0x7f800001
	s_xor_b64 s[8:9], exec, -1
; %bb.2224:
	s_or_b64 exec, exec, s[12:13]
	s_and_b64 s[8:9], s[8:9], exec
	s_or_saveexec_b64 s[10:11], s[10:11]
	v_mov_b32_e32 v33, s16
	s_xor_b64 exec, exec, s[10:11]
	s_cbranch_execnz .LBB188_2243
.LBB188_2225:
	s_or_b64 exec, exec, s[10:11]
	s_and_saveexec_b64 s[10:11], s[8:9]
	s_cbranch_execz .LBB188_2227
.LBB188_2226:
	v_lshlrev_b32_e32 v7, 24, v6
	v_and_b32_e32 v6, 0xffff, v6
	v_and_b32_e32 v8, 7, v6
	v_ffbh_u32_e32 v10, v8
	v_min_u32_e32 v10, 32, v10
	v_subrev_u32_e32 v11, 28, v10
	v_bfe_u32 v9, v6, 3, 4
	v_lshlrev_b32_e32 v6, v11, v6
	v_sub_u32_e32 v10, 29, v10
	v_and_b32_e32 v6, 7, v6
	v_cmp_eq_u32_e32 vcc, 0, v9
	v_cndmask_b32_e32 v9, v9, v10, vcc
	v_cndmask_b32_e32 v6, v8, v6, vcc
	v_mov_b32_e32 v8, 0x3b800000
	v_lshlrev_b32_e32 v6, 20, v6
	v_and_b32_e32 v7, 0x80000000, v7
	v_lshl_add_u32 v8, v9, 23, v8
	v_or3_b32 v33, v7, v8, v6
.LBB188_2227:
	s_or_b64 exec, exec, s[10:11]
.LBB188_2228:
	s_mov_b64 s[8:9], -1
.LBB188_2229:
	s_mov_b64 s[10:11], 0
.LBB188_2230:
	s_and_b64 vcc, exec, s[10:11]
	s_cbranch_vccz .LBB188_2263
; %bb.2231:
	v_mov_b32_e32 v6, 22
	v_cmp_gt_i16_sdwa s[6:7], v38, v6 src0_sel:BYTE_0 src1_sel:DWORD
	s_and_b64 vcc, exec, s[6:7]
	s_cbranch_vccz .LBB188_2241
; %bb.2232:
	v_mov_b32_e32 v6, 24
	v_cmp_lt_i16_sdwa s[6:7], v38, v6 src0_sel:BYTE_0 src1_sel:DWORD
	s_and_b64 vcc, exec, s[6:7]
	s_cbranch_vccnz .LBB188_2244
; %bb.2233:
	v_cmp_gt_i16_sdwa s[6:7], v38, v6 src0_sel:BYTE_0 src1_sel:DWORD
	s_and_b64 vcc, exec, s[6:7]
	s_cbranch_vccz .LBB188_2245
; %bb.2234:
	global_load_ubyte v6, v[2:3], off
	s_movk_i32 s6, 0x7f
                                        ; implicit-def: $sgpr12
	s_waitcnt vmcnt(0)
	v_cmp_lt_i16_e32 vcc, s6, v6
	s_mov_b64 s[6:7], 0
	s_and_saveexec_b64 s[8:9], vcc
	s_xor_b64 s[8:9], exec, s[8:9]
	s_cbranch_execz .LBB188_2257
; %bb.2235:
	s_movk_i32 s6, 0x80
	v_cmp_eq_u16_e32 vcc, s6, v6
	s_mov_b64 s[6:7], -1
                                        ; implicit-def: $sgpr12
	s_and_saveexec_b64 s[10:11], vcc
; %bb.2236:
	s_mov_b32 s12, 0x7f800001
	s_xor_b64 s[6:7], exec, -1
; %bb.2237:
	s_or_b64 exec, exec, s[10:11]
	s_and_b64 s[6:7], s[6:7], exec
	s_or_saveexec_b64 s[8:9], s[8:9]
	v_mov_b32_e32 v33, s12
	s_xor_b64 exec, exec, s[8:9]
	s_cbranch_execnz .LBB188_2258
.LBB188_2238:
	s_or_b64 exec, exec, s[8:9]
	s_and_saveexec_b64 s[8:9], s[6:7]
	s_cbranch_execz .LBB188_2240
.LBB188_2239:
	v_lshlrev_b32_e32 v7, 24, v6
	v_and_b32_e32 v6, 0xffff, v6
	v_and_b32_e32 v8, 3, v6
	v_ffbh_u32_e32 v10, v8
	v_min_u32_e32 v10, 32, v10
	v_subrev_u32_e32 v11, 29, v10
	v_bfe_u32 v9, v6, 2, 5
	v_lshlrev_b32_e32 v6, v11, v6
	v_sub_u32_e32 v10, 30, v10
	v_and_b32_e32 v6, 3, v6
	v_cmp_eq_u32_e32 vcc, 0, v9
	v_cndmask_b32_e32 v9, v9, v10, vcc
	v_cndmask_b32_e32 v6, v8, v6, vcc
	v_mov_b32_e32 v8, 0x37800000
	v_lshlrev_b32_e32 v6, 21, v6
	v_and_b32_e32 v7, 0x80000000, v7
	v_lshl_add_u32 v8, v9, 23, v8
	v_or3_b32 v33, v7, v8, v6
.LBB188_2240:
	s_or_b64 exec, exec, s[8:9]
	s_mov_b64 s[6:7], 0
	s_branch .LBB188_2246
.LBB188_2241:
	s_mov_b64 s[6:7], -1
                                        ; implicit-def: $vgpr33
	s_branch .LBB188_2252
.LBB188_2242:
	s_or_saveexec_b64 s[10:11], s[10:11]
	v_mov_b32_e32 v33, s16
	s_xor_b64 exec, exec, s[10:11]
	s_cbranch_execz .LBB188_2225
.LBB188_2243:
	v_cmp_ne_u16_e32 vcc, 0, v6
	s_andn2_b64 s[8:9], s[8:9], exec
	s_and_b64 s[12:13], vcc, exec
	v_mov_b32_e32 v33, 0
	s_or_b64 s[8:9], s[8:9], s[12:13]
	s_or_b64 exec, exec, s[10:11]
	s_and_saveexec_b64 s[10:11], s[8:9]
	s_cbranch_execnz .LBB188_2226
	s_branch .LBB188_2227
.LBB188_2244:
	s_mov_b64 s[6:7], -1
                                        ; implicit-def: $vgpr33
	s_branch .LBB188_2249
.LBB188_2245:
	s_mov_b64 s[6:7], -1
                                        ; implicit-def: $vgpr33
.LBB188_2246:
	s_and_b64 vcc, exec, s[6:7]
	s_cbranch_vccz .LBB188_2248
; %bb.2247:
	global_load_ubyte v6, v[2:3], off
	s_mov_b32 s6, 0x7f800000
	s_waitcnt vmcnt(0)
	v_lshlrev_b32_e32 v6, 24, v6
	v_and_b32_e32 v7, 0x7f000000, v6
	v_ffbh_u32_e32 v8, v7
	v_min_u32_e32 v8, 32, v8
	v_sub_u32_e64 v8, v8, 4 clamp
	v_lshlrev_b32_e32 v10, v8, v7
	v_lshlrev_b32_e32 v8, 23, v8
	v_lshrrev_b32_e32 v10, 4, v10
	v_add_u32_e32 v9, 0x1000000, v7
	v_sub_u32_e32 v8, v10, v8
	v_ashrrev_i32_e32 v9, 8, v9
	v_add_u32_e32 v8, 0x3c000000, v8
	v_and_or_b32 v8, v9, s6, v8
	v_cmp_ne_u32_e32 vcc, 0, v7
	v_cndmask_b32_e32 v7, 0, v8, vcc
	s_brev_b32 s6, 1
	v_and_or_b32 v33, v6, s6, v7
.LBB188_2248:
	s_mov_b64 s[6:7], 0
.LBB188_2249:
	s_andn2_b64 vcc, exec, s[6:7]
	s_cbranch_vccnz .LBB188_2251
; %bb.2250:
	global_load_ubyte v6, v[2:3], off
	s_movk_i32 s6, 0x7f00
	s_brev_b32 s7, 16
	s_waitcnt vmcnt(0)
	v_lshlrev_b16_e32 v7, 8, v6
	v_lshlrev_b32_e32 v6, 25, v6
	v_lshrrev_b32_e32 v8, 4, v6
	v_and_or_b32 v9, v7, s6, 0.5
	v_or_b32_e32 v8, 0x70000000, v8
	v_add_f32_e32 v9, -0.5, v9
	v_mul_f32_e32 v8, 0x7800000, v8
	v_cmp_gt_u32_e32 vcc, s7, v6
	v_bfe_i32 v7, v7, 0, 16
	v_cndmask_b32_e32 v6, v8, v9, vcc
	s_brev_b32 s6, 1
	v_and_or_b32 v33, v7, s6, v6
.LBB188_2251:
	s_mov_b64 s[6:7], 0
	s_mov_b64 s[8:9], -1
.LBB188_2252:
	s_andn2_b64 vcc, exec, s[6:7]
	s_mov_b64 s[6:7], 0
	s_cbranch_vccnz .LBB188_2263
; %bb.2253:
	v_mov_b32_e32 v6, 14
	v_cmp_gt_i16_sdwa s[6:7], v38, v6 src0_sel:BYTE_0 src1_sel:DWORD
	s_and_b64 vcc, exec, s[6:7]
	s_cbranch_vccz .LBB188_2256
; %bb.2254:
	v_mov_b32_e32 v6, 15
	v_cmp_eq_u16_sdwa s[4:5], v38, v6 src0_sel:BYTE_0 src1_sel:DWORD
	s_and_b64 vcc, exec, s[4:5]
	s_cbranch_vccz .LBB188_2259
; %bb.2255:
	global_load_ushort v6, v[2:3], off
	s_mov_b64 s[4:5], 0
	s_mov_b64 s[8:9], -1
	s_waitcnt vmcnt(0)
	v_lshlrev_b32_e32 v33, 16, v6
	s_branch .LBB188_2260
.LBB188_2256:
	s_mov_b64 s[10:11], -1
                                        ; implicit-def: $vgpr33
	s_branch .LBB188_2261
.LBB188_2257:
	s_or_saveexec_b64 s[8:9], s[8:9]
	v_mov_b32_e32 v33, s12
	s_xor_b64 exec, exec, s[8:9]
	s_cbranch_execz .LBB188_2238
.LBB188_2258:
	v_cmp_ne_u16_e32 vcc, 0, v6
	s_andn2_b64 s[6:7], s[6:7], exec
	s_and_b64 s[10:11], vcc, exec
	v_mov_b32_e32 v33, 0
	s_or_b64 s[6:7], s[6:7], s[10:11]
	s_or_b64 exec, exec, s[8:9]
	s_and_saveexec_b64 s[8:9], s[6:7]
	s_cbranch_execnz .LBB188_2239
	s_branch .LBB188_2240
.LBB188_2259:
	s_mov_b64 s[4:5], -1
                                        ; implicit-def: $vgpr33
.LBB188_2260:
	s_mov_b64 s[10:11], 0
.LBB188_2261:
	s_mov_b64 s[6:7], 0
	s_and_b64 vcc, exec, s[10:11]
	s_cbranch_vccz .LBB188_2263
; %bb.2262:
	v_mov_b32_e32 v6, 11
	v_cmp_ne_u16_sdwa s[4:5], v38, v6 src0_sel:BYTE_0 src1_sel:DWORD
	s_mov_b64 s[6:7], -1
                                        ; implicit-def: $vgpr33
.LBB188_2263:
	s_and_b64 vcc, exec, s[4:5]
	s_cbranch_vccnz .LBB188_2328
; %bb.2264:
	s_andn2_b64 vcc, exec, s[6:7]
	s_cbranch_vccnz .LBB188_2266
.LBB188_2265:
	global_load_ubyte v6, v[2:3], off
	s_mov_b64 s[8:9], -1
	s_waitcnt vmcnt(0)
	v_cmp_ne_u16_e32 vcc, 0, v6
	v_cndmask_b32_e64 v33, 0, 1.0, vcc
.LBB188_2266:
	s_mov_b64 s[4:5], 0
.LBB188_2267:
	s_and_b64 vcc, exec, s[4:5]
	s_cbranch_vccz .LBB188_2316
; %bb.2268:
	v_mov_b32_e32 v6, 5
	v_cmp_lt_i16_sdwa s[4:5], v38, v6 src0_sel:BYTE_0 src1_sel:DWORD
	s_and_b64 vcc, exec, s[4:5]
	s_cbranch_vccnz .LBB188_2273
; %bb.2269:
	v_mov_b32_e32 v6, 8
	v_cmp_lt_i16_sdwa s[4:5], v38, v6 src0_sel:BYTE_0 src1_sel:DWORD
	s_and_b64 vcc, exec, s[4:5]
	s_cbranch_vccnz .LBB188_2274
	;; [unrolled: 5-line block ×3, first 2 shown]
; %bb.2271:
	v_cmp_gt_i16_sdwa s[4:5], v38, v6 src0_sel:BYTE_0 src1_sel:DWORD
	s_and_b64 vcc, exec, s[4:5]
	s_cbranch_vccz .LBB188_2276
; %bb.2272:
	global_load_dwordx2 v[6:7], v[2:3], off
	s_mov_b64 s[4:5], 0
	s_waitcnt vmcnt(0)
	v_cvt_f32_f64_e32 v33, v[6:7]
	s_branch .LBB188_2277
.LBB188_2273:
	s_mov_b64 s[4:5], -1
                                        ; implicit-def: $vgpr33
	s_branch .LBB188_2295
.LBB188_2274:
	s_mov_b64 s[4:5], -1
                                        ; implicit-def: $vgpr33
	s_branch .LBB188_2283
.LBB188_2275:
	s_mov_b64 s[4:5], -1
                                        ; implicit-def: $vgpr33
	s_branch .LBB188_2280
.LBB188_2276:
	s_mov_b64 s[4:5], -1
                                        ; implicit-def: $vgpr33
.LBB188_2277:
	s_andn2_b64 vcc, exec, s[4:5]
	s_cbranch_vccnz .LBB188_2279
; %bb.2278:
	global_load_dword v33, v[2:3], off
.LBB188_2279:
	s_mov_b64 s[4:5], 0
.LBB188_2280:
	s_andn2_b64 vcc, exec, s[4:5]
	s_cbranch_vccnz .LBB188_2282
; %bb.2281:
	global_load_dword v6, v[2:3], off
	s_waitcnt vmcnt(0)
	v_cvt_f32_f16_e32 v33, v6
.LBB188_2282:
	s_mov_b64 s[4:5], 0
.LBB188_2283:
	s_andn2_b64 vcc, exec, s[4:5]
	s_cbranch_vccnz .LBB188_2294
; %bb.2284:
	v_mov_b32_e32 v6, 6
	v_cmp_lt_i16_sdwa s[4:5], v38, v6 src0_sel:BYTE_0 src1_sel:DWORD
	s_and_b64 vcc, exec, s[4:5]
	s_cbranch_vccnz .LBB188_2287
; %bb.2285:
	v_cmp_gt_i16_sdwa s[4:5], v38, v6 src0_sel:BYTE_0 src1_sel:DWORD
	s_and_b64 vcc, exec, s[4:5]
	s_cbranch_vccz .LBB188_2288
; %bb.2286:
	global_load_dwordx2 v[6:7], v[2:3], off
	s_mov_b64 s[4:5], 0
	s_waitcnt vmcnt(0)
	v_cvt_f32_f64_e32 v33, v[6:7]
	s_branch .LBB188_2289
.LBB188_2287:
	s_mov_b64 s[4:5], -1
                                        ; implicit-def: $vgpr33
	s_branch .LBB188_2292
.LBB188_2288:
	s_mov_b64 s[4:5], -1
                                        ; implicit-def: $vgpr33
.LBB188_2289:
	s_andn2_b64 vcc, exec, s[4:5]
	s_cbranch_vccnz .LBB188_2291
; %bb.2290:
	global_load_dword v33, v[2:3], off
.LBB188_2291:
	s_mov_b64 s[4:5], 0
.LBB188_2292:
	s_andn2_b64 vcc, exec, s[4:5]
	s_cbranch_vccnz .LBB188_2294
; %bb.2293:
	global_load_ushort v6, v[2:3], off
	s_waitcnt vmcnt(0)
	v_cvt_f32_f16_e32 v33, v6
.LBB188_2294:
	s_mov_b64 s[4:5], 0
.LBB188_2295:
	s_andn2_b64 vcc, exec, s[4:5]
	s_cbranch_vccnz .LBB188_2315
; %bb.2296:
	v_mov_b32_e32 v6, 2
	v_cmp_lt_i16_sdwa s[4:5], v38, v6 src0_sel:BYTE_0 src1_sel:DWORD
	s_and_b64 vcc, exec, s[4:5]
	s_cbranch_vccnz .LBB188_2300
; %bb.2297:
	v_mov_b32_e32 v6, 3
	v_cmp_lt_i16_sdwa s[4:5], v38, v6 src0_sel:BYTE_0 src1_sel:DWORD
	s_and_b64 vcc, exec, s[4:5]
	s_cbranch_vccnz .LBB188_2301
; %bb.2298:
	v_cmp_gt_i16_sdwa s[4:5], v38, v6 src0_sel:BYTE_0 src1_sel:DWORD
	s_and_b64 vcc, exec, s[4:5]
	s_cbranch_vccz .LBB188_2302
; %bb.2299:
	global_load_dwordx2 v[6:7], v[2:3], off
	s_mov_b64 s[4:5], 0
	s_waitcnt vmcnt(0)
	v_xor_b32_e32 v9, v6, v7
	v_ffbh_i32_e32 v8, v7
	v_ashrrev_i32_e32 v9, 31, v9
	v_add_u32_e32 v8, -1, v8
	v_add_u32_e32 v9, 32, v9
	v_min_u32_e32 v8, v8, v9
	v_lshlrev_b64 v[6:7], v8, v[6:7]
	v_min_u32_e32 v6, 1, v6
	v_or_b32_e32 v6, v7, v6
	v_cvt_f32_i32_e32 v6, v6
	v_sub_u32_e32 v7, 32, v8
	v_ldexp_f32 v33, v6, v7
	s_branch .LBB188_2303
.LBB188_2300:
	s_mov_b64 s[4:5], -1
                                        ; implicit-def: $vgpr33
	s_branch .LBB188_2309
.LBB188_2301:
	s_mov_b64 s[4:5], -1
                                        ; implicit-def: $vgpr33
	s_branch .LBB188_2306
.LBB188_2302:
	s_mov_b64 s[4:5], -1
                                        ; implicit-def: $vgpr33
.LBB188_2303:
	s_andn2_b64 vcc, exec, s[4:5]
	s_cbranch_vccnz .LBB188_2305
; %bb.2304:
	global_load_dword v6, v[2:3], off
	s_waitcnt vmcnt(0)
	v_cvt_f32_i32_e32 v33, v6
.LBB188_2305:
	s_mov_b64 s[4:5], 0
.LBB188_2306:
	s_andn2_b64 vcc, exec, s[4:5]
	s_cbranch_vccnz .LBB188_2308
; %bb.2307:
	global_load_sshort v6, v[2:3], off
	s_waitcnt vmcnt(0)
	v_cvt_f32_i32_e32 v33, v6
.LBB188_2308:
	s_mov_b64 s[4:5], 0
.LBB188_2309:
	s_andn2_b64 vcc, exec, s[4:5]
	s_cbranch_vccnz .LBB188_2315
; %bb.2310:
	v_mov_b32_e32 v6, 0
	v_cmp_gt_i16_sdwa s[4:5], v38, v6 src0_sel:BYTE_0 src1_sel:DWORD
	s_and_b64 vcc, exec, s[4:5]
	s_cbranch_vccz .LBB188_2312
; %bb.2311:
	global_load_sbyte v6, v[2:3], off
	s_mov_b64 s[4:5], 0
	s_waitcnt vmcnt(0)
	v_cvt_f32_i32_e32 v33, v6
	s_branch .LBB188_2313
.LBB188_2312:
	s_mov_b64 s[4:5], -1
                                        ; implicit-def: $vgpr33
.LBB188_2313:
	s_andn2_b64 vcc, exec, s[4:5]
	s_cbranch_vccnz .LBB188_2315
; %bb.2314:
	global_load_ubyte v2, v[2:3], off
	s_waitcnt vmcnt(0)
	v_cvt_f32_ubyte0_e32 v33, v2
.LBB188_2315:
	s_mov_b64 s[8:9], -1
.LBB188_2316:
	s_andn2_b64 vcc, exec, s[8:9]
	s_cbranch_vccnz .LBB188_3030
; %bb.2317:
	v_add_u32_e32 v2, s14, v5
	v_ashrrev_i32_e32 v3, 31, v2
	v_mov_b32_e32 v5, s27
	v_add_co_u32_e32 v2, vcc, s26, v2
	v_addc_co_u32_e32 v3, vcc, v5, v3, vcc
	v_mov_b32_e32 v5, 11
	v_cmp_lt_i16_sdwa s[4:5], v35, v5 src0_sel:BYTE_0 src1_sel:DWORD
	s_and_b64 vcc, exec, s[4:5]
	s_cbranch_vccnz .LBB188_2324
; %bb.2318:
	v_mov_b32_e32 v5, 25
	v_cmp_gt_i16_sdwa s[4:5], v35, v5 src0_sel:BYTE_0 src1_sel:DWORD
	s_mov_b64 s[6:7], 0
	s_and_b64 vcc, exec, s[4:5]
	s_cbranch_vccz .LBB188_2325
; %bb.2319:
	v_mov_b32_e32 v5, 28
	v_cmp_gt_i16_sdwa s[4:5], v35, v5 src0_sel:BYTE_0 src1_sel:DWORD
	s_and_b64 vcc, exec, s[4:5]
	s_cbranch_vccz .LBB188_2326
; %bb.2320:
	v_mov_b32_e32 v5, 43
	v_cmp_gt_i16_sdwa s[4:5], v35, v5 src0_sel:BYTE_0 src1_sel:DWORD
	;; [unrolled: 5-line block ×3, first 2 shown]
	s_and_b64 vcc, exec, s[4:5]
	s_cbranch_vccz .LBB188_2329
; %bb.2322:
	v_mov_b32_e32 v5, 46
	v_cmp_eq_u16_sdwa s[4:5], v35, v5 src0_sel:BYTE_0 src1_sel:DWORD
	s_mov_b64 s[10:11], 0
	s_and_b64 vcc, exec, s[4:5]
	s_cbranch_vccz .LBB188_2330
; %bb.2323:
	global_load_dword v5, v[2:3], off
	s_mov_b64 s[4:5], 0
	s_mov_b64 s[8:9], -1
	s_waitcnt vmcnt(0)
	v_lshlrev_b32_e32 v34, 16, v5
	s_branch .LBB188_2331
.LBB188_2324:
	s_mov_b64 s[4:5], -1
	s_mov_b64 s[8:9], 0
                                        ; implicit-def: $vgpr34
	s_branch .LBB188_2397
.LBB188_2325:
	s_mov_b64 s[10:11], -1
	s_mov_b64 s[8:9], 0
	s_mov_b64 s[4:5], 0
                                        ; implicit-def: $vgpr34
	s_branch .LBB188_2360
.LBB188_2326:
	s_mov_b64 s[10:11], -1
	s_mov_b64 s[8:9], 0
	s_mov_b64 s[4:5], 0
                                        ; implicit-def: $vgpr34
	s_branch .LBB188_2341
.LBB188_2327:
	s_mov_b64 s[10:11], -1
	s_mov_b64 s[8:9], 0
	s_mov_b64 s[4:5], 0
                                        ; implicit-def: $vgpr34
	s_branch .LBB188_2336
.LBB188_2328:
	s_trap 2
	s_or_b64 s[42:43], s[42:43], exec
                                        ; implicit-def: $vgpr33
	s_cbranch_execz .LBB188_2265
	s_branch .LBB188_2266
.LBB188_2329:
	s_mov_b64 s[10:11], -1
	s_mov_b64 s[8:9], 0
	s_mov_b64 s[4:5], 0
                                        ; implicit-def: $vgpr34
	s_branch .LBB188_2331
.LBB188_2330:
	s_mov_b64 s[4:5], -1
                                        ; implicit-def: $vgpr34
	s_mov_b64 s[8:9], 0
.LBB188_2331:
	s_and_b64 vcc, exec, s[10:11]
	s_cbranch_vccz .LBB188_2335
; %bb.2332:
	v_mov_b32_e32 v5, 44
	v_cmp_eq_u16_sdwa s[4:5], v35, v5 src0_sel:BYTE_0 src1_sel:DWORD
	s_and_b64 vcc, exec, s[4:5]
	s_cbranch_vccz .LBB188_2334
; %bb.2333:
	global_load_ubyte v5, v[2:3], off
	s_movk_i32 s8, 0xff
	v_mov_b32_e32 v6, 0x7f800001
	v_mov_b32_e32 v7, 0x400000
	s_mov_b64 s[4:5], 0
	s_waitcnt vmcnt(0)
	v_lshlrev_b32_e32 v8, 23, v5
	v_cmp_ne_u32_e32 vcc, s8, v5
	v_cndmask_b32_e32 v6, v6, v8, vcc
	v_cmp_ne_u32_e32 vcc, 0, v5
	v_cndmask_b32_e32 v34, v7, v6, vcc
	s_mov_b64 s[8:9], -1
	s_branch .LBB188_2335
.LBB188_2334:
	s_mov_b64 s[4:5], -1
                                        ; implicit-def: $vgpr34
.LBB188_2335:
	s_mov_b64 s[10:11], 0
.LBB188_2336:
	s_and_b64 vcc, exec, s[10:11]
	s_cbranch_vccz .LBB188_2340
; %bb.2337:
	v_mov_b32_e32 v5, 29
	v_cmp_eq_u16_sdwa s[4:5], v35, v5 src0_sel:BYTE_0 src1_sel:DWORD
	s_and_b64 vcc, exec, s[4:5]
	s_cbranch_vccz .LBB188_2339
; %bb.2338:
	global_load_dwordx2 v[6:7], v[2:3], off
	s_mov_b64 s[4:5], 0
	s_mov_b64 s[8:9], -1
	s_mov_b64 s[10:11], 0
	s_waitcnt vmcnt(0)
	v_ffbh_u32_e32 v5, v7
	v_min_u32_e32 v5, 32, v5
	v_lshlrev_b64 v[6:7], v5, v[6:7]
	v_min_u32_e32 v6, 1, v6
	v_or_b32_e32 v6, v7, v6
	v_cvt_f32_u32_e32 v6, v6
	v_sub_u32_e32 v5, 32, v5
	v_ldexp_f32 v34, v6, v5
	s_branch .LBB188_2341
.LBB188_2339:
	s_mov_b64 s[4:5], -1
                                        ; implicit-def: $vgpr34
.LBB188_2340:
	s_mov_b64 s[10:11], 0
.LBB188_2341:
	s_and_b64 vcc, exec, s[10:11]
	s_cbranch_vccz .LBB188_2359
; %bb.2342:
	v_mov_b32_e32 v5, 27
	v_cmp_lt_i16_sdwa s[8:9], v35, v5 src0_sel:BYTE_0 src1_sel:DWORD
	s_and_b64 vcc, exec, s[8:9]
	s_cbranch_vccnz .LBB188_2345
; %bb.2343:
	v_cmp_gt_i16_sdwa s[8:9], v35, v5 src0_sel:BYTE_0 src1_sel:DWORD
	s_and_b64 vcc, exec, s[8:9]
	s_cbranch_vccz .LBB188_2346
; %bb.2344:
	global_load_dword v5, v[2:3], off
	s_mov_b64 s[8:9], 0
	s_waitcnt vmcnt(0)
	v_cvt_f32_u32_e32 v34, v5
	s_branch .LBB188_2347
.LBB188_2345:
	s_mov_b64 s[8:9], -1
                                        ; implicit-def: $vgpr34
	s_branch .LBB188_2350
.LBB188_2346:
	s_mov_b64 s[8:9], -1
                                        ; implicit-def: $vgpr34
.LBB188_2347:
	s_andn2_b64 vcc, exec, s[8:9]
	s_cbranch_vccnz .LBB188_2349
; %bb.2348:
	global_load_ushort v5, v[2:3], off
	s_waitcnt vmcnt(0)
	v_cvt_f32_u32_e32 v34, v5
.LBB188_2349:
	s_mov_b64 s[8:9], 0
.LBB188_2350:
	s_andn2_b64 vcc, exec, s[8:9]
	s_cbranch_vccnz .LBB188_2358
; %bb.2351:
	global_load_ubyte v5, v[2:3], off
	s_movk_i32 s8, 0x7f
                                        ; implicit-def: $sgpr14
	s_waitcnt vmcnt(0)
	v_cmp_lt_i16_e32 vcc, s8, v5
	s_mov_b64 s[8:9], 0
	s_and_saveexec_b64 s[10:11], vcc
	s_xor_b64 s[10:11], exec, s[10:11]
	s_cbranch_execz .LBB188_2372
; %bb.2352:
	s_movk_i32 s8, 0x80
	v_cmp_eq_u16_e32 vcc, s8, v5
	s_mov_b64 s[8:9], -1
                                        ; implicit-def: $sgpr14
	s_and_saveexec_b64 s[12:13], vcc
; %bb.2353:
	s_mov_b32 s14, 0x7f800001
	s_xor_b64 s[8:9], exec, -1
; %bb.2354:
	s_or_b64 exec, exec, s[12:13]
	s_and_b64 s[8:9], s[8:9], exec
	s_or_saveexec_b64 s[10:11], s[10:11]
	v_mov_b32_e32 v34, s14
	s_xor_b64 exec, exec, s[10:11]
	s_cbranch_execnz .LBB188_2373
.LBB188_2355:
	s_or_b64 exec, exec, s[10:11]
	s_and_saveexec_b64 s[10:11], s[8:9]
	s_cbranch_execz .LBB188_2357
.LBB188_2356:
	v_lshlrev_b32_e32 v6, 24, v5
	v_and_b32_e32 v5, 0xffff, v5
	v_and_b32_e32 v7, 7, v5
	v_ffbh_u32_e32 v9, v7
	v_min_u32_e32 v9, 32, v9
	v_subrev_u32_e32 v10, 28, v9
	v_bfe_u32 v8, v5, 3, 4
	v_lshlrev_b32_e32 v5, v10, v5
	v_sub_u32_e32 v9, 29, v9
	v_and_b32_e32 v5, 7, v5
	v_cmp_eq_u32_e32 vcc, 0, v8
	v_cndmask_b32_e32 v8, v8, v9, vcc
	v_cndmask_b32_e32 v5, v7, v5, vcc
	v_mov_b32_e32 v7, 0x3b800000
	v_lshlrev_b32_e32 v5, 20, v5
	v_and_b32_e32 v6, 0x80000000, v6
	v_lshl_add_u32 v7, v8, 23, v7
	v_or3_b32 v34, v6, v7, v5
.LBB188_2357:
	s_or_b64 exec, exec, s[10:11]
.LBB188_2358:
	s_mov_b64 s[8:9], -1
.LBB188_2359:
	s_mov_b64 s[10:11], 0
.LBB188_2360:
	s_and_b64 vcc, exec, s[10:11]
	s_cbranch_vccz .LBB188_2393
; %bb.2361:
	v_mov_b32_e32 v5, 22
	v_cmp_gt_i16_sdwa s[6:7], v35, v5 src0_sel:BYTE_0 src1_sel:DWORD
	s_and_b64 vcc, exec, s[6:7]
	s_cbranch_vccz .LBB188_2371
; %bb.2362:
	v_mov_b32_e32 v5, 24
	v_cmp_lt_i16_sdwa s[6:7], v35, v5 src0_sel:BYTE_0 src1_sel:DWORD
	s_and_b64 vcc, exec, s[6:7]
	s_cbranch_vccnz .LBB188_2374
; %bb.2363:
	v_cmp_gt_i16_sdwa s[6:7], v35, v5 src0_sel:BYTE_0 src1_sel:DWORD
	s_and_b64 vcc, exec, s[6:7]
	s_cbranch_vccz .LBB188_2375
; %bb.2364:
	global_load_ubyte v5, v[2:3], off
	s_movk_i32 s6, 0x7f
                                        ; implicit-def: $sgpr12
	s_waitcnt vmcnt(0)
	v_cmp_lt_i16_e32 vcc, s6, v5
	s_mov_b64 s[6:7], 0
	s_and_saveexec_b64 s[8:9], vcc
	s_xor_b64 s[8:9], exec, s[8:9]
	s_cbranch_execz .LBB188_2387
; %bb.2365:
	s_movk_i32 s6, 0x80
	v_cmp_eq_u16_e32 vcc, s6, v5
	s_mov_b64 s[6:7], -1
                                        ; implicit-def: $sgpr12
	s_and_saveexec_b64 s[10:11], vcc
; %bb.2366:
	s_mov_b32 s12, 0x7f800001
	s_xor_b64 s[6:7], exec, -1
; %bb.2367:
	s_or_b64 exec, exec, s[10:11]
	s_and_b64 s[6:7], s[6:7], exec
	s_or_saveexec_b64 s[8:9], s[8:9]
	v_mov_b32_e32 v34, s12
	s_xor_b64 exec, exec, s[8:9]
	s_cbranch_execnz .LBB188_2388
.LBB188_2368:
	s_or_b64 exec, exec, s[8:9]
	s_and_saveexec_b64 s[8:9], s[6:7]
	s_cbranch_execz .LBB188_2370
.LBB188_2369:
	v_lshlrev_b32_e32 v6, 24, v5
	v_and_b32_e32 v5, 0xffff, v5
	v_and_b32_e32 v7, 3, v5
	v_ffbh_u32_e32 v9, v7
	v_min_u32_e32 v9, 32, v9
	v_subrev_u32_e32 v10, 29, v9
	v_bfe_u32 v8, v5, 2, 5
	v_lshlrev_b32_e32 v5, v10, v5
	v_sub_u32_e32 v9, 30, v9
	v_and_b32_e32 v5, 3, v5
	v_cmp_eq_u32_e32 vcc, 0, v8
	v_cndmask_b32_e32 v8, v8, v9, vcc
	v_cndmask_b32_e32 v5, v7, v5, vcc
	v_mov_b32_e32 v7, 0x37800000
	v_lshlrev_b32_e32 v5, 21, v5
	v_and_b32_e32 v6, 0x80000000, v6
	v_lshl_add_u32 v7, v8, 23, v7
	v_or3_b32 v34, v6, v7, v5
.LBB188_2370:
	s_or_b64 exec, exec, s[8:9]
	s_mov_b64 s[6:7], 0
	s_branch .LBB188_2376
.LBB188_2371:
	s_mov_b64 s[6:7], -1
                                        ; implicit-def: $vgpr34
	s_branch .LBB188_2382
.LBB188_2372:
	s_or_saveexec_b64 s[10:11], s[10:11]
	v_mov_b32_e32 v34, s14
	s_xor_b64 exec, exec, s[10:11]
	s_cbranch_execz .LBB188_2355
.LBB188_2373:
	v_cmp_ne_u16_e32 vcc, 0, v5
	s_andn2_b64 s[8:9], s[8:9], exec
	s_and_b64 s[12:13], vcc, exec
	v_mov_b32_e32 v34, 0
	s_or_b64 s[8:9], s[8:9], s[12:13]
	s_or_b64 exec, exec, s[10:11]
	s_and_saveexec_b64 s[10:11], s[8:9]
	s_cbranch_execnz .LBB188_2356
	s_branch .LBB188_2357
.LBB188_2374:
	s_mov_b64 s[6:7], -1
                                        ; implicit-def: $vgpr34
	s_branch .LBB188_2379
.LBB188_2375:
	s_mov_b64 s[6:7], -1
                                        ; implicit-def: $vgpr34
.LBB188_2376:
	s_and_b64 vcc, exec, s[6:7]
	s_cbranch_vccz .LBB188_2378
; %bb.2377:
	global_load_ubyte v5, v[2:3], off
	s_mov_b32 s6, 0x7f800000
	s_waitcnt vmcnt(0)
	v_lshlrev_b32_e32 v5, 24, v5
	v_and_b32_e32 v6, 0x7f000000, v5
	v_ffbh_u32_e32 v7, v6
	v_min_u32_e32 v7, 32, v7
	v_sub_u32_e64 v7, v7, 4 clamp
	v_lshlrev_b32_e32 v9, v7, v6
	v_lshlrev_b32_e32 v7, 23, v7
	v_lshrrev_b32_e32 v9, 4, v9
	v_add_u32_e32 v8, 0x1000000, v6
	v_sub_u32_e32 v7, v9, v7
	v_ashrrev_i32_e32 v8, 8, v8
	v_add_u32_e32 v7, 0x3c000000, v7
	v_and_or_b32 v7, v8, s6, v7
	v_cmp_ne_u32_e32 vcc, 0, v6
	v_cndmask_b32_e32 v6, 0, v7, vcc
	s_brev_b32 s6, 1
	v_and_or_b32 v34, v5, s6, v6
.LBB188_2378:
	s_mov_b64 s[6:7], 0
.LBB188_2379:
	s_andn2_b64 vcc, exec, s[6:7]
	s_cbranch_vccnz .LBB188_2381
; %bb.2380:
	global_load_ubyte v5, v[2:3], off
	s_movk_i32 s6, 0x7f00
	s_brev_b32 s7, 16
	s_waitcnt vmcnt(0)
	v_lshlrev_b16_e32 v6, 8, v5
	v_lshlrev_b32_e32 v5, 25, v5
	v_lshrrev_b32_e32 v7, 4, v5
	v_and_or_b32 v8, v6, s6, 0.5
	v_or_b32_e32 v7, 0x70000000, v7
	v_add_f32_e32 v8, -0.5, v8
	v_mul_f32_e32 v7, 0x7800000, v7
	v_cmp_gt_u32_e32 vcc, s7, v5
	v_bfe_i32 v6, v6, 0, 16
	v_cndmask_b32_e32 v5, v7, v8, vcc
	s_brev_b32 s6, 1
	v_and_or_b32 v34, v6, s6, v5
.LBB188_2381:
	s_mov_b64 s[6:7], 0
	s_mov_b64 s[8:9], -1
.LBB188_2382:
	s_andn2_b64 vcc, exec, s[6:7]
	s_mov_b64 s[6:7], 0
	s_cbranch_vccnz .LBB188_2393
; %bb.2383:
	v_mov_b32_e32 v5, 14
	v_cmp_gt_i16_sdwa s[6:7], v35, v5 src0_sel:BYTE_0 src1_sel:DWORD
	s_and_b64 vcc, exec, s[6:7]
	s_cbranch_vccz .LBB188_2386
; %bb.2384:
	v_mov_b32_e32 v5, 15
	v_cmp_eq_u16_sdwa s[4:5], v35, v5 src0_sel:BYTE_0 src1_sel:DWORD
	s_and_b64 vcc, exec, s[4:5]
	s_cbranch_vccz .LBB188_2389
; %bb.2385:
	global_load_ushort v5, v[2:3], off
	s_mov_b64 s[4:5], 0
	s_mov_b64 s[8:9], -1
	s_waitcnt vmcnt(0)
	v_lshlrev_b32_e32 v34, 16, v5
	s_branch .LBB188_2390
.LBB188_2386:
	s_mov_b64 s[10:11], -1
                                        ; implicit-def: $vgpr34
	s_branch .LBB188_2391
.LBB188_2387:
	s_or_saveexec_b64 s[8:9], s[8:9]
	v_mov_b32_e32 v34, s12
	s_xor_b64 exec, exec, s[8:9]
	s_cbranch_execz .LBB188_2368
.LBB188_2388:
	v_cmp_ne_u16_e32 vcc, 0, v5
	s_andn2_b64 s[6:7], s[6:7], exec
	s_and_b64 s[10:11], vcc, exec
	v_mov_b32_e32 v34, 0
	s_or_b64 s[6:7], s[6:7], s[10:11]
	s_or_b64 exec, exec, s[8:9]
	s_and_saveexec_b64 s[8:9], s[6:7]
	s_cbranch_execnz .LBB188_2369
	s_branch .LBB188_2370
.LBB188_2389:
	s_mov_b64 s[4:5], -1
                                        ; implicit-def: $vgpr34
.LBB188_2390:
	s_mov_b64 s[10:11], 0
.LBB188_2391:
	s_mov_b64 s[6:7], 0
	s_and_b64 vcc, exec, s[10:11]
	s_cbranch_vccz .LBB188_2393
; %bb.2392:
	v_mov_b32_e32 v5, 11
	v_cmp_ne_u16_sdwa s[4:5], v35, v5 src0_sel:BYTE_0 src1_sel:DWORD
	s_mov_b64 s[6:7], -1
                                        ; implicit-def: $vgpr34
.LBB188_2393:
	s_and_b64 vcc, exec, s[4:5]
	s_cbranch_vccnz .LBB188_2458
; %bb.2394:
	s_andn2_b64 vcc, exec, s[6:7]
	s_cbranch_vccnz .LBB188_2396
.LBB188_2395:
	global_load_ubyte v5, v[2:3], off
	s_mov_b64 s[8:9], -1
	s_waitcnt vmcnt(0)
	v_cmp_ne_u16_e32 vcc, 0, v5
	v_cndmask_b32_e64 v34, 0, 1.0, vcc
.LBB188_2396:
	s_mov_b64 s[4:5], 0
.LBB188_2397:
	s_and_b64 vcc, exec, s[4:5]
	s_cbranch_vccz .LBB188_2446
; %bb.2398:
	v_mov_b32_e32 v5, 5
	v_cmp_lt_i16_sdwa s[4:5], v35, v5 src0_sel:BYTE_0 src1_sel:DWORD
	s_and_b64 vcc, exec, s[4:5]
	s_cbranch_vccnz .LBB188_2403
; %bb.2399:
	v_mov_b32_e32 v5, 8
	v_cmp_lt_i16_sdwa s[4:5], v35, v5 src0_sel:BYTE_0 src1_sel:DWORD
	s_and_b64 vcc, exec, s[4:5]
	s_cbranch_vccnz .LBB188_2404
	;; [unrolled: 5-line block ×3, first 2 shown]
; %bb.2401:
	v_cmp_gt_i16_sdwa s[4:5], v35, v5 src0_sel:BYTE_0 src1_sel:DWORD
	s_and_b64 vcc, exec, s[4:5]
	s_cbranch_vccz .LBB188_2406
; %bb.2402:
	global_load_dwordx2 v[6:7], v[2:3], off
	s_mov_b64 s[4:5], 0
	s_waitcnt vmcnt(0)
	v_cvt_f32_f64_e32 v34, v[6:7]
	s_branch .LBB188_2407
.LBB188_2403:
	s_mov_b64 s[4:5], -1
                                        ; implicit-def: $vgpr34
	s_branch .LBB188_2425
.LBB188_2404:
	s_mov_b64 s[4:5], -1
                                        ; implicit-def: $vgpr34
	s_branch .LBB188_2413
.LBB188_2405:
	s_mov_b64 s[4:5], -1
                                        ; implicit-def: $vgpr34
	s_branch .LBB188_2410
.LBB188_2406:
	s_mov_b64 s[4:5], -1
                                        ; implicit-def: $vgpr34
.LBB188_2407:
	s_andn2_b64 vcc, exec, s[4:5]
	s_cbranch_vccnz .LBB188_2409
; %bb.2408:
	global_load_dword v34, v[2:3], off
.LBB188_2409:
	s_mov_b64 s[4:5], 0
.LBB188_2410:
	s_andn2_b64 vcc, exec, s[4:5]
	s_cbranch_vccnz .LBB188_2412
; %bb.2411:
	global_load_dword v5, v[2:3], off
	s_waitcnt vmcnt(0)
	v_cvt_f32_f16_e32 v34, v5
.LBB188_2412:
	s_mov_b64 s[4:5], 0
.LBB188_2413:
	s_andn2_b64 vcc, exec, s[4:5]
	s_cbranch_vccnz .LBB188_2424
; %bb.2414:
	v_mov_b32_e32 v5, 6
	v_cmp_lt_i16_sdwa s[4:5], v35, v5 src0_sel:BYTE_0 src1_sel:DWORD
	s_and_b64 vcc, exec, s[4:5]
	s_cbranch_vccnz .LBB188_2417
; %bb.2415:
	v_cmp_gt_i16_sdwa s[4:5], v35, v5 src0_sel:BYTE_0 src1_sel:DWORD
	s_and_b64 vcc, exec, s[4:5]
	s_cbranch_vccz .LBB188_2418
; %bb.2416:
	global_load_dwordx2 v[6:7], v[2:3], off
	s_mov_b64 s[4:5], 0
	s_waitcnt vmcnt(0)
	v_cvt_f32_f64_e32 v34, v[6:7]
	s_branch .LBB188_2419
.LBB188_2417:
	s_mov_b64 s[4:5], -1
                                        ; implicit-def: $vgpr34
	s_branch .LBB188_2422
.LBB188_2418:
	s_mov_b64 s[4:5], -1
                                        ; implicit-def: $vgpr34
.LBB188_2419:
	s_andn2_b64 vcc, exec, s[4:5]
	s_cbranch_vccnz .LBB188_2421
; %bb.2420:
	global_load_dword v34, v[2:3], off
.LBB188_2421:
	s_mov_b64 s[4:5], 0
.LBB188_2422:
	s_andn2_b64 vcc, exec, s[4:5]
	s_cbranch_vccnz .LBB188_2424
; %bb.2423:
	global_load_ushort v5, v[2:3], off
	s_waitcnt vmcnt(0)
	v_cvt_f32_f16_e32 v34, v5
.LBB188_2424:
	s_mov_b64 s[4:5], 0
.LBB188_2425:
	s_andn2_b64 vcc, exec, s[4:5]
	s_cbranch_vccnz .LBB188_2445
; %bb.2426:
	v_mov_b32_e32 v5, 2
	v_cmp_lt_i16_sdwa s[4:5], v35, v5 src0_sel:BYTE_0 src1_sel:DWORD
	s_and_b64 vcc, exec, s[4:5]
	s_cbranch_vccnz .LBB188_2430
; %bb.2427:
	v_mov_b32_e32 v5, 3
	v_cmp_lt_i16_sdwa s[4:5], v35, v5 src0_sel:BYTE_0 src1_sel:DWORD
	s_and_b64 vcc, exec, s[4:5]
	s_cbranch_vccnz .LBB188_2431
; %bb.2428:
	v_cmp_gt_i16_sdwa s[4:5], v35, v5 src0_sel:BYTE_0 src1_sel:DWORD
	s_and_b64 vcc, exec, s[4:5]
	s_cbranch_vccz .LBB188_2432
; %bb.2429:
	global_load_dwordx2 v[6:7], v[2:3], off
	s_mov_b64 s[4:5], 0
	s_waitcnt vmcnt(0)
	v_xor_b32_e32 v8, v6, v7
	v_ffbh_i32_e32 v5, v7
	v_ashrrev_i32_e32 v8, 31, v8
	v_add_u32_e32 v5, -1, v5
	v_add_u32_e32 v8, 32, v8
	v_min_u32_e32 v5, v5, v8
	v_lshlrev_b64 v[6:7], v5, v[6:7]
	v_min_u32_e32 v6, 1, v6
	v_or_b32_e32 v6, v7, v6
	v_cvt_f32_i32_e32 v6, v6
	v_sub_u32_e32 v5, 32, v5
	v_ldexp_f32 v34, v6, v5
	s_branch .LBB188_2433
.LBB188_2430:
	s_mov_b64 s[4:5], -1
                                        ; implicit-def: $vgpr34
	s_branch .LBB188_2439
.LBB188_2431:
	s_mov_b64 s[4:5], -1
                                        ; implicit-def: $vgpr34
	s_branch .LBB188_2436
.LBB188_2432:
	s_mov_b64 s[4:5], -1
                                        ; implicit-def: $vgpr34
.LBB188_2433:
	s_andn2_b64 vcc, exec, s[4:5]
	s_cbranch_vccnz .LBB188_2435
; %bb.2434:
	global_load_dword v5, v[2:3], off
	s_waitcnt vmcnt(0)
	v_cvt_f32_i32_e32 v34, v5
.LBB188_2435:
	s_mov_b64 s[4:5], 0
.LBB188_2436:
	s_andn2_b64 vcc, exec, s[4:5]
	s_cbranch_vccnz .LBB188_2438
; %bb.2437:
	global_load_sshort v5, v[2:3], off
	s_waitcnt vmcnt(0)
	v_cvt_f32_i32_e32 v34, v5
.LBB188_2438:
	s_mov_b64 s[4:5], 0
.LBB188_2439:
	s_andn2_b64 vcc, exec, s[4:5]
	s_cbranch_vccnz .LBB188_2445
; %bb.2440:
	v_mov_b32_e32 v5, 0
	v_cmp_gt_i16_sdwa s[4:5], v35, v5 src0_sel:BYTE_0 src1_sel:DWORD
	s_and_b64 vcc, exec, s[4:5]
	s_cbranch_vccz .LBB188_2442
; %bb.2441:
	global_load_sbyte v5, v[2:3], off
	s_mov_b64 s[4:5], 0
	s_waitcnt vmcnt(0)
	v_cvt_f32_i32_e32 v34, v5
	s_branch .LBB188_2443
.LBB188_2442:
	s_mov_b64 s[4:5], -1
                                        ; implicit-def: $vgpr34
.LBB188_2443:
	s_andn2_b64 vcc, exec, s[4:5]
	s_cbranch_vccnz .LBB188_2445
; %bb.2444:
	global_load_ubyte v2, v[2:3], off
	s_waitcnt vmcnt(0)
	v_cvt_f32_ubyte0_e32 v34, v2
.LBB188_2445:
	s_mov_b64 s[8:9], -1
.LBB188_2446:
	s_andn2_b64 vcc, exec, s[8:9]
	s_cbranch_vccnz .LBB188_3030
; %bb.2447:
	v_add_u32_e32 v2, s15, v4
	v_ashrrev_i32_e32 v3, 31, v2
	v_mov_b32_e32 v4, s23
	v_add_co_u32_e32 v2, vcc, s22, v2
	v_addc_co_u32_e32 v3, vcc, v4, v3, vcc
	v_mov_b32_e32 v4, 11
	v_cmp_lt_i16_sdwa s[4:5], v38, v4 src0_sel:BYTE_0 src1_sel:DWORD
	s_and_b64 vcc, exec, s[4:5]
	s_cbranch_vccnz .LBB188_2454
; %bb.2448:
	v_mov_b32_e32 v4, 25
	v_cmp_gt_i16_sdwa s[4:5], v38, v4 src0_sel:BYTE_0 src1_sel:DWORD
	s_mov_b64 s[6:7], 0
	s_and_b64 vcc, exec, s[4:5]
	s_cbranch_vccz .LBB188_2455
; %bb.2449:
	v_mov_b32_e32 v4, 28
	v_cmp_gt_i16_sdwa s[4:5], v38, v4 src0_sel:BYTE_0 src1_sel:DWORD
	s_and_b64 vcc, exec, s[4:5]
	s_cbranch_vccz .LBB188_2456
; %bb.2450:
	v_mov_b32_e32 v4, 43
	v_cmp_gt_i16_sdwa s[4:5], v38, v4 src0_sel:BYTE_0 src1_sel:DWORD
	;; [unrolled: 5-line block ×3, first 2 shown]
	s_and_b64 vcc, exec, s[4:5]
	s_cbranch_vccz .LBB188_2459
; %bb.2452:
	v_mov_b32_e32 v4, 46
	v_cmp_eq_u16_sdwa s[4:5], v38, v4 src0_sel:BYTE_0 src1_sel:DWORD
	s_mov_b64 s[10:11], 0
	s_and_b64 vcc, exec, s[4:5]
	s_cbranch_vccz .LBB188_2460
; %bb.2453:
	global_load_dword v4, v[2:3], off
	s_mov_b64 s[4:5], 0
	s_mov_b64 s[8:9], -1
	s_waitcnt vmcnt(0)
	v_lshlrev_b32_e32 v35, 16, v4
	s_branch .LBB188_2461
.LBB188_2454:
	s_mov_b64 s[4:5], -1
	s_mov_b64 s[8:9], 0
                                        ; implicit-def: $vgpr35
	s_branch .LBB188_2527
.LBB188_2455:
	s_mov_b64 s[10:11], -1
	s_mov_b64 s[8:9], 0
	s_mov_b64 s[4:5], 0
                                        ; implicit-def: $vgpr35
	s_branch .LBB188_2490
.LBB188_2456:
	s_mov_b64 s[10:11], -1
	s_mov_b64 s[8:9], 0
	s_mov_b64 s[4:5], 0
                                        ; implicit-def: $vgpr35
	s_branch .LBB188_2471
.LBB188_2457:
	s_mov_b64 s[10:11], -1
	s_mov_b64 s[8:9], 0
	s_mov_b64 s[4:5], 0
                                        ; implicit-def: $vgpr35
	s_branch .LBB188_2466
.LBB188_2458:
	s_trap 2
	s_or_b64 s[42:43], s[42:43], exec
                                        ; implicit-def: $vgpr34
	s_cbranch_execz .LBB188_2395
	s_branch .LBB188_2396
.LBB188_2459:
	s_mov_b64 s[10:11], -1
	s_mov_b64 s[8:9], 0
	s_mov_b64 s[4:5], 0
                                        ; implicit-def: $vgpr35
	s_branch .LBB188_2461
.LBB188_2460:
	s_mov_b64 s[4:5], -1
                                        ; implicit-def: $vgpr35
	s_mov_b64 s[8:9], 0
.LBB188_2461:
	s_and_b64 vcc, exec, s[10:11]
	s_cbranch_vccz .LBB188_2465
; %bb.2462:
	v_mov_b32_e32 v4, 44
	v_cmp_eq_u16_sdwa s[4:5], v38, v4 src0_sel:BYTE_0 src1_sel:DWORD
	s_and_b64 vcc, exec, s[4:5]
	s_cbranch_vccz .LBB188_2464
; %bb.2463:
	global_load_ubyte v4, v[2:3], off
	s_movk_i32 s8, 0xff
	v_mov_b32_e32 v5, 0x7f800001
	v_mov_b32_e32 v6, 0x400000
	s_mov_b64 s[4:5], 0
	s_waitcnt vmcnt(0)
	v_lshlrev_b32_e32 v7, 23, v4
	v_cmp_ne_u32_e32 vcc, s8, v4
	v_cndmask_b32_e32 v5, v5, v7, vcc
	v_cmp_ne_u32_e32 vcc, 0, v4
	v_cndmask_b32_e32 v35, v6, v5, vcc
	s_mov_b64 s[8:9], -1
	s_branch .LBB188_2465
.LBB188_2464:
	s_mov_b64 s[4:5], -1
                                        ; implicit-def: $vgpr35
.LBB188_2465:
	s_mov_b64 s[10:11], 0
.LBB188_2466:
	s_and_b64 vcc, exec, s[10:11]
	s_cbranch_vccz .LBB188_2470
; %bb.2467:
	v_mov_b32_e32 v4, 29
	v_cmp_eq_u16_sdwa s[4:5], v38, v4 src0_sel:BYTE_0 src1_sel:DWORD
	s_and_b64 vcc, exec, s[4:5]
	s_cbranch_vccz .LBB188_2469
; %bb.2468:
	global_load_dwordx2 v[4:5], v[2:3], off
	s_mov_b64 s[4:5], 0
	s_mov_b64 s[8:9], -1
	s_mov_b64 s[10:11], 0
	s_waitcnt vmcnt(0)
	v_ffbh_u32_e32 v6, v5
	v_min_u32_e32 v6, 32, v6
	v_lshlrev_b64 v[4:5], v6, v[4:5]
	v_min_u32_e32 v4, 1, v4
	v_or_b32_e32 v4, v5, v4
	v_cvt_f32_u32_e32 v4, v4
	v_sub_u32_e32 v5, 32, v6
	v_ldexp_f32 v35, v4, v5
	s_branch .LBB188_2471
.LBB188_2469:
	s_mov_b64 s[4:5], -1
                                        ; implicit-def: $vgpr35
.LBB188_2470:
	s_mov_b64 s[10:11], 0
.LBB188_2471:
	s_and_b64 vcc, exec, s[10:11]
	s_cbranch_vccz .LBB188_2489
; %bb.2472:
	v_mov_b32_e32 v4, 27
	v_cmp_lt_i16_sdwa s[8:9], v38, v4 src0_sel:BYTE_0 src1_sel:DWORD
	s_and_b64 vcc, exec, s[8:9]
	s_cbranch_vccnz .LBB188_2475
; %bb.2473:
	v_cmp_gt_i16_sdwa s[8:9], v38, v4 src0_sel:BYTE_0 src1_sel:DWORD
	s_and_b64 vcc, exec, s[8:9]
	s_cbranch_vccz .LBB188_2476
; %bb.2474:
	global_load_dword v4, v[2:3], off
	s_mov_b64 s[8:9], 0
	s_waitcnt vmcnt(0)
	v_cvt_f32_u32_e32 v35, v4
	s_branch .LBB188_2477
.LBB188_2475:
	s_mov_b64 s[8:9], -1
                                        ; implicit-def: $vgpr35
	s_branch .LBB188_2480
.LBB188_2476:
	s_mov_b64 s[8:9], -1
                                        ; implicit-def: $vgpr35
.LBB188_2477:
	s_andn2_b64 vcc, exec, s[8:9]
	s_cbranch_vccnz .LBB188_2479
; %bb.2478:
	global_load_ushort v4, v[2:3], off
	s_waitcnt vmcnt(0)
	v_cvt_f32_u32_e32 v35, v4
.LBB188_2479:
	s_mov_b64 s[8:9], 0
.LBB188_2480:
	s_andn2_b64 vcc, exec, s[8:9]
	s_cbranch_vccnz .LBB188_2488
; %bb.2481:
	global_load_ubyte v4, v[2:3], off
	s_movk_i32 s8, 0x7f
                                        ; implicit-def: $sgpr14
	s_waitcnt vmcnt(0)
	v_cmp_lt_i16_e32 vcc, s8, v4
	s_mov_b64 s[8:9], 0
	s_and_saveexec_b64 s[10:11], vcc
	s_xor_b64 s[10:11], exec, s[10:11]
	s_cbranch_execz .LBB188_2502
; %bb.2482:
	s_movk_i32 s8, 0x80
	v_cmp_eq_u16_e32 vcc, s8, v4
	s_mov_b64 s[8:9], -1
                                        ; implicit-def: $sgpr14
	s_and_saveexec_b64 s[12:13], vcc
; %bb.2483:
	s_mov_b32 s14, 0x7f800001
	s_xor_b64 s[8:9], exec, -1
; %bb.2484:
	s_or_b64 exec, exec, s[12:13]
	s_and_b64 s[8:9], s[8:9], exec
	s_or_saveexec_b64 s[10:11], s[10:11]
	v_mov_b32_e32 v35, s14
	s_xor_b64 exec, exec, s[10:11]
	s_cbranch_execnz .LBB188_2503
.LBB188_2485:
	s_or_b64 exec, exec, s[10:11]
	s_and_saveexec_b64 s[10:11], s[8:9]
	s_cbranch_execz .LBB188_2487
.LBB188_2486:
	v_lshlrev_b32_e32 v5, 24, v4
	v_and_b32_e32 v4, 0xffff, v4
	v_and_b32_e32 v6, 7, v4
	v_ffbh_u32_e32 v8, v6
	v_min_u32_e32 v8, 32, v8
	v_subrev_u32_e32 v9, 28, v8
	v_bfe_u32 v7, v4, 3, 4
	v_lshlrev_b32_e32 v4, v9, v4
	v_sub_u32_e32 v8, 29, v8
	v_and_b32_e32 v4, 7, v4
	v_cmp_eq_u32_e32 vcc, 0, v7
	v_cndmask_b32_e32 v7, v7, v8, vcc
	v_cndmask_b32_e32 v4, v6, v4, vcc
	v_mov_b32_e32 v6, 0x3b800000
	v_lshlrev_b32_e32 v4, 20, v4
	v_and_b32_e32 v5, 0x80000000, v5
	v_lshl_add_u32 v6, v7, 23, v6
	v_or3_b32 v35, v5, v6, v4
.LBB188_2487:
	s_or_b64 exec, exec, s[10:11]
.LBB188_2488:
	s_mov_b64 s[8:9], -1
.LBB188_2489:
	s_mov_b64 s[10:11], 0
.LBB188_2490:
	s_and_b64 vcc, exec, s[10:11]
	s_cbranch_vccz .LBB188_2523
; %bb.2491:
	v_mov_b32_e32 v4, 22
	v_cmp_gt_i16_sdwa s[6:7], v38, v4 src0_sel:BYTE_0 src1_sel:DWORD
	s_and_b64 vcc, exec, s[6:7]
	s_cbranch_vccz .LBB188_2501
; %bb.2492:
	v_mov_b32_e32 v4, 24
	v_cmp_lt_i16_sdwa s[6:7], v38, v4 src0_sel:BYTE_0 src1_sel:DWORD
	s_and_b64 vcc, exec, s[6:7]
	s_cbranch_vccnz .LBB188_2504
; %bb.2493:
	v_cmp_gt_i16_sdwa s[6:7], v38, v4 src0_sel:BYTE_0 src1_sel:DWORD
	s_and_b64 vcc, exec, s[6:7]
	s_cbranch_vccz .LBB188_2505
; %bb.2494:
	global_load_ubyte v4, v[2:3], off
	s_movk_i32 s6, 0x7f
                                        ; implicit-def: $sgpr12
	s_waitcnt vmcnt(0)
	v_cmp_lt_i16_e32 vcc, s6, v4
	s_mov_b64 s[6:7], 0
	s_and_saveexec_b64 s[8:9], vcc
	s_xor_b64 s[8:9], exec, s[8:9]
	s_cbranch_execz .LBB188_2517
; %bb.2495:
	s_movk_i32 s6, 0x80
	v_cmp_eq_u16_e32 vcc, s6, v4
	s_mov_b64 s[6:7], -1
                                        ; implicit-def: $sgpr12
	s_and_saveexec_b64 s[10:11], vcc
; %bb.2496:
	s_mov_b32 s12, 0x7f800001
	s_xor_b64 s[6:7], exec, -1
; %bb.2497:
	s_or_b64 exec, exec, s[10:11]
	s_and_b64 s[6:7], s[6:7], exec
	s_or_saveexec_b64 s[8:9], s[8:9]
	v_mov_b32_e32 v35, s12
	s_xor_b64 exec, exec, s[8:9]
	s_cbranch_execnz .LBB188_2518
.LBB188_2498:
	s_or_b64 exec, exec, s[8:9]
	s_and_saveexec_b64 s[8:9], s[6:7]
	s_cbranch_execz .LBB188_2500
.LBB188_2499:
	v_lshlrev_b32_e32 v5, 24, v4
	v_and_b32_e32 v4, 0xffff, v4
	v_and_b32_e32 v6, 3, v4
	v_ffbh_u32_e32 v8, v6
	v_min_u32_e32 v8, 32, v8
	v_subrev_u32_e32 v9, 29, v8
	v_bfe_u32 v7, v4, 2, 5
	v_lshlrev_b32_e32 v4, v9, v4
	v_sub_u32_e32 v8, 30, v8
	v_and_b32_e32 v4, 3, v4
	v_cmp_eq_u32_e32 vcc, 0, v7
	v_cndmask_b32_e32 v7, v7, v8, vcc
	v_cndmask_b32_e32 v4, v6, v4, vcc
	v_mov_b32_e32 v6, 0x37800000
	v_lshlrev_b32_e32 v4, 21, v4
	v_and_b32_e32 v5, 0x80000000, v5
	v_lshl_add_u32 v6, v7, 23, v6
	v_or3_b32 v35, v5, v6, v4
.LBB188_2500:
	s_or_b64 exec, exec, s[8:9]
	s_mov_b64 s[6:7], 0
	s_branch .LBB188_2506
.LBB188_2501:
	s_mov_b64 s[6:7], -1
                                        ; implicit-def: $vgpr35
	s_branch .LBB188_2512
.LBB188_2502:
	s_or_saveexec_b64 s[10:11], s[10:11]
	v_mov_b32_e32 v35, s14
	s_xor_b64 exec, exec, s[10:11]
	s_cbranch_execz .LBB188_2485
.LBB188_2503:
	v_cmp_ne_u16_e32 vcc, 0, v4
	s_andn2_b64 s[8:9], s[8:9], exec
	s_and_b64 s[12:13], vcc, exec
	v_mov_b32_e32 v35, 0
	s_or_b64 s[8:9], s[8:9], s[12:13]
	s_or_b64 exec, exec, s[10:11]
	s_and_saveexec_b64 s[10:11], s[8:9]
	s_cbranch_execnz .LBB188_2486
	s_branch .LBB188_2487
.LBB188_2504:
	s_mov_b64 s[6:7], -1
                                        ; implicit-def: $vgpr35
	s_branch .LBB188_2509
.LBB188_2505:
	s_mov_b64 s[6:7], -1
                                        ; implicit-def: $vgpr35
.LBB188_2506:
	s_and_b64 vcc, exec, s[6:7]
	s_cbranch_vccz .LBB188_2508
; %bb.2507:
	global_load_ubyte v4, v[2:3], off
	s_mov_b32 s6, 0x7f800000
	s_waitcnt vmcnt(0)
	v_lshlrev_b32_e32 v4, 24, v4
	v_and_b32_e32 v5, 0x7f000000, v4
	v_ffbh_u32_e32 v6, v5
	v_min_u32_e32 v6, 32, v6
	v_sub_u32_e64 v6, v6, 4 clamp
	v_lshlrev_b32_e32 v8, v6, v5
	v_lshlrev_b32_e32 v6, 23, v6
	v_lshrrev_b32_e32 v8, 4, v8
	v_add_u32_e32 v7, 0x1000000, v5
	v_sub_u32_e32 v6, v8, v6
	v_ashrrev_i32_e32 v7, 8, v7
	v_add_u32_e32 v6, 0x3c000000, v6
	v_and_or_b32 v6, v7, s6, v6
	v_cmp_ne_u32_e32 vcc, 0, v5
	v_cndmask_b32_e32 v5, 0, v6, vcc
	s_brev_b32 s6, 1
	v_and_or_b32 v35, v4, s6, v5
.LBB188_2508:
	s_mov_b64 s[6:7], 0
.LBB188_2509:
	s_andn2_b64 vcc, exec, s[6:7]
	s_cbranch_vccnz .LBB188_2511
; %bb.2510:
	global_load_ubyte v4, v[2:3], off
	s_movk_i32 s6, 0x7f00
	s_brev_b32 s7, 16
	s_waitcnt vmcnt(0)
	v_lshlrev_b16_e32 v5, 8, v4
	v_lshlrev_b32_e32 v4, 25, v4
	v_lshrrev_b32_e32 v6, 4, v4
	v_and_or_b32 v7, v5, s6, 0.5
	v_or_b32_e32 v6, 0x70000000, v6
	v_add_f32_e32 v7, -0.5, v7
	v_mul_f32_e32 v6, 0x7800000, v6
	v_cmp_gt_u32_e32 vcc, s7, v4
	v_bfe_i32 v5, v5, 0, 16
	v_cndmask_b32_e32 v4, v6, v7, vcc
	s_brev_b32 s6, 1
	v_and_or_b32 v35, v5, s6, v4
.LBB188_2511:
	s_mov_b64 s[6:7], 0
	s_mov_b64 s[8:9], -1
.LBB188_2512:
	s_andn2_b64 vcc, exec, s[6:7]
	s_mov_b64 s[6:7], 0
	s_cbranch_vccnz .LBB188_2523
; %bb.2513:
	v_mov_b32_e32 v4, 14
	v_cmp_gt_i16_sdwa s[6:7], v38, v4 src0_sel:BYTE_0 src1_sel:DWORD
	s_and_b64 vcc, exec, s[6:7]
	s_cbranch_vccz .LBB188_2516
; %bb.2514:
	v_mov_b32_e32 v4, 15
	v_cmp_eq_u16_sdwa s[4:5], v38, v4 src0_sel:BYTE_0 src1_sel:DWORD
	s_and_b64 vcc, exec, s[4:5]
	s_cbranch_vccz .LBB188_2519
; %bb.2515:
	global_load_ushort v4, v[2:3], off
	s_mov_b64 s[4:5], 0
	s_mov_b64 s[8:9], -1
	s_waitcnt vmcnt(0)
	v_lshlrev_b32_e32 v35, 16, v4
	s_branch .LBB188_2520
.LBB188_2516:
	s_mov_b64 s[10:11], -1
                                        ; implicit-def: $vgpr35
	s_branch .LBB188_2521
.LBB188_2517:
	s_or_saveexec_b64 s[8:9], s[8:9]
	v_mov_b32_e32 v35, s12
	s_xor_b64 exec, exec, s[8:9]
	s_cbranch_execz .LBB188_2498
.LBB188_2518:
	v_cmp_ne_u16_e32 vcc, 0, v4
	s_andn2_b64 s[6:7], s[6:7], exec
	s_and_b64 s[10:11], vcc, exec
	v_mov_b32_e32 v35, 0
	s_or_b64 s[6:7], s[6:7], s[10:11]
	s_or_b64 exec, exec, s[8:9]
	s_and_saveexec_b64 s[8:9], s[6:7]
	s_cbranch_execnz .LBB188_2499
	s_branch .LBB188_2500
.LBB188_2519:
	s_mov_b64 s[4:5], -1
                                        ; implicit-def: $vgpr35
.LBB188_2520:
	s_mov_b64 s[10:11], 0
.LBB188_2521:
	s_mov_b64 s[6:7], 0
	s_and_b64 vcc, exec, s[10:11]
	s_cbranch_vccz .LBB188_2523
; %bb.2522:
	v_mov_b32_e32 v4, 11
	v_cmp_ne_u16_sdwa s[4:5], v38, v4 src0_sel:BYTE_0 src1_sel:DWORD
	s_mov_b64 s[6:7], -1
                                        ; implicit-def: $vgpr35
.LBB188_2523:
	s_and_b64 vcc, exec, s[4:5]
	s_cbranch_vccnz .LBB188_2587
; %bb.2524:
	s_andn2_b64 vcc, exec, s[6:7]
	s_cbranch_vccnz .LBB188_2526
.LBB188_2525:
	global_load_ubyte v4, v[2:3], off
	s_mov_b64 s[8:9], -1
	s_waitcnt vmcnt(0)
	v_cmp_ne_u16_e32 vcc, 0, v4
	v_cndmask_b32_e64 v35, 0, 1.0, vcc
.LBB188_2526:
	s_mov_b64 s[4:5], 0
.LBB188_2527:
	s_and_b64 vcc, exec, s[4:5]
	s_cbranch_vccz .LBB188_2576
; %bb.2528:
	v_mov_b32_e32 v4, 5
	v_cmp_lt_i16_sdwa s[4:5], v38, v4 src0_sel:BYTE_0 src1_sel:DWORD
	s_and_b64 vcc, exec, s[4:5]
	s_cbranch_vccnz .LBB188_2533
; %bb.2529:
	v_mov_b32_e32 v4, 8
	v_cmp_lt_i16_sdwa s[4:5], v38, v4 src0_sel:BYTE_0 src1_sel:DWORD
	s_and_b64 vcc, exec, s[4:5]
	s_cbranch_vccnz .LBB188_2534
	;; [unrolled: 5-line block ×3, first 2 shown]
; %bb.2531:
	v_cmp_gt_i16_sdwa s[4:5], v38, v4 src0_sel:BYTE_0 src1_sel:DWORD
	s_and_b64 vcc, exec, s[4:5]
	s_cbranch_vccz .LBB188_2536
; %bb.2532:
	global_load_dwordx2 v[4:5], v[2:3], off
	s_mov_b64 s[4:5], 0
	s_waitcnt vmcnt(0)
	v_cvt_f32_f64_e32 v35, v[4:5]
	s_branch .LBB188_2537
.LBB188_2533:
	s_mov_b64 s[4:5], -1
                                        ; implicit-def: $vgpr35
	s_branch .LBB188_2555
.LBB188_2534:
	s_mov_b64 s[4:5], -1
                                        ; implicit-def: $vgpr35
	s_branch .LBB188_2543
.LBB188_2535:
	s_mov_b64 s[4:5], -1
                                        ; implicit-def: $vgpr35
	s_branch .LBB188_2540
.LBB188_2536:
	s_mov_b64 s[4:5], -1
                                        ; implicit-def: $vgpr35
.LBB188_2537:
	s_andn2_b64 vcc, exec, s[4:5]
	s_cbranch_vccnz .LBB188_2539
; %bb.2538:
	global_load_dword v35, v[2:3], off
.LBB188_2539:
	s_mov_b64 s[4:5], 0
.LBB188_2540:
	s_andn2_b64 vcc, exec, s[4:5]
	s_cbranch_vccnz .LBB188_2542
; %bb.2541:
	global_load_dword v4, v[2:3], off
	s_waitcnt vmcnt(0)
	v_cvt_f32_f16_e32 v35, v4
.LBB188_2542:
	s_mov_b64 s[4:5], 0
.LBB188_2543:
	s_andn2_b64 vcc, exec, s[4:5]
	s_cbranch_vccnz .LBB188_2554
; %bb.2544:
	v_mov_b32_e32 v4, 6
	v_cmp_lt_i16_sdwa s[4:5], v38, v4 src0_sel:BYTE_0 src1_sel:DWORD
	s_and_b64 vcc, exec, s[4:5]
	s_cbranch_vccnz .LBB188_2547
; %bb.2545:
	v_cmp_gt_i16_sdwa s[4:5], v38, v4 src0_sel:BYTE_0 src1_sel:DWORD
	s_and_b64 vcc, exec, s[4:5]
	s_cbranch_vccz .LBB188_2548
; %bb.2546:
	global_load_dwordx2 v[4:5], v[2:3], off
	s_mov_b64 s[4:5], 0
	s_waitcnt vmcnt(0)
	v_cvt_f32_f64_e32 v35, v[4:5]
	s_branch .LBB188_2549
.LBB188_2547:
	s_mov_b64 s[4:5], -1
                                        ; implicit-def: $vgpr35
	s_branch .LBB188_2552
.LBB188_2548:
	s_mov_b64 s[4:5], -1
                                        ; implicit-def: $vgpr35
.LBB188_2549:
	s_andn2_b64 vcc, exec, s[4:5]
	s_cbranch_vccnz .LBB188_2551
; %bb.2550:
	global_load_dword v35, v[2:3], off
.LBB188_2551:
	s_mov_b64 s[4:5], 0
.LBB188_2552:
	s_andn2_b64 vcc, exec, s[4:5]
	s_cbranch_vccnz .LBB188_2554
; %bb.2553:
	global_load_ushort v4, v[2:3], off
	s_waitcnt vmcnt(0)
	v_cvt_f32_f16_e32 v35, v4
.LBB188_2554:
	s_mov_b64 s[4:5], 0
.LBB188_2555:
	s_andn2_b64 vcc, exec, s[4:5]
	s_cbranch_vccnz .LBB188_2575
; %bb.2556:
	v_mov_b32_e32 v4, 2
	v_cmp_lt_i16_sdwa s[4:5], v38, v4 src0_sel:BYTE_0 src1_sel:DWORD
	s_and_b64 vcc, exec, s[4:5]
	s_cbranch_vccnz .LBB188_2560
; %bb.2557:
	v_mov_b32_e32 v4, 3
	v_cmp_lt_i16_sdwa s[4:5], v38, v4 src0_sel:BYTE_0 src1_sel:DWORD
	s_and_b64 vcc, exec, s[4:5]
	s_cbranch_vccnz .LBB188_2561
; %bb.2558:
	v_cmp_gt_i16_sdwa s[4:5], v38, v4 src0_sel:BYTE_0 src1_sel:DWORD
	s_and_b64 vcc, exec, s[4:5]
	s_cbranch_vccz .LBB188_2562
; %bb.2559:
	global_load_dwordx2 v[4:5], v[2:3], off
	s_mov_b64 s[4:5], 0
	s_waitcnt vmcnt(0)
	v_xor_b32_e32 v7, v4, v5
	v_ffbh_i32_e32 v6, v5
	v_ashrrev_i32_e32 v7, 31, v7
	v_add_u32_e32 v6, -1, v6
	v_add_u32_e32 v7, 32, v7
	v_min_u32_e32 v6, v6, v7
	v_lshlrev_b64 v[4:5], v6, v[4:5]
	v_min_u32_e32 v4, 1, v4
	v_or_b32_e32 v4, v5, v4
	v_cvt_f32_i32_e32 v4, v4
	v_sub_u32_e32 v5, 32, v6
	v_ldexp_f32 v35, v4, v5
	s_branch .LBB188_2563
.LBB188_2560:
	s_mov_b64 s[4:5], -1
                                        ; implicit-def: $vgpr35
	s_branch .LBB188_2569
.LBB188_2561:
	s_mov_b64 s[4:5], -1
                                        ; implicit-def: $vgpr35
	s_branch .LBB188_2566
.LBB188_2562:
	s_mov_b64 s[4:5], -1
                                        ; implicit-def: $vgpr35
.LBB188_2563:
	s_andn2_b64 vcc, exec, s[4:5]
	s_cbranch_vccnz .LBB188_2565
; %bb.2564:
	global_load_dword v4, v[2:3], off
	s_waitcnt vmcnt(0)
	v_cvt_f32_i32_e32 v35, v4
.LBB188_2565:
	s_mov_b64 s[4:5], 0
.LBB188_2566:
	s_andn2_b64 vcc, exec, s[4:5]
	s_cbranch_vccnz .LBB188_2568
; %bb.2567:
	global_load_sshort v4, v[2:3], off
	s_waitcnt vmcnt(0)
	v_cvt_f32_i32_e32 v35, v4
.LBB188_2568:
	s_mov_b64 s[4:5], 0
.LBB188_2569:
	s_andn2_b64 vcc, exec, s[4:5]
	s_cbranch_vccnz .LBB188_2575
; %bb.2570:
	v_mov_b32_e32 v4, 0
	v_cmp_gt_i16_sdwa s[4:5], v38, v4 src0_sel:BYTE_0 src1_sel:DWORD
	s_and_b64 vcc, exec, s[4:5]
	s_cbranch_vccz .LBB188_2572
; %bb.2571:
	global_load_sbyte v4, v[2:3], off
	s_mov_b64 s[4:5], 0
	s_waitcnt vmcnt(0)
	v_cvt_f32_i32_e32 v35, v4
	s_branch .LBB188_2573
.LBB188_2572:
	s_mov_b64 s[4:5], -1
                                        ; implicit-def: $vgpr35
.LBB188_2573:
	s_andn2_b64 vcc, exec, s[4:5]
	s_cbranch_vccnz .LBB188_2575
; %bb.2574:
	global_load_ubyte v2, v[2:3], off
	s_waitcnt vmcnt(0)
	v_cvt_f32_ubyte0_e32 v35, v2
.LBB188_2575:
	s_mov_b64 s[8:9], -1
.LBB188_2576:
	s_andn2_b64 vcc, exec, s[8:9]
	s_cbranch_vccnz .LBB188_3030
; %bb.2577:
	s_getpc_b64 s[4:5]
	s_add_u32 s4, s4, _ZZZZN2at6native33launch_standard_gamma_grad_kernelERNS_18TensorIteratorBaseEENKUlvE_clEvENKUlvE0_clEvENKUlffE_clEff@rel32@lo+4
	s_addc_u32 s5, s5, _ZZZZN2at6native33launch_standard_gamma_grad_kernelERNS_18TensorIteratorBaseEENKUlvE_clEvENKUlvE0_clEvENKUlffE_clEff@rel32@hi+12
	s_swappc_b64 s[30:31], s[4:5]
	v_mul_lo_u32 v37, s36, v37
	v_ashrrev_i32_e32 v1, 31, v37
	v_mov_b32_e32 v3, s25
	v_add_co_u32_e32 v2, vcc, s24, v37
	v_addc_co_u32_e32 v3, vcc, v3, v1, vcc
	v_mov_b32_e32 v1, 11
	v_cmp_lt_i16_sdwa s[4:5], v36, v1 src0_sel:BYTE_0 src1_sel:DWORD
	s_and_b64 vcc, exec, s[4:5]
	s_cbranch_vccnz .LBB188_2584
; %bb.2578:
	v_mov_b32_e32 v1, 25
	v_cmp_gt_i16_sdwa s[4:5], v36, v1 src0_sel:BYTE_0 src1_sel:DWORD
	s_mov_b64 s[10:11], -1
	s_mov_b64 s[6:7], 0
	s_and_b64 vcc, exec, s[4:5]
	s_mov_b64 s[8:9], 0
	s_mov_b64 s[4:5], 0
	s_cbranch_vccz .LBB188_2616
; %bb.2579:
	v_mov_b32_e32 v1, 28
	v_cmp_gt_i16_sdwa s[4:5], v36, v1 src0_sel:BYTE_0 src1_sel:DWORD
	s_and_b64 vcc, exec, s[4:5]
	s_cbranch_vccz .LBB188_2585
; %bb.2580:
	v_mov_b32_e32 v1, 43
	v_cmp_gt_i16_sdwa s[4:5], v36, v1 src0_sel:BYTE_0 src1_sel:DWORD
	s_and_b64 vcc, exec, s[4:5]
	;; [unrolled: 5-line block ×3, first 2 shown]
	s_cbranch_vccz .LBB188_2588
; %bb.2582:
	v_mov_b32_e32 v1, 46
	v_cmp_eq_u16_sdwa s[8:9], v36, v1 src0_sel:BYTE_0 src1_sel:DWORD
	s_mov_b64 s[4:5], -1
	s_mov_b64 s[10:11], 0
	s_and_b64 vcc, exec, s[8:9]
	s_mov_b64 s[8:9], 0
	s_cbranch_vccz .LBB188_2589
; %bb.2583:
	v_bfe_u32 v1, v0, 16, 1
	s_movk_i32 s4, 0x7fff
	v_add3_u32 v1, v0, v1, s4
	v_lshrrev_b32_e32 v1, 16, v1
	v_mov_b32_e32 v4, 0x7fc0
	v_cmp_o_f32_e32 vcc, v0, v0
	v_cndmask_b32_e32 v1, v4, v1, vcc
	global_store_dword v[2:3], v1, off
	s_mov_b64 s[4:5], 0
	s_mov_b64 s[8:9], -1
	s_branch .LBB188_2589
.LBB188_2584:
	s_mov_b64 s[4:5], -1
	s_mov_b64 s[8:9], 0
	s_branch .LBB188_2660
.LBB188_2585:
	s_mov_b64 s[4:5], 0
	s_branch .LBB188_2599
.LBB188_2586:
	s_mov_b64 s[4:5], 0
	s_branch .LBB188_2595
.LBB188_2587:
	s_trap 2
	s_or_b64 s[42:43], s[42:43], exec
                                        ; implicit-def: $vgpr35
	s_cbranch_execz .LBB188_2525
	s_branch .LBB188_2526
.LBB188_2588:
	s_mov_b64 s[4:5], 0
.LBB188_2589:
	s_and_b64 vcc, exec, s[10:11]
	s_cbranch_vccz .LBB188_2594
; %bb.2590:
	v_mov_b32_e32 v1, 44
	v_cmp_eq_u16_sdwa s[10:11], v36, v1 src0_sel:BYTE_0 src1_sel:DWORD
	s_mov_b64 s[4:5], -1
	s_and_b64 vcc, exec, s[10:11]
	s_cbranch_vccz .LBB188_2594
; %bb.2591:
	v_bfe_u32 v1, v0, 23, 8
	s_movk_i32 s4, 0xff
	v_cmp_ne_u32_e32 vcc, s4, v1
	v_mov_b32_e32 v4, 0xff
	s_and_saveexec_b64 s[8:9], vcc
; %bb.2592:
	s_mov_b32 s4, 0x3fffff
	v_and_b32_e32 v5, 0x400000, v0
	v_and_or_b32 v1, v0, s4, v1
	v_cmp_ne_u32_e32 vcc, 0, v5
	v_cmp_ne_u32_e64 s[4:5], 0, v1
	s_and_b64 s[4:5], vcc, s[4:5]
	v_lshrrev_b32_e32 v4, 23, v0
	v_cndmask_b32_e64 v1, 0, 1, s[4:5]
	v_add_u32_e32 v4, v4, v1
; %bb.2593:
	s_or_b64 exec, exec, s[8:9]
	s_mov_b64 s[4:5], 0
	s_mov_b64 s[8:9], -1
	global_store_byte v[2:3], v4, off
.LBB188_2594:
	s_mov_b64 s[10:11], 0
.LBB188_2595:
	s_and_b64 vcc, exec, s[10:11]
	s_cbranch_vccz .LBB188_2598
; %bb.2596:
	v_mov_b32_e32 v1, 29
	v_cmp_eq_u16_sdwa s[10:11], v36, v1 src0_sel:BYTE_0 src1_sel:DWORD
	s_mov_b64 s[4:5], -1
	s_and_b64 vcc, exec, s[10:11]
	s_cbranch_vccz .LBB188_2598
; %bb.2597:
	v_trunc_f32_e32 v1, v0
	v_mul_f32_e32 v4, 0x2f800000, v1
	v_floor_f32_e32 v4, v4
	v_fmac_f32_e32 v1, 0xcf800000, v4
	v_cvt_u32_f32_e32 v5, v4
	v_cvt_u32_f32_e32 v4, v1
	s_mov_b64 s[4:5], 0
	s_mov_b64 s[8:9], -1
	s_mov_b64 s[10:11], 0
	global_store_dwordx2 v[2:3], v[4:5], off
	s_branch .LBB188_2599
.LBB188_2598:
	s_mov_b64 s[10:11], 0
.LBB188_2599:
	s_and_b64 vcc, exec, s[10:11]
	s_cbranch_vccz .LBB188_2615
; %bb.2600:
	v_mov_b32_e32 v1, 27
	v_cmp_lt_i16_sdwa s[10:11], v36, v1 src0_sel:BYTE_0 src1_sel:DWORD
	s_mov_b64 s[8:9], -1
	s_and_b64 vcc, exec, s[10:11]
	s_cbranch_vccnz .LBB188_2606
; %bb.2601:
	v_cmp_gt_i16_sdwa s[10:11], v36, v1 src0_sel:BYTE_0 src1_sel:DWORD
	v_cvt_u32_f32_e32 v1, v0
	s_and_b64 vcc, exec, s[10:11]
	s_cbranch_vccz .LBB188_2603
; %bb.2602:
	s_mov_b64 s[8:9], 0
	global_store_dword v[2:3], v1, off
.LBB188_2603:
	s_andn2_b64 vcc, exec, s[8:9]
	s_cbranch_vccnz .LBB188_2605
; %bb.2604:
	global_store_short v[2:3], v1, off
.LBB188_2605:
	s_mov_b64 s[8:9], 0
.LBB188_2606:
	s_andn2_b64 vcc, exec, s[8:9]
	s_cbranch_vccnz .LBB188_2614
; %bb.2607:
	v_and_b32_e32 v1, 0x7fffffff, v0
	s_mov_b32 s8, 0x43800000
	v_cmp_gt_u32_e32 vcc, s8, v1
	v_mov_b32_e32 v4, 0x80
	s_and_saveexec_b64 s[8:9], vcc
	s_cbranch_execz .LBB188_2613
; %bb.2608:
	s_mov_b32 s10, 0x3bffffff
	v_cmp_lt_u32_e32 vcc, s10, v1
	s_mov_b64 s[10:11], 0
                                        ; implicit-def: $vgpr1
	s_and_saveexec_b64 s[12:13], vcc
	s_xor_b64 s[12:13], exec, s[12:13]
	s_cbranch_execz .LBB188_2709
; %bb.2609:
	v_bfe_u32 v1, v0, 20, 1
	s_mov_b32 s14, 0x487ffff
	v_add3_u32 v1, v0, v1, s14
	s_mov_b64 s[10:11], exec
	v_lshrrev_b32_e32 v1, 20, v1
	s_or_saveexec_b64 s[12:13], s[12:13]
                                        ; implicit-def: $sgpr14
	s_xor_b64 exec, exec, s[12:13]
	s_cbranch_execnz .LBB188_2710
.LBB188_2610:
	s_or_b64 exec, exec, s[12:13]
	v_mov_b32_e32 v4, s14
	s_and_saveexec_b64 s[12:13], s[10:11]
.LBB188_2611:
	v_lshrrev_b32_e32 v4, 24, v0
	s_movk_i32 s10, 0x80
	v_and_or_b32 v4, v4, s10, v1
.LBB188_2612:
	s_or_b64 exec, exec, s[12:13]
.LBB188_2613:
	s_or_b64 exec, exec, s[8:9]
	global_store_byte v[2:3], v4, off
.LBB188_2614:
	s_mov_b64 s[8:9], -1
.LBB188_2615:
	s_mov_b64 s[10:11], 0
.LBB188_2616:
	s_and_b64 vcc, exec, s[10:11]
	s_cbranch_vccz .LBB188_2656
; %bb.2617:
	v_mov_b32_e32 v1, 22
	v_cmp_gt_i16_sdwa s[10:11], v36, v1 src0_sel:BYTE_0 src1_sel:DWORD
	s_mov_b64 s[6:7], -1
	s_and_b64 vcc, exec, s[10:11]
	s_cbranch_vccz .LBB188_2649
; %bb.2618:
	v_mov_b32_e32 v1, 24
	v_cmp_lt_i16_sdwa s[8:9], v36, v1 src0_sel:BYTE_0 src1_sel:DWORD
	s_and_b64 vcc, exec, s[8:9]
	s_cbranch_vccnz .LBB188_2638
; %bb.2619:
	v_cmp_gt_i16_sdwa s[8:9], v36, v1 src0_sel:BYTE_0 src1_sel:DWORD
	s_and_b64 vcc, exec, s[8:9]
	s_cbranch_vccz .LBB188_2627
; %bb.2620:
	v_and_b32_e32 v1, 0x7fffffff, v0
	s_mov_b32 s6, 0x47800000
	v_cmp_gt_u32_e32 vcc, s6, v1
	v_mov_b32_e32 v4, 0x80
	s_and_saveexec_b64 s[6:7], vcc
	s_cbranch_execz .LBB188_2626
; %bb.2621:
	s_mov_b32 s8, 0x37ffffff
	v_cmp_lt_u32_e32 vcc, s8, v1
	s_mov_b64 s[8:9], 0
                                        ; implicit-def: $vgpr1
	s_and_saveexec_b64 s[10:11], vcc
	s_xor_b64 s[10:11], exec, s[10:11]
	s_cbranch_execz .LBB188_2713
; %bb.2622:
	v_bfe_u32 v1, v0, 21, 1
	s_mov_b32 s12, 0x88fffff
	v_add3_u32 v1, v0, v1, s12
	s_mov_b64 s[8:9], exec
	v_lshrrev_b32_e32 v1, 21, v1
	s_or_saveexec_b64 s[10:11], s[10:11]
                                        ; implicit-def: $sgpr12
	s_xor_b64 exec, exec, s[10:11]
	s_cbranch_execnz .LBB188_2714
.LBB188_2623:
	s_or_b64 exec, exec, s[10:11]
	v_mov_b32_e32 v4, s12
	s_and_saveexec_b64 s[10:11], s[8:9]
.LBB188_2624:
	v_lshrrev_b32_e32 v4, 24, v0
	s_movk_i32 s8, 0x80
	v_and_or_b32 v4, v4, s8, v1
.LBB188_2625:
	s_or_b64 exec, exec, s[10:11]
.LBB188_2626:
	s_or_b64 exec, exec, s[6:7]
	s_mov_b64 s[6:7], 0
	global_store_byte v[2:3], v4, off
.LBB188_2627:
	s_and_b64 vcc, exec, s[6:7]
	s_cbranch_vccz .LBB188_2637
; %bb.2628:
	v_and_b32_e32 v4, 0x7fffffff, v0
	s_mov_b32 s6, 0x43f00000
	v_cmp_gt_u32_e32 vcc, s6, v4
                                        ; implicit-def: $vgpr1
	s_and_saveexec_b64 s[6:7], vcc
	s_xor_b64 s[6:7], exec, s[6:7]
	s_cbranch_execz .LBB188_2634
; %bb.2629:
	s_mov_b32 s8, 0x3c7fffff
	v_cmp_lt_u32_e32 vcc, s8, v4
                                        ; implicit-def: $vgpr1
	s_and_saveexec_b64 s[8:9], vcc
	s_xor_b64 s[8:9], exec, s[8:9]
; %bb.2630:
	v_bfe_u32 v1, v0, 20, 1
	s_mov_b32 s10, 0x407ffff
	v_add3_u32 v1, v0, v1, s10
	v_lshrrev_b32_e32 v4, 20, v1
	v_and_b32_e32 v1, 0xff00000, v1
	s_mov_b32 s10, 0x7f00000
	v_mov_b32_e32 v5, 0x7e
	v_cmp_ne_u32_e32 vcc, s10, v1
	v_cndmask_b32_e32 v1, v5, v4, vcc
; %bb.2631:
	s_andn2_saveexec_b64 s[8:9], s[8:9]
; %bb.2632:
	s_mov_b32 s10, 0x46800000
	v_add_f32_e64 v1, |v0|, s10
; %bb.2633:
	s_or_b64 exec, exec, s[8:9]
                                        ; implicit-def: $vgpr4
.LBB188_2634:
	s_andn2_saveexec_b64 s[6:7], s[6:7]
; %bb.2635:
	s_mov_b32 s8, 0x7f800000
	v_mov_b32_e32 v1, 0x7e
	v_mov_b32_e32 v5, 0x7f
	v_cmp_lt_u32_e32 vcc, s8, v4
	v_cndmask_b32_e32 v1, v1, v5, vcc
; %bb.2636:
	s_or_b64 exec, exec, s[6:7]
	v_lshrrev_b32_e32 v4, 24, v0
	s_movk_i32 s6, 0x80
	v_and_or_b32 v1, v4, s6, v1
	global_store_byte v[2:3], v1, off
.LBB188_2637:
	s_mov_b64 s[6:7], 0
.LBB188_2638:
	s_andn2_b64 vcc, exec, s[6:7]
	s_cbranch_vccnz .LBB188_2648
; %bb.2639:
	v_and_b32_e32 v4, 0x7fffffff, v0
	s_mov_b32 s6, 0x47800000
	v_cmp_gt_u32_e32 vcc, s6, v4
                                        ; implicit-def: $vgpr1
	s_and_saveexec_b64 s[6:7], vcc
	s_xor_b64 s[6:7], exec, s[6:7]
	s_cbranch_execz .LBB188_2645
; %bb.2640:
	s_mov_b32 s8, 0x387fffff
	v_cmp_lt_u32_e32 vcc, s8, v4
                                        ; implicit-def: $vgpr1
	s_and_saveexec_b64 s[8:9], vcc
	s_xor_b64 s[8:9], exec, s[8:9]
; %bb.2641:
	v_bfe_u32 v1, v0, 21, 1
	s_mov_b32 s10, 0x80fffff
	v_add3_u32 v1, v0, v1, s10
	v_lshrrev_b32_e32 v1, 21, v1
; %bb.2642:
	s_andn2_saveexec_b64 s[8:9], s[8:9]
; %bb.2643:
	s_mov_b32 s10, 0x43000000
	v_add_f32_e64 v1, |v0|, s10
; %bb.2644:
	s_or_b64 exec, exec, s[8:9]
                                        ; implicit-def: $vgpr4
.LBB188_2645:
	s_andn2_saveexec_b64 s[6:7], s[6:7]
; %bb.2646:
	s_mov_b32 s8, 0x7f800000
	v_mov_b32_e32 v1, 0x7c
	v_mov_b32_e32 v5, 0x7f
	v_cmp_lt_u32_e32 vcc, s8, v4
	v_cndmask_b32_e32 v1, v1, v5, vcc
; %bb.2647:
	s_or_b64 exec, exec, s[6:7]
	v_lshrrev_b32_e32 v4, 24, v0
	s_movk_i32 s6, 0x80
	v_and_or_b32 v1, v4, s6, v1
	global_store_byte v[2:3], v1, off
.LBB188_2648:
	s_mov_b64 s[6:7], 0
	s_mov_b64 s[8:9], -1
.LBB188_2649:
	s_andn2_b64 vcc, exec, s[6:7]
	s_mov_b64 s[6:7], 0
	s_cbranch_vccnz .LBB188_2656
; %bb.2650:
	v_mov_b32_e32 v1, 14
	v_cmp_gt_i16_sdwa s[6:7], v36, v1 src0_sel:BYTE_0 src1_sel:DWORD
	s_mov_b64 s[10:11], -1
	s_and_b64 vcc, exec, s[6:7]
	s_cbranch_vccz .LBB188_2654
; %bb.2651:
	v_mov_b32_e32 v1, 15
	v_cmp_eq_u16_sdwa s[6:7], v36, v1 src0_sel:BYTE_0 src1_sel:DWORD
	s_mov_b64 s[4:5], -1
	s_and_b64 vcc, exec, s[6:7]
	s_cbranch_vccz .LBB188_2653
; %bb.2652:
	v_bfe_u32 v1, v0, 16, 1
	s_movk_i32 s4, 0x7fff
	v_add3_u32 v1, v0, v1, s4
	v_lshrrev_b32_e32 v1, 16, v1
	v_mov_b32_e32 v4, 0x7fc0
	v_cmp_o_f32_e32 vcc, v0, v0
	v_cndmask_b32_e32 v1, v4, v1, vcc
	global_store_short v[2:3], v1, off
	s_mov_b64 s[4:5], 0
	s_mov_b64 s[8:9], -1
.LBB188_2653:
	s_mov_b64 s[10:11], 0
.LBB188_2654:
	s_mov_b64 s[6:7], 0
	s_and_b64 vcc, exec, s[10:11]
	s_cbranch_vccz .LBB188_2656
; %bb.2655:
	v_mov_b32_e32 v1, 11
	v_cmp_ne_u16_sdwa s[4:5], v36, v1 src0_sel:BYTE_0 src1_sel:DWORD
	s_mov_b64 s[6:7], -1
.LBB188_2656:
	s_and_b64 vcc, exec, s[4:5]
	s_cbranch_vccnz .LBB188_2712
; %bb.2657:
	s_andn2_b64 vcc, exec, s[6:7]
	s_cbranch_vccnz .LBB188_2659
.LBB188_2658:
	v_cmp_neq_f32_e32 vcc, 0, v0
	v_cndmask_b32_e64 v1, 0, 1, vcc
	s_mov_b64 s[8:9], -1
	global_store_byte v[2:3], v1, off
.LBB188_2659:
	s_mov_b64 s[4:5], 0
.LBB188_2660:
	s_and_b64 vcc, exec, s[4:5]
	s_cbranch_vccz .LBB188_2699
; %bb.2661:
	v_mov_b32_e32 v1, 5
	v_cmp_lt_i16_sdwa s[6:7], v36, v1 src0_sel:BYTE_0 src1_sel:DWORD
	s_mov_b64 s[4:5], -1
	s_and_b64 vcc, exec, s[6:7]
	s_cbranch_vccnz .LBB188_2682
; %bb.2662:
	v_mov_b32_e32 v1, 8
	v_cmp_lt_i16_sdwa s[6:7], v36, v1 src0_sel:BYTE_0 src1_sel:DWORD
	s_and_b64 vcc, exec, s[6:7]
	s_cbranch_vccnz .LBB188_2672
; %bb.2663:
	v_mov_b32_e32 v1, 9
	v_cmp_lt_i16_sdwa s[6:7], v36, v1 src0_sel:BYTE_0 src1_sel:DWORD
	s_and_b64 vcc, exec, s[6:7]
	s_cbranch_vccnz .LBB188_2669
; %bb.2664:
	v_cmp_gt_i16_sdwa s[6:7], v36, v1 src0_sel:BYTE_0 src1_sel:DWORD
	s_and_b64 vcc, exec, s[6:7]
	s_cbranch_vccz .LBB188_2666
; %bb.2665:
	v_mov_b32_e32 v6, 0
	v_cvt_f64_f32_e32 v[4:5], v0
	v_mov_b32_e32 v7, v6
	global_store_dwordx4 v[2:3], v[4:7], off
	s_mov_b64 s[4:5], 0
.LBB188_2666:
	s_andn2_b64 vcc, exec, s[4:5]
	s_cbranch_vccnz .LBB188_2668
; %bb.2667:
	v_mov_b32_e32 v1, 0
	global_store_dwordx2 v[2:3], v[0:1], off
.LBB188_2668:
	s_mov_b64 s[4:5], 0
.LBB188_2669:
	s_andn2_b64 vcc, exec, s[4:5]
	s_cbranch_vccnz .LBB188_2671
; %bb.2670:
	v_cvt_f16_f32_e32 v1, v0
	global_store_dword v[2:3], v1, off
.LBB188_2671:
	s_mov_b64 s[4:5], 0
.LBB188_2672:
	s_andn2_b64 vcc, exec, s[4:5]
	s_cbranch_vccnz .LBB188_2681
; %bb.2673:
	v_mov_b32_e32 v1, 6
	v_cmp_lt_i16_sdwa s[6:7], v36, v1 src0_sel:BYTE_0 src1_sel:DWORD
	s_mov_b64 s[4:5], -1
	s_and_b64 vcc, exec, s[6:7]
	s_cbranch_vccnz .LBB188_2679
; %bb.2674:
	v_cmp_gt_i16_sdwa s[6:7], v36, v1 src0_sel:BYTE_0 src1_sel:DWORD
	s_and_b64 vcc, exec, s[6:7]
	s_cbranch_vccz .LBB188_2676
; %bb.2675:
	v_cvt_f64_f32_e32 v[4:5], v0
	global_store_dwordx2 v[2:3], v[4:5], off
	s_mov_b64 s[4:5], 0
.LBB188_2676:
	s_andn2_b64 vcc, exec, s[4:5]
	s_cbranch_vccnz .LBB188_2678
; %bb.2677:
	global_store_dword v[2:3], v0, off
.LBB188_2678:
	s_mov_b64 s[4:5], 0
.LBB188_2679:
	s_andn2_b64 vcc, exec, s[4:5]
	s_cbranch_vccnz .LBB188_2681
; %bb.2680:
	v_cvt_f16_f32_e32 v1, v0
	global_store_short v[2:3], v1, off
.LBB188_2681:
	s_mov_b64 s[4:5], 0
.LBB188_2682:
	s_andn2_b64 vcc, exec, s[4:5]
	s_cbranch_vccnz .LBB188_2698
; %bb.2683:
	v_mov_b32_e32 v1, 2
	v_cmp_lt_i16_sdwa s[6:7], v36, v1 src0_sel:BYTE_0 src1_sel:DWORD
	s_mov_b64 s[4:5], -1
	s_and_b64 vcc, exec, s[6:7]
	s_cbranch_vccnz .LBB188_2693
; %bb.2684:
	v_mov_b32_e32 v1, 3
	v_cmp_lt_i16_sdwa s[6:7], v36, v1 src0_sel:BYTE_0 src1_sel:DWORD
	s_and_b64 vcc, exec, s[6:7]
	s_cbranch_vccnz .LBB188_2690
; %bb.2685:
	v_cmp_gt_i16_sdwa s[6:7], v36, v1 src0_sel:BYTE_0 src1_sel:DWORD
	s_and_b64 vcc, exec, s[6:7]
	s_cbranch_vccz .LBB188_2687
; %bb.2686:
	v_trunc_f32_e32 v1, v0
	s_mov_b32 s4, 0x2f800000
	v_mul_f32_e64 v4, |v1|, s4
	v_floor_f32_e32 v4, v4
	s_mov_b32 s4, 0xcf800000
	v_cvt_u32_f32_e32 v5, v4
	v_fma_f32 v4, v4, s4, |v1|
	v_cvt_u32_f32_e32 v4, v4
	v_ashrrev_i32_e32 v1, 31, v1
	v_xor_b32_e32 v5, v5, v1
	s_mov_b64 s[4:5], 0
	v_xor_b32_e32 v4, v4, v1
	v_sub_co_u32_e32 v4, vcc, v4, v1
	v_subb_co_u32_e32 v5, vcc, v5, v1, vcc
	global_store_dwordx2 v[2:3], v[4:5], off
.LBB188_2687:
	s_andn2_b64 vcc, exec, s[4:5]
	s_cbranch_vccnz .LBB188_2689
; %bb.2688:
	v_cvt_i32_f32_e32 v1, v0
	global_store_dword v[2:3], v1, off
.LBB188_2689:
	s_mov_b64 s[4:5], 0
.LBB188_2690:
	s_andn2_b64 vcc, exec, s[4:5]
	s_cbranch_vccnz .LBB188_2692
; %bb.2691:
	v_cvt_i32_f32_e32 v1, v0
	global_store_short v[2:3], v1, off
.LBB188_2692:
	s_mov_b64 s[4:5], 0
.LBB188_2693:
	s_andn2_b64 vcc, exec, s[4:5]
	s_cbranch_vccnz .LBB188_2698
; %bb.2694:
	v_mov_b32_e32 v1, 0
	v_cmp_gt_i16_sdwa s[6:7], v36, v1 src0_sel:BYTE_0 src1_sel:DWORD
	s_mov_b64 s[4:5], -1
	s_and_b64 vcc, exec, s[6:7]
	s_cbranch_vccz .LBB188_2696
; %bb.2695:
	v_cvt_i32_f32_e32 v1, v0
	s_mov_b64 s[4:5], 0
	global_store_byte v[2:3], v1, off
.LBB188_2696:
	s_andn2_b64 vcc, exec, s[4:5]
	s_cbranch_vccnz .LBB188_2698
; %bb.2697:
	v_trunc_f32_e32 v0, v0
	s_mov_b32 s4, 0x2f800000
	v_mul_f32_e64 v1, |v0|, s4
	v_floor_f32_e32 v1, v1
	s_mov_b32 s4, 0xcf800000
	v_fma_f32 v1, v1, s4, |v0|
	v_cvt_u32_f32_e32 v1, v1
	v_ashrrev_i32_e32 v0, 31, v0
	v_xor_b32_e32 v1, v1, v0
	v_sub_u32_e32 v0, v1, v0
	global_store_byte v[2:3], v0, off
.LBB188_2698:
	s_mov_b64 s[8:9], -1
.LBB188_2699:
	s_andn2_b64 vcc, exec, s[8:9]
	s_cbranch_vccnz .LBB188_3030
; %bb.2700:
	v_mov_b32_e32 v0, v30
	v_mov_b32_e32 v1, v31
	s_getpc_b64 s[4:5]
	s_add_u32 s4, s4, _ZZZZN2at6native33launch_standard_gamma_grad_kernelERNS_18TensorIteratorBaseEENKUlvE_clEvENKUlvE0_clEvENKUlffE_clEff@rel32@lo+4
	s_addc_u32 s5, s5, _ZZZZN2at6native33launch_standard_gamma_grad_kernelERNS_18TensorIteratorBaseEENKUlvE_clEvENKUlvE0_clEvENKUlffE_clEff@rel32@hi+12
	s_swappc_b64 s[30:31], s[4:5]
	s_lshl_b32 s22, s36, 7
	v_add_u32_e32 v30, s22, v37
	v_ashrrev_i32_e32 v1, 31, v30
	v_mov_b32_e32 v3, s25
	v_add_co_u32_e32 v2, vcc, s24, v30
	v_addc_co_u32_e32 v3, vcc, v3, v1, vcc
	v_mov_b32_e32 v1, 11
	v_cmp_lt_i16_sdwa s[4:5], v36, v1 src0_sel:BYTE_0 src1_sel:DWORD
	s_and_b64 vcc, exec, s[4:5]
	s_cbranch_vccnz .LBB188_2707
; %bb.2701:
	v_mov_b32_e32 v1, 25
	v_cmp_gt_i16_sdwa s[4:5], v36, v1 src0_sel:BYTE_0 src1_sel:DWORD
	s_mov_b64 s[10:11], -1
	s_mov_b64 s[6:7], 0
	s_and_b64 vcc, exec, s[4:5]
	s_mov_b64 s[8:9], 0
	s_mov_b64 s[4:5], 0
	s_cbranch_vccz .LBB188_2743
; %bb.2702:
	v_mov_b32_e32 v1, 28
	v_cmp_gt_i16_sdwa s[4:5], v36, v1 src0_sel:BYTE_0 src1_sel:DWORD
	s_and_b64 vcc, exec, s[4:5]
	s_cbranch_vccz .LBB188_2708
; %bb.2703:
	v_mov_b32_e32 v1, 43
	v_cmp_gt_i16_sdwa s[4:5], v36, v1 src0_sel:BYTE_0 src1_sel:DWORD
	s_and_b64 vcc, exec, s[4:5]
	;; [unrolled: 5-line block ×3, first 2 shown]
	s_cbranch_vccz .LBB188_2715
; %bb.2705:
	v_mov_b32_e32 v1, 46
	v_cmp_eq_u16_sdwa s[8:9], v36, v1 src0_sel:BYTE_0 src1_sel:DWORD
	s_mov_b64 s[4:5], -1
	s_mov_b64 s[10:11], 0
	s_and_b64 vcc, exec, s[8:9]
	s_mov_b64 s[8:9], 0
	s_cbranch_vccz .LBB188_2716
; %bb.2706:
	v_bfe_u32 v1, v0, 16, 1
	s_movk_i32 s4, 0x7fff
	v_add3_u32 v1, v0, v1, s4
	v_lshrrev_b32_e32 v1, 16, v1
	v_mov_b32_e32 v4, 0x7fc0
	v_cmp_o_f32_e32 vcc, v0, v0
	v_cndmask_b32_e32 v1, v4, v1, vcc
	global_store_dword v[2:3], v1, off
	s_mov_b64 s[4:5], 0
	s_mov_b64 s[8:9], -1
	s_branch .LBB188_2716
.LBB188_2707:
	s_mov_b64 s[4:5], -1
	s_mov_b64 s[8:9], 0
	s_branch .LBB188_2787
.LBB188_2708:
	s_mov_b64 s[4:5], 0
	s_branch .LBB188_2726
.LBB188_2709:
	s_or_saveexec_b64 s[12:13], s[12:13]
                                        ; implicit-def: $sgpr14
	s_xor_b64 exec, exec, s[12:13]
	s_cbranch_execz .LBB188_2610
.LBB188_2710:
	s_mov_b32 s14, 0x46000000
	v_add_f32_e64 v1, |v0|, s14
	v_and_b32_e32 v1, 0xff, v1
	v_cmp_ne_u32_e32 vcc, 0, v1
	s_andn2_b64 s[10:11], s[10:11], exec
	s_and_b64 s[16:17], vcc, exec
	s_mov_b32 s14, 0
	s_or_b64 s[10:11], s[10:11], s[16:17]
	s_or_b64 exec, exec, s[12:13]
	v_mov_b32_e32 v4, s14
	s_and_saveexec_b64 s[12:13], s[10:11]
	s_cbranch_execnz .LBB188_2611
	s_branch .LBB188_2612
.LBB188_2711:
	s_mov_b64 s[4:5], 0
	s_branch .LBB188_2722
.LBB188_2712:
	s_trap 2
	s_or_b64 s[42:43], s[42:43], exec
	s_cbranch_execz .LBB188_2658
	s_branch .LBB188_2659
.LBB188_2713:
	s_or_saveexec_b64 s[10:11], s[10:11]
                                        ; implicit-def: $sgpr12
	s_xor_b64 exec, exec, s[10:11]
	s_cbranch_execz .LBB188_2623
.LBB188_2714:
	s_mov_b32 s12, 0x42800000
	v_add_f32_e64 v1, |v0|, s12
	v_and_b32_e32 v1, 0xff, v1
	v_cmp_ne_u32_e32 vcc, 0, v1
	s_andn2_b64 s[8:9], s[8:9], exec
	s_and_b64 s[14:15], vcc, exec
	s_mov_b32 s12, 0
	s_or_b64 s[8:9], s[8:9], s[14:15]
	s_or_b64 exec, exec, s[10:11]
	v_mov_b32_e32 v4, s12
	s_and_saveexec_b64 s[10:11], s[8:9]
	s_cbranch_execnz .LBB188_2624
	s_branch .LBB188_2625
.LBB188_2715:
	s_mov_b64 s[4:5], 0
.LBB188_2716:
	s_and_b64 vcc, exec, s[10:11]
	s_cbranch_vccz .LBB188_2721
; %bb.2717:
	v_mov_b32_e32 v1, 44
	v_cmp_eq_u16_sdwa s[10:11], v36, v1 src0_sel:BYTE_0 src1_sel:DWORD
	s_mov_b64 s[4:5], -1
	s_and_b64 vcc, exec, s[10:11]
	s_cbranch_vccz .LBB188_2721
; %bb.2718:
	v_bfe_u32 v1, v0, 23, 8
	s_movk_i32 s4, 0xff
	v_cmp_ne_u32_e32 vcc, s4, v1
	v_mov_b32_e32 v4, 0xff
	s_and_saveexec_b64 s[8:9], vcc
; %bb.2719:
	s_mov_b32 s4, 0x3fffff
	v_and_b32_e32 v5, 0x400000, v0
	v_and_or_b32 v1, v0, s4, v1
	v_cmp_ne_u32_e32 vcc, 0, v5
	v_cmp_ne_u32_e64 s[4:5], 0, v1
	s_and_b64 s[4:5], vcc, s[4:5]
	v_lshrrev_b32_e32 v4, 23, v0
	v_cndmask_b32_e64 v1, 0, 1, s[4:5]
	v_add_u32_e32 v4, v4, v1
; %bb.2720:
	s_or_b64 exec, exec, s[8:9]
	s_mov_b64 s[4:5], 0
	s_mov_b64 s[8:9], -1
	global_store_byte v[2:3], v4, off
.LBB188_2721:
	s_mov_b64 s[10:11], 0
.LBB188_2722:
	s_and_b64 vcc, exec, s[10:11]
	s_cbranch_vccz .LBB188_2725
; %bb.2723:
	v_mov_b32_e32 v1, 29
	v_cmp_eq_u16_sdwa s[10:11], v36, v1 src0_sel:BYTE_0 src1_sel:DWORD
	s_mov_b64 s[4:5], -1
	s_and_b64 vcc, exec, s[10:11]
	s_cbranch_vccz .LBB188_2725
; %bb.2724:
	v_trunc_f32_e32 v1, v0
	v_mul_f32_e32 v4, 0x2f800000, v1
	v_floor_f32_e32 v4, v4
	v_fmac_f32_e32 v1, 0xcf800000, v4
	v_cvt_u32_f32_e32 v5, v4
	v_cvt_u32_f32_e32 v4, v1
	s_mov_b64 s[4:5], 0
	s_mov_b64 s[8:9], -1
	s_mov_b64 s[10:11], 0
	global_store_dwordx2 v[2:3], v[4:5], off
	s_branch .LBB188_2726
.LBB188_2725:
	s_mov_b64 s[10:11], 0
.LBB188_2726:
	s_and_b64 vcc, exec, s[10:11]
	s_cbranch_vccz .LBB188_2742
; %bb.2727:
	v_mov_b32_e32 v1, 27
	v_cmp_lt_i16_sdwa s[10:11], v36, v1 src0_sel:BYTE_0 src1_sel:DWORD
	s_mov_b64 s[8:9], -1
	s_and_b64 vcc, exec, s[10:11]
	s_cbranch_vccnz .LBB188_2733
; %bb.2728:
	v_cmp_gt_i16_sdwa s[10:11], v36, v1 src0_sel:BYTE_0 src1_sel:DWORD
	v_cvt_u32_f32_e32 v1, v0
	s_and_b64 vcc, exec, s[10:11]
	s_cbranch_vccz .LBB188_2730
; %bb.2729:
	s_mov_b64 s[8:9], 0
	global_store_dword v[2:3], v1, off
.LBB188_2730:
	s_andn2_b64 vcc, exec, s[8:9]
	s_cbranch_vccnz .LBB188_2732
; %bb.2731:
	global_store_short v[2:3], v1, off
.LBB188_2732:
	s_mov_b64 s[8:9], 0
.LBB188_2733:
	s_andn2_b64 vcc, exec, s[8:9]
	s_cbranch_vccnz .LBB188_2741
; %bb.2734:
	v_and_b32_e32 v1, 0x7fffffff, v0
	s_mov_b32 s8, 0x43800000
	v_cmp_gt_u32_e32 vcc, s8, v1
	v_mov_b32_e32 v4, 0x80
	s_and_saveexec_b64 s[8:9], vcc
	s_cbranch_execz .LBB188_2740
; %bb.2735:
	s_mov_b32 s10, 0x3bffffff
	v_cmp_lt_u32_e32 vcc, s10, v1
	s_mov_b64 s[10:11], 0
                                        ; implicit-def: $vgpr1
	s_and_saveexec_b64 s[12:13], vcc
	s_xor_b64 s[12:13], exec, s[12:13]
	s_cbranch_execz .LBB188_2836
; %bb.2736:
	v_bfe_u32 v1, v0, 20, 1
	s_mov_b32 s14, 0x487ffff
	v_add3_u32 v1, v0, v1, s14
	s_mov_b64 s[10:11], exec
	v_lshrrev_b32_e32 v1, 20, v1
	s_or_saveexec_b64 s[12:13], s[12:13]
                                        ; implicit-def: $sgpr14
	s_xor_b64 exec, exec, s[12:13]
	s_cbranch_execnz .LBB188_2837
.LBB188_2737:
	s_or_b64 exec, exec, s[12:13]
	v_mov_b32_e32 v4, s14
	s_and_saveexec_b64 s[12:13], s[10:11]
.LBB188_2738:
	v_lshrrev_b32_e32 v4, 24, v0
	s_movk_i32 s10, 0x80
	v_and_or_b32 v4, v4, s10, v1
.LBB188_2739:
	s_or_b64 exec, exec, s[12:13]
.LBB188_2740:
	s_or_b64 exec, exec, s[8:9]
	global_store_byte v[2:3], v4, off
.LBB188_2741:
	s_mov_b64 s[8:9], -1
.LBB188_2742:
	s_mov_b64 s[10:11], 0
.LBB188_2743:
	s_and_b64 vcc, exec, s[10:11]
	s_cbranch_vccz .LBB188_2783
; %bb.2744:
	v_mov_b32_e32 v1, 22
	v_cmp_gt_i16_sdwa s[10:11], v36, v1 src0_sel:BYTE_0 src1_sel:DWORD
	s_mov_b64 s[6:7], -1
	s_and_b64 vcc, exec, s[10:11]
	s_cbranch_vccz .LBB188_2776
; %bb.2745:
	v_mov_b32_e32 v1, 24
	v_cmp_lt_i16_sdwa s[8:9], v36, v1 src0_sel:BYTE_0 src1_sel:DWORD
	s_and_b64 vcc, exec, s[8:9]
	s_cbranch_vccnz .LBB188_2765
; %bb.2746:
	v_cmp_gt_i16_sdwa s[8:9], v36, v1 src0_sel:BYTE_0 src1_sel:DWORD
	s_and_b64 vcc, exec, s[8:9]
	s_cbranch_vccz .LBB188_2754
; %bb.2747:
	v_and_b32_e32 v1, 0x7fffffff, v0
	s_mov_b32 s6, 0x47800000
	v_cmp_gt_u32_e32 vcc, s6, v1
	v_mov_b32_e32 v4, 0x80
	s_and_saveexec_b64 s[6:7], vcc
	s_cbranch_execz .LBB188_2753
; %bb.2748:
	s_mov_b32 s8, 0x37ffffff
	v_cmp_lt_u32_e32 vcc, s8, v1
	s_mov_b64 s[8:9], 0
                                        ; implicit-def: $vgpr1
	s_and_saveexec_b64 s[10:11], vcc
	s_xor_b64 s[10:11], exec, s[10:11]
	s_cbranch_execz .LBB188_2840
; %bb.2749:
	v_bfe_u32 v1, v0, 21, 1
	s_mov_b32 s12, 0x88fffff
	v_add3_u32 v1, v0, v1, s12
	s_mov_b64 s[8:9], exec
	v_lshrrev_b32_e32 v1, 21, v1
	s_or_saveexec_b64 s[10:11], s[10:11]
                                        ; implicit-def: $sgpr12
	s_xor_b64 exec, exec, s[10:11]
	s_cbranch_execnz .LBB188_2841
.LBB188_2750:
	s_or_b64 exec, exec, s[10:11]
	v_mov_b32_e32 v4, s12
	s_and_saveexec_b64 s[10:11], s[8:9]
.LBB188_2751:
	v_lshrrev_b32_e32 v4, 24, v0
	s_movk_i32 s8, 0x80
	v_and_or_b32 v4, v4, s8, v1
.LBB188_2752:
	s_or_b64 exec, exec, s[10:11]
.LBB188_2753:
	s_or_b64 exec, exec, s[6:7]
	s_mov_b64 s[6:7], 0
	global_store_byte v[2:3], v4, off
.LBB188_2754:
	s_and_b64 vcc, exec, s[6:7]
	s_cbranch_vccz .LBB188_2764
; %bb.2755:
	v_and_b32_e32 v4, 0x7fffffff, v0
	s_mov_b32 s6, 0x43f00000
	v_cmp_gt_u32_e32 vcc, s6, v4
                                        ; implicit-def: $vgpr1
	s_and_saveexec_b64 s[6:7], vcc
	s_xor_b64 s[6:7], exec, s[6:7]
	s_cbranch_execz .LBB188_2761
; %bb.2756:
	s_mov_b32 s8, 0x3c7fffff
	v_cmp_lt_u32_e32 vcc, s8, v4
                                        ; implicit-def: $vgpr1
	s_and_saveexec_b64 s[8:9], vcc
	s_xor_b64 s[8:9], exec, s[8:9]
; %bb.2757:
	v_bfe_u32 v1, v0, 20, 1
	s_mov_b32 s10, 0x407ffff
	v_add3_u32 v1, v0, v1, s10
	v_lshrrev_b32_e32 v4, 20, v1
	v_and_b32_e32 v1, 0xff00000, v1
	s_mov_b32 s10, 0x7f00000
	v_mov_b32_e32 v5, 0x7e
	v_cmp_ne_u32_e32 vcc, s10, v1
	v_cndmask_b32_e32 v1, v5, v4, vcc
; %bb.2758:
	s_andn2_saveexec_b64 s[8:9], s[8:9]
; %bb.2759:
	s_mov_b32 s10, 0x46800000
	v_add_f32_e64 v1, |v0|, s10
; %bb.2760:
	s_or_b64 exec, exec, s[8:9]
                                        ; implicit-def: $vgpr4
.LBB188_2761:
	s_andn2_saveexec_b64 s[6:7], s[6:7]
; %bb.2762:
	s_mov_b32 s8, 0x7f800000
	v_mov_b32_e32 v1, 0x7e
	v_mov_b32_e32 v5, 0x7f
	v_cmp_lt_u32_e32 vcc, s8, v4
	v_cndmask_b32_e32 v1, v1, v5, vcc
; %bb.2763:
	s_or_b64 exec, exec, s[6:7]
	v_lshrrev_b32_e32 v4, 24, v0
	s_movk_i32 s6, 0x80
	v_and_or_b32 v1, v4, s6, v1
	global_store_byte v[2:3], v1, off
.LBB188_2764:
	s_mov_b64 s[6:7], 0
.LBB188_2765:
	s_andn2_b64 vcc, exec, s[6:7]
	s_cbranch_vccnz .LBB188_2775
; %bb.2766:
	v_and_b32_e32 v4, 0x7fffffff, v0
	s_mov_b32 s6, 0x47800000
	v_cmp_gt_u32_e32 vcc, s6, v4
                                        ; implicit-def: $vgpr1
	s_and_saveexec_b64 s[6:7], vcc
	s_xor_b64 s[6:7], exec, s[6:7]
	s_cbranch_execz .LBB188_2772
; %bb.2767:
	s_mov_b32 s8, 0x387fffff
	v_cmp_lt_u32_e32 vcc, s8, v4
                                        ; implicit-def: $vgpr1
	s_and_saveexec_b64 s[8:9], vcc
	s_xor_b64 s[8:9], exec, s[8:9]
; %bb.2768:
	v_bfe_u32 v1, v0, 21, 1
	s_mov_b32 s10, 0x80fffff
	v_add3_u32 v1, v0, v1, s10
	v_lshrrev_b32_e32 v1, 21, v1
; %bb.2769:
	s_andn2_saveexec_b64 s[8:9], s[8:9]
; %bb.2770:
	s_mov_b32 s10, 0x43000000
	v_add_f32_e64 v1, |v0|, s10
; %bb.2771:
	s_or_b64 exec, exec, s[8:9]
                                        ; implicit-def: $vgpr4
.LBB188_2772:
	s_andn2_saveexec_b64 s[6:7], s[6:7]
; %bb.2773:
	s_mov_b32 s8, 0x7f800000
	v_mov_b32_e32 v1, 0x7c
	v_mov_b32_e32 v5, 0x7f
	v_cmp_lt_u32_e32 vcc, s8, v4
	v_cndmask_b32_e32 v1, v1, v5, vcc
; %bb.2774:
	s_or_b64 exec, exec, s[6:7]
	v_lshrrev_b32_e32 v4, 24, v0
	s_movk_i32 s6, 0x80
	v_and_or_b32 v1, v4, s6, v1
	global_store_byte v[2:3], v1, off
.LBB188_2775:
	s_mov_b64 s[6:7], 0
	s_mov_b64 s[8:9], -1
.LBB188_2776:
	s_andn2_b64 vcc, exec, s[6:7]
	s_mov_b64 s[6:7], 0
	s_cbranch_vccnz .LBB188_2783
; %bb.2777:
	v_mov_b32_e32 v1, 14
	v_cmp_gt_i16_sdwa s[6:7], v36, v1 src0_sel:BYTE_0 src1_sel:DWORD
	s_mov_b64 s[10:11], -1
	s_and_b64 vcc, exec, s[6:7]
	s_cbranch_vccz .LBB188_2781
; %bb.2778:
	v_mov_b32_e32 v1, 15
	v_cmp_eq_u16_sdwa s[6:7], v36, v1 src0_sel:BYTE_0 src1_sel:DWORD
	s_mov_b64 s[4:5], -1
	s_and_b64 vcc, exec, s[6:7]
	s_cbranch_vccz .LBB188_2780
; %bb.2779:
	v_bfe_u32 v1, v0, 16, 1
	s_movk_i32 s4, 0x7fff
	v_add3_u32 v1, v0, v1, s4
	v_lshrrev_b32_e32 v1, 16, v1
	v_mov_b32_e32 v4, 0x7fc0
	v_cmp_o_f32_e32 vcc, v0, v0
	v_cndmask_b32_e32 v1, v4, v1, vcc
	global_store_short v[2:3], v1, off
	s_mov_b64 s[4:5], 0
	s_mov_b64 s[8:9], -1
.LBB188_2780:
	s_mov_b64 s[10:11], 0
.LBB188_2781:
	s_mov_b64 s[6:7], 0
	s_and_b64 vcc, exec, s[10:11]
	s_cbranch_vccz .LBB188_2783
; %bb.2782:
	v_mov_b32_e32 v1, 11
	v_cmp_ne_u16_sdwa s[4:5], v36, v1 src0_sel:BYTE_0 src1_sel:DWORD
	s_mov_b64 s[6:7], -1
.LBB188_2783:
	s_and_b64 vcc, exec, s[4:5]
	s_cbranch_vccnz .LBB188_2839
; %bb.2784:
	s_andn2_b64 vcc, exec, s[6:7]
	s_cbranch_vccnz .LBB188_2786
.LBB188_2785:
	v_cmp_neq_f32_e32 vcc, 0, v0
	v_cndmask_b32_e64 v1, 0, 1, vcc
	s_mov_b64 s[8:9], -1
	global_store_byte v[2:3], v1, off
.LBB188_2786:
	s_mov_b64 s[4:5], 0
.LBB188_2787:
	s_and_b64 vcc, exec, s[4:5]
	s_cbranch_vccz .LBB188_2826
; %bb.2788:
	v_mov_b32_e32 v1, 5
	v_cmp_lt_i16_sdwa s[6:7], v36, v1 src0_sel:BYTE_0 src1_sel:DWORD
	s_mov_b64 s[4:5], -1
	s_and_b64 vcc, exec, s[6:7]
	s_cbranch_vccnz .LBB188_2809
; %bb.2789:
	v_mov_b32_e32 v1, 8
	v_cmp_lt_i16_sdwa s[6:7], v36, v1 src0_sel:BYTE_0 src1_sel:DWORD
	s_and_b64 vcc, exec, s[6:7]
	s_cbranch_vccnz .LBB188_2799
; %bb.2790:
	v_mov_b32_e32 v1, 9
	v_cmp_lt_i16_sdwa s[6:7], v36, v1 src0_sel:BYTE_0 src1_sel:DWORD
	s_and_b64 vcc, exec, s[6:7]
	s_cbranch_vccnz .LBB188_2796
; %bb.2791:
	v_cmp_gt_i16_sdwa s[6:7], v36, v1 src0_sel:BYTE_0 src1_sel:DWORD
	s_and_b64 vcc, exec, s[6:7]
	s_cbranch_vccz .LBB188_2793
; %bb.2792:
	v_mov_b32_e32 v6, 0
	v_cvt_f64_f32_e32 v[4:5], v0
	v_mov_b32_e32 v7, v6
	global_store_dwordx4 v[2:3], v[4:7], off
	s_mov_b64 s[4:5], 0
.LBB188_2793:
	s_andn2_b64 vcc, exec, s[4:5]
	s_cbranch_vccnz .LBB188_2795
; %bb.2794:
	v_mov_b32_e32 v1, 0
	global_store_dwordx2 v[2:3], v[0:1], off
.LBB188_2795:
	s_mov_b64 s[4:5], 0
.LBB188_2796:
	s_andn2_b64 vcc, exec, s[4:5]
	s_cbranch_vccnz .LBB188_2798
; %bb.2797:
	v_cvt_f16_f32_e32 v1, v0
	global_store_dword v[2:3], v1, off
.LBB188_2798:
	s_mov_b64 s[4:5], 0
.LBB188_2799:
	s_andn2_b64 vcc, exec, s[4:5]
	s_cbranch_vccnz .LBB188_2808
; %bb.2800:
	v_mov_b32_e32 v1, 6
	v_cmp_lt_i16_sdwa s[6:7], v36, v1 src0_sel:BYTE_0 src1_sel:DWORD
	s_mov_b64 s[4:5], -1
	s_and_b64 vcc, exec, s[6:7]
	s_cbranch_vccnz .LBB188_2806
; %bb.2801:
	v_cmp_gt_i16_sdwa s[6:7], v36, v1 src0_sel:BYTE_0 src1_sel:DWORD
	s_and_b64 vcc, exec, s[6:7]
	s_cbranch_vccz .LBB188_2803
; %bb.2802:
	v_cvt_f64_f32_e32 v[4:5], v0
	global_store_dwordx2 v[2:3], v[4:5], off
	s_mov_b64 s[4:5], 0
.LBB188_2803:
	s_andn2_b64 vcc, exec, s[4:5]
	s_cbranch_vccnz .LBB188_2805
; %bb.2804:
	global_store_dword v[2:3], v0, off
.LBB188_2805:
	s_mov_b64 s[4:5], 0
.LBB188_2806:
	s_andn2_b64 vcc, exec, s[4:5]
	s_cbranch_vccnz .LBB188_2808
; %bb.2807:
	v_cvt_f16_f32_e32 v1, v0
	global_store_short v[2:3], v1, off
.LBB188_2808:
	s_mov_b64 s[4:5], 0
.LBB188_2809:
	s_andn2_b64 vcc, exec, s[4:5]
	s_cbranch_vccnz .LBB188_2825
; %bb.2810:
	v_mov_b32_e32 v1, 2
	v_cmp_lt_i16_sdwa s[6:7], v36, v1 src0_sel:BYTE_0 src1_sel:DWORD
	s_mov_b64 s[4:5], -1
	s_and_b64 vcc, exec, s[6:7]
	s_cbranch_vccnz .LBB188_2820
; %bb.2811:
	v_mov_b32_e32 v1, 3
	v_cmp_lt_i16_sdwa s[6:7], v36, v1 src0_sel:BYTE_0 src1_sel:DWORD
	s_and_b64 vcc, exec, s[6:7]
	s_cbranch_vccnz .LBB188_2817
; %bb.2812:
	v_cmp_gt_i16_sdwa s[6:7], v36, v1 src0_sel:BYTE_0 src1_sel:DWORD
	s_and_b64 vcc, exec, s[6:7]
	s_cbranch_vccz .LBB188_2814
; %bb.2813:
	v_trunc_f32_e32 v1, v0
	s_mov_b32 s4, 0x2f800000
	v_mul_f32_e64 v4, |v1|, s4
	v_floor_f32_e32 v4, v4
	s_mov_b32 s4, 0xcf800000
	v_cvt_u32_f32_e32 v5, v4
	v_fma_f32 v4, v4, s4, |v1|
	v_cvt_u32_f32_e32 v4, v4
	v_ashrrev_i32_e32 v1, 31, v1
	v_xor_b32_e32 v5, v5, v1
	s_mov_b64 s[4:5], 0
	v_xor_b32_e32 v4, v4, v1
	v_sub_co_u32_e32 v4, vcc, v4, v1
	v_subb_co_u32_e32 v5, vcc, v5, v1, vcc
	global_store_dwordx2 v[2:3], v[4:5], off
.LBB188_2814:
	s_andn2_b64 vcc, exec, s[4:5]
	s_cbranch_vccnz .LBB188_2816
; %bb.2815:
	v_cvt_i32_f32_e32 v1, v0
	global_store_dword v[2:3], v1, off
.LBB188_2816:
	s_mov_b64 s[4:5], 0
.LBB188_2817:
	s_andn2_b64 vcc, exec, s[4:5]
	s_cbranch_vccnz .LBB188_2819
; %bb.2818:
	v_cvt_i32_f32_e32 v1, v0
	global_store_short v[2:3], v1, off
.LBB188_2819:
	s_mov_b64 s[4:5], 0
.LBB188_2820:
	s_andn2_b64 vcc, exec, s[4:5]
	s_cbranch_vccnz .LBB188_2825
; %bb.2821:
	v_mov_b32_e32 v1, 0
	v_cmp_gt_i16_sdwa s[6:7], v36, v1 src0_sel:BYTE_0 src1_sel:DWORD
	s_mov_b64 s[4:5], -1
	s_and_b64 vcc, exec, s[6:7]
	s_cbranch_vccz .LBB188_2823
; %bb.2822:
	v_cvt_i32_f32_e32 v1, v0
	s_mov_b64 s[4:5], 0
	global_store_byte v[2:3], v1, off
.LBB188_2823:
	s_andn2_b64 vcc, exec, s[4:5]
	s_cbranch_vccnz .LBB188_2825
; %bb.2824:
	v_trunc_f32_e32 v0, v0
	s_mov_b32 s4, 0x2f800000
	v_mul_f32_e64 v1, |v0|, s4
	v_floor_f32_e32 v1, v1
	s_mov_b32 s4, 0xcf800000
	v_fma_f32 v1, v1, s4, |v0|
	v_cvt_u32_f32_e32 v1, v1
	v_ashrrev_i32_e32 v0, 31, v0
	v_xor_b32_e32 v1, v1, v0
	v_sub_u32_e32 v0, v1, v0
	global_store_byte v[2:3], v0, off
.LBB188_2825:
	s_mov_b64 s[8:9], -1
.LBB188_2826:
	s_andn2_b64 vcc, exec, s[8:9]
	s_cbranch_vccnz .LBB188_3030
; %bb.2827:
	v_mov_b32_e32 v0, v32
	v_mov_b32_e32 v1, v33
	s_getpc_b64 s[4:5]
	s_add_u32 s4, s4, _ZZZZN2at6native33launch_standard_gamma_grad_kernelERNS_18TensorIteratorBaseEENKUlvE_clEvENKUlvE0_clEvENKUlffE_clEff@rel32@lo+4
	s_addc_u32 s5, s5, _ZZZZN2at6native33launch_standard_gamma_grad_kernelERNS_18TensorIteratorBaseEENKUlvE_clEvENKUlvE0_clEvENKUlffE_clEff@rel32@hi+12
	s_swappc_b64 s[30:31], s[4:5]
	v_add_u32_e32 v30, s22, v30
	v_ashrrev_i32_e32 v1, 31, v30
	v_mov_b32_e32 v3, s25
	v_add_co_u32_e32 v2, vcc, s24, v30
	v_addc_co_u32_e32 v3, vcc, v3, v1, vcc
	v_mov_b32_e32 v1, 11
	v_cmp_lt_i16_sdwa s[4:5], v36, v1 src0_sel:BYTE_0 src1_sel:DWORD
	s_and_b64 vcc, exec, s[4:5]
	s_cbranch_vccnz .LBB188_2834
; %bb.2828:
	v_mov_b32_e32 v1, 25
	v_cmp_gt_i16_sdwa s[4:5], v36, v1 src0_sel:BYTE_0 src1_sel:DWORD
	s_mov_b64 s[10:11], -1
	s_mov_b64 s[6:7], 0
	s_and_b64 vcc, exec, s[4:5]
	s_mov_b64 s[8:9], 0
	s_mov_b64 s[4:5], 0
	s_cbranch_vccz .LBB188_2870
; %bb.2829:
	v_mov_b32_e32 v1, 28
	v_cmp_gt_i16_sdwa s[4:5], v36, v1 src0_sel:BYTE_0 src1_sel:DWORD
	s_and_b64 vcc, exec, s[4:5]
	s_cbranch_vccz .LBB188_2835
; %bb.2830:
	v_mov_b32_e32 v1, 43
	v_cmp_gt_i16_sdwa s[4:5], v36, v1 src0_sel:BYTE_0 src1_sel:DWORD
	s_and_b64 vcc, exec, s[4:5]
	;; [unrolled: 5-line block ×3, first 2 shown]
	s_cbranch_vccz .LBB188_2842
; %bb.2832:
	v_mov_b32_e32 v1, 46
	v_cmp_eq_u16_sdwa s[8:9], v36, v1 src0_sel:BYTE_0 src1_sel:DWORD
	s_mov_b64 s[4:5], -1
	s_mov_b64 s[10:11], 0
	s_and_b64 vcc, exec, s[8:9]
	s_mov_b64 s[8:9], 0
	s_cbranch_vccz .LBB188_2843
; %bb.2833:
	v_bfe_u32 v1, v0, 16, 1
	s_movk_i32 s4, 0x7fff
	v_add3_u32 v1, v0, v1, s4
	v_lshrrev_b32_e32 v1, 16, v1
	v_mov_b32_e32 v4, 0x7fc0
	v_cmp_o_f32_e32 vcc, v0, v0
	v_cndmask_b32_e32 v1, v4, v1, vcc
	global_store_dword v[2:3], v1, off
	s_mov_b64 s[4:5], 0
	s_mov_b64 s[8:9], -1
	s_branch .LBB188_2843
.LBB188_2834:
	s_mov_b64 s[4:5], -1
	s_mov_b64 s[8:9], 0
	s_branch .LBB188_2914
.LBB188_2835:
	s_mov_b64 s[4:5], 0
	s_branch .LBB188_2853
.LBB188_2836:
	s_or_saveexec_b64 s[12:13], s[12:13]
                                        ; implicit-def: $sgpr14
	s_xor_b64 exec, exec, s[12:13]
	s_cbranch_execz .LBB188_2737
.LBB188_2837:
	s_mov_b32 s14, 0x46000000
	v_add_f32_e64 v1, |v0|, s14
	v_and_b32_e32 v1, 0xff, v1
	v_cmp_ne_u32_e32 vcc, 0, v1
	s_andn2_b64 s[10:11], s[10:11], exec
	s_and_b64 s[16:17], vcc, exec
	s_mov_b32 s14, 0
	s_or_b64 s[10:11], s[10:11], s[16:17]
	s_or_b64 exec, exec, s[12:13]
	v_mov_b32_e32 v4, s14
	s_and_saveexec_b64 s[12:13], s[10:11]
	s_cbranch_execnz .LBB188_2738
	s_branch .LBB188_2739
.LBB188_2838:
	s_mov_b64 s[4:5], 0
	s_branch .LBB188_2849
.LBB188_2839:
	s_trap 2
	s_or_b64 s[42:43], s[42:43], exec
	s_cbranch_execz .LBB188_2785
	s_branch .LBB188_2786
.LBB188_2840:
	s_or_saveexec_b64 s[10:11], s[10:11]
                                        ; implicit-def: $sgpr12
	s_xor_b64 exec, exec, s[10:11]
	s_cbranch_execz .LBB188_2750
.LBB188_2841:
	s_mov_b32 s12, 0x42800000
	v_add_f32_e64 v1, |v0|, s12
	v_and_b32_e32 v1, 0xff, v1
	v_cmp_ne_u32_e32 vcc, 0, v1
	s_andn2_b64 s[8:9], s[8:9], exec
	s_and_b64 s[14:15], vcc, exec
	s_mov_b32 s12, 0
	s_or_b64 s[8:9], s[8:9], s[14:15]
	s_or_b64 exec, exec, s[10:11]
	v_mov_b32_e32 v4, s12
	s_and_saveexec_b64 s[10:11], s[8:9]
	s_cbranch_execnz .LBB188_2751
	s_branch .LBB188_2752
.LBB188_2842:
	s_mov_b64 s[4:5], 0
.LBB188_2843:
	s_and_b64 vcc, exec, s[10:11]
	s_cbranch_vccz .LBB188_2848
; %bb.2844:
	v_mov_b32_e32 v1, 44
	v_cmp_eq_u16_sdwa s[10:11], v36, v1 src0_sel:BYTE_0 src1_sel:DWORD
	s_mov_b64 s[4:5], -1
	s_and_b64 vcc, exec, s[10:11]
	s_cbranch_vccz .LBB188_2848
; %bb.2845:
	v_bfe_u32 v1, v0, 23, 8
	s_movk_i32 s4, 0xff
	v_cmp_ne_u32_e32 vcc, s4, v1
	v_mov_b32_e32 v4, 0xff
	s_and_saveexec_b64 s[8:9], vcc
; %bb.2846:
	s_mov_b32 s4, 0x3fffff
	v_and_b32_e32 v5, 0x400000, v0
	v_and_or_b32 v1, v0, s4, v1
	v_cmp_ne_u32_e32 vcc, 0, v5
	v_cmp_ne_u32_e64 s[4:5], 0, v1
	s_and_b64 s[4:5], vcc, s[4:5]
	v_lshrrev_b32_e32 v4, 23, v0
	v_cndmask_b32_e64 v1, 0, 1, s[4:5]
	v_add_u32_e32 v4, v4, v1
; %bb.2847:
	s_or_b64 exec, exec, s[8:9]
	s_mov_b64 s[4:5], 0
	s_mov_b64 s[8:9], -1
	global_store_byte v[2:3], v4, off
.LBB188_2848:
	s_mov_b64 s[10:11], 0
.LBB188_2849:
	s_and_b64 vcc, exec, s[10:11]
	s_cbranch_vccz .LBB188_2852
; %bb.2850:
	v_mov_b32_e32 v1, 29
	v_cmp_eq_u16_sdwa s[10:11], v36, v1 src0_sel:BYTE_0 src1_sel:DWORD
	s_mov_b64 s[4:5], -1
	s_and_b64 vcc, exec, s[10:11]
	s_cbranch_vccz .LBB188_2852
; %bb.2851:
	v_trunc_f32_e32 v1, v0
	v_mul_f32_e32 v4, 0x2f800000, v1
	v_floor_f32_e32 v4, v4
	v_fmac_f32_e32 v1, 0xcf800000, v4
	v_cvt_u32_f32_e32 v5, v4
	v_cvt_u32_f32_e32 v4, v1
	s_mov_b64 s[4:5], 0
	s_mov_b64 s[8:9], -1
	s_mov_b64 s[10:11], 0
	global_store_dwordx2 v[2:3], v[4:5], off
	s_branch .LBB188_2853
.LBB188_2852:
	s_mov_b64 s[10:11], 0
.LBB188_2853:
	s_and_b64 vcc, exec, s[10:11]
	s_cbranch_vccz .LBB188_2869
; %bb.2854:
	v_mov_b32_e32 v1, 27
	v_cmp_lt_i16_sdwa s[10:11], v36, v1 src0_sel:BYTE_0 src1_sel:DWORD
	s_mov_b64 s[8:9], -1
	s_and_b64 vcc, exec, s[10:11]
	s_cbranch_vccnz .LBB188_2860
; %bb.2855:
	v_cmp_gt_i16_sdwa s[10:11], v36, v1 src0_sel:BYTE_0 src1_sel:DWORD
	v_cvt_u32_f32_e32 v1, v0
	s_and_b64 vcc, exec, s[10:11]
	s_cbranch_vccz .LBB188_2857
; %bb.2856:
	s_mov_b64 s[8:9], 0
	global_store_dword v[2:3], v1, off
.LBB188_2857:
	s_andn2_b64 vcc, exec, s[8:9]
	s_cbranch_vccnz .LBB188_2859
; %bb.2858:
	global_store_short v[2:3], v1, off
.LBB188_2859:
	s_mov_b64 s[8:9], 0
.LBB188_2860:
	s_andn2_b64 vcc, exec, s[8:9]
	s_cbranch_vccnz .LBB188_2868
; %bb.2861:
	v_and_b32_e32 v1, 0x7fffffff, v0
	s_mov_b32 s8, 0x43800000
	v_cmp_gt_u32_e32 vcc, s8, v1
	v_mov_b32_e32 v4, 0x80
	s_and_saveexec_b64 s[8:9], vcc
	s_cbranch_execz .LBB188_2867
; %bb.2862:
	s_mov_b32 s10, 0x3bffffff
	v_cmp_lt_u32_e32 vcc, s10, v1
	s_mov_b64 s[10:11], 0
                                        ; implicit-def: $vgpr1
	s_and_saveexec_b64 s[12:13], vcc
	s_xor_b64 s[12:13], exec, s[12:13]
	s_cbranch_execz .LBB188_3076
; %bb.2863:
	v_bfe_u32 v1, v0, 20, 1
	s_mov_b32 s14, 0x487ffff
	v_add3_u32 v1, v0, v1, s14
	s_mov_b64 s[10:11], exec
	v_lshrrev_b32_e32 v1, 20, v1
	s_or_saveexec_b64 s[12:13], s[12:13]
                                        ; implicit-def: $sgpr14
	s_xor_b64 exec, exec, s[12:13]
	s_cbranch_execnz .LBB188_3077
.LBB188_2864:
	s_or_b64 exec, exec, s[12:13]
	v_mov_b32_e32 v4, s14
	s_and_saveexec_b64 s[12:13], s[10:11]
.LBB188_2865:
	v_lshrrev_b32_e32 v4, 24, v0
	s_movk_i32 s10, 0x80
	v_and_or_b32 v4, v4, s10, v1
.LBB188_2866:
	s_or_b64 exec, exec, s[12:13]
.LBB188_2867:
	s_or_b64 exec, exec, s[8:9]
	global_store_byte v[2:3], v4, off
.LBB188_2868:
	s_mov_b64 s[8:9], -1
.LBB188_2869:
	s_mov_b64 s[10:11], 0
.LBB188_2870:
	s_and_b64 vcc, exec, s[10:11]
	s_cbranch_vccz .LBB188_2910
; %bb.2871:
	v_mov_b32_e32 v1, 22
	v_cmp_gt_i16_sdwa s[10:11], v36, v1 src0_sel:BYTE_0 src1_sel:DWORD
	s_mov_b64 s[6:7], -1
	s_and_b64 vcc, exec, s[10:11]
	s_cbranch_vccz .LBB188_2903
; %bb.2872:
	v_mov_b32_e32 v1, 24
	v_cmp_lt_i16_sdwa s[8:9], v36, v1 src0_sel:BYTE_0 src1_sel:DWORD
	s_and_b64 vcc, exec, s[8:9]
	s_cbranch_vccnz .LBB188_2892
; %bb.2873:
	v_cmp_gt_i16_sdwa s[8:9], v36, v1 src0_sel:BYTE_0 src1_sel:DWORD
	s_and_b64 vcc, exec, s[8:9]
	s_cbranch_vccz .LBB188_2881
; %bb.2874:
	v_and_b32_e32 v1, 0x7fffffff, v0
	s_mov_b32 s6, 0x47800000
	v_cmp_gt_u32_e32 vcc, s6, v1
	v_mov_b32_e32 v4, 0x80
	s_and_saveexec_b64 s[6:7], vcc
	s_cbranch_execz .LBB188_2880
; %bb.2875:
	s_mov_b32 s8, 0x37ffffff
	v_cmp_lt_u32_e32 vcc, s8, v1
	s_mov_b64 s[8:9], 0
                                        ; implicit-def: $vgpr1
	s_and_saveexec_b64 s[10:11], vcc
	s_xor_b64 s[10:11], exec, s[10:11]
	s_cbranch_execz .LBB188_3079
; %bb.2876:
	v_bfe_u32 v1, v0, 21, 1
	s_mov_b32 s12, 0x88fffff
	v_add3_u32 v1, v0, v1, s12
	s_mov_b64 s[8:9], exec
	v_lshrrev_b32_e32 v1, 21, v1
	s_or_saveexec_b64 s[10:11], s[10:11]
                                        ; implicit-def: $sgpr12
	s_xor_b64 exec, exec, s[10:11]
	s_cbranch_execnz .LBB188_3080
.LBB188_2877:
	s_or_b64 exec, exec, s[10:11]
	v_mov_b32_e32 v4, s12
	s_and_saveexec_b64 s[10:11], s[8:9]
.LBB188_2878:
	v_lshrrev_b32_e32 v4, 24, v0
	s_movk_i32 s8, 0x80
	v_and_or_b32 v4, v4, s8, v1
.LBB188_2879:
	s_or_b64 exec, exec, s[10:11]
.LBB188_2880:
	s_or_b64 exec, exec, s[6:7]
	s_mov_b64 s[6:7], 0
	global_store_byte v[2:3], v4, off
.LBB188_2881:
	s_and_b64 vcc, exec, s[6:7]
	s_cbranch_vccz .LBB188_2891
; %bb.2882:
	v_and_b32_e32 v4, 0x7fffffff, v0
	s_mov_b32 s6, 0x43f00000
	v_cmp_gt_u32_e32 vcc, s6, v4
                                        ; implicit-def: $vgpr1
	s_and_saveexec_b64 s[6:7], vcc
	s_xor_b64 s[6:7], exec, s[6:7]
	s_cbranch_execz .LBB188_2888
; %bb.2883:
	s_mov_b32 s8, 0x3c7fffff
	v_cmp_lt_u32_e32 vcc, s8, v4
                                        ; implicit-def: $vgpr1
	s_and_saveexec_b64 s[8:9], vcc
	s_xor_b64 s[8:9], exec, s[8:9]
; %bb.2884:
	v_bfe_u32 v1, v0, 20, 1
	s_mov_b32 s10, 0x407ffff
	v_add3_u32 v1, v0, v1, s10
	v_lshrrev_b32_e32 v4, 20, v1
	v_and_b32_e32 v1, 0xff00000, v1
	s_mov_b32 s10, 0x7f00000
	v_mov_b32_e32 v5, 0x7e
	v_cmp_ne_u32_e32 vcc, s10, v1
	v_cndmask_b32_e32 v1, v5, v4, vcc
; %bb.2885:
	s_andn2_saveexec_b64 s[8:9], s[8:9]
; %bb.2886:
	s_mov_b32 s10, 0x46800000
	v_add_f32_e64 v1, |v0|, s10
; %bb.2887:
	s_or_b64 exec, exec, s[8:9]
                                        ; implicit-def: $vgpr4
.LBB188_2888:
	s_andn2_saveexec_b64 s[6:7], s[6:7]
; %bb.2889:
	s_mov_b32 s8, 0x7f800000
	v_mov_b32_e32 v1, 0x7e
	v_mov_b32_e32 v5, 0x7f
	v_cmp_lt_u32_e32 vcc, s8, v4
	v_cndmask_b32_e32 v1, v1, v5, vcc
; %bb.2890:
	s_or_b64 exec, exec, s[6:7]
	v_lshrrev_b32_e32 v4, 24, v0
	s_movk_i32 s6, 0x80
	v_and_or_b32 v1, v4, s6, v1
	global_store_byte v[2:3], v1, off
.LBB188_2891:
	s_mov_b64 s[6:7], 0
.LBB188_2892:
	s_andn2_b64 vcc, exec, s[6:7]
	s_cbranch_vccnz .LBB188_2902
; %bb.2893:
	v_and_b32_e32 v4, 0x7fffffff, v0
	s_mov_b32 s6, 0x47800000
	v_cmp_gt_u32_e32 vcc, s6, v4
                                        ; implicit-def: $vgpr1
	s_and_saveexec_b64 s[6:7], vcc
	s_xor_b64 s[6:7], exec, s[6:7]
	s_cbranch_execz .LBB188_2899
; %bb.2894:
	s_mov_b32 s8, 0x387fffff
	v_cmp_lt_u32_e32 vcc, s8, v4
                                        ; implicit-def: $vgpr1
	s_and_saveexec_b64 s[8:9], vcc
	s_xor_b64 s[8:9], exec, s[8:9]
; %bb.2895:
	v_bfe_u32 v1, v0, 21, 1
	s_mov_b32 s10, 0x80fffff
	v_add3_u32 v1, v0, v1, s10
	v_lshrrev_b32_e32 v1, 21, v1
; %bb.2896:
	s_andn2_saveexec_b64 s[8:9], s[8:9]
; %bb.2897:
	s_mov_b32 s10, 0x43000000
	v_add_f32_e64 v1, |v0|, s10
; %bb.2898:
	s_or_b64 exec, exec, s[8:9]
                                        ; implicit-def: $vgpr4
.LBB188_2899:
	s_andn2_saveexec_b64 s[6:7], s[6:7]
; %bb.2900:
	s_mov_b32 s8, 0x7f800000
	v_mov_b32_e32 v1, 0x7c
	v_mov_b32_e32 v5, 0x7f
	v_cmp_lt_u32_e32 vcc, s8, v4
	v_cndmask_b32_e32 v1, v1, v5, vcc
; %bb.2901:
	s_or_b64 exec, exec, s[6:7]
	v_lshrrev_b32_e32 v4, 24, v0
	s_movk_i32 s6, 0x80
	v_and_or_b32 v1, v4, s6, v1
	global_store_byte v[2:3], v1, off
.LBB188_2902:
	s_mov_b64 s[6:7], 0
	s_mov_b64 s[8:9], -1
.LBB188_2903:
	s_andn2_b64 vcc, exec, s[6:7]
	s_mov_b64 s[6:7], 0
	s_cbranch_vccnz .LBB188_2910
; %bb.2904:
	v_mov_b32_e32 v1, 14
	v_cmp_gt_i16_sdwa s[6:7], v36, v1 src0_sel:BYTE_0 src1_sel:DWORD
	s_mov_b64 s[10:11], -1
	s_and_b64 vcc, exec, s[6:7]
	s_cbranch_vccz .LBB188_2908
; %bb.2905:
	v_mov_b32_e32 v1, 15
	v_cmp_eq_u16_sdwa s[6:7], v36, v1 src0_sel:BYTE_0 src1_sel:DWORD
	s_mov_b64 s[4:5], -1
	s_and_b64 vcc, exec, s[6:7]
	s_cbranch_vccz .LBB188_2907
; %bb.2906:
	v_bfe_u32 v1, v0, 16, 1
	s_movk_i32 s4, 0x7fff
	v_add3_u32 v1, v0, v1, s4
	v_lshrrev_b32_e32 v1, 16, v1
	v_mov_b32_e32 v4, 0x7fc0
	v_cmp_o_f32_e32 vcc, v0, v0
	v_cndmask_b32_e32 v1, v4, v1, vcc
	global_store_short v[2:3], v1, off
	s_mov_b64 s[4:5], 0
	s_mov_b64 s[8:9], -1
.LBB188_2907:
	s_mov_b64 s[10:11], 0
.LBB188_2908:
	s_mov_b64 s[6:7], 0
	s_and_b64 vcc, exec, s[10:11]
	s_cbranch_vccz .LBB188_2910
; %bb.2909:
	v_mov_b32_e32 v1, 11
	v_cmp_ne_u16_sdwa s[4:5], v36, v1 src0_sel:BYTE_0 src1_sel:DWORD
	s_mov_b64 s[6:7], -1
.LBB188_2910:
	s_and_b64 vcc, exec, s[4:5]
	s_cbranch_vccnz .LBB188_3078
; %bb.2911:
	s_andn2_b64 vcc, exec, s[6:7]
	s_cbranch_vccnz .LBB188_2913
.LBB188_2912:
	v_cmp_neq_f32_e32 vcc, 0, v0
	v_cndmask_b32_e64 v1, 0, 1, vcc
	s_mov_b64 s[8:9], -1
	global_store_byte v[2:3], v1, off
.LBB188_2913:
	s_mov_b64 s[4:5], 0
.LBB188_2914:
	s_and_b64 vcc, exec, s[4:5]
	s_cbranch_vccz .LBB188_2953
; %bb.2915:
	v_mov_b32_e32 v1, 5
	v_cmp_lt_i16_sdwa s[6:7], v36, v1 src0_sel:BYTE_0 src1_sel:DWORD
	s_mov_b64 s[4:5], -1
	s_and_b64 vcc, exec, s[6:7]
	s_cbranch_vccnz .LBB188_2936
; %bb.2916:
	v_mov_b32_e32 v1, 8
	v_cmp_lt_i16_sdwa s[6:7], v36, v1 src0_sel:BYTE_0 src1_sel:DWORD
	s_and_b64 vcc, exec, s[6:7]
	s_cbranch_vccnz .LBB188_2926
; %bb.2917:
	v_mov_b32_e32 v1, 9
	v_cmp_lt_i16_sdwa s[6:7], v36, v1 src0_sel:BYTE_0 src1_sel:DWORD
	s_and_b64 vcc, exec, s[6:7]
	s_cbranch_vccnz .LBB188_2923
; %bb.2918:
	v_cmp_gt_i16_sdwa s[6:7], v36, v1 src0_sel:BYTE_0 src1_sel:DWORD
	s_and_b64 vcc, exec, s[6:7]
	s_cbranch_vccz .LBB188_2920
; %bb.2919:
	v_mov_b32_e32 v6, 0
	v_cvt_f64_f32_e32 v[4:5], v0
	v_mov_b32_e32 v7, v6
	global_store_dwordx4 v[2:3], v[4:7], off
	s_mov_b64 s[4:5], 0
.LBB188_2920:
	s_andn2_b64 vcc, exec, s[4:5]
	s_cbranch_vccnz .LBB188_2922
; %bb.2921:
	v_mov_b32_e32 v1, 0
	global_store_dwordx2 v[2:3], v[0:1], off
.LBB188_2922:
	s_mov_b64 s[4:5], 0
.LBB188_2923:
	s_andn2_b64 vcc, exec, s[4:5]
	s_cbranch_vccnz .LBB188_2925
; %bb.2924:
	v_cvt_f16_f32_e32 v1, v0
	global_store_dword v[2:3], v1, off
.LBB188_2925:
	s_mov_b64 s[4:5], 0
.LBB188_2926:
	s_andn2_b64 vcc, exec, s[4:5]
	s_cbranch_vccnz .LBB188_2935
; %bb.2927:
	v_mov_b32_e32 v1, 6
	v_cmp_lt_i16_sdwa s[6:7], v36, v1 src0_sel:BYTE_0 src1_sel:DWORD
	s_mov_b64 s[4:5], -1
	s_and_b64 vcc, exec, s[6:7]
	s_cbranch_vccnz .LBB188_2933
; %bb.2928:
	v_cmp_gt_i16_sdwa s[6:7], v36, v1 src0_sel:BYTE_0 src1_sel:DWORD
	s_and_b64 vcc, exec, s[6:7]
	s_cbranch_vccz .LBB188_2930
; %bb.2929:
	v_cvt_f64_f32_e32 v[4:5], v0
	global_store_dwordx2 v[2:3], v[4:5], off
	s_mov_b64 s[4:5], 0
.LBB188_2930:
	s_andn2_b64 vcc, exec, s[4:5]
	s_cbranch_vccnz .LBB188_2932
; %bb.2931:
	global_store_dword v[2:3], v0, off
.LBB188_2932:
	s_mov_b64 s[4:5], 0
.LBB188_2933:
	s_andn2_b64 vcc, exec, s[4:5]
	s_cbranch_vccnz .LBB188_2935
; %bb.2934:
	v_cvt_f16_f32_e32 v1, v0
	global_store_short v[2:3], v1, off
.LBB188_2935:
	s_mov_b64 s[4:5], 0
.LBB188_2936:
	s_andn2_b64 vcc, exec, s[4:5]
	s_cbranch_vccnz .LBB188_2952
; %bb.2937:
	v_mov_b32_e32 v1, 2
	v_cmp_lt_i16_sdwa s[6:7], v36, v1 src0_sel:BYTE_0 src1_sel:DWORD
	s_mov_b64 s[4:5], -1
	s_and_b64 vcc, exec, s[6:7]
	s_cbranch_vccnz .LBB188_2947
; %bb.2938:
	v_mov_b32_e32 v1, 3
	v_cmp_lt_i16_sdwa s[6:7], v36, v1 src0_sel:BYTE_0 src1_sel:DWORD
	s_and_b64 vcc, exec, s[6:7]
	s_cbranch_vccnz .LBB188_2944
; %bb.2939:
	v_cmp_gt_i16_sdwa s[6:7], v36, v1 src0_sel:BYTE_0 src1_sel:DWORD
	s_and_b64 vcc, exec, s[6:7]
	s_cbranch_vccz .LBB188_2941
; %bb.2940:
	v_trunc_f32_e32 v1, v0
	s_mov_b32 s4, 0x2f800000
	v_mul_f32_e64 v4, |v1|, s4
	v_floor_f32_e32 v4, v4
	s_mov_b32 s4, 0xcf800000
	v_cvt_u32_f32_e32 v5, v4
	v_fma_f32 v4, v4, s4, |v1|
	v_cvt_u32_f32_e32 v4, v4
	v_ashrrev_i32_e32 v1, 31, v1
	v_xor_b32_e32 v5, v5, v1
	s_mov_b64 s[4:5], 0
	v_xor_b32_e32 v4, v4, v1
	v_sub_co_u32_e32 v4, vcc, v4, v1
	v_subb_co_u32_e32 v5, vcc, v5, v1, vcc
	global_store_dwordx2 v[2:3], v[4:5], off
.LBB188_2941:
	s_andn2_b64 vcc, exec, s[4:5]
	s_cbranch_vccnz .LBB188_2943
; %bb.2942:
	v_cvt_i32_f32_e32 v1, v0
	global_store_dword v[2:3], v1, off
.LBB188_2943:
	s_mov_b64 s[4:5], 0
.LBB188_2944:
	s_andn2_b64 vcc, exec, s[4:5]
	s_cbranch_vccnz .LBB188_2946
; %bb.2945:
	v_cvt_i32_f32_e32 v1, v0
	global_store_short v[2:3], v1, off
.LBB188_2946:
	s_mov_b64 s[4:5], 0
.LBB188_2947:
	s_andn2_b64 vcc, exec, s[4:5]
	s_cbranch_vccnz .LBB188_2952
; %bb.2948:
	v_mov_b32_e32 v1, 0
	v_cmp_gt_i16_sdwa s[6:7], v36, v1 src0_sel:BYTE_0 src1_sel:DWORD
	s_mov_b64 s[4:5], -1
	s_and_b64 vcc, exec, s[6:7]
	s_cbranch_vccz .LBB188_2950
; %bb.2949:
	v_cvt_i32_f32_e32 v1, v0
	s_mov_b64 s[4:5], 0
	global_store_byte v[2:3], v1, off
.LBB188_2950:
	s_andn2_b64 vcc, exec, s[4:5]
	s_cbranch_vccnz .LBB188_2952
; %bb.2951:
	v_trunc_f32_e32 v0, v0
	s_mov_b32 s4, 0x2f800000
	v_mul_f32_e64 v1, |v0|, s4
	v_floor_f32_e32 v1, v1
	s_mov_b32 s4, 0xcf800000
	v_fma_f32 v1, v1, s4, |v0|
	v_cvt_u32_f32_e32 v1, v1
	v_ashrrev_i32_e32 v0, 31, v0
	v_xor_b32_e32 v1, v1, v0
	v_sub_u32_e32 v0, v1, v0
	global_store_byte v[2:3], v0, off
.LBB188_2952:
	s_mov_b64 s[8:9], -1
.LBB188_2953:
	s_andn2_b64 vcc, exec, s[8:9]
	s_cbranch_vccnz .LBB188_3030
; %bb.2954:
	v_mov_b32_e32 v0, v34
	v_mov_b32_e32 v1, v35
	s_getpc_b64 s[4:5]
	s_add_u32 s4, s4, _ZZZZN2at6native33launch_standard_gamma_grad_kernelERNS_18TensorIteratorBaseEENKUlvE_clEvENKUlvE0_clEvENKUlffE_clEff@rel32@lo+4
	s_addc_u32 s5, s5, _ZZZZN2at6native33launch_standard_gamma_grad_kernelERNS_18TensorIteratorBaseEENKUlvE_clEvENKUlvE0_clEvENKUlffE_clEff@rel32@hi+12
	s_swappc_b64 s[30:31], s[4:5]
	v_add_u32_e32 v1, s22, v30
	v_ashrrev_i32_e32 v3, 31, v1
	v_mov_b32_e32 v4, s25
	v_add_co_u32_e32 v2, vcc, s24, v1
	v_addc_co_u32_e32 v3, vcc, v4, v3, vcc
	v_and_b32_e32 v4, 0xff, v36
	v_cmp_gt_i16_e32 vcc, 11, v4
	s_cbranch_vccnz .LBB188_3075
; %bb.2955:
	v_cmp_lt_i16_e32 vcc, 25, v4
	s_mov_b64 s[8:9], -1
	s_mov_b64 s[6:7], 0
	s_mov_b64 s[4:5], 0
	s_cbranch_vccz .LBB188_2988
; %bb.2956:
	v_cmp_lt_i16_e32 vcc, 28, v4
	s_cbranch_vccz .LBB188_2972
; %bb.2957:
	v_cmp_lt_i16_e32 vcc, 43, v4
	;; [unrolled: 3-line block ×3, first 2 shown]
	s_cbranch_vccz .LBB188_2962
; %bb.2959:
	v_cmp_eq_u16_e32 vcc, 46, v4
	s_mov_b64 s[4:5], -1
	s_cbranch_vccz .LBB188_2961
; %bb.2960:
	v_bfe_u32 v1, v0, 16, 1
	s_movk_i32 s4, 0x7fff
	v_add3_u32 v1, v0, v1, s4
	v_lshrrev_b32_e32 v1, 16, v1
	v_mov_b32_e32 v5, 0x7fc0
	v_cmp_o_f32_e32 vcc, v0, v0
	v_cndmask_b32_e32 v1, v5, v1, vcc
	global_store_dword v[2:3], v1, off
	s_mov_b64 s[4:5], 0
.LBB188_2961:
	s_mov_b64 s[8:9], 0
.LBB188_2962:
	s_and_b64 vcc, exec, s[8:9]
	s_cbranch_vccz .LBB188_2967
; %bb.2963:
	v_cmp_eq_u16_e32 vcc, 44, v4
	s_mov_b64 s[4:5], -1
	s_cbranch_vccz .LBB188_2967
; %bb.2964:
	v_bfe_u32 v1, v0, 23, 8
	s_movk_i32 s4, 0xff
	v_cmp_ne_u32_e32 vcc, s4, v1
	v_mov_b32_e32 v5, 0xff
	s_and_saveexec_b64 s[8:9], vcc
; %bb.2965:
	s_mov_b32 s4, 0x3fffff
	v_and_b32_e32 v6, 0x400000, v0
	v_and_or_b32 v1, v0, s4, v1
	v_cmp_ne_u32_e32 vcc, 0, v6
	v_cmp_ne_u32_e64 s[4:5], 0, v1
	s_and_b64 s[4:5], vcc, s[4:5]
	v_lshrrev_b32_e32 v5, 23, v0
	v_cndmask_b32_e64 v1, 0, 1, s[4:5]
	v_add_u32_e32 v5, v5, v1
; %bb.2966:
	s_or_b64 exec, exec, s[8:9]
	s_mov_b64 s[4:5], 0
	global_store_byte v[2:3], v5, off
.LBB188_2967:
	s_mov_b64 s[8:9], 0
.LBB188_2968:
	s_and_b64 vcc, exec, s[8:9]
	s_cbranch_vccz .LBB188_2971
; %bb.2969:
	v_cmp_eq_u16_e32 vcc, 29, v4
	s_mov_b64 s[4:5], -1
	s_cbranch_vccz .LBB188_2971
; %bb.2970:
	v_trunc_f32_e32 v1, v0
	v_mul_f32_e32 v5, 0x2f800000, v1
	v_floor_f32_e32 v5, v5
	v_fmac_f32_e32 v1, 0xcf800000, v5
	v_cvt_u32_f32_e32 v7, v5
	v_cvt_u32_f32_e32 v6, v1
	s_mov_b64 s[4:5], 0
	global_store_dwordx2 v[2:3], v[6:7], off
.LBB188_2971:
	s_mov_b64 s[8:9], 0
.LBB188_2972:
	s_and_b64 vcc, exec, s[8:9]
	s_cbranch_vccz .LBB188_2987
; %bb.2973:
	v_cmp_gt_i16_e32 vcc, 27, v4
	s_mov_b64 s[8:9], -1
	s_cbranch_vccnz .LBB188_2979
; %bb.2974:
	v_cvt_u32_f32_e32 v1, v0
	v_cmp_lt_i16_e32 vcc, 27, v4
	s_cbranch_vccz .LBB188_2976
; %bb.2975:
	global_store_dword v[2:3], v1, off
	s_mov_b64 s[8:9], 0
.LBB188_2976:
	s_andn2_b64 vcc, exec, s[8:9]
	s_cbranch_vccnz .LBB188_2978
; %bb.2977:
	global_store_short v[2:3], v1, off
.LBB188_2978:
	s_mov_b64 s[8:9], 0
.LBB188_2979:
	s_andn2_b64 vcc, exec, s[8:9]
	s_cbranch_vccnz .LBB188_2987
; %bb.2980:
	v_and_b32_e32 v1, 0x7fffffff, v0
	s_mov_b32 s8, 0x43800000
	v_cmp_gt_u32_e32 vcc, s8, v1
	v_mov_b32_e32 v5, 0x80
	s_and_saveexec_b64 s[8:9], vcc
	s_cbranch_execz .LBB188_2986
; %bb.2981:
	s_mov_b32 s10, 0x3bffffff
	v_cmp_lt_u32_e32 vcc, s10, v1
	s_mov_b64 s[10:11], 0
                                        ; implicit-def: $vgpr1
	s_and_saveexec_b64 s[12:13], vcc
	s_xor_b64 s[12:13], exec, s[12:13]
	s_cbranch_execz .LBB188_3081
; %bb.2982:
	v_bfe_u32 v1, v0, 20, 1
	s_mov_b32 s14, 0x487ffff
	v_add3_u32 v1, v0, v1, s14
	s_mov_b64 s[10:11], exec
	v_lshrrev_b32_e32 v1, 20, v1
	s_or_saveexec_b64 s[12:13], s[12:13]
                                        ; implicit-def: $sgpr14
	s_xor_b64 exec, exec, s[12:13]
	s_cbranch_execnz .LBB188_3082
.LBB188_2983:
	s_or_b64 exec, exec, s[12:13]
	v_mov_b32_e32 v5, s14
	s_and_saveexec_b64 s[12:13], s[10:11]
.LBB188_2984:
	v_lshrrev_b32_e32 v5, 24, v0
	s_movk_i32 s10, 0x80
	v_and_or_b32 v5, v5, s10, v1
.LBB188_2985:
	s_or_b64 exec, exec, s[12:13]
.LBB188_2986:
	s_or_b64 exec, exec, s[8:9]
	global_store_byte v[2:3], v5, off
.LBB188_2987:
	s_mov_b64 s[8:9], 0
.LBB188_2988:
	s_and_b64 vcc, exec, s[8:9]
	s_cbranch_vccz .LBB188_3028
; %bb.2989:
	v_cmp_lt_i16_e32 vcc, 22, v4
	s_mov_b64 s[6:7], -1
	s_cbranch_vccz .LBB188_3021
; %bb.2990:
	v_cmp_gt_i16_e32 vcc, 24, v4
	s_cbranch_vccnz .LBB188_3010
; %bb.2991:
	v_cmp_lt_i16_e32 vcc, 24, v4
	s_cbranch_vccz .LBB188_2999
; %bb.2992:
	v_and_b32_e32 v1, 0x7fffffff, v0
	s_mov_b32 s6, 0x47800000
	v_cmp_gt_u32_e32 vcc, s6, v1
	v_mov_b32_e32 v5, 0x80
	s_and_saveexec_b64 s[6:7], vcc
	s_cbranch_execz .LBB188_2998
; %bb.2993:
	s_mov_b32 s8, 0x37ffffff
	v_cmp_lt_u32_e32 vcc, s8, v1
	s_mov_b64 s[8:9], 0
                                        ; implicit-def: $vgpr1
	s_and_saveexec_b64 s[10:11], vcc
	s_xor_b64 s[10:11], exec, s[10:11]
	s_cbranch_execz .LBB188_3084
; %bb.2994:
	v_bfe_u32 v1, v0, 21, 1
	s_mov_b32 s12, 0x88fffff
	v_add3_u32 v1, v0, v1, s12
	s_mov_b64 s[8:9], exec
	v_lshrrev_b32_e32 v1, 21, v1
	s_or_saveexec_b64 s[10:11], s[10:11]
                                        ; implicit-def: $sgpr12
	s_xor_b64 exec, exec, s[10:11]
	s_cbranch_execnz .LBB188_3085
.LBB188_2995:
	s_or_b64 exec, exec, s[10:11]
	v_mov_b32_e32 v5, s12
	s_and_saveexec_b64 s[10:11], s[8:9]
.LBB188_2996:
	v_lshrrev_b32_e32 v5, 24, v0
	s_movk_i32 s8, 0x80
	v_and_or_b32 v5, v5, s8, v1
.LBB188_2997:
	s_or_b64 exec, exec, s[10:11]
.LBB188_2998:
	s_or_b64 exec, exec, s[6:7]
	s_mov_b64 s[6:7], 0
	global_store_byte v[2:3], v5, off
.LBB188_2999:
	s_and_b64 vcc, exec, s[6:7]
	s_cbranch_vccz .LBB188_3009
; %bb.3000:
	v_and_b32_e32 v5, 0x7fffffff, v0
	s_mov_b32 s6, 0x43f00000
	v_cmp_gt_u32_e32 vcc, s6, v5
                                        ; implicit-def: $vgpr1
	s_and_saveexec_b64 s[6:7], vcc
	s_xor_b64 s[6:7], exec, s[6:7]
	s_cbranch_execz .LBB188_3006
; %bb.3001:
	s_mov_b32 s8, 0x3c7fffff
	v_cmp_lt_u32_e32 vcc, s8, v5
                                        ; implicit-def: $vgpr1
	s_and_saveexec_b64 s[8:9], vcc
	s_xor_b64 s[8:9], exec, s[8:9]
; %bb.3002:
	v_bfe_u32 v1, v0, 20, 1
	s_mov_b32 s10, 0x407ffff
	v_add3_u32 v1, v0, v1, s10
	v_lshrrev_b32_e32 v5, 20, v1
	v_and_b32_e32 v1, 0xff00000, v1
	s_mov_b32 s10, 0x7f00000
	v_mov_b32_e32 v6, 0x7e
	v_cmp_ne_u32_e32 vcc, s10, v1
	v_cndmask_b32_e32 v1, v6, v5, vcc
; %bb.3003:
	s_andn2_saveexec_b64 s[8:9], s[8:9]
; %bb.3004:
	s_mov_b32 s10, 0x46800000
	v_add_f32_e64 v1, |v0|, s10
; %bb.3005:
	s_or_b64 exec, exec, s[8:9]
                                        ; implicit-def: $vgpr5
.LBB188_3006:
	s_andn2_saveexec_b64 s[6:7], s[6:7]
; %bb.3007:
	s_mov_b32 s8, 0x7f800000
	v_mov_b32_e32 v1, 0x7e
	v_mov_b32_e32 v6, 0x7f
	v_cmp_lt_u32_e32 vcc, s8, v5
	v_cndmask_b32_e32 v1, v1, v6, vcc
; %bb.3008:
	s_or_b64 exec, exec, s[6:7]
	v_lshrrev_b32_e32 v5, 24, v0
	s_movk_i32 s6, 0x80
	v_and_or_b32 v1, v5, s6, v1
	global_store_byte v[2:3], v1, off
.LBB188_3009:
	s_mov_b64 s[6:7], 0
.LBB188_3010:
	s_andn2_b64 vcc, exec, s[6:7]
	s_cbranch_vccnz .LBB188_3020
; %bb.3011:
	v_and_b32_e32 v5, 0x7fffffff, v0
	s_mov_b32 s6, 0x47800000
	v_cmp_gt_u32_e32 vcc, s6, v5
                                        ; implicit-def: $vgpr1
	s_and_saveexec_b64 s[6:7], vcc
	s_xor_b64 s[6:7], exec, s[6:7]
	s_cbranch_execz .LBB188_3017
; %bb.3012:
	s_mov_b32 s8, 0x387fffff
	v_cmp_lt_u32_e32 vcc, s8, v5
                                        ; implicit-def: $vgpr1
	s_and_saveexec_b64 s[8:9], vcc
	s_xor_b64 s[8:9], exec, s[8:9]
; %bb.3013:
	v_bfe_u32 v1, v0, 21, 1
	s_mov_b32 s10, 0x80fffff
	v_add3_u32 v1, v0, v1, s10
	v_lshrrev_b32_e32 v1, 21, v1
; %bb.3014:
	s_andn2_saveexec_b64 s[8:9], s[8:9]
; %bb.3015:
	s_mov_b32 s10, 0x43000000
	v_add_f32_e64 v1, |v0|, s10
; %bb.3016:
	s_or_b64 exec, exec, s[8:9]
                                        ; implicit-def: $vgpr5
.LBB188_3017:
	s_andn2_saveexec_b64 s[6:7], s[6:7]
; %bb.3018:
	s_mov_b32 s8, 0x7f800000
	v_mov_b32_e32 v1, 0x7c
	v_mov_b32_e32 v6, 0x7f
	v_cmp_lt_u32_e32 vcc, s8, v5
	v_cndmask_b32_e32 v1, v1, v6, vcc
; %bb.3019:
	s_or_b64 exec, exec, s[6:7]
	v_lshrrev_b32_e32 v5, 24, v0
	s_movk_i32 s6, 0x80
	v_and_or_b32 v1, v5, s6, v1
	global_store_byte v[2:3], v1, off
.LBB188_3020:
	s_mov_b64 s[6:7], 0
.LBB188_3021:
	s_andn2_b64 vcc, exec, s[6:7]
	s_mov_b64 s[6:7], 0
	s_cbranch_vccnz .LBB188_3028
; %bb.3022:
	v_cmp_lt_i16_e32 vcc, 14, v4
	s_mov_b64 s[8:9], -1
	s_cbranch_vccz .LBB188_3026
; %bb.3023:
	v_cmp_eq_u16_e32 vcc, 15, v4
	s_mov_b64 s[4:5], -1
	s_cbranch_vccz .LBB188_3025
; %bb.3024:
	v_bfe_u32 v1, v0, 16, 1
	s_movk_i32 s4, 0x7fff
	v_add3_u32 v1, v0, v1, s4
	v_lshrrev_b32_e32 v1, 16, v1
	v_mov_b32_e32 v5, 0x7fc0
	v_cmp_o_f32_e32 vcc, v0, v0
	v_cndmask_b32_e32 v1, v5, v1, vcc
	global_store_short v[2:3], v1, off
	s_mov_b64 s[4:5], 0
.LBB188_3025:
	s_mov_b64 s[8:9], 0
.LBB188_3026:
	s_and_b64 vcc, exec, s[8:9]
	s_cbranch_vccz .LBB188_3028
; %bb.3027:
	v_cmp_ne_u16_e64 s[4:5], 11, v4
	s_mov_b64 s[6:7], -1
.LBB188_3028:
	s_and_b64 vcc, exec, s[4:5]
	s_cbranch_vccnz .LBB188_3083
.LBB188_3029:
	s_mov_b64 s[4:5], 0
	s_branch .LBB188_3031
.LBB188_3030:
	s_mov_b64 s[4:5], 0
	s_mov_b64 s[6:7], 0
                                        ; implicit-def: $vgpr4
                                        ; implicit-def: $vgpr2_vgpr3
                                        ; implicit-def: $vgpr0
.LBB188_3031:
	s_and_b64 s[28:29], s[6:7], exec
	s_andn2_b64 s[6:7], s[40:41], exec
	s_and_b64 s[8:9], s[42:43], exec
	s_and_b64 s[4:5], s[4:5], exec
	s_or_b64 s[40:41], s[6:7], s[8:9]
.LBB188_3032:
	s_or_b64 exec, exec, s[34:35]
	s_and_saveexec_b64 s[6:7], s[40:41]
	s_cbranch_execz .LBB188_3035
; %bb.3033:
	; divergent unreachable
	s_or_b64 exec, exec, s[6:7]
	s_and_saveexec_b64 s[6:7], s[28:29]
	s_xor_b64 s[6:7], exec, s[6:7]
	s_cbranch_execnz .LBB188_3036
.LBB188_3034:
	s_or_b64 exec, exec, s[6:7]
	s_and_saveexec_b64 s[6:7], s[4:5]
	s_cbranch_execnz .LBB188_3037
	s_branch .LBB188_3074
.LBB188_3035:
	s_or_b64 exec, exec, s[6:7]
	s_and_saveexec_b64 s[6:7], s[28:29]
	s_xor_b64 s[6:7], exec, s[6:7]
	s_cbranch_execz .LBB188_3034
.LBB188_3036:
	s_waitcnt vmcnt(0)
	v_cmp_neq_f32_e32 vcc, 0, v0
	v_cndmask_b32_e64 v1, 0, 1, vcc
	global_store_byte v[2:3], v1, off
	s_or_b64 exec, exec, s[6:7]
	s_and_saveexec_b64 s[6:7], s[4:5]
	s_cbranch_execz .LBB188_3074
.LBB188_3037:
	v_cmp_gt_i16_e32 vcc, 5, v4
	s_mov_b64 s[4:5], -1
	s_cbranch_vccnz .LBB188_3058
; %bb.3038:
	v_cmp_gt_i16_e32 vcc, 8, v4
	s_cbranch_vccnz .LBB188_3048
; %bb.3039:
	v_cmp_gt_i16_e32 vcc, 9, v4
	s_cbranch_vccnz .LBB188_3045
; %bb.3040:
	v_cmp_lt_i16_e32 vcc, 9, v4
	s_cbranch_vccz .LBB188_3042
; %bb.3041:
	v_mov_b32_e32 v8, 0
	s_waitcnt vmcnt(0)
	v_cvt_f64_f32_e32 v[6:7], v0
	v_mov_b32_e32 v9, v8
	global_store_dwordx4 v[2:3], v[6:9], off
	s_mov_b64 s[4:5], 0
.LBB188_3042:
	s_andn2_b64 vcc, exec, s[4:5]
	s_cbranch_vccnz .LBB188_3044
; %bb.3043:
	s_waitcnt vmcnt(0)
	v_mov_b32_e32 v1, 0
	global_store_dwordx2 v[2:3], v[0:1], off
.LBB188_3044:
	s_mov_b64 s[4:5], 0
.LBB188_3045:
	s_andn2_b64 vcc, exec, s[4:5]
	s_cbranch_vccnz .LBB188_3047
; %bb.3046:
	s_waitcnt vmcnt(0)
	v_cvt_f16_f32_e32 v1, v0
	global_store_dword v[2:3], v1, off
.LBB188_3047:
	s_mov_b64 s[4:5], 0
.LBB188_3048:
	s_andn2_b64 vcc, exec, s[4:5]
	s_cbranch_vccnz .LBB188_3057
; %bb.3049:
	v_cmp_gt_i16_e32 vcc, 6, v4
	s_mov_b64 s[4:5], -1
	s_cbranch_vccnz .LBB188_3055
; %bb.3050:
	v_cmp_lt_i16_e32 vcc, 6, v4
	s_cbranch_vccz .LBB188_3052
; %bb.3051:
	s_waitcnt vmcnt(0)
	v_cvt_f64_f32_e32 v[6:7], v0
	global_store_dwordx2 v[2:3], v[6:7], off
	s_mov_b64 s[4:5], 0
.LBB188_3052:
	s_andn2_b64 vcc, exec, s[4:5]
	s_cbranch_vccnz .LBB188_3054
; %bb.3053:
	s_waitcnt vmcnt(0)
	global_store_dword v[2:3], v0, off
.LBB188_3054:
	s_mov_b64 s[4:5], 0
.LBB188_3055:
	s_andn2_b64 vcc, exec, s[4:5]
	s_cbranch_vccnz .LBB188_3057
; %bb.3056:
	s_waitcnt vmcnt(0)
	v_cvt_f16_f32_e32 v1, v0
	global_store_short v[2:3], v1, off
.LBB188_3057:
	s_mov_b64 s[4:5], 0
.LBB188_3058:
	s_andn2_b64 vcc, exec, s[4:5]
	s_cbranch_vccnz .LBB188_3074
; %bb.3059:
	v_cmp_gt_i16_e32 vcc, 2, v4
	s_mov_b64 s[4:5], -1
	s_cbranch_vccnz .LBB188_3069
; %bb.3060:
	v_cmp_gt_i16_e32 vcc, 3, v4
	s_cbranch_vccnz .LBB188_3066
; %bb.3061:
	v_cmp_lt_i16_e32 vcc, 3, v4
	s_cbranch_vccz .LBB188_3063
; %bb.3062:
	s_waitcnt vmcnt(0)
	v_trunc_f32_e32 v1, v0
	s_mov_b32 s4, 0x2f800000
	v_mul_f32_e64 v5, |v1|, s4
	v_floor_f32_e32 v5, v5
	s_mov_b32 s4, 0xcf800000
	v_cvt_u32_f32_e32 v6, v5
	v_fma_f32 v5, v5, s4, |v1|
	v_cvt_u32_f32_e32 v5, v5
	v_ashrrev_i32_e32 v1, 31, v1
	v_xor_b32_e32 v7, v6, v1
	s_mov_b64 s[4:5], 0
	v_xor_b32_e32 v5, v5, v1
	v_sub_co_u32_e32 v6, vcc, v5, v1
	v_subb_co_u32_e32 v7, vcc, v7, v1, vcc
	global_store_dwordx2 v[2:3], v[6:7], off
.LBB188_3063:
	s_andn2_b64 vcc, exec, s[4:5]
	s_cbranch_vccnz .LBB188_3065
; %bb.3064:
	s_waitcnt vmcnt(0)
	v_cvt_i32_f32_e32 v1, v0
	global_store_dword v[2:3], v1, off
.LBB188_3065:
	s_mov_b64 s[4:5], 0
.LBB188_3066:
	s_andn2_b64 vcc, exec, s[4:5]
	s_cbranch_vccnz .LBB188_3068
; %bb.3067:
	s_waitcnt vmcnt(0)
	v_cvt_i32_f32_e32 v1, v0
	global_store_short v[2:3], v1, off
.LBB188_3068:
	s_mov_b64 s[4:5], 0
.LBB188_3069:
	s_andn2_b64 vcc, exec, s[4:5]
	s_cbranch_vccnz .LBB188_3074
; %bb.3070:
	v_cmp_lt_i16_e32 vcc, 0, v4
	s_mov_b64 s[4:5], -1
	s_cbranch_vccz .LBB188_3072
; %bb.3071:
	s_waitcnt vmcnt(0)
	v_cvt_i32_f32_e32 v1, v0
	s_mov_b64 s[4:5], 0
	global_store_byte v[2:3], v1, off
.LBB188_3072:
	s_andn2_b64 vcc, exec, s[4:5]
	s_cbranch_vccnz .LBB188_3074
; %bb.3073:
	s_waitcnt vmcnt(0)
	v_trunc_f32_e32 v0, v0
	s_mov_b32 s4, 0x2f800000
	v_mul_f32_e64 v1, |v0|, s4
	v_floor_f32_e32 v1, v1
	s_mov_b32 s4, 0xcf800000
	v_fma_f32 v1, v1, s4, |v0|
	v_cvt_u32_f32_e32 v1, v1
	v_ashrrev_i32_e32 v0, 31, v0
	v_xor_b32_e32 v1, v1, v0
	v_sub_u32_e32 v0, v1, v0
	global_store_byte v[2:3], v0, off
	s_endpgm
.LBB188_3074:
	s_endpgm
.LBB188_3075:
	s_mov_b64 s[6:7], 0
	s_mov_b64 s[4:5], -1
	s_branch .LBB188_3031
.LBB188_3076:
	s_or_saveexec_b64 s[12:13], s[12:13]
                                        ; implicit-def: $sgpr14
	s_xor_b64 exec, exec, s[12:13]
	s_cbranch_execz .LBB188_2864
.LBB188_3077:
	s_mov_b32 s14, 0x46000000
	v_add_f32_e64 v1, |v0|, s14
	v_and_b32_e32 v1, 0xff, v1
	v_cmp_ne_u32_e32 vcc, 0, v1
	s_andn2_b64 s[10:11], s[10:11], exec
	s_and_b64 s[16:17], vcc, exec
	s_mov_b32 s14, 0
	s_or_b64 s[10:11], s[10:11], s[16:17]
	s_or_b64 exec, exec, s[12:13]
	v_mov_b32_e32 v4, s14
	s_and_saveexec_b64 s[12:13], s[10:11]
	s_cbranch_execnz .LBB188_2865
	s_branch .LBB188_2866
.LBB188_3078:
	s_trap 2
	s_or_b64 s[42:43], s[42:43], exec
	s_cbranch_execz .LBB188_2912
	s_branch .LBB188_2913
.LBB188_3079:
	s_or_saveexec_b64 s[10:11], s[10:11]
                                        ; implicit-def: $sgpr12
	s_xor_b64 exec, exec, s[10:11]
	s_cbranch_execz .LBB188_2877
.LBB188_3080:
	s_mov_b32 s12, 0x42800000
	v_add_f32_e64 v1, |v0|, s12
	v_and_b32_e32 v1, 0xff, v1
	v_cmp_ne_u32_e32 vcc, 0, v1
	s_andn2_b64 s[8:9], s[8:9], exec
	s_and_b64 s[14:15], vcc, exec
	s_mov_b32 s12, 0
	s_or_b64 s[8:9], s[8:9], s[14:15]
	s_or_b64 exec, exec, s[10:11]
	v_mov_b32_e32 v4, s12
	s_and_saveexec_b64 s[10:11], s[8:9]
	s_cbranch_execnz .LBB188_2878
	s_branch .LBB188_2879
.LBB188_3081:
	s_or_saveexec_b64 s[12:13], s[12:13]
                                        ; implicit-def: $sgpr14
	s_xor_b64 exec, exec, s[12:13]
	s_cbranch_execz .LBB188_2983
.LBB188_3082:
	s_mov_b32 s14, 0x46000000
	v_add_f32_e64 v1, |v0|, s14
	v_and_b32_e32 v1, 0xff, v1
	v_cmp_ne_u32_e32 vcc, 0, v1
	s_andn2_b64 s[10:11], s[10:11], exec
	s_and_b64 s[16:17], vcc, exec
	s_mov_b32 s14, 0
	s_or_b64 s[10:11], s[10:11], s[16:17]
	s_or_b64 exec, exec, s[12:13]
	v_mov_b32_e32 v5, s14
	s_and_saveexec_b64 s[12:13], s[10:11]
	s_cbranch_execnz .LBB188_2984
	s_branch .LBB188_2985
.LBB188_3083:
	s_mov_b64 s[6:7], 0
	s_or_b64 s[42:43], s[42:43], exec
	s_trap 2
	s_branch .LBB188_3029
.LBB188_3084:
	s_or_saveexec_b64 s[10:11], s[10:11]
                                        ; implicit-def: $sgpr12
	s_xor_b64 exec, exec, s[10:11]
	s_cbranch_execz .LBB188_2995
.LBB188_3085:
	s_mov_b32 s12, 0x42800000
	v_add_f32_e64 v1, |v0|, s12
	v_and_b32_e32 v1, 0xff, v1
	v_cmp_ne_u32_e32 vcc, 0, v1
	s_andn2_b64 s[8:9], s[8:9], exec
	s_and_b64 s[14:15], vcc, exec
	s_mov_b32 s12, 0
	s_or_b64 s[8:9], s[8:9], s[14:15]
	s_or_b64 exec, exec, s[10:11]
	v_mov_b32_e32 v5, s12
	s_and_saveexec_b64 s[10:11], s[8:9]
	s_cbranch_execnz .LBB188_2996
	s_branch .LBB188_2997
	.section	.rodata,"a",@progbits
	.p2align	6, 0x0
	.amdhsa_kernel _ZN2at6native32elementwise_kernel_manual_unrollILi128ELi4EZNS0_15gpu_kernel_implIZZZNS0_33launch_standard_gamma_grad_kernelERNS_18TensorIteratorBaseEENKUlvE_clEvENKUlvE0_clEvEUlffE_EEvS4_RKT_EUlibE_EEviT1_
		.amdhsa_group_segment_fixed_size 0
		.amdhsa_private_segment_fixed_size 0
		.amdhsa_kernarg_size 48
		.amdhsa_user_sgpr_count 8
		.amdhsa_user_sgpr_private_segment_buffer 1
		.amdhsa_user_sgpr_dispatch_ptr 0
		.amdhsa_user_sgpr_queue_ptr 0
		.amdhsa_user_sgpr_kernarg_segment_ptr 1
		.amdhsa_user_sgpr_dispatch_id 0
		.amdhsa_user_sgpr_flat_scratch_init 1
		.amdhsa_user_sgpr_kernarg_preload_length 0
		.amdhsa_user_sgpr_kernarg_preload_offset 0
		.amdhsa_user_sgpr_private_segment_size 0
		.amdhsa_uses_dynamic_stack 0
		.amdhsa_system_sgpr_private_segment_wavefront_offset 0
		.amdhsa_system_sgpr_workgroup_id_x 1
		.amdhsa_system_sgpr_workgroup_id_y 0
		.amdhsa_system_sgpr_workgroup_id_z 0
		.amdhsa_system_sgpr_workgroup_info 0
		.amdhsa_system_vgpr_workitem_id 0
		.amdhsa_next_free_vgpr 39
		.amdhsa_next_free_sgpr 62
		.amdhsa_accum_offset 40
		.amdhsa_reserve_vcc 1
		.amdhsa_reserve_flat_scratch 1
		.amdhsa_float_round_mode_32 0
		.amdhsa_float_round_mode_16_64 0
		.amdhsa_float_denorm_mode_32 3
		.amdhsa_float_denorm_mode_16_64 3
		.amdhsa_dx10_clamp 1
		.amdhsa_ieee_mode 1
		.amdhsa_fp16_overflow 0
		.amdhsa_tg_split 0
		.amdhsa_exception_fp_ieee_invalid_op 0
		.amdhsa_exception_fp_denorm_src 0
		.amdhsa_exception_fp_ieee_div_zero 0
		.amdhsa_exception_fp_ieee_overflow 0
		.amdhsa_exception_fp_ieee_underflow 0
		.amdhsa_exception_fp_ieee_inexact 0
		.amdhsa_exception_int_div_zero 0
	.end_amdhsa_kernel
	.section	.text._ZN2at6native32elementwise_kernel_manual_unrollILi128ELi4EZNS0_15gpu_kernel_implIZZZNS0_33launch_standard_gamma_grad_kernelERNS_18TensorIteratorBaseEENKUlvE_clEvENKUlvE0_clEvEUlffE_EEvS4_RKT_EUlibE_EEviT1_,"axG",@progbits,_ZN2at6native32elementwise_kernel_manual_unrollILi128ELi4EZNS0_15gpu_kernel_implIZZZNS0_33launch_standard_gamma_grad_kernelERNS_18TensorIteratorBaseEENKUlvE_clEvENKUlvE0_clEvEUlffE_EEvS4_RKT_EUlibE_EEviT1_,comdat
.Lfunc_end188:
	.size	_ZN2at6native32elementwise_kernel_manual_unrollILi128ELi4EZNS0_15gpu_kernel_implIZZZNS0_33launch_standard_gamma_grad_kernelERNS_18TensorIteratorBaseEENKUlvE_clEvENKUlvE0_clEvEUlffE_EEvS4_RKT_EUlibE_EEviT1_, .Lfunc_end188-_ZN2at6native32elementwise_kernel_manual_unrollILi128ELi4EZNS0_15gpu_kernel_implIZZZNS0_33launch_standard_gamma_grad_kernelERNS_18TensorIteratorBaseEENKUlvE_clEvENKUlvE0_clEvEUlffE_EEvS4_RKT_EUlibE_EEviT1_
                                        ; -- End function
	.section	.AMDGPU.csdata,"",@progbits
; Kernel info:
; codeLenInByte = 53948
; NumSgprs: 68
; NumVgprs: 39
; NumAgprs: 0
; TotalNumVgprs: 39
; ScratchSize: 0
; MemoryBound: 1
; FloatMode: 240
; IeeeMode: 1
; LDSByteSize: 0 bytes/workgroup (compile time only)
; SGPRBlocks: 8
; VGPRBlocks: 4
; NumSGPRsForWavesPerEU: 68
; NumVGPRsForWavesPerEU: 39
; AccumOffset: 40
; Occupancy: 8
; WaveLimiterHint : 0
; COMPUTE_PGM_RSRC2:SCRATCH_EN: 0
; COMPUTE_PGM_RSRC2:USER_SGPR: 8
; COMPUTE_PGM_RSRC2:TRAP_HANDLER: 0
; COMPUTE_PGM_RSRC2:TGID_X_EN: 1
; COMPUTE_PGM_RSRC2:TGID_Y_EN: 0
; COMPUTE_PGM_RSRC2:TGID_Z_EN: 0
; COMPUTE_PGM_RSRC2:TIDIG_COMP_CNT: 0
; COMPUTE_PGM_RSRC3_GFX90A:ACCUM_OFFSET: 9
; COMPUTE_PGM_RSRC3_GFX90A:TG_SPLIT: 0
	.section	.text._ZN2at6native32elementwise_kernel_manual_unrollILi128ELi4EZNS0_12_GLOBAL__N_142type_specialized_broadcast_kernel_launcherILi0EE5applyIZZZNS0_33launch_standard_gamma_grad_kernelERNS_18TensorIteratorBaseEENKUlvE_clEvENKUlvE0_clEvEUlffE_St5arrayIPcLm3EESB_IN3c1010ScalarTypeELm3EE16OffsetCalculatorILi3EjLb0EEEEvlT_T0_T1_T2_EUlibE_EEviSL_,"axG",@progbits,_ZN2at6native32elementwise_kernel_manual_unrollILi128ELi4EZNS0_12_GLOBAL__N_142type_specialized_broadcast_kernel_launcherILi0EE5applyIZZZNS0_33launch_standard_gamma_grad_kernelERNS_18TensorIteratorBaseEENKUlvE_clEvENKUlvE0_clEvEUlffE_St5arrayIPcLm3EESB_IN3c1010ScalarTypeELm3EE16OffsetCalculatorILi3EjLb0EEEEvlT_T0_T1_T2_EUlibE_EEviSL_,comdat
	.globl	_ZN2at6native32elementwise_kernel_manual_unrollILi128ELi4EZNS0_12_GLOBAL__N_142type_specialized_broadcast_kernel_launcherILi0EE5applyIZZZNS0_33launch_standard_gamma_grad_kernelERNS_18TensorIteratorBaseEENKUlvE_clEvENKUlvE0_clEvEUlffE_St5arrayIPcLm3EESB_IN3c1010ScalarTypeELm3EE16OffsetCalculatorILi3EjLb0EEEEvlT_T0_T1_T2_EUlibE_EEviSL_ ; -- Begin function _ZN2at6native32elementwise_kernel_manual_unrollILi128ELi4EZNS0_12_GLOBAL__N_142type_specialized_broadcast_kernel_launcherILi0EE5applyIZZZNS0_33launch_standard_gamma_grad_kernelERNS_18TensorIteratorBaseEENKUlvE_clEvENKUlvE0_clEvEUlffE_St5arrayIPcLm3EESB_IN3c1010ScalarTypeELm3EE16OffsetCalculatorILi3EjLb0EEEEvlT_T0_T1_T2_EUlibE_EEviSL_
	.p2align	8
	.type	_ZN2at6native32elementwise_kernel_manual_unrollILi128ELi4EZNS0_12_GLOBAL__N_142type_specialized_broadcast_kernel_launcherILi0EE5applyIZZZNS0_33launch_standard_gamma_grad_kernelERNS_18TensorIteratorBaseEENKUlvE_clEvENKUlvE0_clEvEUlffE_St5arrayIPcLm3EESB_IN3c1010ScalarTypeELm3EE16OffsetCalculatorILi3EjLb0EEEEvlT_T0_T1_T2_EUlibE_EEviSL_,@function
_ZN2at6native32elementwise_kernel_manual_unrollILi128ELi4EZNS0_12_GLOBAL__N_142type_specialized_broadcast_kernel_launcherILi0EE5applyIZZZNS0_33launch_standard_gamma_grad_kernelERNS_18TensorIteratorBaseEENKUlvE_clEvENKUlvE0_clEvEUlffE_St5arrayIPcLm3EESB_IN3c1010ScalarTypeELm3EE16OffsetCalculatorILi3EjLb0EEEEvlT_T0_T1_T2_EUlibE_EEviSL_: ; @_ZN2at6native32elementwise_kernel_manual_unrollILi128ELi4EZNS0_12_GLOBAL__N_142type_specialized_broadcast_kernel_launcherILi0EE5applyIZZZNS0_33launch_standard_gamma_grad_kernelERNS_18TensorIteratorBaseEENKUlvE_clEvENKUlvE0_clEvEUlffE_St5arrayIPcLm3EESB_IN3c1010ScalarTypeELm3EE16OffsetCalculatorILi3EjLb0EEEEvlT_T0_T1_T2_EUlibE_EEviSL_
; %bb.0:
	s_load_dword s58, s[4:5], 0x0
	s_load_dword s33, s[4:5], 0x8
	s_add_u32 flat_scratch_lo, s6, s9
	s_addc_u32 flat_scratch_hi, s7, 0
	s_add_u32 s0, s0, s9
	s_mov_b64 s[22:23], s[4:5]
	s_addc_u32 s1, s1, 0
	s_or_b32 s22, s22, 8
	v_lshl_or_b32 v40, s8, 9, v0
	s_waitcnt lgkmcnt(0)
	s_add_i32 s56, s33, -1
	v_or_b32_e32 v0, 0x180, v40
	s_cmp_gt_u32 s56, 1
	v_cmp_le_i32_e32 vcc, s58, v0
	s_cselect_b64 s[28:29], -1, 0
	s_mov_b32 s32, 0
	s_and_saveexec_b64 s[4:5], vcc
	s_xor_b64 s[34:35], exec, s[4:5]
	s_cbranch_execz .LBB189_50
; %bb.1:
	s_load_dwordx4 s[40:43], s[22:23], 0x4
	s_load_dwordx2 s[48:49], s[22:23], 0x14
	s_load_dwordx4 s[36:39], s[22:23], 0xc4
	s_load_dwordx2 s[46:47], s[22:23], 0xd4
	s_load_dwordx2 s[44:45], s[22:23], 0x198
	s_load_dwordx4 s[24:27], s[22:23], 0x188
	s_cmp_lg_u32 s33, 0
	s_cselect_b64 s[52:53], -1, 0
	s_min_u32 s57, s56, 15
	s_cmp_gt_u32 s33, 1
	s_cselect_b64 s[50:51], -1, 0
	v_cmp_gt_i32_e32 vcc, s58, v40
	s_and_saveexec_b64 s[54:55], vcc
	s_cbranch_execnz .LBB189_5
; %bb.2:
	s_or_b64 exec, exec, s[54:55]
	v_cmp_gt_i32_e32 vcc, s58, v40
	s_and_saveexec_b64 s[54:55], vcc
	s_cbranch_execnz .LBB189_16
.LBB189_3:
	s_or_b64 exec, exec, s[54:55]
	v_cmp_gt_i32_e32 vcc, s58, v40
	s_and_saveexec_b64 s[54:55], vcc
	s_cbranch_execnz .LBB189_27
.LBB189_4:
	s_or_b64 exec, exec, s[54:55]
	v_cmp_gt_i32_e32 vcc, s58, v40
	s_and_saveexec_b64 s[54:55], vcc
	s_cbranch_execnz .LBB189_38
	s_branch .LBB189_49
.LBB189_5:
	s_andn2_b64 vcc, exec, s[28:29]
	s_cbranch_vccnz .LBB189_12
; %bb.6:
	s_andn2_b64 vcc, exec, s[52:53]
	v_mov_b32_e32 v2, 0
	v_mov_b32_e32 v4, 0
	;; [unrolled: 1-line block ×3, first 2 shown]
	s_cbranch_vccnz .LBB189_11
; %bb.7:
	s_add_i32 s4, s57, 1
	s_and_b32 s6, s4, 30
	s_add_u32 s4, s22, 0xffffffec
	s_addc_u32 s5, s23, -1
	v_mov_b32_e32 v30, 0
	v_mov_b32_e32 v0, v40
	;; [unrolled: 1-line block ×4, first 2 shown]
.LBB189_8:                              ; =>This Inner Loop Header: Depth=1
	s_mov_b64 s[16:17], s[4:5]
	s_load_dwordx4 s[8:11], s[16:17], 0x18
	s_load_dwordx2 s[18:19], s[16:17], 0x28
	s_load_dwordx2 s[20:21], s[16:17], 0xe8
	s_load_dwordx4 s[12:15], s[16:17], 0xd8
	s_add_u32 s4, s16, 24
	s_waitcnt lgkmcnt(0)
	v_mul_hi_u32 v1, s9, v0
	v_add_u32_e32 v1, v0, v1
	v_lshrrev_b32_e32 v1, s10, v1
	v_mul_lo_u32 v3, v1, s8
	v_mul_hi_u32 v5, s18, v1
	v_sub_u32_e32 v0, v0, v3
	v_add_u32_e32 v3, v1, v5
	v_mul_lo_u32 v5, v0, s12
	v_mul_lo_u32 v6, v0, s13
	;; [unrolled: 1-line block ×3, first 2 shown]
	v_lshrrev_b32_e32 v0, s19, v3
	v_mul_lo_u32 v3, v0, s11
	v_sub_u32_e32 v1, v1, v3
	s_addc_u32 s5, s17, 0
	s_add_i32 s6, s6, -2
	v_mul_lo_u32 v3, v1, s15
	v_mul_lo_u32 v8, v1, s20
	;; [unrolled: 1-line block ×3, first 2 shown]
	s_cmp_lg_u32 s6, 0
	v_add3_u32 v30, v5, v30, v3
	v_add3_u32 v2, v7, v2, v1
	;; [unrolled: 1-line block ×3, first 2 shown]
	s_cbranch_scc1 .LBB189_8
; %bb.9:
	s_bitcmp1_b32 s57, 0
	s_cselect_b64 s[6:7], -1, 0
	s_and_b64 vcc, exec, s[6:7]
	s_cbranch_vccnz .LBB189_11
; %bb.10:
	s_load_dwordx2 s[6:7], s[4:5], 0x18
	s_load_dword s10, s[4:5], 0x20
	s_load_dword s11, s[4:5], 0xe0
	s_load_dwordx2 s[8:9], s[4:5], 0xd8
	s_waitcnt lgkmcnt(0)
	v_mul_hi_u32 v1, s7, v0
	v_add_u32_e32 v1, v0, v1
	v_lshrrev_b32_e32 v1, s10, v1
	v_mul_lo_u32 v1, v1, s6
	v_sub_u32_e32 v0, v0, v1
	v_mad_u64_u32 v[30:31], s[4:5], v0, s8, v[30:31]
	v_mad_u64_u32 v[4:5], s[4:5], v0, s9, v[4:5]
	;; [unrolled: 1-line block ×3, first 2 shown]
.LBB189_11:
	s_cbranch_execz .LBB189_13
	s_branch .LBB189_15
.LBB189_12:
                                        ; implicit-def: $vgpr2
                                        ; implicit-def: $vgpr4
                                        ; implicit-def: $vgpr30
.LBB189_13:
	s_waitcnt lgkmcnt(0)
	v_mul_hi_u32 v0, s41, v40
	v_add_u32_e32 v0, v40, v0
	v_lshrrev_b32_e32 v0, s42, v0
	v_mul_lo_u32 v1, v0, s40
	v_sub_u32_e32 v1, v40, v1
	v_mul_lo_u32 v30, v1, s36
	v_mul_lo_u32 v2, v1, s38
	s_andn2_b64 vcc, exec, s[50:51]
	v_mul_lo_u32 v4, v1, s37
	s_cbranch_vccnz .LBB189_15
; %bb.14:
	v_mul_hi_u32 v1, s48, v0
	v_add_u32_e32 v1, v0, v1
	v_lshrrev_b32_e32 v1, s49, v1
	v_mul_lo_u32 v1, v1, s43
	v_sub_u32_e32 v0, v0, v1
	v_mad_u64_u32 v[30:31], s[4:5], v0, s39, v[30:31]
	v_mad_u64_u32 v[4:5], s[4:5], v0, s46, v[4:5]
	;; [unrolled: 1-line block ×3, first 2 shown]
.LBB189_15:
	s_waitcnt lgkmcnt(0)
	global_load_ushort v1, v2, s[44:45]
	global_load_dword v0, v4, s[26:27]
	s_getpc_b64 s[4:5]
	s_add_u32 s4, s4, _ZZZZN2at6native33launch_standard_gamma_grad_kernelERNS_18TensorIteratorBaseEENKUlvE_clEvENKUlvE0_clEvENKUlffE_clEff@rel32@lo+4
	s_addc_u32 s5, s5, _ZZZZN2at6native33launch_standard_gamma_grad_kernelERNS_18TensorIteratorBaseEENKUlvE_clEvENKUlvE0_clEvENKUlffE_clEff@rel32@hi+12
	s_waitcnt vmcnt(1)
	v_lshlrev_b32_e32 v1, 16, v1
	s_swappc_b64 s[30:31], s[4:5]
	v_add_u32_e32 v40, 0x80, v40
	global_store_dword v30, v0, s[24:25]
	s_or_b64 exec, exec, s[54:55]
	v_cmp_gt_i32_e32 vcc, s58, v40
	s_and_saveexec_b64 s[54:55], vcc
	s_cbranch_execz .LBB189_3
.LBB189_16:
	s_andn2_b64 vcc, exec, s[28:29]
	s_cbranch_vccnz .LBB189_23
; %bb.17:
	s_andn2_b64 vcc, exec, s[52:53]
	v_mov_b32_e32 v2, 0
	v_mov_b32_e32 v4, 0
	;; [unrolled: 1-line block ×3, first 2 shown]
	s_cbranch_vccnz .LBB189_22
; %bb.18:
	s_add_i32 s4, s57, 1
	s_and_b32 s6, s4, 30
	s_add_u32 s4, s22, 0xffffffec
	s_addc_u32 s5, s23, -1
	v_mov_b32_e32 v30, 0
	v_mov_b32_e32 v0, v40
	;; [unrolled: 1-line block ×4, first 2 shown]
.LBB189_19:                             ; =>This Inner Loop Header: Depth=1
	s_mov_b64 s[16:17], s[4:5]
	s_load_dwordx4 s[8:11], s[16:17], 0x18
	s_load_dwordx2 s[18:19], s[16:17], 0x28
	s_load_dwordx2 s[20:21], s[16:17], 0xe8
	s_load_dwordx4 s[12:15], s[16:17], 0xd8
	s_add_u32 s4, s16, 24
	s_waitcnt lgkmcnt(0)
	v_mul_hi_u32 v1, s9, v0
	v_add_u32_e32 v1, v0, v1
	v_lshrrev_b32_e32 v1, s10, v1
	v_mul_lo_u32 v3, v1, s8
	v_mul_hi_u32 v5, s18, v1
	v_sub_u32_e32 v0, v0, v3
	v_add_u32_e32 v3, v1, v5
	v_mul_lo_u32 v5, v0, s12
	v_mul_lo_u32 v6, v0, s13
	;; [unrolled: 1-line block ×3, first 2 shown]
	v_lshrrev_b32_e32 v0, s19, v3
	v_mul_lo_u32 v3, v0, s11
	v_sub_u32_e32 v1, v1, v3
	s_addc_u32 s5, s17, 0
	s_add_i32 s6, s6, -2
	v_mul_lo_u32 v3, v1, s15
	v_mul_lo_u32 v8, v1, s20
	;; [unrolled: 1-line block ×3, first 2 shown]
	s_cmp_eq_u32 s6, 0
	v_add3_u32 v30, v5, v30, v3
	v_add3_u32 v2, v7, v2, v1
	;; [unrolled: 1-line block ×3, first 2 shown]
	s_cbranch_scc0 .LBB189_19
; %bb.20:
	s_bitcmp1_b32 s57, 0
	s_cselect_b64 s[6:7], -1, 0
	s_and_b64 vcc, exec, s[6:7]
	s_cbranch_vccnz .LBB189_22
; %bb.21:
	s_load_dwordx2 s[6:7], s[4:5], 0x18
	s_load_dword s10, s[4:5], 0x20
	s_load_dword s11, s[4:5], 0xe0
	s_load_dwordx2 s[8:9], s[4:5], 0xd8
	s_waitcnt lgkmcnt(0)
	v_mul_hi_u32 v1, s7, v0
	v_add_u32_e32 v1, v0, v1
	v_lshrrev_b32_e32 v1, s10, v1
	v_mul_lo_u32 v1, v1, s6
	v_sub_u32_e32 v0, v0, v1
	v_mad_u64_u32 v[30:31], s[4:5], v0, s8, v[30:31]
	v_mad_u64_u32 v[4:5], s[4:5], v0, s9, v[4:5]
	;; [unrolled: 1-line block ×3, first 2 shown]
.LBB189_22:
	s_cbranch_execz .LBB189_24
	s_branch .LBB189_26
.LBB189_23:
                                        ; implicit-def: $vgpr2
                                        ; implicit-def: $vgpr4
                                        ; implicit-def: $vgpr30
.LBB189_24:
	s_waitcnt lgkmcnt(0)
	v_mul_hi_u32 v0, s41, v40
	v_add_u32_e32 v0, v40, v0
	v_lshrrev_b32_e32 v0, s42, v0
	v_mul_lo_u32 v1, v0, s40
	v_sub_u32_e32 v1, v40, v1
	v_mul_lo_u32 v30, v1, s36
	v_mul_lo_u32 v2, v1, s38
	s_andn2_b64 vcc, exec, s[50:51]
	v_mul_lo_u32 v4, v1, s37
	s_cbranch_vccnz .LBB189_26
; %bb.25:
	v_mul_hi_u32 v1, s48, v0
	v_add_u32_e32 v1, v0, v1
	v_lshrrev_b32_e32 v1, s49, v1
	v_mul_lo_u32 v1, v1, s43
	v_sub_u32_e32 v0, v0, v1
	v_mad_u64_u32 v[30:31], s[4:5], v0, s39, v[30:31]
	v_mad_u64_u32 v[4:5], s[4:5], v0, s46, v[4:5]
	;; [unrolled: 1-line block ×3, first 2 shown]
.LBB189_26:
	s_waitcnt lgkmcnt(0)
	global_load_ushort v1, v2, s[44:45]
	global_load_dword v0, v4, s[26:27]
	s_getpc_b64 s[4:5]
	s_add_u32 s4, s4, _ZZZZN2at6native33launch_standard_gamma_grad_kernelERNS_18TensorIteratorBaseEENKUlvE_clEvENKUlvE0_clEvENKUlffE_clEff@rel32@lo+4
	s_addc_u32 s5, s5, _ZZZZN2at6native33launch_standard_gamma_grad_kernelERNS_18TensorIteratorBaseEENKUlvE_clEvENKUlvE0_clEvENKUlffE_clEff@rel32@hi+12
	s_waitcnt vmcnt(1)
	v_lshlrev_b32_e32 v1, 16, v1
	s_swappc_b64 s[30:31], s[4:5]
	v_add_u32_e32 v40, 0x80, v40
	global_store_dword v30, v0, s[24:25]
	s_or_b64 exec, exec, s[54:55]
	v_cmp_gt_i32_e32 vcc, s58, v40
	s_and_saveexec_b64 s[54:55], vcc
	s_cbranch_execz .LBB189_4
.LBB189_27:
	s_andn2_b64 vcc, exec, s[28:29]
	s_cbranch_vccnz .LBB189_34
; %bb.28:
	s_andn2_b64 vcc, exec, s[52:53]
	v_mov_b32_e32 v2, 0
	v_mov_b32_e32 v4, 0
	;; [unrolled: 1-line block ×3, first 2 shown]
	s_cbranch_vccnz .LBB189_33
; %bb.29:
	s_add_i32 s4, s57, 1
	s_and_b32 s6, s4, 30
	s_add_u32 s4, s22, 0xffffffec
	s_addc_u32 s5, s23, -1
	v_mov_b32_e32 v30, 0
	v_mov_b32_e32 v0, v40
	;; [unrolled: 1-line block ×4, first 2 shown]
.LBB189_30:                             ; =>This Inner Loop Header: Depth=1
	s_mov_b64 s[16:17], s[4:5]
	s_load_dwordx4 s[8:11], s[16:17], 0x18
	s_load_dwordx2 s[18:19], s[16:17], 0x28
	s_load_dwordx2 s[20:21], s[16:17], 0xe8
	s_load_dwordx4 s[12:15], s[16:17], 0xd8
	s_add_u32 s4, s16, 24
	s_waitcnt lgkmcnt(0)
	v_mul_hi_u32 v1, s9, v0
	v_add_u32_e32 v1, v0, v1
	v_lshrrev_b32_e32 v1, s10, v1
	v_mul_lo_u32 v3, v1, s8
	v_mul_hi_u32 v5, s18, v1
	v_sub_u32_e32 v0, v0, v3
	v_add_u32_e32 v3, v1, v5
	v_mul_lo_u32 v5, v0, s12
	v_mul_lo_u32 v6, v0, s13
	;; [unrolled: 1-line block ×3, first 2 shown]
	v_lshrrev_b32_e32 v0, s19, v3
	v_mul_lo_u32 v3, v0, s11
	v_sub_u32_e32 v1, v1, v3
	s_addc_u32 s5, s17, 0
	s_add_i32 s6, s6, -2
	v_mul_lo_u32 v3, v1, s15
	v_mul_lo_u32 v8, v1, s20
	;; [unrolled: 1-line block ×3, first 2 shown]
	s_cmp_eq_u32 s6, 0
	v_add3_u32 v30, v5, v30, v3
	v_add3_u32 v2, v7, v2, v1
	;; [unrolled: 1-line block ×3, first 2 shown]
	s_cbranch_scc0 .LBB189_30
; %bb.31:
	s_bitcmp1_b32 s57, 0
	s_cselect_b64 s[6:7], -1, 0
	s_and_b64 vcc, exec, s[6:7]
	s_cbranch_vccnz .LBB189_33
; %bb.32:
	s_load_dwordx2 s[6:7], s[4:5], 0x18
	s_load_dword s10, s[4:5], 0x20
	s_load_dword s11, s[4:5], 0xe0
	s_load_dwordx2 s[8:9], s[4:5], 0xd8
	s_waitcnt lgkmcnt(0)
	v_mul_hi_u32 v1, s7, v0
	v_add_u32_e32 v1, v0, v1
	v_lshrrev_b32_e32 v1, s10, v1
	v_mul_lo_u32 v1, v1, s6
	v_sub_u32_e32 v0, v0, v1
	v_mad_u64_u32 v[30:31], s[4:5], v0, s8, v[30:31]
	v_mad_u64_u32 v[4:5], s[4:5], v0, s9, v[4:5]
	;; [unrolled: 1-line block ×3, first 2 shown]
.LBB189_33:
	s_cbranch_execz .LBB189_35
	s_branch .LBB189_37
.LBB189_34:
                                        ; implicit-def: $vgpr2
                                        ; implicit-def: $vgpr4
                                        ; implicit-def: $vgpr30
.LBB189_35:
	s_waitcnt lgkmcnt(0)
	v_mul_hi_u32 v0, s41, v40
	v_add_u32_e32 v0, v40, v0
	v_lshrrev_b32_e32 v0, s42, v0
	v_mul_lo_u32 v1, v0, s40
	v_sub_u32_e32 v1, v40, v1
	v_mul_lo_u32 v30, v1, s36
	v_mul_lo_u32 v2, v1, s38
	s_andn2_b64 vcc, exec, s[50:51]
	v_mul_lo_u32 v4, v1, s37
	s_cbranch_vccnz .LBB189_37
; %bb.36:
	v_mul_hi_u32 v1, s48, v0
	v_add_u32_e32 v1, v0, v1
	v_lshrrev_b32_e32 v1, s49, v1
	v_mul_lo_u32 v1, v1, s43
	v_sub_u32_e32 v0, v0, v1
	v_mad_u64_u32 v[30:31], s[4:5], v0, s39, v[30:31]
	v_mad_u64_u32 v[4:5], s[4:5], v0, s46, v[4:5]
	;; [unrolled: 1-line block ×3, first 2 shown]
.LBB189_37:
	s_waitcnt lgkmcnt(0)
	global_load_ushort v1, v2, s[44:45]
	global_load_dword v0, v4, s[26:27]
	s_getpc_b64 s[4:5]
	s_add_u32 s4, s4, _ZZZZN2at6native33launch_standard_gamma_grad_kernelERNS_18TensorIteratorBaseEENKUlvE_clEvENKUlvE0_clEvENKUlffE_clEff@rel32@lo+4
	s_addc_u32 s5, s5, _ZZZZN2at6native33launch_standard_gamma_grad_kernelERNS_18TensorIteratorBaseEENKUlvE_clEvENKUlvE0_clEvENKUlffE_clEff@rel32@hi+12
	s_waitcnt vmcnt(1)
	v_lshlrev_b32_e32 v1, 16, v1
	s_swappc_b64 s[30:31], s[4:5]
	v_add_u32_e32 v40, 0x80, v40
	global_store_dword v30, v0, s[24:25]
	s_or_b64 exec, exec, s[54:55]
	v_cmp_gt_i32_e32 vcc, s58, v40
	s_and_saveexec_b64 s[54:55], vcc
	s_cbranch_execz .LBB189_49
.LBB189_38:
	s_andn2_b64 vcc, exec, s[28:29]
	s_cbranch_vccnz .LBB189_45
; %bb.39:
	s_andn2_b64 vcc, exec, s[52:53]
	v_mov_b32_e32 v2, 0
	v_mov_b32_e32 v4, 0
	;; [unrolled: 1-line block ×3, first 2 shown]
	s_cbranch_vccnz .LBB189_44
; %bb.40:
	s_add_i32 s4, s57, 1
	s_and_b32 s6, s4, 30
	s_add_u32 s4, s22, 0xffffffec
	s_addc_u32 s5, s23, -1
	v_mov_b32_e32 v30, 0
	v_mov_b32_e32 v0, v40
	;; [unrolled: 1-line block ×4, first 2 shown]
.LBB189_41:                             ; =>This Inner Loop Header: Depth=1
	s_mov_b64 s[16:17], s[4:5]
	s_load_dwordx4 s[8:11], s[16:17], 0x18
	s_load_dwordx2 s[18:19], s[16:17], 0x28
	s_load_dwordx2 s[20:21], s[16:17], 0xe8
	s_load_dwordx4 s[12:15], s[16:17], 0xd8
	s_add_u32 s4, s16, 24
	s_waitcnt lgkmcnt(0)
	v_mul_hi_u32 v1, s9, v0
	v_add_u32_e32 v1, v0, v1
	v_lshrrev_b32_e32 v1, s10, v1
	v_mul_lo_u32 v3, v1, s8
	v_mul_hi_u32 v5, s18, v1
	v_sub_u32_e32 v0, v0, v3
	v_add_u32_e32 v3, v1, v5
	v_mul_lo_u32 v5, v0, s12
	v_mul_lo_u32 v6, v0, s13
	;; [unrolled: 1-line block ×3, first 2 shown]
	v_lshrrev_b32_e32 v0, s19, v3
	v_mul_lo_u32 v3, v0, s11
	v_sub_u32_e32 v1, v1, v3
	s_addc_u32 s5, s17, 0
	s_add_i32 s6, s6, -2
	v_mul_lo_u32 v3, v1, s15
	v_mul_lo_u32 v8, v1, s20
	;; [unrolled: 1-line block ×3, first 2 shown]
	s_cmp_eq_u32 s6, 0
	v_add3_u32 v30, v5, v30, v3
	v_add3_u32 v2, v7, v2, v1
	;; [unrolled: 1-line block ×3, first 2 shown]
	s_cbranch_scc0 .LBB189_41
; %bb.42:
	s_bitcmp1_b32 s57, 0
	s_cselect_b64 s[6:7], -1, 0
	s_and_b64 vcc, exec, s[6:7]
	s_cbranch_vccnz .LBB189_44
; %bb.43:
	s_load_dwordx2 s[6:7], s[4:5], 0x18
	s_load_dword s10, s[4:5], 0x20
	s_load_dword s11, s[4:5], 0xe0
	s_load_dwordx2 s[8:9], s[4:5], 0xd8
	s_waitcnt lgkmcnt(0)
	v_mul_hi_u32 v1, s7, v0
	v_add_u32_e32 v1, v0, v1
	v_lshrrev_b32_e32 v1, s10, v1
	v_mul_lo_u32 v1, v1, s6
	v_sub_u32_e32 v0, v0, v1
	v_mad_u64_u32 v[30:31], s[4:5], v0, s8, v[30:31]
	v_mad_u64_u32 v[4:5], s[4:5], v0, s9, v[4:5]
	v_mad_u64_u32 v[2:3], s[4:5], v0, s11, v[2:3]
.LBB189_44:
	s_cbranch_execz .LBB189_46
	s_branch .LBB189_48
.LBB189_45:
                                        ; implicit-def: $vgpr2
                                        ; implicit-def: $vgpr4
                                        ; implicit-def: $vgpr30
.LBB189_46:
	s_waitcnt lgkmcnt(0)
	v_mul_hi_u32 v0, s41, v40
	v_add_u32_e32 v0, v40, v0
	v_lshrrev_b32_e32 v0, s42, v0
	v_mul_lo_u32 v1, v0, s40
	v_sub_u32_e32 v1, v40, v1
	v_mul_lo_u32 v30, v1, s36
	v_mul_lo_u32 v2, v1, s38
	s_andn2_b64 vcc, exec, s[50:51]
	v_mul_lo_u32 v4, v1, s37
	s_cbranch_vccnz .LBB189_48
; %bb.47:
	v_mul_hi_u32 v1, s48, v0
	v_add_u32_e32 v1, v0, v1
	v_lshrrev_b32_e32 v1, s49, v1
	v_mul_lo_u32 v1, v1, s43
	v_sub_u32_e32 v0, v0, v1
	v_mad_u64_u32 v[30:31], s[4:5], v0, s39, v[30:31]
	v_mad_u64_u32 v[4:5], s[4:5], v0, s46, v[4:5]
	;; [unrolled: 1-line block ×3, first 2 shown]
.LBB189_48:
	s_waitcnt lgkmcnt(0)
	global_load_ushort v1, v2, s[44:45]
	global_load_dword v0, v4, s[26:27]
	s_getpc_b64 s[4:5]
	s_add_u32 s4, s4, _ZZZZN2at6native33launch_standard_gamma_grad_kernelERNS_18TensorIteratorBaseEENKUlvE_clEvENKUlvE0_clEvENKUlffE_clEff@rel32@lo+4
	s_addc_u32 s5, s5, _ZZZZN2at6native33launch_standard_gamma_grad_kernelERNS_18TensorIteratorBaseEENKUlvE_clEvENKUlvE0_clEvENKUlffE_clEff@rel32@hi+12
	s_waitcnt vmcnt(1)
	v_lshlrev_b32_e32 v1, 16, v1
	s_swappc_b64 s[30:31], s[4:5]
	global_store_dword v30, v0, s[24:25]
.LBB189_49:
	s_or_b64 exec, exec, s[54:55]
                                        ; implicit-def: $vgpr0
                                        ; implicit-def: $vgpr40
.LBB189_50:
	s_andn2_saveexec_b64 s[4:5], s[34:35]
	s_cbranch_execz .LBB189_57
; %bb.51:
	v_cndmask_b32_e64 v1, 0, 1, s[28:29]
	v_cmp_ne_u32_e64 s[4:5], 1, v1
	s_andn2_b64 vcc, exec, s[28:29]
	s_cbranch_vccnz .LBB189_58
; %bb.52:
	s_cmp_lg_u32 s33, 0
	v_mov_b32_e32 v2, 0
	v_mov_b32_e32 v4, 0
	;; [unrolled: 1-line block ×3, first 2 shown]
	s_cbranch_scc0 .LBB189_59
; %bb.53:
	s_min_u32 s8, s56, 15
	s_add_i32 s6, s8, 1
	s_and_b32 s9, s6, 30
	s_add_u32 s6, s22, 0xffffffec
	s_addc_u32 s7, s23, -1
	v_mov_b32_e32 v34, 0
	v_mov_b32_e32 v1, v40
	;; [unrolled: 1-line block ×4, first 2 shown]
.LBB189_54:                             ; =>This Inner Loop Header: Depth=1
	s_mov_b64 s[10:11], s[6:7]
	s_load_dwordx4 s[12:15], s[10:11], 0x18
	s_load_dwordx2 s[20:21], s[10:11], 0x28
	s_waitcnt lgkmcnt(0)
	s_load_dwordx2 s[24:25], s[10:11], 0xe8
	s_load_dwordx4 s[16:19], s[10:11], 0xd8
	s_add_u32 s6, s10, 24
	v_mul_hi_u32 v3, s13, v1
	v_add_u32_e32 v3, v1, v3
	v_lshrrev_b32_e32 v3, s14, v3
	v_mul_lo_u32 v5, v3, s12
	v_mul_hi_u32 v6, s20, v3
	v_sub_u32_e32 v1, v1, v5
	v_add_u32_e32 v5, v3, v6
	s_waitcnt lgkmcnt(0)
	v_mul_lo_u32 v6, v1, s16
	v_mul_lo_u32 v7, v1, s17
	;; [unrolled: 1-line block ×3, first 2 shown]
	v_lshrrev_b32_e32 v1, s21, v5
	v_mul_lo_u32 v5, v1, s15
	v_sub_u32_e32 v3, v3, v5
	s_addc_u32 s7, s11, 0
	s_add_i32 s9, s9, -2
	v_mul_lo_u32 v5, v3, s19
	v_mul_lo_u32 v9, v3, s24
	;; [unrolled: 1-line block ×3, first 2 shown]
	s_cmp_lg_u32 s9, 0
	v_add3_u32 v34, v6, v34, v5
	v_add3_u32 v2, v8, v2, v3
	;; [unrolled: 1-line block ×3, first 2 shown]
	s_cbranch_scc1 .LBB189_54
; %bb.55:
	s_bitcmp1_b32 s8, 0
	s_cselect_b64 s[8:9], -1, 0
	s_and_b64 vcc, exec, s[8:9]
	s_cbranch_vccnz .LBB189_59
; %bb.56:
	s_load_dwordx2 s[8:9], s[6:7], 0x18
	s_load_dword s12, s[6:7], 0x20
	s_load_dword s13, s[6:7], 0xe0
	s_load_dwordx2 s[10:11], s[6:7], 0xd8
	s_waitcnt lgkmcnt(0)
	v_mul_hi_u32 v3, s9, v1
	v_add_u32_e32 v3, v1, v3
	v_lshrrev_b32_e32 v3, s12, v3
	v_mul_lo_u32 v3, v3, s8
	v_sub_u32_e32 v1, v1, v3
	v_mad_u64_u32 v[34:35], s[6:7], v1, s10, v[34:35]
	v_mad_u64_u32 v[4:5], s[6:7], v1, s11, v[4:5]
	v_mad_u64_u32 v[2:3], s[6:7], v1, s13, v[2:3]
	s_cbranch_execz .LBB189_60
	s_branch .LBB189_62
.LBB189_57:
	s_endpgm
.LBB189_58:
                                        ; implicit-def: $vgpr2
                                        ; implicit-def: $vgpr4
                                        ; implicit-def: $vgpr34
	s_branch .LBB189_60
.LBB189_59:
	s_cbranch_execnz .LBB189_62
.LBB189_60:
	s_load_dwordx4 s[8:11], s[22:23], 0x4
	s_load_dwordx4 s[12:15], s[22:23], 0xc4
	s_cmp_lt_u32 s33, 2
	s_waitcnt lgkmcnt(0)
	v_mul_hi_u32 v1, s9, v40
	v_add_u32_e32 v1, v40, v1
	v_lshrrev_b32_e32 v1, s10, v1
	v_mul_lo_u32 v2, v1, s8
	v_sub_u32_e32 v3, v40, v2
	v_mul_lo_u32 v34, v3, s12
	v_mul_lo_u32 v2, v3, s14
	;; [unrolled: 1-line block ×3, first 2 shown]
	s_cbranch_scc1 .LBB189_62
; %bb.61:
	s_load_dwordx4 s[8:11], s[22:23], 0x10
	s_load_dwordx4 s[12:15], s[22:23], 0xd0
	s_waitcnt lgkmcnt(0)
	v_mul_hi_u32 v3, s9, v1
	v_add_u32_e32 v3, v1, v3
	v_lshrrev_b32_e32 v3, s10, v3
	v_mul_lo_u32 v3, v3, s8
	v_sub_u32_e32 v1, v1, v3
	v_mad_u64_u32 v[34:35], s[6:7], v1, s12, v[34:35]
	v_mad_u64_u32 v[4:5], s[6:7], v1, s13, v[4:5]
	;; [unrolled: 1-line block ×3, first 2 shown]
.LBB189_62:
	s_and_b64 vcc, exec, s[4:5]
	v_add_u32_e32 v1, 0x80, v40
	s_cbranch_vccnz .LBB189_68
; %bb.63:
	s_cmp_lg_u32 s33, 0
	v_mov_b32_e32 v32, 0
	v_mov_b32_e32 v38, 0
	;; [unrolled: 1-line block ×3, first 2 shown]
	s_cbranch_scc0 .LBB189_69
; %bb.64:
	s_min_u32 s8, s56, 15
	s_add_i32 s6, s8, 1
	s_and_b32 s9, s6, 30
	s_add_u32 s6, s22, 0xffffffec
	s_addc_u32 s7, s23, -1
	v_mov_b32_e32 v36, 0
	v_mov_b32_e32 v3, v1
	;; [unrolled: 1-line block ×4, first 2 shown]
.LBB189_65:                             ; =>This Inner Loop Header: Depth=1
	s_mov_b64 s[10:11], s[6:7]
	s_load_dwordx4 s[12:15], s[10:11], 0x18
	s_load_dwordx2 s[20:21], s[10:11], 0x28
	s_waitcnt lgkmcnt(0)
	s_load_dwordx2 s[24:25], s[10:11], 0xe8
	s_load_dwordx4 s[16:19], s[10:11], 0xd8
	s_add_u32 s6, s10, 24
	v_mul_hi_u32 v5, s13, v3
	v_add_u32_e32 v5, v3, v5
	v_lshrrev_b32_e32 v5, s14, v5
	v_mul_lo_u32 v6, v5, s12
	v_mul_hi_u32 v7, s20, v5
	v_sub_u32_e32 v3, v3, v6
	v_add_u32_e32 v6, v5, v7
	s_waitcnt lgkmcnt(0)
	v_mul_lo_u32 v7, v3, s16
	v_mul_lo_u32 v8, v3, s17
	;; [unrolled: 1-line block ×3, first 2 shown]
	v_lshrrev_b32_e32 v3, s21, v6
	v_mul_lo_u32 v6, v3, s15
	v_sub_u32_e32 v5, v5, v6
	s_addc_u32 s7, s11, 0
	s_add_i32 s9, s9, -2
	v_mul_lo_u32 v6, v5, s19
	v_mul_lo_u32 v10, v5, s24
	;; [unrolled: 1-line block ×3, first 2 shown]
	s_cmp_lg_u32 s9, 0
	v_add3_u32 v36, v7, v36, v6
	v_add3_u32 v32, v9, v32, v5
	;; [unrolled: 1-line block ×3, first 2 shown]
	s_cbranch_scc1 .LBB189_65
; %bb.66:
	s_bitcmp1_b32 s8, 0
	s_cselect_b64 s[8:9], -1, 0
	s_and_b64 vcc, exec, s[8:9]
	s_cbranch_vccnz .LBB189_69
; %bb.67:
	s_load_dwordx2 s[8:9], s[6:7], 0x18
	s_load_dword s12, s[6:7], 0x20
	s_load_dword s13, s[6:7], 0xe0
	s_load_dwordx2 s[10:11], s[6:7], 0xd8
	s_waitcnt lgkmcnt(0)
	v_mul_hi_u32 v5, s9, v3
	v_add_u32_e32 v5, v3, v5
	v_lshrrev_b32_e32 v5, s12, v5
	v_mul_lo_u32 v5, v5, s8
	v_sub_u32_e32 v3, v3, v5
	v_mad_u64_u32 v[36:37], s[6:7], v3, s10, v[36:37]
	v_mad_u64_u32 v[38:39], s[6:7], v3, s11, v[38:39]
	;; [unrolled: 1-line block ×3, first 2 shown]
	s_cbranch_execz .LBB189_70
	s_branch .LBB189_72
.LBB189_68:
                                        ; implicit-def: $vgpr32
                                        ; implicit-def: $vgpr38
                                        ; implicit-def: $vgpr36
	s_branch .LBB189_70
.LBB189_69:
	s_cbranch_execnz .LBB189_72
.LBB189_70:
	s_load_dwordx4 s[8:11], s[22:23], 0x4
	s_load_dwordx4 s[12:15], s[22:23], 0xc4
	s_cmp_lt_u32 s33, 2
	s_waitcnt lgkmcnt(0)
	v_mul_hi_u32 v3, s9, v1
	v_add_u32_e32 v3, v1, v3
	v_lshrrev_b32_e32 v3, s10, v3
	v_mul_lo_u32 v5, v3, s8
	v_sub_u32_e32 v1, v1, v5
	v_mul_lo_u32 v36, v1, s12
	v_mul_lo_u32 v32, v1, s14
	;; [unrolled: 1-line block ×3, first 2 shown]
	s_cbranch_scc1 .LBB189_72
; %bb.71:
	s_load_dwordx4 s[8:11], s[22:23], 0x10
	s_load_dwordx4 s[12:15], s[22:23], 0xd0
	s_waitcnt lgkmcnt(0)
	v_mul_hi_u32 v1, s9, v3
	v_add_u32_e32 v1, v3, v1
	v_lshrrev_b32_e32 v1, s10, v1
	v_mul_lo_u32 v1, v1, s8
	v_sub_u32_e32 v1, v3, v1
	v_mad_u64_u32 v[36:37], s[6:7], v1, s12, v[36:37]
	v_mad_u64_u32 v[38:39], s[6:7], v1, s13, v[38:39]
	;; [unrolled: 1-line block ×3, first 2 shown]
.LBB189_72:
	s_and_b64 vcc, exec, s[4:5]
	v_add_u32_e32 v1, 0x100, v40
	s_cbranch_vccnz .LBB189_78
; %bb.73:
	s_cmp_lg_u32 s33, 0
	v_mov_b32_e32 v42, 0
	v_mov_b32_e32 v44, 0
	;; [unrolled: 1-line block ×3, first 2 shown]
	s_cbranch_scc0 .LBB189_79
; %bb.74:
	s_min_u32 s8, s56, 15
	s_add_i32 s6, s8, 1
	s_and_b32 s9, s6, 30
	s_add_u32 s6, s22, 0xffffffec
	s_addc_u32 s7, s23, -1
	v_mov_b32_e32 v40, 0
	v_mov_b32_e32 v3, v1
	;; [unrolled: 1-line block ×4, first 2 shown]
.LBB189_75:                             ; =>This Inner Loop Header: Depth=1
	s_mov_b64 s[10:11], s[6:7]
	s_load_dwordx4 s[12:15], s[10:11], 0x18
	s_load_dwordx2 s[20:21], s[10:11], 0x28
	s_waitcnt lgkmcnt(0)
	s_load_dwordx2 s[24:25], s[10:11], 0xe8
	s_load_dwordx4 s[16:19], s[10:11], 0xd8
	s_add_u32 s6, s10, 24
	v_mul_hi_u32 v5, s13, v3
	v_add_u32_e32 v5, v3, v5
	v_lshrrev_b32_e32 v5, s14, v5
	v_mul_lo_u32 v6, v5, s12
	v_mul_hi_u32 v7, s20, v5
	v_sub_u32_e32 v3, v3, v6
	v_add_u32_e32 v6, v5, v7
	s_waitcnt lgkmcnt(0)
	v_mul_lo_u32 v7, v3, s16
	v_mul_lo_u32 v8, v3, s17
	;; [unrolled: 1-line block ×3, first 2 shown]
	v_lshrrev_b32_e32 v3, s21, v6
	v_mul_lo_u32 v6, v3, s15
	v_sub_u32_e32 v5, v5, v6
	s_addc_u32 s7, s11, 0
	s_add_i32 s9, s9, -2
	v_mul_lo_u32 v6, v5, s19
	v_mul_lo_u32 v10, v5, s24
	;; [unrolled: 1-line block ×3, first 2 shown]
	s_cmp_lg_u32 s9, 0
	v_add3_u32 v40, v7, v40, v6
	v_add3_u32 v42, v9, v42, v5
	;; [unrolled: 1-line block ×3, first 2 shown]
	s_cbranch_scc1 .LBB189_75
; %bb.76:
	s_bitcmp1_b32 s8, 0
	s_cselect_b64 s[8:9], -1, 0
	s_and_b64 vcc, exec, s[8:9]
	s_cbranch_vccnz .LBB189_79
; %bb.77:
	s_load_dwordx2 s[8:9], s[6:7], 0x18
	s_load_dword s12, s[6:7], 0x20
	s_load_dword s13, s[6:7], 0xe0
	s_load_dwordx2 s[10:11], s[6:7], 0xd8
	s_waitcnt lgkmcnt(0)
	v_mul_hi_u32 v5, s9, v3
	v_add_u32_e32 v5, v3, v5
	v_lshrrev_b32_e32 v5, s12, v5
	v_mul_lo_u32 v5, v5, s8
	v_sub_u32_e32 v3, v3, v5
	v_mad_u64_u32 v[40:41], s[6:7], v3, s10, v[40:41]
	v_mad_u64_u32 v[44:45], s[6:7], v3, s11, v[44:45]
	;; [unrolled: 1-line block ×3, first 2 shown]
	s_cbranch_execz .LBB189_80
	s_branch .LBB189_82
.LBB189_78:
                                        ; implicit-def: $vgpr42
                                        ; implicit-def: $vgpr44
                                        ; implicit-def: $vgpr40
	s_branch .LBB189_80
.LBB189_79:
	s_cbranch_execnz .LBB189_82
.LBB189_80:
	s_load_dwordx4 s[8:11], s[22:23], 0x4
	s_load_dwordx4 s[12:15], s[22:23], 0xc4
	s_cmp_lt_u32 s33, 2
	s_waitcnt lgkmcnt(0)
	v_mul_hi_u32 v3, s9, v1
	v_add_u32_e32 v3, v1, v3
	v_lshrrev_b32_e32 v3, s10, v3
	v_mul_lo_u32 v5, v3, s8
	v_sub_u32_e32 v1, v1, v5
	v_mul_lo_u32 v40, v1, s12
	v_mul_lo_u32 v42, v1, s14
	;; [unrolled: 1-line block ×3, first 2 shown]
	s_cbranch_scc1 .LBB189_82
; %bb.81:
	s_load_dwordx4 s[8:11], s[22:23], 0x10
	s_load_dwordx4 s[12:15], s[22:23], 0xd0
	s_waitcnt lgkmcnt(0)
	v_mul_hi_u32 v1, s9, v3
	v_add_u32_e32 v1, v3, v1
	v_lshrrev_b32_e32 v1, s10, v1
	v_mul_lo_u32 v1, v1, s8
	v_sub_u32_e32 v1, v3, v1
	v_mad_u64_u32 v[40:41], s[6:7], v1, s12, v[40:41]
	v_mad_u64_u32 v[44:45], s[6:7], v1, s13, v[44:45]
	;; [unrolled: 1-line block ×3, first 2 shown]
.LBB189_82:
	s_and_b64 vcc, exec, s[4:5]
	s_cbranch_vccnz .LBB189_88
; %bb.83:
	s_cmp_lg_u32 s33, 0
	v_mov_b32_e32 v48, 0
	v_mov_b32_e32 v50, 0
	;; [unrolled: 1-line block ×3, first 2 shown]
	s_cbranch_scc0 .LBB189_89
; %bb.84:
	s_min_u32 s6, s56, 15
	s_add_i32 s4, s6, 1
	s_and_b32 s7, s4, 30
	s_add_u32 s4, s22, 0xffffffec
	s_addc_u32 s5, s23, -1
	v_mov_b32_e32 v46, 0
	v_mov_b32_e32 v1, v0
	;; [unrolled: 1-line block ×4, first 2 shown]
.LBB189_85:                             ; =>This Inner Loop Header: Depth=1
	s_mov_b64 s[16:17], s[4:5]
	s_load_dwordx4 s[8:11], s[16:17], 0x18
	s_load_dwordx2 s[18:19], s[16:17], 0x28
	s_load_dwordx2 s[20:21], s[16:17], 0xe8
	s_load_dwordx4 s[12:15], s[16:17], 0xd8
	s_add_u32 s4, s16, 24
	s_waitcnt lgkmcnt(0)
	v_mul_hi_u32 v3, s9, v1
	v_add_u32_e32 v3, v1, v3
	v_lshrrev_b32_e32 v3, s10, v3
	v_mul_lo_u32 v5, v3, s8
	v_mul_hi_u32 v6, s18, v3
	v_sub_u32_e32 v1, v1, v5
	v_add_u32_e32 v5, v3, v6
	v_mul_lo_u32 v6, v1, s12
	v_mul_lo_u32 v7, v1, s13
	;; [unrolled: 1-line block ×3, first 2 shown]
	v_lshrrev_b32_e32 v1, s19, v5
	v_mul_lo_u32 v5, v1, s11
	v_sub_u32_e32 v3, v3, v5
	s_addc_u32 s5, s17, 0
	s_add_i32 s7, s7, -2
	v_mul_lo_u32 v5, v3, s15
	v_mul_lo_u32 v9, v3, s20
	;; [unrolled: 1-line block ×3, first 2 shown]
	s_cmp_lg_u32 s7, 0
	v_add3_u32 v46, v6, v46, v5
	v_add3_u32 v48, v8, v48, v3
	;; [unrolled: 1-line block ×3, first 2 shown]
	s_cbranch_scc1 .LBB189_85
; %bb.86:
	s_bitcmp1_b32 s6, 0
	s_cselect_b64 s[6:7], -1, 0
	s_and_b64 vcc, exec, s[6:7]
	s_cbranch_vccnz .LBB189_89
; %bb.87:
	s_load_dwordx2 s[6:7], s[4:5], 0x18
	s_load_dword s10, s[4:5], 0x20
	s_load_dword s11, s[4:5], 0xe0
	s_load_dwordx2 s[8:9], s[4:5], 0xd8
	s_waitcnt lgkmcnt(0)
	v_mul_hi_u32 v3, s7, v1
	v_add_u32_e32 v3, v1, v3
	v_lshrrev_b32_e32 v3, s10, v3
	v_mul_lo_u32 v3, v3, s6
	v_sub_u32_e32 v1, v1, v3
	v_mad_u64_u32 v[46:47], s[4:5], v1, s8, v[46:47]
	v_mad_u64_u32 v[50:51], s[4:5], v1, s9, v[50:51]
	;; [unrolled: 1-line block ×3, first 2 shown]
	s_cbranch_execz .LBB189_90
	s_branch .LBB189_92
.LBB189_88:
                                        ; implicit-def: $vgpr48
                                        ; implicit-def: $vgpr50
                                        ; implicit-def: $vgpr46
	s_branch .LBB189_90
.LBB189_89:
	s_cbranch_execnz .LBB189_92
.LBB189_90:
	s_load_dwordx4 s[4:7], s[22:23], 0x4
	s_load_dwordx4 s[8:11], s[22:23], 0xc4
	s_cmp_lt_u32 s33, 2
	s_waitcnt lgkmcnt(0)
	v_mul_hi_u32 v1, s5, v0
	v_add_u32_e32 v1, v0, v1
	v_lshrrev_b32_e32 v1, s6, v1
	v_mul_lo_u32 v3, v1, s4
	v_sub_u32_e32 v0, v0, v3
	v_mul_lo_u32 v46, v0, s8
	v_mul_lo_u32 v48, v0, s10
	;; [unrolled: 1-line block ×3, first 2 shown]
	s_cbranch_scc1 .LBB189_92
; %bb.91:
	s_load_dwordx4 s[4:7], s[22:23], 0x10
	s_load_dwordx4 s[8:11], s[22:23], 0xd0
	s_waitcnt lgkmcnt(0)
	v_mul_hi_u32 v0, s5, v1
	v_add_u32_e32 v0, v1, v0
	v_lshrrev_b32_e32 v0, s6, v0
	v_mul_lo_u32 v0, v0, s4
	v_sub_u32_e32 v0, v1, v0
	v_mad_u64_u32 v[46:47], s[4:5], v0, s8, v[46:47]
	v_mad_u64_u32 v[50:51], s[4:5], v0, s9, v[50:51]
	;; [unrolled: 1-line block ×3, first 2 shown]
.LBB189_92:
	s_load_dwordx2 s[28:29], s[22:23], 0x198
	s_waitcnt lgkmcnt(0)
	s_load_dwordx4 s[24:27], s[22:23], 0x188
	s_getpc_b64 s[22:23]
	s_add_u32 s22, s22, _ZZZZN2at6native33launch_standard_gamma_grad_kernelERNS_18TensorIteratorBaseEENKUlvE_clEvENKUlvE0_clEvENKUlffE_clEff@rel32@lo+4
	s_addc_u32 s23, s23, _ZZZZN2at6native33launch_standard_gamma_grad_kernelERNS_18TensorIteratorBaseEENKUlvE_clEvENKUlvE0_clEvENKUlffE_clEff@rel32@hi+12
	global_load_ushort v1, v2, s[28:29]
	s_waitcnt lgkmcnt(0)
	global_load_dword v0, v4, s[26:27]
	s_waitcnt vmcnt(1)
	v_lshlrev_b32_e32 v1, 16, v1
	s_swappc_b64 s[30:31], s[22:23]
	v_mov_b32_e32 v30, v0
	global_load_ushort v1, v32, s[28:29]
	global_load_dword v0, v38, s[26:27]
	s_waitcnt vmcnt(1)
	v_lshlrev_b32_e32 v1, 16, v1
	s_swappc_b64 s[30:31], s[22:23]
	v_mov_b32_e32 v31, v0
	global_load_ushort v1, v42, s[28:29]
	;; [unrolled: 6-line block ×3, first 2 shown]
	global_load_dword v0, v50, s[26:27]
	s_waitcnt vmcnt(1)
	v_lshlrev_b32_e32 v1, 16, v1
	s_swappc_b64 s[30:31], s[22:23]
	global_store_dword v34, v30, s[24:25]
	global_store_dword v36, v31, s[24:25]
	;; [unrolled: 1-line block ×4, first 2 shown]
	s_endpgm
	.section	.rodata,"a",@progbits
	.p2align	6, 0x0
	.amdhsa_kernel _ZN2at6native32elementwise_kernel_manual_unrollILi128ELi4EZNS0_12_GLOBAL__N_142type_specialized_broadcast_kernel_launcherILi0EE5applyIZZZNS0_33launch_standard_gamma_grad_kernelERNS_18TensorIteratorBaseEENKUlvE_clEvENKUlvE0_clEvEUlffE_St5arrayIPcLm3EESB_IN3c1010ScalarTypeELm3EE16OffsetCalculatorILi3EjLb0EEEEvlT_T0_T1_T2_EUlibE_EEviSL_
		.amdhsa_group_segment_fixed_size 0
		.amdhsa_private_segment_fixed_size 0
		.amdhsa_kernarg_size 432
		.amdhsa_user_sgpr_count 8
		.amdhsa_user_sgpr_private_segment_buffer 1
		.amdhsa_user_sgpr_dispatch_ptr 0
		.amdhsa_user_sgpr_queue_ptr 0
		.amdhsa_user_sgpr_kernarg_segment_ptr 1
		.amdhsa_user_sgpr_dispatch_id 0
		.amdhsa_user_sgpr_flat_scratch_init 1
		.amdhsa_user_sgpr_kernarg_preload_length 0
		.amdhsa_user_sgpr_kernarg_preload_offset 0
		.amdhsa_user_sgpr_private_segment_size 0
		.amdhsa_uses_dynamic_stack 0
		.amdhsa_system_sgpr_private_segment_wavefront_offset 0
		.amdhsa_system_sgpr_workgroup_id_x 1
		.amdhsa_system_sgpr_workgroup_id_y 0
		.amdhsa_system_sgpr_workgroup_id_z 0
		.amdhsa_system_sgpr_workgroup_info 0
		.amdhsa_system_vgpr_workitem_id 0
		.amdhsa_next_free_vgpr 52
		.amdhsa_next_free_sgpr 59
		.amdhsa_accum_offset 52
		.amdhsa_reserve_vcc 1
		.amdhsa_reserve_flat_scratch 1
		.amdhsa_float_round_mode_32 0
		.amdhsa_float_round_mode_16_64 0
		.amdhsa_float_denorm_mode_32 3
		.amdhsa_float_denorm_mode_16_64 3
		.amdhsa_dx10_clamp 1
		.amdhsa_ieee_mode 1
		.amdhsa_fp16_overflow 0
		.amdhsa_tg_split 0
		.amdhsa_exception_fp_ieee_invalid_op 0
		.amdhsa_exception_fp_denorm_src 0
		.amdhsa_exception_fp_ieee_div_zero 0
		.amdhsa_exception_fp_ieee_overflow 0
		.amdhsa_exception_fp_ieee_underflow 0
		.amdhsa_exception_fp_ieee_inexact 0
		.amdhsa_exception_int_div_zero 0
	.end_amdhsa_kernel
	.section	.text._ZN2at6native32elementwise_kernel_manual_unrollILi128ELi4EZNS0_12_GLOBAL__N_142type_specialized_broadcast_kernel_launcherILi0EE5applyIZZZNS0_33launch_standard_gamma_grad_kernelERNS_18TensorIteratorBaseEENKUlvE_clEvENKUlvE0_clEvEUlffE_St5arrayIPcLm3EESB_IN3c1010ScalarTypeELm3EE16OffsetCalculatorILi3EjLb0EEEEvlT_T0_T1_T2_EUlibE_EEviSL_,"axG",@progbits,_ZN2at6native32elementwise_kernel_manual_unrollILi128ELi4EZNS0_12_GLOBAL__N_142type_specialized_broadcast_kernel_launcherILi0EE5applyIZZZNS0_33launch_standard_gamma_grad_kernelERNS_18TensorIteratorBaseEENKUlvE_clEvENKUlvE0_clEvEUlffE_St5arrayIPcLm3EESB_IN3c1010ScalarTypeELm3EE16OffsetCalculatorILi3EjLb0EEEEvlT_T0_T1_T2_EUlibE_EEviSL_,comdat
.Lfunc_end189:
	.size	_ZN2at6native32elementwise_kernel_manual_unrollILi128ELi4EZNS0_12_GLOBAL__N_142type_specialized_broadcast_kernel_launcherILi0EE5applyIZZZNS0_33launch_standard_gamma_grad_kernelERNS_18TensorIteratorBaseEENKUlvE_clEvENKUlvE0_clEvEUlffE_St5arrayIPcLm3EESB_IN3c1010ScalarTypeELm3EE16OffsetCalculatorILi3EjLb0EEEEvlT_T0_T1_T2_EUlibE_EEviSL_, .Lfunc_end189-_ZN2at6native32elementwise_kernel_manual_unrollILi128ELi4EZNS0_12_GLOBAL__N_142type_specialized_broadcast_kernel_launcherILi0EE5applyIZZZNS0_33launch_standard_gamma_grad_kernelERNS_18TensorIteratorBaseEENKUlvE_clEvENKUlvE0_clEvEUlffE_St5arrayIPcLm3EESB_IN3c1010ScalarTypeELm3EE16OffsetCalculatorILi3EjLb0EEEEvlT_T0_T1_T2_EUlibE_EEviSL_
                                        ; -- End function
	.section	.AMDGPU.csdata,"",@progbits
; Kernel info:
; codeLenInByte = 4832
; NumSgprs: 65
; NumVgprs: 52
; NumAgprs: 0
; TotalNumVgprs: 52
; ScratchSize: 0
; MemoryBound: 0
; FloatMode: 240
; IeeeMode: 1
; LDSByteSize: 0 bytes/workgroup (compile time only)
; SGPRBlocks: 8
; VGPRBlocks: 6
; NumSGPRsForWavesPerEU: 65
; NumVGPRsForWavesPerEU: 52
; AccumOffset: 52
; Occupancy: 8
; WaveLimiterHint : 1
; COMPUTE_PGM_RSRC2:SCRATCH_EN: 0
; COMPUTE_PGM_RSRC2:USER_SGPR: 8
; COMPUTE_PGM_RSRC2:TRAP_HANDLER: 0
; COMPUTE_PGM_RSRC2:TGID_X_EN: 1
; COMPUTE_PGM_RSRC2:TGID_Y_EN: 0
; COMPUTE_PGM_RSRC2:TGID_Z_EN: 0
; COMPUTE_PGM_RSRC2:TIDIG_COMP_CNT: 0
; COMPUTE_PGM_RSRC3_GFX90A:ACCUM_OFFSET: 12
; COMPUTE_PGM_RSRC3_GFX90A:TG_SPLIT: 0
	.section	.text._ZN2at6native32elementwise_kernel_manual_unrollILi128ELi4EZNS0_12_GLOBAL__N_142type_specialized_broadcast_kernel_launcherILi1EE5applyIZZZNS0_33launch_standard_gamma_grad_kernelERNS_18TensorIteratorBaseEENKUlvE_clEvENKUlvE0_clEvEUlffE_St5arrayIPcLm3EESB_IN3c1010ScalarTypeELm3EE16OffsetCalculatorILi3EjLb0EEEEvlT_T0_T1_T2_EUlibE_EEviSL_,"axG",@progbits,_ZN2at6native32elementwise_kernel_manual_unrollILi128ELi4EZNS0_12_GLOBAL__N_142type_specialized_broadcast_kernel_launcherILi1EE5applyIZZZNS0_33launch_standard_gamma_grad_kernelERNS_18TensorIteratorBaseEENKUlvE_clEvENKUlvE0_clEvEUlffE_St5arrayIPcLm3EESB_IN3c1010ScalarTypeELm3EE16OffsetCalculatorILi3EjLb0EEEEvlT_T0_T1_T2_EUlibE_EEviSL_,comdat
	.globl	_ZN2at6native32elementwise_kernel_manual_unrollILi128ELi4EZNS0_12_GLOBAL__N_142type_specialized_broadcast_kernel_launcherILi1EE5applyIZZZNS0_33launch_standard_gamma_grad_kernelERNS_18TensorIteratorBaseEENKUlvE_clEvENKUlvE0_clEvEUlffE_St5arrayIPcLm3EESB_IN3c1010ScalarTypeELm3EE16OffsetCalculatorILi3EjLb0EEEEvlT_T0_T1_T2_EUlibE_EEviSL_ ; -- Begin function _ZN2at6native32elementwise_kernel_manual_unrollILi128ELi4EZNS0_12_GLOBAL__N_142type_specialized_broadcast_kernel_launcherILi1EE5applyIZZZNS0_33launch_standard_gamma_grad_kernelERNS_18TensorIteratorBaseEENKUlvE_clEvENKUlvE0_clEvEUlffE_St5arrayIPcLm3EESB_IN3c1010ScalarTypeELm3EE16OffsetCalculatorILi3EjLb0EEEEvlT_T0_T1_T2_EUlibE_EEviSL_
	.p2align	8
	.type	_ZN2at6native32elementwise_kernel_manual_unrollILi128ELi4EZNS0_12_GLOBAL__N_142type_specialized_broadcast_kernel_launcherILi1EE5applyIZZZNS0_33launch_standard_gamma_grad_kernelERNS_18TensorIteratorBaseEENKUlvE_clEvENKUlvE0_clEvEUlffE_St5arrayIPcLm3EESB_IN3c1010ScalarTypeELm3EE16OffsetCalculatorILi3EjLb0EEEEvlT_T0_T1_T2_EUlibE_EEviSL_,@function
_ZN2at6native32elementwise_kernel_manual_unrollILi128ELi4EZNS0_12_GLOBAL__N_142type_specialized_broadcast_kernel_launcherILi1EE5applyIZZZNS0_33launch_standard_gamma_grad_kernelERNS_18TensorIteratorBaseEENKUlvE_clEvENKUlvE0_clEvEUlffE_St5arrayIPcLm3EESB_IN3c1010ScalarTypeELm3EE16OffsetCalculatorILi3EjLb0EEEEvlT_T0_T1_T2_EUlibE_EEviSL_: ; @_ZN2at6native32elementwise_kernel_manual_unrollILi128ELi4EZNS0_12_GLOBAL__N_142type_specialized_broadcast_kernel_launcherILi1EE5applyIZZZNS0_33launch_standard_gamma_grad_kernelERNS_18TensorIteratorBaseEENKUlvE_clEvENKUlvE0_clEvEUlffE_St5arrayIPcLm3EESB_IN3c1010ScalarTypeELm3EE16OffsetCalculatorILi3EjLb0EEEEvlT_T0_T1_T2_EUlibE_EEviSL_
; %bb.0:
	s_load_dword s58, s[4:5], 0x0
	s_load_dword s33, s[4:5], 0x8
	s_add_u32 flat_scratch_lo, s6, s9
	s_addc_u32 flat_scratch_hi, s7, 0
	s_add_u32 s0, s0, s9
	s_mov_b64 s[22:23], s[4:5]
	s_addc_u32 s1, s1, 0
	s_or_b32 s22, s22, 8
	v_lshl_or_b32 v40, s8, 9, v0
	s_waitcnt lgkmcnt(0)
	s_add_i32 s56, s33, -1
	v_or_b32_e32 v4, 0x180, v40
	s_cmp_gt_u32 s56, 1
	v_cmp_le_i32_e32 vcc, s58, v4
	s_cselect_b64 s[28:29], -1, 0
	s_mov_b32 s32, 0
	s_and_saveexec_b64 s[4:5], vcc
	s_xor_b64 s[34:35], exec, s[4:5]
	s_cbranch_execz .LBB190_50
; %bb.1:
	s_load_dwordx4 s[40:43], s[22:23], 0x4
	s_load_dwordx2 s[48:49], s[22:23], 0x14
	s_load_dwordx4 s[36:39], s[22:23], 0xc4
	s_load_dwordx2 s[46:47], s[22:23], 0xd4
	s_load_dwordx2 s[44:45], s[22:23], 0x198
	s_load_dwordx4 s[24:27], s[22:23], 0x188
	s_cmp_lg_u32 s33, 0
	s_cselect_b64 s[52:53], -1, 0
	s_min_u32 s57, s56, 15
	s_cmp_gt_u32 s33, 1
	s_cselect_b64 s[50:51], -1, 0
	v_cmp_gt_i32_e32 vcc, s58, v40
	s_and_saveexec_b64 s[54:55], vcc
	s_cbranch_execnz .LBB190_5
; %bb.2:
	s_or_b64 exec, exec, s[54:55]
	v_cmp_gt_i32_e32 vcc, s58, v40
	s_and_saveexec_b64 s[54:55], vcc
	s_cbranch_execnz .LBB190_16
.LBB190_3:
	s_or_b64 exec, exec, s[54:55]
	v_cmp_gt_i32_e32 vcc, s58, v40
	s_and_saveexec_b64 s[54:55], vcc
	s_cbranch_execnz .LBB190_27
.LBB190_4:
	s_or_b64 exec, exec, s[54:55]
	v_cmp_gt_i32_e32 vcc, s58, v40
	s_and_saveexec_b64 s[54:55], vcc
	s_cbranch_execnz .LBB190_38
	s_branch .LBB190_49
.LBB190_5:
	s_andn2_b64 vcc, exec, s[28:29]
	s_cbranch_vccnz .LBB190_12
; %bb.6:
	s_andn2_b64 vcc, exec, s[52:53]
	v_mov_b32_e32 v0, 0
	v_mov_b32_e32 v2, 0
	;; [unrolled: 1-line block ×3, first 2 shown]
	s_cbranch_vccnz .LBB190_11
; %bb.7:
	s_add_i32 s4, s57, 1
	s_and_b32 s6, s4, 30
	s_add_u32 s4, s22, 0xffffffec
	s_addc_u32 s5, s23, -1
	v_mov_b32_e32 v30, 0
	v_mov_b32_e32 v1, v40
	;; [unrolled: 1-line block ×4, first 2 shown]
.LBB190_8:                              ; =>This Inner Loop Header: Depth=1
	s_mov_b64 s[16:17], s[4:5]
	s_load_dwordx4 s[8:11], s[16:17], 0x18
	s_load_dwordx2 s[18:19], s[16:17], 0x28
	s_load_dwordx2 s[20:21], s[16:17], 0xe8
	s_load_dwordx4 s[12:15], s[16:17], 0xd8
	s_add_u32 s4, s16, 24
	s_waitcnt lgkmcnt(0)
	v_mul_hi_u32 v3, s9, v1
	v_add_u32_e32 v3, v1, v3
	v_lshrrev_b32_e32 v3, s10, v3
	v_mul_lo_u32 v4, v3, s8
	v_mul_hi_u32 v5, s18, v3
	v_sub_u32_e32 v1, v1, v4
	v_add_u32_e32 v4, v3, v5
	v_mul_lo_u32 v5, v1, s12
	v_mul_lo_u32 v6, v1, s13
	;; [unrolled: 1-line block ×3, first 2 shown]
	v_lshrrev_b32_e32 v1, s19, v4
	v_mul_lo_u32 v4, v1, s11
	v_sub_u32_e32 v3, v3, v4
	s_addc_u32 s5, s17, 0
	s_add_i32 s6, s6, -2
	v_mul_lo_u32 v4, v3, s15
	v_mul_lo_u32 v8, v3, s20
	;; [unrolled: 1-line block ×3, first 2 shown]
	s_cmp_lg_u32 s6, 0
	v_add3_u32 v30, v5, v30, v4
	v_add3_u32 v0, v7, v0, v3
	;; [unrolled: 1-line block ×3, first 2 shown]
	s_cbranch_scc1 .LBB190_8
; %bb.9:
	s_bitcmp1_b32 s57, 0
	s_cselect_b64 s[6:7], -1, 0
	s_and_b64 vcc, exec, s[6:7]
	s_cbranch_vccnz .LBB190_11
; %bb.10:
	s_load_dwordx2 s[6:7], s[4:5], 0x18
	s_load_dword s10, s[4:5], 0x20
	s_load_dword s11, s[4:5], 0xe0
	s_load_dwordx2 s[8:9], s[4:5], 0xd8
	s_waitcnt lgkmcnt(0)
	v_mul_hi_u32 v3, s7, v1
	v_add_u32_e32 v3, v1, v3
	v_lshrrev_b32_e32 v3, s10, v3
	v_mul_lo_u32 v3, v3, s6
	v_sub_u32_e32 v1, v1, v3
	v_mad_u64_u32 v[30:31], s[4:5], v1, s8, v[30:31]
	v_mad_u64_u32 v[2:3], s[4:5], v1, s9, v[2:3]
	;; [unrolled: 1-line block ×3, first 2 shown]
.LBB190_11:
	s_cbranch_execz .LBB190_13
	s_branch .LBB190_15
.LBB190_12:
                                        ; implicit-def: $vgpr0
                                        ; implicit-def: $vgpr2
                                        ; implicit-def: $vgpr30
.LBB190_13:
	s_waitcnt lgkmcnt(0)
	v_mul_hi_u32 v0, s41, v40
	v_add_u32_e32 v0, v40, v0
	v_lshrrev_b32_e32 v1, s42, v0
	v_mul_lo_u32 v0, v1, s40
	v_sub_u32_e32 v2, v40, v0
	v_mul_lo_u32 v30, v2, s36
	v_mul_lo_u32 v0, v2, s38
	s_andn2_b64 vcc, exec, s[50:51]
	v_mul_lo_u32 v2, v2, s37
	s_cbranch_vccnz .LBB190_15
; %bb.14:
	v_mul_hi_u32 v3, s48, v1
	v_add_u32_e32 v3, v1, v3
	v_lshrrev_b32_e32 v3, s49, v3
	v_mul_lo_u32 v3, v3, s43
	v_sub_u32_e32 v1, v1, v3
	v_mad_u64_u32 v[30:31], s[4:5], v1, s39, v[30:31]
	v_mad_u64_u32 v[2:3], s[4:5], v1, s46, v[2:3]
	;; [unrolled: 1-line block ×3, first 2 shown]
.LBB190_15:
	s_waitcnt lgkmcnt(0)
	global_load_ushort v3, v2, s[26:27]
	global_load_dword v1, v0, s[44:45]
	s_getpc_b64 s[4:5]
	s_add_u32 s4, s4, _ZZZZN2at6native33launch_standard_gamma_grad_kernelERNS_18TensorIteratorBaseEENKUlvE_clEvENKUlvE0_clEvENKUlffE_clEff@rel32@lo+4
	s_addc_u32 s5, s5, _ZZZZN2at6native33launch_standard_gamma_grad_kernelERNS_18TensorIteratorBaseEENKUlvE_clEvENKUlvE0_clEvENKUlffE_clEff@rel32@hi+12
	s_waitcnt vmcnt(1)
	v_lshlrev_b32_e32 v0, 16, v3
	s_swappc_b64 s[30:31], s[4:5]
	v_add_u32_e32 v40, 0x80, v40
	global_store_dword v30, v0, s[24:25]
	s_or_b64 exec, exec, s[54:55]
	v_cmp_gt_i32_e32 vcc, s58, v40
	s_and_saveexec_b64 s[54:55], vcc
	s_cbranch_execz .LBB190_3
.LBB190_16:
	s_andn2_b64 vcc, exec, s[28:29]
	s_cbranch_vccnz .LBB190_23
; %bb.17:
	s_andn2_b64 vcc, exec, s[52:53]
	v_mov_b32_e32 v0, 0
	v_mov_b32_e32 v2, 0
	;; [unrolled: 1-line block ×3, first 2 shown]
	s_cbranch_vccnz .LBB190_22
; %bb.18:
	s_add_i32 s4, s57, 1
	s_and_b32 s6, s4, 30
	s_add_u32 s4, s22, 0xffffffec
	s_addc_u32 s5, s23, -1
	v_mov_b32_e32 v30, 0
	v_mov_b32_e32 v1, v40
	;; [unrolled: 1-line block ×4, first 2 shown]
.LBB190_19:                             ; =>This Inner Loop Header: Depth=1
	s_mov_b64 s[16:17], s[4:5]
	s_load_dwordx4 s[8:11], s[16:17], 0x18
	s_load_dwordx2 s[18:19], s[16:17], 0x28
	s_load_dwordx2 s[20:21], s[16:17], 0xe8
	s_load_dwordx4 s[12:15], s[16:17], 0xd8
	s_add_u32 s4, s16, 24
	s_waitcnt lgkmcnt(0)
	v_mul_hi_u32 v3, s9, v1
	v_add_u32_e32 v3, v1, v3
	v_lshrrev_b32_e32 v3, s10, v3
	v_mul_lo_u32 v4, v3, s8
	v_mul_hi_u32 v5, s18, v3
	v_sub_u32_e32 v1, v1, v4
	v_add_u32_e32 v4, v3, v5
	v_mul_lo_u32 v5, v1, s12
	v_mul_lo_u32 v6, v1, s13
	;; [unrolled: 1-line block ×3, first 2 shown]
	v_lshrrev_b32_e32 v1, s19, v4
	v_mul_lo_u32 v4, v1, s11
	v_sub_u32_e32 v3, v3, v4
	s_addc_u32 s5, s17, 0
	s_add_i32 s6, s6, -2
	v_mul_lo_u32 v4, v3, s15
	v_mul_lo_u32 v8, v3, s20
	;; [unrolled: 1-line block ×3, first 2 shown]
	s_cmp_eq_u32 s6, 0
	v_add3_u32 v30, v5, v30, v4
	v_add3_u32 v0, v7, v0, v3
	;; [unrolled: 1-line block ×3, first 2 shown]
	s_cbranch_scc0 .LBB190_19
; %bb.20:
	s_bitcmp1_b32 s57, 0
	s_cselect_b64 s[6:7], -1, 0
	s_and_b64 vcc, exec, s[6:7]
	s_cbranch_vccnz .LBB190_22
; %bb.21:
	s_load_dwordx2 s[6:7], s[4:5], 0x18
	s_load_dword s10, s[4:5], 0x20
	s_load_dword s11, s[4:5], 0xe0
	s_load_dwordx2 s[8:9], s[4:5], 0xd8
	s_waitcnt lgkmcnt(0)
	v_mul_hi_u32 v3, s7, v1
	v_add_u32_e32 v3, v1, v3
	v_lshrrev_b32_e32 v3, s10, v3
	v_mul_lo_u32 v3, v3, s6
	v_sub_u32_e32 v1, v1, v3
	v_mad_u64_u32 v[30:31], s[4:5], v1, s8, v[30:31]
	v_mad_u64_u32 v[2:3], s[4:5], v1, s9, v[2:3]
	;; [unrolled: 1-line block ×3, first 2 shown]
.LBB190_22:
	s_cbranch_execz .LBB190_24
	s_branch .LBB190_26
.LBB190_23:
                                        ; implicit-def: $vgpr0
                                        ; implicit-def: $vgpr2
                                        ; implicit-def: $vgpr30
.LBB190_24:
	s_waitcnt lgkmcnt(0)
	v_mul_hi_u32 v0, s41, v40
	v_add_u32_e32 v0, v40, v0
	v_lshrrev_b32_e32 v1, s42, v0
	v_mul_lo_u32 v0, v1, s40
	v_sub_u32_e32 v2, v40, v0
	v_mul_lo_u32 v30, v2, s36
	v_mul_lo_u32 v0, v2, s38
	s_andn2_b64 vcc, exec, s[50:51]
	v_mul_lo_u32 v2, v2, s37
	s_cbranch_vccnz .LBB190_26
; %bb.25:
	v_mul_hi_u32 v3, s48, v1
	v_add_u32_e32 v3, v1, v3
	v_lshrrev_b32_e32 v3, s49, v3
	v_mul_lo_u32 v3, v3, s43
	v_sub_u32_e32 v1, v1, v3
	v_mad_u64_u32 v[30:31], s[4:5], v1, s39, v[30:31]
	v_mad_u64_u32 v[2:3], s[4:5], v1, s46, v[2:3]
	;; [unrolled: 1-line block ×3, first 2 shown]
.LBB190_26:
	s_waitcnt lgkmcnt(0)
	global_load_ushort v3, v2, s[26:27]
	global_load_dword v1, v0, s[44:45]
	s_getpc_b64 s[4:5]
	s_add_u32 s4, s4, _ZZZZN2at6native33launch_standard_gamma_grad_kernelERNS_18TensorIteratorBaseEENKUlvE_clEvENKUlvE0_clEvENKUlffE_clEff@rel32@lo+4
	s_addc_u32 s5, s5, _ZZZZN2at6native33launch_standard_gamma_grad_kernelERNS_18TensorIteratorBaseEENKUlvE_clEvENKUlvE0_clEvENKUlffE_clEff@rel32@hi+12
	s_waitcnt vmcnt(1)
	v_lshlrev_b32_e32 v0, 16, v3
	s_swappc_b64 s[30:31], s[4:5]
	v_add_u32_e32 v40, 0x80, v40
	global_store_dword v30, v0, s[24:25]
	s_or_b64 exec, exec, s[54:55]
	v_cmp_gt_i32_e32 vcc, s58, v40
	s_and_saveexec_b64 s[54:55], vcc
	s_cbranch_execz .LBB190_4
.LBB190_27:
	s_andn2_b64 vcc, exec, s[28:29]
	s_cbranch_vccnz .LBB190_34
; %bb.28:
	s_andn2_b64 vcc, exec, s[52:53]
	v_mov_b32_e32 v0, 0
	v_mov_b32_e32 v2, 0
	;; [unrolled: 1-line block ×3, first 2 shown]
	s_cbranch_vccnz .LBB190_33
; %bb.29:
	s_add_i32 s4, s57, 1
	s_and_b32 s6, s4, 30
	s_add_u32 s4, s22, 0xffffffec
	s_addc_u32 s5, s23, -1
	v_mov_b32_e32 v30, 0
	v_mov_b32_e32 v1, v40
	;; [unrolled: 1-line block ×4, first 2 shown]
.LBB190_30:                             ; =>This Inner Loop Header: Depth=1
	s_mov_b64 s[16:17], s[4:5]
	s_load_dwordx4 s[8:11], s[16:17], 0x18
	s_load_dwordx2 s[18:19], s[16:17], 0x28
	s_load_dwordx2 s[20:21], s[16:17], 0xe8
	s_load_dwordx4 s[12:15], s[16:17], 0xd8
	s_add_u32 s4, s16, 24
	s_waitcnt lgkmcnt(0)
	v_mul_hi_u32 v3, s9, v1
	v_add_u32_e32 v3, v1, v3
	v_lshrrev_b32_e32 v3, s10, v3
	v_mul_lo_u32 v4, v3, s8
	v_mul_hi_u32 v5, s18, v3
	v_sub_u32_e32 v1, v1, v4
	v_add_u32_e32 v4, v3, v5
	v_mul_lo_u32 v5, v1, s12
	v_mul_lo_u32 v6, v1, s13
	;; [unrolled: 1-line block ×3, first 2 shown]
	v_lshrrev_b32_e32 v1, s19, v4
	v_mul_lo_u32 v4, v1, s11
	v_sub_u32_e32 v3, v3, v4
	s_addc_u32 s5, s17, 0
	s_add_i32 s6, s6, -2
	v_mul_lo_u32 v4, v3, s15
	v_mul_lo_u32 v8, v3, s20
	;; [unrolled: 1-line block ×3, first 2 shown]
	s_cmp_eq_u32 s6, 0
	v_add3_u32 v30, v5, v30, v4
	v_add3_u32 v0, v7, v0, v3
	;; [unrolled: 1-line block ×3, first 2 shown]
	s_cbranch_scc0 .LBB190_30
; %bb.31:
	s_bitcmp1_b32 s57, 0
	s_cselect_b64 s[6:7], -1, 0
	s_and_b64 vcc, exec, s[6:7]
	s_cbranch_vccnz .LBB190_33
; %bb.32:
	s_load_dwordx2 s[6:7], s[4:5], 0x18
	s_load_dword s10, s[4:5], 0x20
	s_load_dword s11, s[4:5], 0xe0
	s_load_dwordx2 s[8:9], s[4:5], 0xd8
	s_waitcnt lgkmcnt(0)
	v_mul_hi_u32 v3, s7, v1
	v_add_u32_e32 v3, v1, v3
	v_lshrrev_b32_e32 v3, s10, v3
	v_mul_lo_u32 v3, v3, s6
	v_sub_u32_e32 v1, v1, v3
	v_mad_u64_u32 v[30:31], s[4:5], v1, s8, v[30:31]
	v_mad_u64_u32 v[2:3], s[4:5], v1, s9, v[2:3]
	;; [unrolled: 1-line block ×3, first 2 shown]
.LBB190_33:
	s_cbranch_execz .LBB190_35
	s_branch .LBB190_37
.LBB190_34:
                                        ; implicit-def: $vgpr0
                                        ; implicit-def: $vgpr2
                                        ; implicit-def: $vgpr30
.LBB190_35:
	s_waitcnt lgkmcnt(0)
	v_mul_hi_u32 v0, s41, v40
	v_add_u32_e32 v0, v40, v0
	v_lshrrev_b32_e32 v1, s42, v0
	v_mul_lo_u32 v0, v1, s40
	v_sub_u32_e32 v2, v40, v0
	v_mul_lo_u32 v30, v2, s36
	v_mul_lo_u32 v0, v2, s38
	s_andn2_b64 vcc, exec, s[50:51]
	v_mul_lo_u32 v2, v2, s37
	s_cbranch_vccnz .LBB190_37
; %bb.36:
	v_mul_hi_u32 v3, s48, v1
	v_add_u32_e32 v3, v1, v3
	v_lshrrev_b32_e32 v3, s49, v3
	v_mul_lo_u32 v3, v3, s43
	v_sub_u32_e32 v1, v1, v3
	v_mad_u64_u32 v[30:31], s[4:5], v1, s39, v[30:31]
	v_mad_u64_u32 v[2:3], s[4:5], v1, s46, v[2:3]
	;; [unrolled: 1-line block ×3, first 2 shown]
.LBB190_37:
	s_waitcnt lgkmcnt(0)
	global_load_ushort v3, v2, s[26:27]
	global_load_dword v1, v0, s[44:45]
	s_getpc_b64 s[4:5]
	s_add_u32 s4, s4, _ZZZZN2at6native33launch_standard_gamma_grad_kernelERNS_18TensorIteratorBaseEENKUlvE_clEvENKUlvE0_clEvENKUlffE_clEff@rel32@lo+4
	s_addc_u32 s5, s5, _ZZZZN2at6native33launch_standard_gamma_grad_kernelERNS_18TensorIteratorBaseEENKUlvE_clEvENKUlvE0_clEvENKUlffE_clEff@rel32@hi+12
	s_waitcnt vmcnt(1)
	v_lshlrev_b32_e32 v0, 16, v3
	s_swappc_b64 s[30:31], s[4:5]
	v_add_u32_e32 v40, 0x80, v40
	global_store_dword v30, v0, s[24:25]
	s_or_b64 exec, exec, s[54:55]
	v_cmp_gt_i32_e32 vcc, s58, v40
	s_and_saveexec_b64 s[54:55], vcc
	s_cbranch_execz .LBB190_49
.LBB190_38:
	s_andn2_b64 vcc, exec, s[28:29]
	s_cbranch_vccnz .LBB190_45
; %bb.39:
	s_andn2_b64 vcc, exec, s[52:53]
	v_mov_b32_e32 v0, 0
	v_mov_b32_e32 v2, 0
	;; [unrolled: 1-line block ×3, first 2 shown]
	s_cbranch_vccnz .LBB190_44
; %bb.40:
	s_add_i32 s4, s57, 1
	s_and_b32 s6, s4, 30
	s_add_u32 s4, s22, 0xffffffec
	s_addc_u32 s5, s23, -1
	v_mov_b32_e32 v30, 0
	v_mov_b32_e32 v1, v40
	;; [unrolled: 1-line block ×4, first 2 shown]
.LBB190_41:                             ; =>This Inner Loop Header: Depth=1
	s_mov_b64 s[16:17], s[4:5]
	s_load_dwordx4 s[8:11], s[16:17], 0x18
	s_load_dwordx2 s[18:19], s[16:17], 0x28
	s_load_dwordx2 s[20:21], s[16:17], 0xe8
	s_load_dwordx4 s[12:15], s[16:17], 0xd8
	s_add_u32 s4, s16, 24
	s_waitcnt lgkmcnt(0)
	v_mul_hi_u32 v3, s9, v1
	v_add_u32_e32 v3, v1, v3
	v_lshrrev_b32_e32 v3, s10, v3
	v_mul_lo_u32 v4, v3, s8
	v_mul_hi_u32 v5, s18, v3
	v_sub_u32_e32 v1, v1, v4
	v_add_u32_e32 v4, v3, v5
	v_mul_lo_u32 v5, v1, s12
	v_mul_lo_u32 v6, v1, s13
	;; [unrolled: 1-line block ×3, first 2 shown]
	v_lshrrev_b32_e32 v1, s19, v4
	v_mul_lo_u32 v4, v1, s11
	v_sub_u32_e32 v3, v3, v4
	s_addc_u32 s5, s17, 0
	s_add_i32 s6, s6, -2
	v_mul_lo_u32 v4, v3, s15
	v_mul_lo_u32 v8, v3, s20
	;; [unrolled: 1-line block ×3, first 2 shown]
	s_cmp_eq_u32 s6, 0
	v_add3_u32 v30, v5, v30, v4
	v_add3_u32 v0, v7, v0, v3
	;; [unrolled: 1-line block ×3, first 2 shown]
	s_cbranch_scc0 .LBB190_41
; %bb.42:
	s_bitcmp1_b32 s57, 0
	s_cselect_b64 s[6:7], -1, 0
	s_and_b64 vcc, exec, s[6:7]
	s_cbranch_vccnz .LBB190_44
; %bb.43:
	s_load_dwordx2 s[6:7], s[4:5], 0x18
	s_load_dword s10, s[4:5], 0x20
	s_load_dword s11, s[4:5], 0xe0
	s_load_dwordx2 s[8:9], s[4:5], 0xd8
	s_waitcnt lgkmcnt(0)
	v_mul_hi_u32 v3, s7, v1
	v_add_u32_e32 v3, v1, v3
	v_lshrrev_b32_e32 v3, s10, v3
	v_mul_lo_u32 v3, v3, s6
	v_sub_u32_e32 v1, v1, v3
	v_mad_u64_u32 v[30:31], s[4:5], v1, s8, v[30:31]
	v_mad_u64_u32 v[2:3], s[4:5], v1, s9, v[2:3]
	;; [unrolled: 1-line block ×3, first 2 shown]
.LBB190_44:
	s_cbranch_execz .LBB190_46
	s_branch .LBB190_48
.LBB190_45:
                                        ; implicit-def: $vgpr0
                                        ; implicit-def: $vgpr2
                                        ; implicit-def: $vgpr30
.LBB190_46:
	s_waitcnt lgkmcnt(0)
	v_mul_hi_u32 v0, s41, v40
	v_add_u32_e32 v0, v40, v0
	v_lshrrev_b32_e32 v1, s42, v0
	v_mul_lo_u32 v0, v1, s40
	v_sub_u32_e32 v2, v40, v0
	v_mul_lo_u32 v30, v2, s36
	v_mul_lo_u32 v0, v2, s38
	s_andn2_b64 vcc, exec, s[50:51]
	v_mul_lo_u32 v2, v2, s37
	s_cbranch_vccnz .LBB190_48
; %bb.47:
	v_mul_hi_u32 v3, s48, v1
	v_add_u32_e32 v3, v1, v3
	v_lshrrev_b32_e32 v3, s49, v3
	v_mul_lo_u32 v3, v3, s43
	v_sub_u32_e32 v1, v1, v3
	v_mad_u64_u32 v[30:31], s[4:5], v1, s39, v[30:31]
	v_mad_u64_u32 v[2:3], s[4:5], v1, s46, v[2:3]
	;; [unrolled: 1-line block ×3, first 2 shown]
.LBB190_48:
	s_waitcnt lgkmcnt(0)
	global_load_ushort v3, v2, s[26:27]
	global_load_dword v1, v0, s[44:45]
	s_getpc_b64 s[4:5]
	s_add_u32 s4, s4, _ZZZZN2at6native33launch_standard_gamma_grad_kernelERNS_18TensorIteratorBaseEENKUlvE_clEvENKUlvE0_clEvENKUlffE_clEff@rel32@lo+4
	s_addc_u32 s5, s5, _ZZZZN2at6native33launch_standard_gamma_grad_kernelERNS_18TensorIteratorBaseEENKUlvE_clEvENKUlvE0_clEvENKUlffE_clEff@rel32@hi+12
	s_waitcnt vmcnt(1)
	v_lshlrev_b32_e32 v0, 16, v3
	s_swappc_b64 s[30:31], s[4:5]
	global_store_dword v30, v0, s[24:25]
.LBB190_49:
	s_or_b64 exec, exec, s[54:55]
                                        ; implicit-def: $vgpr4
                                        ; implicit-def: $vgpr40
.LBB190_50:
	s_andn2_saveexec_b64 s[4:5], s[34:35]
	s_cbranch_execz .LBB190_57
; %bb.51:
	v_cndmask_b32_e64 v0, 0, 1, s[28:29]
	v_cmp_ne_u32_e64 s[4:5], 1, v0
	s_andn2_b64 vcc, exec, s[28:29]
	s_cbranch_vccnz .LBB190_58
; %bb.52:
	s_cmp_lg_u32 s33, 0
	v_mov_b32_e32 v0, 0
	v_mov_b32_e32 v2, 0
	;; [unrolled: 1-line block ×3, first 2 shown]
	s_cbranch_scc0 .LBB190_59
; %bb.53:
	s_min_u32 s8, s56, 15
	s_add_i32 s6, s8, 1
	s_and_b32 s9, s6, 30
	s_add_u32 s6, s22, 0xffffffec
	s_addc_u32 s7, s23, -1
	v_mov_b32_e32 v34, 0
	v_mov_b32_e32 v1, v40
	;; [unrolled: 1-line block ×4, first 2 shown]
.LBB190_54:                             ; =>This Inner Loop Header: Depth=1
	s_mov_b64 s[10:11], s[6:7]
	s_load_dwordx4 s[12:15], s[10:11], 0x18
	s_load_dwordx2 s[20:21], s[10:11], 0x28
	s_waitcnt lgkmcnt(0)
	s_load_dwordx2 s[24:25], s[10:11], 0xe8
	s_load_dwordx4 s[16:19], s[10:11], 0xd8
	s_add_u32 s6, s10, 24
	v_mul_hi_u32 v3, s13, v1
	v_add_u32_e32 v3, v1, v3
	v_lshrrev_b32_e32 v3, s14, v3
	v_mul_lo_u32 v5, v3, s12
	v_mul_hi_u32 v6, s20, v3
	v_sub_u32_e32 v1, v1, v5
	v_add_u32_e32 v5, v3, v6
	s_waitcnt lgkmcnt(0)
	v_mul_lo_u32 v6, v1, s16
	v_mul_lo_u32 v7, v1, s17
	;; [unrolled: 1-line block ×3, first 2 shown]
	v_lshrrev_b32_e32 v1, s21, v5
	v_mul_lo_u32 v5, v1, s15
	v_sub_u32_e32 v3, v3, v5
	s_addc_u32 s7, s11, 0
	s_add_i32 s9, s9, -2
	v_mul_lo_u32 v5, v3, s19
	v_mul_lo_u32 v9, v3, s24
	;; [unrolled: 1-line block ×3, first 2 shown]
	s_cmp_lg_u32 s9, 0
	v_add3_u32 v34, v6, v34, v5
	v_add3_u32 v0, v8, v0, v3
	;; [unrolled: 1-line block ×3, first 2 shown]
	s_cbranch_scc1 .LBB190_54
; %bb.55:
	s_bitcmp1_b32 s8, 0
	s_cselect_b64 s[8:9], -1, 0
	s_and_b64 vcc, exec, s[8:9]
	s_cbranch_vccnz .LBB190_59
; %bb.56:
	s_load_dwordx2 s[8:9], s[6:7], 0x18
	s_load_dword s12, s[6:7], 0x20
	s_load_dword s13, s[6:7], 0xe0
	s_load_dwordx2 s[10:11], s[6:7], 0xd8
	s_waitcnt lgkmcnt(0)
	v_mul_hi_u32 v3, s9, v1
	v_add_u32_e32 v3, v1, v3
	v_lshrrev_b32_e32 v3, s12, v3
	v_mul_lo_u32 v3, v3, s8
	v_sub_u32_e32 v1, v1, v3
	v_mad_u64_u32 v[34:35], s[6:7], v1, s10, v[34:35]
	v_mad_u64_u32 v[2:3], s[6:7], v1, s11, v[2:3]
	;; [unrolled: 1-line block ×3, first 2 shown]
	s_cbranch_execz .LBB190_60
	s_branch .LBB190_62
.LBB190_57:
	s_endpgm
.LBB190_58:
                                        ; implicit-def: $vgpr0
                                        ; implicit-def: $vgpr2
                                        ; implicit-def: $vgpr34
	s_branch .LBB190_60
.LBB190_59:
	s_cbranch_execnz .LBB190_62
.LBB190_60:
	s_load_dwordx4 s[8:11], s[22:23], 0x4
	s_load_dwordx4 s[12:15], s[22:23], 0xc4
	s_cmp_lt_u32 s33, 2
	s_waitcnt lgkmcnt(0)
	v_mul_hi_u32 v0, s9, v40
	v_add_u32_e32 v0, v40, v0
	v_lshrrev_b32_e32 v1, s10, v0
	v_mul_lo_u32 v0, v1, s8
	v_sub_u32_e32 v2, v40, v0
	v_mul_lo_u32 v34, v2, s12
	v_mul_lo_u32 v0, v2, s14
	;; [unrolled: 1-line block ×3, first 2 shown]
	s_cbranch_scc1 .LBB190_62
; %bb.61:
	s_load_dwordx4 s[8:11], s[22:23], 0x10
	s_load_dwordx4 s[12:15], s[22:23], 0xd0
	s_waitcnt lgkmcnt(0)
	v_mul_hi_u32 v3, s9, v1
	v_add_u32_e32 v3, v1, v3
	v_lshrrev_b32_e32 v3, s10, v3
	v_mul_lo_u32 v3, v3, s8
	v_sub_u32_e32 v1, v1, v3
	v_mad_u64_u32 v[34:35], s[6:7], v1, s12, v[34:35]
	v_mad_u64_u32 v[2:3], s[6:7], v1, s13, v[2:3]
	;; [unrolled: 1-line block ×3, first 2 shown]
.LBB190_62:
	s_and_b64 vcc, exec, s[4:5]
	v_add_u32_e32 v1, 0x80, v40
	s_cbranch_vccnz .LBB190_68
; %bb.63:
	s_cmp_lg_u32 s33, 0
	v_mov_b32_e32 v32, 0
	v_mov_b32_e32 v38, 0
	;; [unrolled: 1-line block ×3, first 2 shown]
	s_cbranch_scc0 .LBB190_69
; %bb.64:
	s_min_u32 s8, s56, 15
	s_add_i32 s6, s8, 1
	s_and_b32 s9, s6, 30
	s_add_u32 s6, s22, 0xffffffec
	s_addc_u32 s7, s23, -1
	v_mov_b32_e32 v36, 0
	v_mov_b32_e32 v3, v1
	;; [unrolled: 1-line block ×4, first 2 shown]
.LBB190_65:                             ; =>This Inner Loop Header: Depth=1
	s_mov_b64 s[10:11], s[6:7]
	s_load_dwordx4 s[12:15], s[10:11], 0x18
	s_load_dwordx2 s[20:21], s[10:11], 0x28
	s_waitcnt lgkmcnt(0)
	s_load_dwordx2 s[24:25], s[10:11], 0xe8
	s_load_dwordx4 s[16:19], s[10:11], 0xd8
	s_add_u32 s6, s10, 24
	v_mul_hi_u32 v5, s13, v3
	v_add_u32_e32 v5, v3, v5
	v_lshrrev_b32_e32 v5, s14, v5
	v_mul_lo_u32 v6, v5, s12
	v_mul_hi_u32 v7, s20, v5
	v_sub_u32_e32 v3, v3, v6
	v_add_u32_e32 v6, v5, v7
	s_waitcnt lgkmcnt(0)
	v_mul_lo_u32 v7, v3, s16
	v_mul_lo_u32 v8, v3, s17
	;; [unrolled: 1-line block ×3, first 2 shown]
	v_lshrrev_b32_e32 v3, s21, v6
	v_mul_lo_u32 v6, v3, s15
	v_sub_u32_e32 v5, v5, v6
	s_addc_u32 s7, s11, 0
	s_add_i32 s9, s9, -2
	v_mul_lo_u32 v6, v5, s19
	v_mul_lo_u32 v10, v5, s24
	;; [unrolled: 1-line block ×3, first 2 shown]
	s_cmp_lg_u32 s9, 0
	v_add3_u32 v36, v7, v36, v6
	v_add3_u32 v32, v9, v32, v5
	;; [unrolled: 1-line block ×3, first 2 shown]
	s_cbranch_scc1 .LBB190_65
; %bb.66:
	s_bitcmp1_b32 s8, 0
	s_cselect_b64 s[8:9], -1, 0
	s_and_b64 vcc, exec, s[8:9]
	s_cbranch_vccnz .LBB190_69
; %bb.67:
	s_load_dwordx2 s[8:9], s[6:7], 0x18
	s_load_dword s12, s[6:7], 0x20
	s_load_dword s13, s[6:7], 0xe0
	s_load_dwordx2 s[10:11], s[6:7], 0xd8
	s_waitcnt lgkmcnt(0)
	v_mul_hi_u32 v5, s9, v3
	v_add_u32_e32 v5, v3, v5
	v_lshrrev_b32_e32 v5, s12, v5
	v_mul_lo_u32 v5, v5, s8
	v_sub_u32_e32 v3, v3, v5
	v_mad_u64_u32 v[36:37], s[6:7], v3, s10, v[36:37]
	v_mad_u64_u32 v[38:39], s[6:7], v3, s11, v[38:39]
	v_mad_u64_u32 v[32:33], s[6:7], v3, s13, v[32:33]
	s_cbranch_execz .LBB190_70
	s_branch .LBB190_72
.LBB190_68:
                                        ; implicit-def: $vgpr32
                                        ; implicit-def: $vgpr38
                                        ; implicit-def: $vgpr36
	s_branch .LBB190_70
.LBB190_69:
	s_cbranch_execnz .LBB190_72
.LBB190_70:
	s_load_dwordx4 s[8:11], s[22:23], 0x4
	s_load_dwordx4 s[12:15], s[22:23], 0xc4
	s_cmp_lt_u32 s33, 2
	s_waitcnt lgkmcnt(0)
	v_mul_hi_u32 v3, s9, v1
	v_add_u32_e32 v3, v1, v3
	v_lshrrev_b32_e32 v3, s10, v3
	v_mul_lo_u32 v5, v3, s8
	v_sub_u32_e32 v1, v1, v5
	v_mul_lo_u32 v36, v1, s12
	v_mul_lo_u32 v32, v1, s14
	;; [unrolled: 1-line block ×3, first 2 shown]
	s_cbranch_scc1 .LBB190_72
; %bb.71:
	s_load_dwordx4 s[8:11], s[22:23], 0x10
	s_load_dwordx4 s[12:15], s[22:23], 0xd0
	s_waitcnt lgkmcnt(0)
	v_mul_hi_u32 v1, s9, v3
	v_add_u32_e32 v1, v3, v1
	v_lshrrev_b32_e32 v1, s10, v1
	v_mul_lo_u32 v1, v1, s8
	v_sub_u32_e32 v1, v3, v1
	v_mad_u64_u32 v[36:37], s[6:7], v1, s12, v[36:37]
	v_mad_u64_u32 v[38:39], s[6:7], v1, s13, v[38:39]
	;; [unrolled: 1-line block ×3, first 2 shown]
.LBB190_72:
	s_and_b64 vcc, exec, s[4:5]
	v_add_u32_e32 v1, 0x100, v40
	s_cbranch_vccnz .LBB190_78
; %bb.73:
	s_cmp_lg_u32 s33, 0
	v_mov_b32_e32 v42, 0
	v_mov_b32_e32 v44, 0
	;; [unrolled: 1-line block ×3, first 2 shown]
	s_cbranch_scc0 .LBB190_79
; %bb.74:
	s_min_u32 s8, s56, 15
	s_add_i32 s6, s8, 1
	s_and_b32 s9, s6, 30
	s_add_u32 s6, s22, 0xffffffec
	s_addc_u32 s7, s23, -1
	v_mov_b32_e32 v40, 0
	v_mov_b32_e32 v3, v1
	v_mov_b32_e32 v44, 0
	v_mov_b32_e32 v42, 0
.LBB190_75:                             ; =>This Inner Loop Header: Depth=1
	s_mov_b64 s[10:11], s[6:7]
	s_load_dwordx4 s[12:15], s[10:11], 0x18
	s_load_dwordx2 s[20:21], s[10:11], 0x28
	s_waitcnt lgkmcnt(0)
	s_load_dwordx2 s[24:25], s[10:11], 0xe8
	s_load_dwordx4 s[16:19], s[10:11], 0xd8
	s_add_u32 s6, s10, 24
	v_mul_hi_u32 v5, s13, v3
	v_add_u32_e32 v5, v3, v5
	v_lshrrev_b32_e32 v5, s14, v5
	v_mul_lo_u32 v6, v5, s12
	v_mul_hi_u32 v7, s20, v5
	v_sub_u32_e32 v3, v3, v6
	v_add_u32_e32 v6, v5, v7
	s_waitcnt lgkmcnt(0)
	v_mul_lo_u32 v7, v3, s16
	v_mul_lo_u32 v8, v3, s17
	;; [unrolled: 1-line block ×3, first 2 shown]
	v_lshrrev_b32_e32 v3, s21, v6
	v_mul_lo_u32 v6, v3, s15
	v_sub_u32_e32 v5, v5, v6
	s_addc_u32 s7, s11, 0
	s_add_i32 s9, s9, -2
	v_mul_lo_u32 v6, v5, s19
	v_mul_lo_u32 v10, v5, s24
	;; [unrolled: 1-line block ×3, first 2 shown]
	s_cmp_lg_u32 s9, 0
	v_add3_u32 v40, v7, v40, v6
	v_add3_u32 v42, v9, v42, v5
	;; [unrolled: 1-line block ×3, first 2 shown]
	s_cbranch_scc1 .LBB190_75
; %bb.76:
	s_bitcmp1_b32 s8, 0
	s_cselect_b64 s[8:9], -1, 0
	s_and_b64 vcc, exec, s[8:9]
	s_cbranch_vccnz .LBB190_79
; %bb.77:
	s_load_dwordx2 s[8:9], s[6:7], 0x18
	s_load_dword s12, s[6:7], 0x20
	s_load_dword s13, s[6:7], 0xe0
	s_load_dwordx2 s[10:11], s[6:7], 0xd8
	s_waitcnt lgkmcnt(0)
	v_mul_hi_u32 v5, s9, v3
	v_add_u32_e32 v5, v3, v5
	v_lshrrev_b32_e32 v5, s12, v5
	v_mul_lo_u32 v5, v5, s8
	v_sub_u32_e32 v3, v3, v5
	v_mad_u64_u32 v[40:41], s[6:7], v3, s10, v[40:41]
	v_mad_u64_u32 v[44:45], s[6:7], v3, s11, v[44:45]
	;; [unrolled: 1-line block ×3, first 2 shown]
	s_cbranch_execz .LBB190_80
	s_branch .LBB190_82
.LBB190_78:
                                        ; implicit-def: $vgpr42
                                        ; implicit-def: $vgpr44
                                        ; implicit-def: $vgpr40
	s_branch .LBB190_80
.LBB190_79:
	s_cbranch_execnz .LBB190_82
.LBB190_80:
	s_load_dwordx4 s[8:11], s[22:23], 0x4
	s_load_dwordx4 s[12:15], s[22:23], 0xc4
	s_cmp_lt_u32 s33, 2
	s_waitcnt lgkmcnt(0)
	v_mul_hi_u32 v3, s9, v1
	v_add_u32_e32 v3, v1, v3
	v_lshrrev_b32_e32 v3, s10, v3
	v_mul_lo_u32 v5, v3, s8
	v_sub_u32_e32 v1, v1, v5
	v_mul_lo_u32 v40, v1, s12
	v_mul_lo_u32 v42, v1, s14
	;; [unrolled: 1-line block ×3, first 2 shown]
	s_cbranch_scc1 .LBB190_82
; %bb.81:
	s_load_dwordx4 s[8:11], s[22:23], 0x10
	s_load_dwordx4 s[12:15], s[22:23], 0xd0
	s_waitcnt lgkmcnt(0)
	v_mul_hi_u32 v1, s9, v3
	v_add_u32_e32 v1, v3, v1
	v_lshrrev_b32_e32 v1, s10, v1
	v_mul_lo_u32 v1, v1, s8
	v_sub_u32_e32 v1, v3, v1
	v_mad_u64_u32 v[40:41], s[6:7], v1, s12, v[40:41]
	v_mad_u64_u32 v[44:45], s[6:7], v1, s13, v[44:45]
	;; [unrolled: 1-line block ×3, first 2 shown]
.LBB190_82:
	s_and_b64 vcc, exec, s[4:5]
	s_cbranch_vccnz .LBB190_88
; %bb.83:
	s_cmp_lg_u32 s33, 0
	v_mov_b32_e32 v48, 0
	v_mov_b32_e32 v50, 0
	v_mov_b32_e32 v46, 0
	s_cbranch_scc0 .LBB190_89
; %bb.84:
	s_min_u32 s6, s56, 15
	s_add_i32 s4, s6, 1
	s_and_b32 s7, s4, 30
	s_add_u32 s4, s22, 0xffffffec
	s_addc_u32 s5, s23, -1
	v_mov_b32_e32 v46, 0
	v_mov_b32_e32 v1, v4
	;; [unrolled: 1-line block ×4, first 2 shown]
.LBB190_85:                             ; =>This Inner Loop Header: Depth=1
	s_mov_b64 s[16:17], s[4:5]
	s_load_dwordx4 s[8:11], s[16:17], 0x18
	s_load_dwordx2 s[18:19], s[16:17], 0x28
	s_load_dwordx2 s[20:21], s[16:17], 0xe8
	s_load_dwordx4 s[12:15], s[16:17], 0xd8
	s_add_u32 s4, s16, 24
	s_waitcnt lgkmcnt(0)
	v_mul_hi_u32 v3, s9, v1
	v_add_u32_e32 v3, v1, v3
	v_lshrrev_b32_e32 v3, s10, v3
	v_mul_lo_u32 v5, v3, s8
	v_mul_hi_u32 v6, s18, v3
	v_sub_u32_e32 v1, v1, v5
	v_add_u32_e32 v5, v3, v6
	v_mul_lo_u32 v6, v1, s12
	v_mul_lo_u32 v7, v1, s13
	;; [unrolled: 1-line block ×3, first 2 shown]
	v_lshrrev_b32_e32 v1, s19, v5
	v_mul_lo_u32 v5, v1, s11
	v_sub_u32_e32 v3, v3, v5
	s_addc_u32 s5, s17, 0
	s_add_i32 s7, s7, -2
	v_mul_lo_u32 v5, v3, s15
	v_mul_lo_u32 v9, v3, s20
	;; [unrolled: 1-line block ×3, first 2 shown]
	s_cmp_lg_u32 s7, 0
	v_add3_u32 v46, v6, v46, v5
	v_add3_u32 v48, v8, v48, v3
	;; [unrolled: 1-line block ×3, first 2 shown]
	s_cbranch_scc1 .LBB190_85
; %bb.86:
	s_bitcmp1_b32 s6, 0
	s_cselect_b64 s[6:7], -1, 0
	s_and_b64 vcc, exec, s[6:7]
	s_cbranch_vccnz .LBB190_89
; %bb.87:
	s_load_dwordx2 s[6:7], s[4:5], 0x18
	s_load_dword s10, s[4:5], 0x20
	s_load_dword s11, s[4:5], 0xe0
	s_load_dwordx2 s[8:9], s[4:5], 0xd8
	s_waitcnt lgkmcnt(0)
	v_mul_hi_u32 v3, s7, v1
	v_add_u32_e32 v3, v1, v3
	v_lshrrev_b32_e32 v3, s10, v3
	v_mul_lo_u32 v3, v3, s6
	v_sub_u32_e32 v1, v1, v3
	v_mad_u64_u32 v[46:47], s[4:5], v1, s8, v[46:47]
	v_mad_u64_u32 v[50:51], s[4:5], v1, s9, v[50:51]
	;; [unrolled: 1-line block ×3, first 2 shown]
	s_cbranch_execz .LBB190_90
	s_branch .LBB190_92
.LBB190_88:
                                        ; implicit-def: $vgpr48
                                        ; implicit-def: $vgpr50
                                        ; implicit-def: $vgpr46
	s_branch .LBB190_90
.LBB190_89:
	s_cbranch_execnz .LBB190_92
.LBB190_90:
	s_load_dwordx4 s[4:7], s[22:23], 0x4
	s_load_dwordx4 s[8:11], s[22:23], 0xc4
	s_cmp_lt_u32 s33, 2
	s_waitcnt lgkmcnt(0)
	v_mul_hi_u32 v1, s5, v4
	v_add_u32_e32 v1, v4, v1
	v_lshrrev_b32_e32 v1, s6, v1
	v_mul_lo_u32 v3, v1, s4
	v_sub_u32_e32 v3, v4, v3
	v_mul_lo_u32 v46, v3, s8
	v_mul_lo_u32 v48, v3, s10
	;; [unrolled: 1-line block ×3, first 2 shown]
	s_cbranch_scc1 .LBB190_92
; %bb.91:
	s_load_dwordx4 s[4:7], s[22:23], 0x10
	s_load_dwordx4 s[8:11], s[22:23], 0xd0
	s_waitcnt lgkmcnt(0)
	v_mul_hi_u32 v3, s5, v1
	v_add_u32_e32 v3, v1, v3
	v_lshrrev_b32_e32 v3, s6, v3
	v_mul_lo_u32 v3, v3, s4
	v_sub_u32_e32 v1, v1, v3
	v_mad_u64_u32 v[46:47], s[4:5], v1, s8, v[46:47]
	v_mad_u64_u32 v[50:51], s[4:5], v1, s9, v[50:51]
	;; [unrolled: 1-line block ×3, first 2 shown]
.LBB190_92:
	s_waitcnt lgkmcnt(0)
	s_load_dwordx4 s[24:27], s[22:23], 0x188
	s_load_dwordx2 s[28:29], s[22:23], 0x198
	s_getpc_b64 s[22:23]
	s_add_u32 s22, s22, _ZZZZN2at6native33launch_standard_gamma_grad_kernelERNS_18TensorIteratorBaseEENKUlvE_clEvENKUlvE0_clEvENKUlffE_clEff@rel32@lo+4
	s_addc_u32 s23, s23, _ZZZZN2at6native33launch_standard_gamma_grad_kernelERNS_18TensorIteratorBaseEENKUlvE_clEvENKUlvE0_clEvENKUlffE_clEff@rel32@hi+12
	s_waitcnt lgkmcnt(0)
	global_load_ushort v3, v2, s[26:27]
	global_load_dword v1, v0, s[28:29]
	s_waitcnt vmcnt(1)
	v_lshlrev_b32_e32 v0, 16, v3
	s_swappc_b64 s[30:31], s[22:23]
	v_mov_b32_e32 v30, v0
	global_load_ushort v0, v38, s[26:27]
	global_load_dword v1, v32, s[28:29]
	s_waitcnt vmcnt(1)
	v_lshlrev_b32_e32 v0, 16, v0
	s_swappc_b64 s[30:31], s[22:23]
	v_mov_b32_e32 v31, v0
	;; [unrolled: 6-line block ×3, first 2 shown]
	global_load_ushort v0, v50, s[26:27]
	global_load_dword v1, v48, s[28:29]
	s_waitcnt vmcnt(1)
	v_lshlrev_b32_e32 v0, 16, v0
	s_swappc_b64 s[30:31], s[22:23]
	global_store_dword v34, v30, s[24:25]
	global_store_dword v36, v31, s[24:25]
	;; [unrolled: 1-line block ×4, first 2 shown]
	s_endpgm
	.section	.rodata,"a",@progbits
	.p2align	6, 0x0
	.amdhsa_kernel _ZN2at6native32elementwise_kernel_manual_unrollILi128ELi4EZNS0_12_GLOBAL__N_142type_specialized_broadcast_kernel_launcherILi1EE5applyIZZZNS0_33launch_standard_gamma_grad_kernelERNS_18TensorIteratorBaseEENKUlvE_clEvENKUlvE0_clEvEUlffE_St5arrayIPcLm3EESB_IN3c1010ScalarTypeELm3EE16OffsetCalculatorILi3EjLb0EEEEvlT_T0_T1_T2_EUlibE_EEviSL_
		.amdhsa_group_segment_fixed_size 0
		.amdhsa_private_segment_fixed_size 0
		.amdhsa_kernarg_size 432
		.amdhsa_user_sgpr_count 8
		.amdhsa_user_sgpr_private_segment_buffer 1
		.amdhsa_user_sgpr_dispatch_ptr 0
		.amdhsa_user_sgpr_queue_ptr 0
		.amdhsa_user_sgpr_kernarg_segment_ptr 1
		.amdhsa_user_sgpr_dispatch_id 0
		.amdhsa_user_sgpr_flat_scratch_init 1
		.amdhsa_user_sgpr_kernarg_preload_length 0
		.amdhsa_user_sgpr_kernarg_preload_offset 0
		.amdhsa_user_sgpr_private_segment_size 0
		.amdhsa_uses_dynamic_stack 0
		.amdhsa_system_sgpr_private_segment_wavefront_offset 0
		.amdhsa_system_sgpr_workgroup_id_x 1
		.amdhsa_system_sgpr_workgroup_id_y 0
		.amdhsa_system_sgpr_workgroup_id_z 0
		.amdhsa_system_sgpr_workgroup_info 0
		.amdhsa_system_vgpr_workitem_id 0
		.amdhsa_next_free_vgpr 52
		.amdhsa_next_free_sgpr 59
		.amdhsa_accum_offset 52
		.amdhsa_reserve_vcc 1
		.amdhsa_reserve_flat_scratch 1
		.amdhsa_float_round_mode_32 0
		.amdhsa_float_round_mode_16_64 0
		.amdhsa_float_denorm_mode_32 3
		.amdhsa_float_denorm_mode_16_64 3
		.amdhsa_dx10_clamp 1
		.amdhsa_ieee_mode 1
		.amdhsa_fp16_overflow 0
		.amdhsa_tg_split 0
		.amdhsa_exception_fp_ieee_invalid_op 0
		.amdhsa_exception_fp_denorm_src 0
		.amdhsa_exception_fp_ieee_div_zero 0
		.amdhsa_exception_fp_ieee_overflow 0
		.amdhsa_exception_fp_ieee_underflow 0
		.amdhsa_exception_fp_ieee_inexact 0
		.amdhsa_exception_int_div_zero 0
	.end_amdhsa_kernel
	.section	.text._ZN2at6native32elementwise_kernel_manual_unrollILi128ELi4EZNS0_12_GLOBAL__N_142type_specialized_broadcast_kernel_launcherILi1EE5applyIZZZNS0_33launch_standard_gamma_grad_kernelERNS_18TensorIteratorBaseEENKUlvE_clEvENKUlvE0_clEvEUlffE_St5arrayIPcLm3EESB_IN3c1010ScalarTypeELm3EE16OffsetCalculatorILi3EjLb0EEEEvlT_T0_T1_T2_EUlibE_EEviSL_,"axG",@progbits,_ZN2at6native32elementwise_kernel_manual_unrollILi128ELi4EZNS0_12_GLOBAL__N_142type_specialized_broadcast_kernel_launcherILi1EE5applyIZZZNS0_33launch_standard_gamma_grad_kernelERNS_18TensorIteratorBaseEENKUlvE_clEvENKUlvE0_clEvEUlffE_St5arrayIPcLm3EESB_IN3c1010ScalarTypeELm3EE16OffsetCalculatorILi3EjLb0EEEEvlT_T0_T1_T2_EUlibE_EEviSL_,comdat
.Lfunc_end190:
	.size	_ZN2at6native32elementwise_kernel_manual_unrollILi128ELi4EZNS0_12_GLOBAL__N_142type_specialized_broadcast_kernel_launcherILi1EE5applyIZZZNS0_33launch_standard_gamma_grad_kernelERNS_18TensorIteratorBaseEENKUlvE_clEvENKUlvE0_clEvEUlffE_St5arrayIPcLm3EESB_IN3c1010ScalarTypeELm3EE16OffsetCalculatorILi3EjLb0EEEEvlT_T0_T1_T2_EUlibE_EEviSL_, .Lfunc_end190-_ZN2at6native32elementwise_kernel_manual_unrollILi128ELi4EZNS0_12_GLOBAL__N_142type_specialized_broadcast_kernel_launcherILi1EE5applyIZZZNS0_33launch_standard_gamma_grad_kernelERNS_18TensorIteratorBaseEENKUlvE_clEvENKUlvE0_clEvEUlffE_St5arrayIPcLm3EESB_IN3c1010ScalarTypeELm3EE16OffsetCalculatorILi3EjLb0EEEEvlT_T0_T1_T2_EUlibE_EEviSL_
                                        ; -- End function
	.section	.AMDGPU.csdata,"",@progbits
; Kernel info:
; codeLenInByte = 4832
; NumSgprs: 65
; NumVgprs: 52
; NumAgprs: 0
; TotalNumVgprs: 52
; ScratchSize: 0
; MemoryBound: 0
; FloatMode: 240
; IeeeMode: 1
; LDSByteSize: 0 bytes/workgroup (compile time only)
; SGPRBlocks: 8
; VGPRBlocks: 6
; NumSGPRsForWavesPerEU: 65
; NumVGPRsForWavesPerEU: 52
; AccumOffset: 52
; Occupancy: 8
; WaveLimiterHint : 1
; COMPUTE_PGM_RSRC2:SCRATCH_EN: 0
; COMPUTE_PGM_RSRC2:USER_SGPR: 8
; COMPUTE_PGM_RSRC2:TRAP_HANDLER: 0
; COMPUTE_PGM_RSRC2:TGID_X_EN: 1
; COMPUTE_PGM_RSRC2:TGID_Y_EN: 0
; COMPUTE_PGM_RSRC2:TGID_Z_EN: 0
; COMPUTE_PGM_RSRC2:TIDIG_COMP_CNT: 0
; COMPUTE_PGM_RSRC3_GFX90A:ACCUM_OFFSET: 12
; COMPUTE_PGM_RSRC3_GFX90A:TG_SPLIT: 0
	.section	.text._ZN2at6native32elementwise_kernel_manual_unrollILi128ELi4EZNS0_12_GLOBAL__N_142type_specialized_broadcast_kernel_launcherILi2EE5applyIZZZNS0_33launch_standard_gamma_grad_kernelERNS_18TensorIteratorBaseEENKUlvE_clEvENKUlvE0_clEvEUlffE_St5arrayIPcLm3EESB_IN3c1010ScalarTypeELm3EE16OffsetCalculatorILi3EjLb0EEEEvlT_T0_T1_T2_EUlibE_EEviSL_,"axG",@progbits,_ZN2at6native32elementwise_kernel_manual_unrollILi128ELi4EZNS0_12_GLOBAL__N_142type_specialized_broadcast_kernel_launcherILi2EE5applyIZZZNS0_33launch_standard_gamma_grad_kernelERNS_18TensorIteratorBaseEENKUlvE_clEvENKUlvE0_clEvEUlffE_St5arrayIPcLm3EESB_IN3c1010ScalarTypeELm3EE16OffsetCalculatorILi3EjLb0EEEEvlT_T0_T1_T2_EUlibE_EEviSL_,comdat
	.globl	_ZN2at6native32elementwise_kernel_manual_unrollILi128ELi4EZNS0_12_GLOBAL__N_142type_specialized_broadcast_kernel_launcherILi2EE5applyIZZZNS0_33launch_standard_gamma_grad_kernelERNS_18TensorIteratorBaseEENKUlvE_clEvENKUlvE0_clEvEUlffE_St5arrayIPcLm3EESB_IN3c1010ScalarTypeELm3EE16OffsetCalculatorILi3EjLb0EEEEvlT_T0_T1_T2_EUlibE_EEviSL_ ; -- Begin function _ZN2at6native32elementwise_kernel_manual_unrollILi128ELi4EZNS0_12_GLOBAL__N_142type_specialized_broadcast_kernel_launcherILi2EE5applyIZZZNS0_33launch_standard_gamma_grad_kernelERNS_18TensorIteratorBaseEENKUlvE_clEvENKUlvE0_clEvEUlffE_St5arrayIPcLm3EESB_IN3c1010ScalarTypeELm3EE16OffsetCalculatorILi3EjLb0EEEEvlT_T0_T1_T2_EUlibE_EEviSL_
	.p2align	8
	.type	_ZN2at6native32elementwise_kernel_manual_unrollILi128ELi4EZNS0_12_GLOBAL__N_142type_specialized_broadcast_kernel_launcherILi2EE5applyIZZZNS0_33launch_standard_gamma_grad_kernelERNS_18TensorIteratorBaseEENKUlvE_clEvENKUlvE0_clEvEUlffE_St5arrayIPcLm3EESB_IN3c1010ScalarTypeELm3EE16OffsetCalculatorILi3EjLb0EEEEvlT_T0_T1_T2_EUlibE_EEviSL_,@function
_ZN2at6native32elementwise_kernel_manual_unrollILi128ELi4EZNS0_12_GLOBAL__N_142type_specialized_broadcast_kernel_launcherILi2EE5applyIZZZNS0_33launch_standard_gamma_grad_kernelERNS_18TensorIteratorBaseEENKUlvE_clEvENKUlvE0_clEvEUlffE_St5arrayIPcLm3EESB_IN3c1010ScalarTypeELm3EE16OffsetCalculatorILi3EjLb0EEEEvlT_T0_T1_T2_EUlibE_EEviSL_: ; @_ZN2at6native32elementwise_kernel_manual_unrollILi128ELi4EZNS0_12_GLOBAL__N_142type_specialized_broadcast_kernel_launcherILi2EE5applyIZZZNS0_33launch_standard_gamma_grad_kernelERNS_18TensorIteratorBaseEENKUlvE_clEvENKUlvE0_clEvEUlffE_St5arrayIPcLm3EESB_IN3c1010ScalarTypeELm3EE16OffsetCalculatorILi3EjLb0EEEEvlT_T0_T1_T2_EUlibE_EEviSL_
; %bb.0:
	s_load_dword s58, s[4:5], 0x0
	s_load_dword s33, s[4:5], 0x8
	s_add_u32 flat_scratch_lo, s6, s9
	s_addc_u32 flat_scratch_hi, s7, 0
	s_add_u32 s0, s0, s9
	s_mov_b64 s[22:23], s[4:5]
	s_addc_u32 s1, s1, 0
	s_or_b32 s22, s22, 8
	v_lshl_or_b32 v40, s8, 9, v0
	s_waitcnt lgkmcnt(0)
	s_add_i32 s56, s33, -1
	v_or_b32_e32 v6, 0x180, v40
	s_cmp_gt_u32 s56, 1
	v_cmp_le_i32_e32 vcc, s58, v6
	s_cselect_b64 s[28:29], -1, 0
	s_mov_b64 s[36:37], 0
	s_mov_b32 s32, 0
                                        ; implicit-def: $vgpr50_vgpr51
                                        ; implicit-def: $vgpr0
	s_and_saveexec_b64 s[4:5], vcc
	s_xor_b64 s[34:35], exec, s[4:5]
	s_cbranch_execnz .LBB191_4
; %bb.1:
	s_andn2_saveexec_b64 s[34:35], s[34:35]
	s_cbranch_execnz .LBB191_53
.LBB191_2:
	s_or_b64 exec, exec, s[34:35]
	s_and_saveexec_b64 s[4:5], s[36:37]
	s_cbranch_execnz .LBB191_94
.LBB191_3:
	s_endpgm
.LBB191_4:
	s_load_dwordx4 s[40:43], s[22:23], 0x4
	s_load_dwordx2 s[48:49], s[22:23], 0x14
	s_load_dwordx4 s[36:39], s[22:23], 0xc4
	s_load_dwordx2 s[46:47], s[22:23], 0xd4
	s_load_dwordx2 s[44:45], s[22:23], 0x198
	s_load_dwordx4 s[24:27], s[22:23], 0x188
	s_cmp_lg_u32 s33, 0
	s_cselect_b64 s[52:53], -1, 0
	s_min_u32 s57, s56, 15
	s_cmp_gt_u32 s33, 1
	s_cselect_b64 s[50:51], -1, 0
	v_cmp_gt_i32_e32 vcc, s58, v40
	s_and_saveexec_b64 s[54:55], vcc
	s_cbranch_execnz .LBB191_7
; %bb.5:
	s_or_b64 exec, exec, s[54:55]
	v_cmp_gt_i32_e32 vcc, s58, v40
	s_and_saveexec_b64 s[54:55], vcc
	s_cbranch_execnz .LBB191_18
.LBB191_6:
	s_or_b64 exec, exec, s[54:55]
	v_cmp_gt_i32_e32 vcc, s58, v40
	s_and_saveexec_b64 s[54:55], vcc
	s_cbranch_execnz .LBB191_29
	s_branch .LBB191_40
.LBB191_7:
	s_andn2_b64 vcc, exec, s[28:29]
	s_cbranch_vccnz .LBB191_14
; %bb.8:
	s_andn2_b64 vcc, exec, s[52:53]
	v_mov_b32_e32 v0, 0
	v_mov_b32_e32 v2, 0
	;; [unrolled: 1-line block ×3, first 2 shown]
	s_cbranch_vccnz .LBB191_13
; %bb.9:
	s_add_i32 s4, s57, 1
	s_and_b32 s6, s4, 30
	s_add_u32 s4, s22, 0xffffffec
	s_addc_u32 s5, s23, -1
	v_mov_b32_e32 v30, 0
	v_mov_b32_e32 v1, v40
	;; [unrolled: 1-line block ×4, first 2 shown]
.LBB191_10:                             ; =>This Inner Loop Header: Depth=1
	s_mov_b64 s[16:17], s[4:5]
	s_load_dwordx4 s[8:11], s[16:17], 0x18
	s_load_dwordx2 s[18:19], s[16:17], 0x28
	s_load_dwordx2 s[20:21], s[16:17], 0xe8
	s_load_dwordx4 s[12:15], s[16:17], 0xd8
	s_add_u32 s4, s16, 24
	s_waitcnt lgkmcnt(0)
	v_mul_hi_u32 v3, s9, v1
	v_add_u32_e32 v3, v1, v3
	v_lshrrev_b32_e32 v3, s10, v3
	v_mul_lo_u32 v4, v3, s8
	v_mul_hi_u32 v5, s18, v3
	v_sub_u32_e32 v1, v1, v4
	v_add_u32_e32 v4, v3, v5
	v_mul_lo_u32 v5, v1, s12
	v_mul_lo_u32 v6, v1, s13
	;; [unrolled: 1-line block ×3, first 2 shown]
	v_lshrrev_b32_e32 v1, s19, v4
	v_mul_lo_u32 v4, v1, s11
	v_sub_u32_e32 v3, v3, v4
	s_addc_u32 s5, s17, 0
	s_add_i32 s6, s6, -2
	v_mul_lo_u32 v4, v3, s15
	v_mul_lo_u32 v8, v3, s20
	;; [unrolled: 1-line block ×3, first 2 shown]
	s_cmp_lg_u32 s6, 0
	v_add3_u32 v30, v5, v30, v4
	v_add3_u32 v0, v7, v0, v3
	v_add3_u32 v2, v6, v2, v8
	s_cbranch_scc1 .LBB191_10
; %bb.11:
	s_bitcmp1_b32 s57, 0
	s_cselect_b64 s[6:7], -1, 0
	s_and_b64 vcc, exec, s[6:7]
	s_cbranch_vccnz .LBB191_13
; %bb.12:
	s_load_dwordx2 s[6:7], s[4:5], 0x18
	s_load_dword s10, s[4:5], 0x20
	s_load_dword s11, s[4:5], 0xe0
	s_load_dwordx2 s[8:9], s[4:5], 0xd8
	s_waitcnt lgkmcnt(0)
	v_mul_hi_u32 v3, s7, v1
	v_add_u32_e32 v3, v1, v3
	v_lshrrev_b32_e32 v3, s10, v3
	v_mul_lo_u32 v3, v3, s6
	v_sub_u32_e32 v1, v1, v3
	v_mad_u64_u32 v[30:31], s[4:5], v1, s8, v[30:31]
	v_mad_u64_u32 v[2:3], s[4:5], v1, s9, v[2:3]
	;; [unrolled: 1-line block ×3, first 2 shown]
.LBB191_13:
	s_cbranch_execz .LBB191_15
	s_branch .LBB191_17
.LBB191_14:
                                        ; implicit-def: $vgpr0
                                        ; implicit-def: $vgpr2
                                        ; implicit-def: $vgpr30
.LBB191_15:
	s_waitcnt lgkmcnt(0)
	v_mul_hi_u32 v0, s41, v40
	v_add_u32_e32 v0, v40, v0
	v_lshrrev_b32_e32 v1, s42, v0
	v_mul_lo_u32 v0, v1, s40
	v_sub_u32_e32 v2, v40, v0
	v_mul_lo_u32 v30, v2, s36
	v_mul_lo_u32 v0, v2, s38
	s_andn2_b64 vcc, exec, s[50:51]
	v_mul_lo_u32 v2, v2, s37
	s_cbranch_vccnz .LBB191_17
; %bb.16:
	v_mul_hi_u32 v3, s48, v1
	v_add_u32_e32 v3, v1, v3
	v_lshrrev_b32_e32 v3, s49, v3
	v_mul_lo_u32 v3, v3, s43
	v_sub_u32_e32 v1, v1, v3
	v_mad_u64_u32 v[30:31], s[4:5], v1, s39, v[30:31]
	v_mad_u64_u32 v[2:3], s[4:5], v1, s46, v[2:3]
	;; [unrolled: 1-line block ×3, first 2 shown]
.LBB191_17:
	s_waitcnt lgkmcnt(0)
	global_load_ushort v3, v2, s[26:27]
	global_load_dword v1, v0, s[44:45]
	s_getpc_b64 s[4:5]
	s_add_u32 s4, s4, _ZZZZN2at6native33launch_standard_gamma_grad_kernelERNS_18TensorIteratorBaseEENKUlvE_clEvENKUlvE0_clEvENKUlffE_clEff@rel32@lo+4
	s_addc_u32 s5, s5, _ZZZZN2at6native33launch_standard_gamma_grad_kernelERNS_18TensorIteratorBaseEENKUlvE_clEvENKUlvE0_clEvENKUlffE_clEff@rel32@hi+12
	s_waitcnt vmcnt(1)
	v_lshlrev_b32_e32 v0, 16, v3
	s_swappc_b64 s[30:31], s[4:5]
	v_bfe_u32 v1, v0, 16, 1
	s_movk_i32 s4, 0x7fff
	v_add3_u32 v1, v0, v1, s4
	v_lshrrev_b32_e32 v1, 16, v1
	v_mov_b32_e32 v2, 0x7fc0
	v_cmp_o_f32_e32 vcc, v0, v0
	v_cndmask_b32_e32 v0, v2, v1, vcc
	v_add_u32_e32 v40, 0x80, v40
	global_store_short v30, v0, s[24:25]
	s_or_b64 exec, exec, s[54:55]
	v_cmp_gt_i32_e32 vcc, s58, v40
	s_and_saveexec_b64 s[54:55], vcc
	s_cbranch_execz .LBB191_6
.LBB191_18:
	s_andn2_b64 vcc, exec, s[28:29]
	s_cbranch_vccnz .LBB191_25
; %bb.19:
	s_andn2_b64 vcc, exec, s[52:53]
	v_mov_b32_e32 v0, 0
	v_mov_b32_e32 v2, 0
	;; [unrolled: 1-line block ×3, first 2 shown]
	s_cbranch_vccnz .LBB191_24
; %bb.20:
	s_add_i32 s4, s57, 1
	s_and_b32 s6, s4, 30
	s_add_u32 s4, s22, 0xffffffec
	s_addc_u32 s5, s23, -1
	v_mov_b32_e32 v30, 0
	v_mov_b32_e32 v1, v40
	;; [unrolled: 1-line block ×4, first 2 shown]
.LBB191_21:                             ; =>This Inner Loop Header: Depth=1
	s_mov_b64 s[16:17], s[4:5]
	s_load_dwordx4 s[8:11], s[16:17], 0x18
	s_load_dwordx2 s[18:19], s[16:17], 0x28
	s_load_dwordx2 s[20:21], s[16:17], 0xe8
	s_load_dwordx4 s[12:15], s[16:17], 0xd8
	s_add_u32 s4, s16, 24
	s_waitcnt lgkmcnt(0)
	v_mul_hi_u32 v3, s9, v1
	v_add_u32_e32 v3, v1, v3
	v_lshrrev_b32_e32 v3, s10, v3
	v_mul_lo_u32 v4, v3, s8
	v_mul_hi_u32 v5, s18, v3
	v_sub_u32_e32 v1, v1, v4
	v_add_u32_e32 v4, v3, v5
	v_mul_lo_u32 v5, v1, s12
	v_mul_lo_u32 v6, v1, s13
	;; [unrolled: 1-line block ×3, first 2 shown]
	v_lshrrev_b32_e32 v1, s19, v4
	v_mul_lo_u32 v4, v1, s11
	v_sub_u32_e32 v3, v3, v4
	s_addc_u32 s5, s17, 0
	s_add_i32 s6, s6, -2
	v_mul_lo_u32 v4, v3, s15
	v_mul_lo_u32 v8, v3, s20
	;; [unrolled: 1-line block ×3, first 2 shown]
	s_cmp_eq_u32 s6, 0
	v_add3_u32 v30, v5, v30, v4
	v_add3_u32 v0, v7, v0, v3
	;; [unrolled: 1-line block ×3, first 2 shown]
	s_cbranch_scc0 .LBB191_21
; %bb.22:
	s_bitcmp1_b32 s57, 0
	s_cselect_b64 s[6:7], -1, 0
	s_and_b64 vcc, exec, s[6:7]
	s_cbranch_vccnz .LBB191_24
; %bb.23:
	s_load_dwordx2 s[6:7], s[4:5], 0x18
	s_load_dword s10, s[4:5], 0x20
	s_load_dword s11, s[4:5], 0xe0
	s_load_dwordx2 s[8:9], s[4:5], 0xd8
	s_waitcnt lgkmcnt(0)
	v_mul_hi_u32 v3, s7, v1
	v_add_u32_e32 v3, v1, v3
	v_lshrrev_b32_e32 v3, s10, v3
	v_mul_lo_u32 v3, v3, s6
	v_sub_u32_e32 v1, v1, v3
	v_mad_u64_u32 v[30:31], s[4:5], v1, s8, v[30:31]
	v_mad_u64_u32 v[2:3], s[4:5], v1, s9, v[2:3]
	;; [unrolled: 1-line block ×3, first 2 shown]
.LBB191_24:
	s_cbranch_execz .LBB191_26
	s_branch .LBB191_28
.LBB191_25:
                                        ; implicit-def: $vgpr0
                                        ; implicit-def: $vgpr2
                                        ; implicit-def: $vgpr30
.LBB191_26:
	s_waitcnt lgkmcnt(0)
	v_mul_hi_u32 v0, s41, v40
	v_add_u32_e32 v0, v40, v0
	v_lshrrev_b32_e32 v1, s42, v0
	v_mul_lo_u32 v0, v1, s40
	v_sub_u32_e32 v2, v40, v0
	v_mul_lo_u32 v30, v2, s36
	v_mul_lo_u32 v0, v2, s38
	s_andn2_b64 vcc, exec, s[50:51]
	v_mul_lo_u32 v2, v2, s37
	s_cbranch_vccnz .LBB191_28
; %bb.27:
	v_mul_hi_u32 v3, s48, v1
	v_add_u32_e32 v3, v1, v3
	v_lshrrev_b32_e32 v3, s49, v3
	v_mul_lo_u32 v3, v3, s43
	v_sub_u32_e32 v1, v1, v3
	v_mad_u64_u32 v[30:31], s[4:5], v1, s39, v[30:31]
	v_mad_u64_u32 v[2:3], s[4:5], v1, s46, v[2:3]
	;; [unrolled: 1-line block ×3, first 2 shown]
.LBB191_28:
	s_waitcnt lgkmcnt(0)
	global_load_ushort v3, v2, s[26:27]
	global_load_dword v1, v0, s[44:45]
	s_getpc_b64 s[4:5]
	s_add_u32 s4, s4, _ZZZZN2at6native33launch_standard_gamma_grad_kernelERNS_18TensorIteratorBaseEENKUlvE_clEvENKUlvE0_clEvENKUlffE_clEff@rel32@lo+4
	s_addc_u32 s5, s5, _ZZZZN2at6native33launch_standard_gamma_grad_kernelERNS_18TensorIteratorBaseEENKUlvE_clEvENKUlvE0_clEvENKUlffE_clEff@rel32@hi+12
	s_waitcnt vmcnt(1)
	v_lshlrev_b32_e32 v0, 16, v3
	s_swappc_b64 s[30:31], s[4:5]
	v_bfe_u32 v1, v0, 16, 1
	s_movk_i32 s4, 0x7fff
	v_add3_u32 v1, v0, v1, s4
	v_lshrrev_b32_e32 v1, 16, v1
	v_mov_b32_e32 v2, 0x7fc0
	v_cmp_o_f32_e32 vcc, v0, v0
	v_cndmask_b32_e32 v0, v2, v1, vcc
	v_add_u32_e32 v40, 0x80, v40
	global_store_short v30, v0, s[24:25]
	s_or_b64 exec, exec, s[54:55]
	v_cmp_gt_i32_e32 vcc, s58, v40
	s_and_saveexec_b64 s[54:55], vcc
	s_cbranch_execz .LBB191_40
.LBB191_29:
	s_andn2_b64 vcc, exec, s[28:29]
	s_cbranch_vccnz .LBB191_36
; %bb.30:
	s_andn2_b64 vcc, exec, s[52:53]
	v_mov_b32_e32 v0, 0
	v_mov_b32_e32 v2, 0
	;; [unrolled: 1-line block ×3, first 2 shown]
	s_cbranch_vccnz .LBB191_35
; %bb.31:
	s_add_i32 s4, s57, 1
	s_and_b32 s6, s4, 30
	s_add_u32 s4, s22, 0xffffffec
	s_addc_u32 s5, s23, -1
	v_mov_b32_e32 v30, 0
	v_mov_b32_e32 v1, v40
	;; [unrolled: 1-line block ×4, first 2 shown]
.LBB191_32:                             ; =>This Inner Loop Header: Depth=1
	s_mov_b64 s[16:17], s[4:5]
	s_load_dwordx4 s[8:11], s[16:17], 0x18
	s_load_dwordx2 s[18:19], s[16:17], 0x28
	s_load_dwordx2 s[20:21], s[16:17], 0xe8
	s_load_dwordx4 s[12:15], s[16:17], 0xd8
	s_add_u32 s4, s16, 24
	s_waitcnt lgkmcnt(0)
	v_mul_hi_u32 v3, s9, v1
	v_add_u32_e32 v3, v1, v3
	v_lshrrev_b32_e32 v3, s10, v3
	v_mul_lo_u32 v4, v3, s8
	v_mul_hi_u32 v5, s18, v3
	v_sub_u32_e32 v1, v1, v4
	v_add_u32_e32 v4, v3, v5
	v_mul_lo_u32 v5, v1, s12
	v_mul_lo_u32 v6, v1, s13
	;; [unrolled: 1-line block ×3, first 2 shown]
	v_lshrrev_b32_e32 v1, s19, v4
	v_mul_lo_u32 v4, v1, s11
	v_sub_u32_e32 v3, v3, v4
	s_addc_u32 s5, s17, 0
	s_add_i32 s6, s6, -2
	v_mul_lo_u32 v4, v3, s15
	v_mul_lo_u32 v8, v3, s20
	;; [unrolled: 1-line block ×3, first 2 shown]
	s_cmp_eq_u32 s6, 0
	v_add3_u32 v30, v5, v30, v4
	v_add3_u32 v0, v7, v0, v3
	;; [unrolled: 1-line block ×3, first 2 shown]
	s_cbranch_scc0 .LBB191_32
; %bb.33:
	s_bitcmp1_b32 s57, 0
	s_cselect_b64 s[6:7], -1, 0
	s_and_b64 vcc, exec, s[6:7]
	s_cbranch_vccnz .LBB191_35
; %bb.34:
	s_load_dwordx2 s[6:7], s[4:5], 0x18
	s_load_dword s10, s[4:5], 0x20
	s_load_dword s11, s[4:5], 0xe0
	s_load_dwordx2 s[8:9], s[4:5], 0xd8
	s_waitcnt lgkmcnt(0)
	v_mul_hi_u32 v3, s7, v1
	v_add_u32_e32 v3, v1, v3
	v_lshrrev_b32_e32 v3, s10, v3
	v_mul_lo_u32 v3, v3, s6
	v_sub_u32_e32 v1, v1, v3
	v_mad_u64_u32 v[30:31], s[4:5], v1, s8, v[30:31]
	v_mad_u64_u32 v[2:3], s[4:5], v1, s9, v[2:3]
	v_mad_u64_u32 v[0:1], s[4:5], v1, s11, v[0:1]
.LBB191_35:
	s_cbranch_execz .LBB191_37
	s_branch .LBB191_39
.LBB191_36:
                                        ; implicit-def: $vgpr0
                                        ; implicit-def: $vgpr2
                                        ; implicit-def: $vgpr30
.LBB191_37:
	s_waitcnt lgkmcnt(0)
	v_mul_hi_u32 v0, s41, v40
	v_add_u32_e32 v0, v40, v0
	v_lshrrev_b32_e32 v1, s42, v0
	v_mul_lo_u32 v0, v1, s40
	v_sub_u32_e32 v2, v40, v0
	v_mul_lo_u32 v30, v2, s36
	v_mul_lo_u32 v0, v2, s38
	s_andn2_b64 vcc, exec, s[50:51]
	v_mul_lo_u32 v2, v2, s37
	s_cbranch_vccnz .LBB191_39
; %bb.38:
	v_mul_hi_u32 v3, s48, v1
	v_add_u32_e32 v3, v1, v3
	v_lshrrev_b32_e32 v3, s49, v3
	v_mul_lo_u32 v3, v3, s43
	v_sub_u32_e32 v1, v1, v3
	v_mad_u64_u32 v[30:31], s[4:5], v1, s39, v[30:31]
	v_mad_u64_u32 v[2:3], s[4:5], v1, s46, v[2:3]
	;; [unrolled: 1-line block ×3, first 2 shown]
.LBB191_39:
	s_waitcnt lgkmcnt(0)
	global_load_ushort v3, v2, s[26:27]
	global_load_dword v1, v0, s[44:45]
	s_getpc_b64 s[4:5]
	s_add_u32 s4, s4, _ZZZZN2at6native33launch_standard_gamma_grad_kernelERNS_18TensorIteratorBaseEENKUlvE_clEvENKUlvE0_clEvENKUlffE_clEff@rel32@lo+4
	s_addc_u32 s5, s5, _ZZZZN2at6native33launch_standard_gamma_grad_kernelERNS_18TensorIteratorBaseEENKUlvE_clEvENKUlvE0_clEvENKUlffE_clEff@rel32@hi+12
	s_waitcnt vmcnt(1)
	v_lshlrev_b32_e32 v0, 16, v3
	s_swappc_b64 s[30:31], s[4:5]
	v_bfe_u32 v1, v0, 16, 1
	s_movk_i32 s4, 0x7fff
	v_add3_u32 v1, v0, v1, s4
	v_lshrrev_b32_e32 v1, 16, v1
	v_mov_b32_e32 v2, 0x7fc0
	v_cmp_o_f32_e32 vcc, v0, v0
	v_cndmask_b32_e32 v0, v2, v1, vcc
	v_add_u32_e32 v40, 0x80, v40
	global_store_short v30, v0, s[24:25]
.LBB191_40:
	s_or_b64 exec, exec, s[54:55]
	v_cmp_gt_i32_e32 vcc, s58, v40
	s_mov_b64 s[4:5], 0
                                        ; implicit-def: $vgpr50_vgpr51
                                        ; implicit-def: $vgpr0
	s_and_saveexec_b64 s[54:55], vcc
	s_cbranch_execz .LBB191_52
; %bb.41:
	s_andn2_b64 vcc, exec, s[28:29]
	s_cbranch_vccnz .LBB191_48
; %bb.42:
	s_andn2_b64 vcc, exec, s[52:53]
	v_mov_b32_e32 v2, 0
	v_mov_b32_e32 v4, 0
	;; [unrolled: 1-line block ×3, first 2 shown]
	s_cbranch_vccnz .LBB191_47
; %bb.43:
	s_add_i32 s4, s57, 1
	s_and_b32 s6, s4, 30
	s_add_u32 s4, s22, 0xffffffec
	s_addc_u32 s5, s23, -1
	v_mov_b32_e32 v0, 0
	v_mov_b32_e32 v1, v40
	v_mov_b32_e32 v4, 0
	v_mov_b32_e32 v2, 0
.LBB191_44:                             ; =>This Inner Loop Header: Depth=1
	s_mov_b64 s[16:17], s[4:5]
	s_load_dwordx4 s[8:11], s[16:17], 0x18
	s_load_dwordx2 s[18:19], s[16:17], 0x28
	s_load_dwordx2 s[20:21], s[16:17], 0xe8
	s_load_dwordx4 s[12:15], s[16:17], 0xd8
	s_add_u32 s4, s16, 24
	s_waitcnt lgkmcnt(0)
	v_mul_hi_u32 v3, s9, v1
	v_add_u32_e32 v3, v1, v3
	v_lshrrev_b32_e32 v3, s10, v3
	v_mul_lo_u32 v5, v3, s8
	v_mul_hi_u32 v6, s18, v3
	v_sub_u32_e32 v1, v1, v5
	v_add_u32_e32 v5, v3, v6
	v_mul_lo_u32 v6, v1, s12
	v_mul_lo_u32 v7, v1, s13
	;; [unrolled: 1-line block ×3, first 2 shown]
	v_lshrrev_b32_e32 v1, s19, v5
	v_mul_lo_u32 v5, v1, s11
	v_sub_u32_e32 v3, v3, v5
	s_addc_u32 s5, s17, 0
	s_add_i32 s6, s6, -2
	v_mul_lo_u32 v5, v3, s15
	v_mul_lo_u32 v9, v3, s20
	v_mul_lo_u32 v3, v3, s21
	s_cmp_eq_u32 s6, 0
	v_add3_u32 v0, v6, v0, v5
	v_add3_u32 v2, v8, v2, v3
	;; [unrolled: 1-line block ×3, first 2 shown]
	s_cbranch_scc0 .LBB191_44
; %bb.45:
	s_bitcmp1_b32 s57, 0
	s_cselect_b64 s[6:7], -1, 0
	s_and_b64 vcc, exec, s[6:7]
	s_cbranch_vccnz .LBB191_47
; %bb.46:
	s_load_dwordx2 s[6:7], s[4:5], 0x18
	s_load_dword s10, s[4:5], 0x20
	s_load_dword s11, s[4:5], 0xe0
	s_load_dwordx2 s[8:9], s[4:5], 0xd8
	s_waitcnt lgkmcnt(0)
	v_mul_hi_u32 v3, s7, v1
	v_add_u32_e32 v3, v1, v3
	v_lshrrev_b32_e32 v3, s10, v3
	v_mul_lo_u32 v3, v3, s6
	v_sub_u32_e32 v3, v1, v3
	v_mad_u64_u32 v[0:1], s[4:5], v3, s8, v[0:1]
	v_mad_u64_u32 v[4:5], s[4:5], v3, s9, v[4:5]
	;; [unrolled: 1-line block ×3, first 2 shown]
.LBB191_47:
	s_cbranch_execz .LBB191_49
	s_branch .LBB191_51
.LBB191_48:
                                        ; implicit-def: $vgpr2
                                        ; implicit-def: $vgpr4
                                        ; implicit-def: $vgpr0
.LBB191_49:
	s_waitcnt lgkmcnt(0)
	v_mul_hi_u32 v0, s41, v40
	v_add_u32_e32 v0, v40, v0
	v_lshrrev_b32_e32 v1, s42, v0
	v_mul_lo_u32 v0, v1, s40
	v_sub_u32_e32 v3, v40, v0
	v_mul_lo_u32 v0, v3, s36
	v_mul_lo_u32 v2, v3, s38
	s_andn2_b64 vcc, exec, s[50:51]
	v_mul_lo_u32 v4, v3, s37
	s_cbranch_vccnz .LBB191_51
; %bb.50:
	v_mul_hi_u32 v3, s48, v1
	v_add_u32_e32 v3, v1, v3
	v_lshrrev_b32_e32 v3, s49, v3
	v_mul_lo_u32 v3, v3, s43
	v_sub_u32_e32 v3, v1, v3
	v_mad_u64_u32 v[0:1], s[4:5], v3, s39, v[0:1]
	v_mad_u64_u32 v[4:5], s[4:5], v3, s46, v[4:5]
	;; [unrolled: 1-line block ×3, first 2 shown]
.LBB191_51:
	s_waitcnt lgkmcnt(0)
	global_load_ushort v3, v4, s[26:27]
	global_load_dword v1, v2, s[44:45]
	v_mov_b32_e32 v2, s25
	v_add_co_u32_e32 v50, vcc, s24, v0
	s_getpc_b64 s[4:5]
	s_add_u32 s4, s4, _ZZZZN2at6native33launch_standard_gamma_grad_kernelERNS_18TensorIteratorBaseEENKUlvE_clEvENKUlvE0_clEvENKUlffE_clEff@rel32@lo+4
	s_addc_u32 s5, s5, _ZZZZN2at6native33launch_standard_gamma_grad_kernelERNS_18TensorIteratorBaseEENKUlvE_clEvENKUlvE0_clEvENKUlffE_clEff@rel32@hi+12
	v_addc_co_u32_e32 v51, vcc, 0, v2, vcc
	s_waitcnt vmcnt(1)
	v_lshlrev_b32_e32 v0, 16, v3
	s_swappc_b64 s[30:31], s[4:5]
	s_mov_b64 s[4:5], exec
.LBB191_52:
	s_or_b64 exec, exec, s[54:55]
	s_waitcnt lgkmcnt(0)
	s_and_b64 s[36:37], s[4:5], exec
                                        ; implicit-def: $vgpr6
                                        ; implicit-def: $vgpr40
	s_andn2_saveexec_b64 s[34:35], s[34:35]
	s_cbranch_execz .LBB191_2
.LBB191_53:
	v_cndmask_b32_e64 v0, 0, 1, s[28:29]
	v_cmp_ne_u32_e64 s[4:5], 1, v0
	s_andn2_b64 vcc, exec, s[28:29]
	s_cbranch_vccnz .LBB191_59
; %bb.54:
	s_cmp_lg_u32 s33, 0
	v_mov_b32_e32 v0, 0
	v_mov_b32_e32 v2, 0
	;; [unrolled: 1-line block ×3, first 2 shown]
	s_cbranch_scc0 .LBB191_60
; %bb.55:
	s_min_u32 s8, s56, 15
	s_add_i32 s6, s8, 1
	s_and_b32 s9, s6, 30
	s_add_u32 s6, s22, 0xffffffec
	s_addc_u32 s7, s23, -1
	v_mov_b32_e32 v34, 0
	v_mov_b32_e32 v1, v40
	;; [unrolled: 1-line block ×4, first 2 shown]
.LBB191_56:                             ; =>This Inner Loop Header: Depth=1
	s_mov_b64 s[10:11], s[6:7]
	s_load_dwordx4 s[12:15], s[10:11], 0x18
	s_load_dwordx2 s[20:21], s[10:11], 0x28
	s_load_dwordx2 s[24:25], s[10:11], 0xe8
	s_load_dwordx4 s[16:19], s[10:11], 0xd8
	s_add_u32 s6, s10, 24
	s_waitcnt lgkmcnt(0)
	v_mul_hi_u32 v3, s13, v1
	v_add_u32_e32 v3, v1, v3
	v_lshrrev_b32_e32 v3, s14, v3
	v_mul_lo_u32 v4, v3, s12
	v_mul_hi_u32 v5, s20, v3
	v_sub_u32_e32 v1, v1, v4
	v_add_u32_e32 v4, v3, v5
	v_mul_lo_u32 v5, v1, s16
	v_mul_lo_u32 v7, v1, s17
	v_mul_lo_u32 v8, v1, s18
	v_lshrrev_b32_e32 v1, s21, v4
	v_mul_lo_u32 v4, v1, s15
	v_sub_u32_e32 v3, v3, v4
	s_addc_u32 s7, s11, 0
	s_add_i32 s9, s9, -2
	v_mul_lo_u32 v4, v3, s19
	v_mul_lo_u32 v9, v3, s24
	;; [unrolled: 1-line block ×3, first 2 shown]
	s_cmp_lg_u32 s9, 0
	v_add3_u32 v34, v5, v34, v4
	v_add3_u32 v0, v8, v0, v3
	;; [unrolled: 1-line block ×3, first 2 shown]
	s_cbranch_scc1 .LBB191_56
; %bb.57:
	s_bitcmp1_b32 s8, 0
	s_cselect_b64 s[8:9], -1, 0
	s_and_b64 vcc, exec, s[8:9]
	s_cbranch_vccnz .LBB191_60
; %bb.58:
	s_load_dwordx2 s[8:9], s[6:7], 0x18
	s_load_dword s12, s[6:7], 0x20
	s_load_dword s13, s[6:7], 0xe0
	s_load_dwordx2 s[10:11], s[6:7], 0xd8
	s_waitcnt lgkmcnt(0)
	v_mul_hi_u32 v3, s9, v1
	v_add_u32_e32 v3, v1, v3
	v_lshrrev_b32_e32 v3, s12, v3
	v_mul_lo_u32 v3, v3, s8
	v_sub_u32_e32 v1, v1, v3
	v_mad_u64_u32 v[34:35], s[6:7], v1, s10, v[34:35]
	v_mad_u64_u32 v[2:3], s[6:7], v1, s11, v[2:3]
	;; [unrolled: 1-line block ×3, first 2 shown]
	s_cbranch_execz .LBB191_61
	s_branch .LBB191_63
.LBB191_59:
                                        ; implicit-def: $vgpr0
                                        ; implicit-def: $vgpr2
                                        ; implicit-def: $vgpr34
	s_branch .LBB191_61
.LBB191_60:
	s_cbranch_execnz .LBB191_63
.LBB191_61:
	s_load_dwordx4 s[8:11], s[22:23], 0x4
	s_load_dwordx4 s[12:15], s[22:23], 0xc4
	s_cmp_lt_u32 s33, 2
	s_waitcnt lgkmcnt(0)
	v_mul_hi_u32 v0, s9, v40
	v_add_u32_e32 v0, v40, v0
	v_lshrrev_b32_e32 v1, s10, v0
	v_mul_lo_u32 v0, v1, s8
	v_sub_u32_e32 v2, v40, v0
	v_mul_lo_u32 v34, v2, s12
	v_mul_lo_u32 v0, v2, s14
	;; [unrolled: 1-line block ×3, first 2 shown]
	s_cbranch_scc1 .LBB191_63
; %bb.62:
	s_load_dwordx4 s[8:11], s[22:23], 0x10
	s_load_dwordx4 s[12:15], s[22:23], 0xd0
	s_waitcnt lgkmcnt(0)
	v_mul_hi_u32 v3, s9, v1
	v_add_u32_e32 v3, v1, v3
	v_lshrrev_b32_e32 v3, s10, v3
	v_mul_lo_u32 v3, v3, s8
	v_sub_u32_e32 v1, v1, v3
	v_mad_u64_u32 v[34:35], s[6:7], v1, s12, v[34:35]
	v_mad_u64_u32 v[2:3], s[6:7], v1, s13, v[2:3]
	;; [unrolled: 1-line block ×3, first 2 shown]
.LBB191_63:
	s_and_b64 vcc, exec, s[4:5]
	v_add_u32_e32 v1, 0x80, v40
	s_cbranch_vccnz .LBB191_69
; %bb.64:
	s_cmp_lg_u32 s33, 0
	v_mov_b32_e32 v32, 0
	v_mov_b32_e32 v38, 0
	;; [unrolled: 1-line block ×3, first 2 shown]
	s_cbranch_scc0 .LBB191_70
; %bb.65:
	s_min_u32 s8, s56, 15
	s_add_i32 s6, s8, 1
	s_and_b32 s9, s6, 30
	s_add_u32 s6, s22, 0xffffffec
	s_addc_u32 s7, s23, -1
	v_mov_b32_e32 v36, 0
	v_mov_b32_e32 v3, v1
	;; [unrolled: 1-line block ×4, first 2 shown]
.LBB191_66:                             ; =>This Inner Loop Header: Depth=1
	s_mov_b64 s[10:11], s[6:7]
	s_load_dwordx4 s[12:15], s[10:11], 0x18
	s_load_dwordx2 s[20:21], s[10:11], 0x28
	s_load_dwordx2 s[24:25], s[10:11], 0xe8
	s_load_dwordx4 s[16:19], s[10:11], 0xd8
	s_add_u32 s6, s10, 24
	s_waitcnt lgkmcnt(0)
	v_mul_hi_u32 v4, s13, v3
	v_add_u32_e32 v4, v3, v4
	v_lshrrev_b32_e32 v4, s14, v4
	v_mul_lo_u32 v5, v4, s12
	v_mul_hi_u32 v7, s20, v4
	v_sub_u32_e32 v3, v3, v5
	v_add_u32_e32 v5, v4, v7
	v_mul_lo_u32 v7, v3, s16
	v_mul_lo_u32 v8, v3, s17
	;; [unrolled: 1-line block ×3, first 2 shown]
	v_lshrrev_b32_e32 v3, s21, v5
	v_mul_lo_u32 v5, v3, s15
	v_sub_u32_e32 v4, v4, v5
	s_addc_u32 s7, s11, 0
	s_add_i32 s9, s9, -2
	v_mul_lo_u32 v5, v4, s19
	v_mul_lo_u32 v10, v4, s24
	;; [unrolled: 1-line block ×3, first 2 shown]
	s_cmp_lg_u32 s9, 0
	v_add3_u32 v36, v7, v36, v5
	v_add3_u32 v32, v9, v32, v4
	;; [unrolled: 1-line block ×3, first 2 shown]
	s_cbranch_scc1 .LBB191_66
; %bb.67:
	s_bitcmp1_b32 s8, 0
	s_cselect_b64 s[8:9], -1, 0
	s_and_b64 vcc, exec, s[8:9]
	s_cbranch_vccnz .LBB191_70
; %bb.68:
	s_load_dwordx2 s[8:9], s[6:7], 0x18
	s_load_dword s12, s[6:7], 0x20
	s_load_dword s13, s[6:7], 0xe0
	s_load_dwordx2 s[10:11], s[6:7], 0xd8
	s_waitcnt lgkmcnt(0)
	v_mul_hi_u32 v4, s9, v3
	v_add_u32_e32 v4, v3, v4
	v_lshrrev_b32_e32 v4, s12, v4
	v_mul_lo_u32 v4, v4, s8
	v_sub_u32_e32 v3, v3, v4
	v_mad_u64_u32 v[36:37], s[6:7], v3, s10, v[36:37]
	v_mad_u64_u32 v[38:39], s[6:7], v3, s11, v[38:39]
	;; [unrolled: 1-line block ×3, first 2 shown]
	s_cbranch_execz .LBB191_71
	s_branch .LBB191_73
.LBB191_69:
                                        ; implicit-def: $vgpr32
                                        ; implicit-def: $vgpr38
                                        ; implicit-def: $vgpr36
	s_branch .LBB191_71
.LBB191_70:
	s_cbranch_execnz .LBB191_73
.LBB191_71:
	s_load_dwordx4 s[8:11], s[22:23], 0x4
	s_load_dwordx4 s[12:15], s[22:23], 0xc4
	s_cmp_lt_u32 s33, 2
	s_waitcnt lgkmcnt(0)
	v_mul_hi_u32 v3, s9, v1
	v_add_u32_e32 v3, v1, v3
	v_lshrrev_b32_e32 v3, s10, v3
	v_mul_lo_u32 v4, v3, s8
	v_sub_u32_e32 v1, v1, v4
	v_mul_lo_u32 v36, v1, s12
	v_mul_lo_u32 v32, v1, s14
	;; [unrolled: 1-line block ×3, first 2 shown]
	s_cbranch_scc1 .LBB191_73
; %bb.72:
	s_load_dwordx4 s[8:11], s[22:23], 0x10
	s_load_dwordx4 s[12:15], s[22:23], 0xd0
	s_waitcnt lgkmcnt(0)
	v_mul_hi_u32 v1, s9, v3
	v_add_u32_e32 v1, v3, v1
	v_lshrrev_b32_e32 v1, s10, v1
	v_mul_lo_u32 v1, v1, s8
	v_sub_u32_e32 v1, v3, v1
	v_mad_u64_u32 v[36:37], s[6:7], v1, s12, v[36:37]
	v_mad_u64_u32 v[38:39], s[6:7], v1, s13, v[38:39]
	;; [unrolled: 1-line block ×3, first 2 shown]
.LBB191_73:
	s_and_b64 vcc, exec, s[4:5]
	v_add_u32_e32 v1, 0x100, v40
	s_cbranch_vccnz .LBB191_79
; %bb.74:
	s_cmp_lg_u32 s33, 0
	v_mov_b32_e32 v42, 0
	v_mov_b32_e32 v44, 0
	;; [unrolled: 1-line block ×3, first 2 shown]
	s_cbranch_scc0 .LBB191_80
; %bb.75:
	s_min_u32 s8, s56, 15
	s_add_i32 s6, s8, 1
	s_and_b32 s9, s6, 30
	s_add_u32 s6, s22, 0xffffffec
	s_addc_u32 s7, s23, -1
	v_mov_b32_e32 v40, 0
	v_mov_b32_e32 v3, v1
	;; [unrolled: 1-line block ×4, first 2 shown]
.LBB191_76:                             ; =>This Inner Loop Header: Depth=1
	s_mov_b64 s[10:11], s[6:7]
	s_load_dwordx4 s[12:15], s[10:11], 0x18
	s_load_dwordx2 s[20:21], s[10:11], 0x28
	s_load_dwordx2 s[24:25], s[10:11], 0xe8
	s_load_dwordx4 s[16:19], s[10:11], 0xd8
	s_add_u32 s6, s10, 24
	s_waitcnt lgkmcnt(0)
	v_mul_hi_u32 v4, s13, v3
	v_add_u32_e32 v4, v3, v4
	v_lshrrev_b32_e32 v4, s14, v4
	v_mul_lo_u32 v5, v4, s12
	v_mul_hi_u32 v7, s20, v4
	v_sub_u32_e32 v3, v3, v5
	v_add_u32_e32 v5, v4, v7
	v_mul_lo_u32 v7, v3, s16
	v_mul_lo_u32 v8, v3, s17
	;; [unrolled: 1-line block ×3, first 2 shown]
	v_lshrrev_b32_e32 v3, s21, v5
	v_mul_lo_u32 v5, v3, s15
	v_sub_u32_e32 v4, v4, v5
	s_addc_u32 s7, s11, 0
	s_add_i32 s9, s9, -2
	v_mul_lo_u32 v5, v4, s19
	v_mul_lo_u32 v10, v4, s24
	;; [unrolled: 1-line block ×3, first 2 shown]
	s_cmp_lg_u32 s9, 0
	v_add3_u32 v40, v7, v40, v5
	v_add3_u32 v42, v9, v42, v4
	;; [unrolled: 1-line block ×3, first 2 shown]
	s_cbranch_scc1 .LBB191_76
; %bb.77:
	s_bitcmp1_b32 s8, 0
	s_cselect_b64 s[8:9], -1, 0
	s_and_b64 vcc, exec, s[8:9]
	s_cbranch_vccnz .LBB191_80
; %bb.78:
	s_load_dwordx2 s[8:9], s[6:7], 0x18
	s_load_dword s12, s[6:7], 0x20
	s_load_dword s13, s[6:7], 0xe0
	s_load_dwordx2 s[10:11], s[6:7], 0xd8
	s_waitcnt lgkmcnt(0)
	v_mul_hi_u32 v4, s9, v3
	v_add_u32_e32 v4, v3, v4
	v_lshrrev_b32_e32 v4, s12, v4
	v_mul_lo_u32 v4, v4, s8
	v_sub_u32_e32 v3, v3, v4
	v_mad_u64_u32 v[40:41], s[6:7], v3, s10, v[40:41]
	v_mad_u64_u32 v[44:45], s[6:7], v3, s11, v[44:45]
	v_mad_u64_u32 v[42:43], s[6:7], v3, s13, v[42:43]
	s_cbranch_execz .LBB191_81
	s_branch .LBB191_83
.LBB191_79:
                                        ; implicit-def: $vgpr42
                                        ; implicit-def: $vgpr44
                                        ; implicit-def: $vgpr40
	s_branch .LBB191_81
.LBB191_80:
	s_cbranch_execnz .LBB191_83
.LBB191_81:
	s_load_dwordx4 s[8:11], s[22:23], 0x4
	s_load_dwordx4 s[12:15], s[22:23], 0xc4
	s_cmp_lt_u32 s33, 2
	s_waitcnt lgkmcnt(0)
	v_mul_hi_u32 v3, s9, v1
	v_add_u32_e32 v3, v1, v3
	v_lshrrev_b32_e32 v3, s10, v3
	v_mul_lo_u32 v4, v3, s8
	v_sub_u32_e32 v1, v1, v4
	v_mul_lo_u32 v40, v1, s12
	v_mul_lo_u32 v42, v1, s14
	;; [unrolled: 1-line block ×3, first 2 shown]
	s_cbranch_scc1 .LBB191_83
; %bb.82:
	s_load_dwordx4 s[8:11], s[22:23], 0x10
	s_load_dwordx4 s[12:15], s[22:23], 0xd0
	s_waitcnt lgkmcnt(0)
	v_mul_hi_u32 v1, s9, v3
	v_add_u32_e32 v1, v3, v1
	v_lshrrev_b32_e32 v1, s10, v1
	v_mul_lo_u32 v1, v1, s8
	v_sub_u32_e32 v1, v3, v1
	v_mad_u64_u32 v[40:41], s[6:7], v1, s12, v[40:41]
	v_mad_u64_u32 v[44:45], s[6:7], v1, s13, v[44:45]
	;; [unrolled: 1-line block ×3, first 2 shown]
.LBB191_83:
	s_and_b64 vcc, exec, s[4:5]
	s_cbranch_vccnz .LBB191_89
; %bb.84:
	s_cmp_lg_u32 s33, 0
	v_mov_b32_e32 v46, 0
	v_mov_b32_e32 v48, 0
	;; [unrolled: 1-line block ×3, first 2 shown]
	s_cbranch_scc0 .LBB191_90
; %bb.85:
	s_min_u32 s6, s56, 15
	s_add_i32 s4, s6, 1
	s_and_b32 s7, s4, 30
	s_add_u32 s4, s22, 0xffffffec
	s_addc_u32 s5, s23, -1
	v_mov_b32_e32 v4, 0
	v_mov_b32_e32 v1, v6
	;; [unrolled: 1-line block ×4, first 2 shown]
.LBB191_86:                             ; =>This Inner Loop Header: Depth=1
	s_mov_b64 s[16:17], s[4:5]
	s_load_dwordx4 s[8:11], s[16:17], 0x18
	s_load_dwordx2 s[18:19], s[16:17], 0x28
	s_load_dwordx2 s[20:21], s[16:17], 0xe8
	s_load_dwordx4 s[12:15], s[16:17], 0xd8
	s_add_u32 s4, s16, 24
	s_waitcnt lgkmcnt(0)
	v_mul_hi_u32 v3, s9, v1
	v_add_u32_e32 v3, v1, v3
	v_lshrrev_b32_e32 v3, s10, v3
	v_mul_lo_u32 v5, v3, s8
	v_mul_hi_u32 v7, s18, v3
	v_sub_u32_e32 v1, v1, v5
	v_add_u32_e32 v5, v3, v7
	v_mul_lo_u32 v7, v1, s12
	v_mul_lo_u32 v8, v1, s13
	;; [unrolled: 1-line block ×3, first 2 shown]
	v_lshrrev_b32_e32 v1, s19, v5
	v_mul_lo_u32 v5, v1, s11
	v_sub_u32_e32 v3, v3, v5
	s_addc_u32 s5, s17, 0
	s_add_i32 s7, s7, -2
	v_mul_lo_u32 v5, v3, s15
	v_mul_lo_u32 v10, v3, s20
	;; [unrolled: 1-line block ×3, first 2 shown]
	s_cmp_lg_u32 s7, 0
	v_add3_u32 v4, v7, v4, v5
	v_add3_u32 v46, v9, v46, v3
	;; [unrolled: 1-line block ×3, first 2 shown]
	s_cbranch_scc1 .LBB191_86
; %bb.87:
	s_bitcmp1_b32 s6, 0
	s_cselect_b64 s[6:7], -1, 0
	s_and_b64 vcc, exec, s[6:7]
	s_cbranch_vccnz .LBB191_90
; %bb.88:
	s_load_dwordx2 s[6:7], s[4:5], 0x18
	s_load_dword s10, s[4:5], 0x20
	s_load_dword s11, s[4:5], 0xe0
	s_load_dwordx2 s[8:9], s[4:5], 0xd8
	s_waitcnt lgkmcnt(0)
	v_mul_hi_u32 v3, s7, v1
	v_add_u32_e32 v3, v1, v3
	v_lshrrev_b32_e32 v3, s10, v3
	v_mul_lo_u32 v3, v3, s6
	v_sub_u32_e32 v1, v1, v3
	v_mad_u64_u32 v[4:5], s[4:5], v1, s8, v[4:5]
	v_mad_u64_u32 v[48:49], s[4:5], v1, s9, v[48:49]
	;; [unrolled: 1-line block ×3, first 2 shown]
	s_cbranch_execz .LBB191_91
	s_branch .LBB191_93
.LBB191_89:
                                        ; implicit-def: $vgpr46
                                        ; implicit-def: $vgpr48
                                        ; implicit-def: $vgpr4
	s_branch .LBB191_91
.LBB191_90:
	s_cbranch_execnz .LBB191_93
.LBB191_91:
	s_load_dwordx4 s[4:7], s[22:23], 0x4
	s_load_dwordx4 s[8:11], s[22:23], 0xc4
	s_cmp_lt_u32 s33, 2
	s_waitcnt lgkmcnt(0)
	v_mul_hi_u32 v1, s5, v6
	v_add_u32_e32 v1, v6, v1
	v_lshrrev_b32_e32 v1, s6, v1
	v_mul_lo_u32 v3, v1, s4
	v_sub_u32_e32 v3, v6, v3
	v_mul_lo_u32 v4, v3, s8
	v_mul_lo_u32 v46, v3, s10
	v_mul_lo_u32 v48, v3, s9
	s_cbranch_scc1 .LBB191_93
; %bb.92:
	s_load_dwordx4 s[4:7], s[22:23], 0x10
	s_load_dwordx4 s[8:11], s[22:23], 0xd0
	s_waitcnt lgkmcnt(0)
	v_mul_hi_u32 v3, s5, v1
	v_add_u32_e32 v3, v1, v3
	v_lshrrev_b32_e32 v3, s6, v3
	v_mul_lo_u32 v3, v3, s4
	v_sub_u32_e32 v1, v1, v3
	v_mad_u64_u32 v[4:5], s[4:5], v1, s8, v[4:5]
	v_mad_u64_u32 v[48:49], s[4:5], v1, s9, v[48:49]
	;; [unrolled: 1-line block ×3, first 2 shown]
.LBB191_93:
	s_load_dwordx4 s[24:27], s[22:23], 0x188
	s_load_dwordx2 s[28:29], s[22:23], 0x198
	s_getpc_b64 s[22:23]
	s_add_u32 s22, s22, _ZZZZN2at6native33launch_standard_gamma_grad_kernelERNS_18TensorIteratorBaseEENKUlvE_clEvENKUlvE0_clEvENKUlffE_clEff@rel32@lo+4
	s_addc_u32 s23, s23, _ZZZZN2at6native33launch_standard_gamma_grad_kernelERNS_18TensorIteratorBaseEENKUlvE_clEvENKUlvE0_clEvENKUlffE_clEff@rel32@hi+12
	s_waitcnt lgkmcnt(0)
	global_load_ushort v3, v2, s[26:27]
	global_load_dword v1, v0, s[28:29]
	v_mov_b32_e32 v0, s25
	v_add_co_u32_e32 v50, vcc, s24, v4
	v_addc_co_u32_e32 v51, vcc, 0, v0, vcc
	s_waitcnt vmcnt(1)
	v_lshlrev_b32_e32 v0, 16, v3
	s_swappc_b64 s[30:31], s[22:23]
	v_mov_b32_e32 v30, v0
	global_load_ushort v0, v38, s[26:27]
	global_load_dword v1, v32, s[28:29]
	s_waitcnt vmcnt(1)
	v_lshlrev_b32_e32 v0, 16, v0
	s_swappc_b64 s[30:31], s[22:23]
	v_mov_b32_e32 v31, v0
	global_load_ushort v0, v44, s[26:27]
	global_load_dword v1, v42, s[28:29]
	;; [unrolled: 6-line block ×3, first 2 shown]
	s_waitcnt vmcnt(1)
	v_lshlrev_b32_e32 v0, 16, v0
	s_swappc_b64 s[30:31], s[22:23]
	v_bfe_u32 v1, v30, 16, 1
	s_movk_i32 s4, 0x7fff
	v_add3_u32 v1, v30, v1, s4
	v_lshrrev_b32_e32 v1, 16, v1
	v_mov_b32_e32 v2, 0x7fc0
	v_cmp_o_f32_e32 vcc, v30, v30
	v_cndmask_b32_e32 v1, v2, v1, vcc
	global_store_short v34, v1, s[24:25]
	v_bfe_u32 v1, v31, 16, 1
	v_add3_u32 v1, v31, v1, s4
	v_lshrrev_b32_e32 v1, 16, v1
	v_cmp_o_f32_e32 vcc, v31, v31
	v_cndmask_b32_e32 v1, v2, v1, vcc
	global_store_short v36, v1, s[24:25]
	v_bfe_u32 v1, v32, 16, 1
	v_add3_u32 v1, v32, v1, s4
	v_lshrrev_b32_e32 v1, 16, v1
	v_cmp_o_f32_e32 vcc, v32, v32
	v_cndmask_b32_e32 v1, v2, v1, vcc
	global_store_short v40, v1, s[24:25]
	s_or_b64 s[36:37], s[36:37], exec
	s_or_b64 exec, exec, s[34:35]
	s_and_saveexec_b64 s[4:5], s[36:37]
	s_cbranch_execz .LBB191_3
.LBB191_94:
	v_bfe_u32 v1, v0, 16, 1
	s_movk_i32 s4, 0x7fff
	v_add3_u32 v1, v0, v1, s4
	v_lshrrev_b32_e32 v1, 16, v1
	v_mov_b32_e32 v2, 0x7fc0
	v_cmp_o_f32_e32 vcc, v0, v0
	v_cndmask_b32_e32 v0, v2, v1, vcc
	global_store_short v[50:51], v0, off
	s_endpgm
	.section	.rodata,"a",@progbits
	.p2align	6, 0x0
	.amdhsa_kernel _ZN2at6native32elementwise_kernel_manual_unrollILi128ELi4EZNS0_12_GLOBAL__N_142type_specialized_broadcast_kernel_launcherILi2EE5applyIZZZNS0_33launch_standard_gamma_grad_kernelERNS_18TensorIteratorBaseEENKUlvE_clEvENKUlvE0_clEvEUlffE_St5arrayIPcLm3EESB_IN3c1010ScalarTypeELm3EE16OffsetCalculatorILi3EjLb0EEEEvlT_T0_T1_T2_EUlibE_EEviSL_
		.amdhsa_group_segment_fixed_size 0
		.amdhsa_private_segment_fixed_size 0
		.amdhsa_kernarg_size 432
		.amdhsa_user_sgpr_count 8
		.amdhsa_user_sgpr_private_segment_buffer 1
		.amdhsa_user_sgpr_dispatch_ptr 0
		.amdhsa_user_sgpr_queue_ptr 0
		.amdhsa_user_sgpr_kernarg_segment_ptr 1
		.amdhsa_user_sgpr_dispatch_id 0
		.amdhsa_user_sgpr_flat_scratch_init 1
		.amdhsa_user_sgpr_kernarg_preload_length 0
		.amdhsa_user_sgpr_kernarg_preload_offset 0
		.amdhsa_user_sgpr_private_segment_size 0
		.amdhsa_uses_dynamic_stack 0
		.amdhsa_system_sgpr_private_segment_wavefront_offset 0
		.amdhsa_system_sgpr_workgroup_id_x 1
		.amdhsa_system_sgpr_workgroup_id_y 0
		.amdhsa_system_sgpr_workgroup_id_z 0
		.amdhsa_system_sgpr_workgroup_info 0
		.amdhsa_system_vgpr_workitem_id 0
		.amdhsa_next_free_vgpr 52
		.amdhsa_next_free_sgpr 59
		.amdhsa_accum_offset 52
		.amdhsa_reserve_vcc 1
		.amdhsa_reserve_flat_scratch 1
		.amdhsa_float_round_mode_32 0
		.amdhsa_float_round_mode_16_64 0
		.amdhsa_float_denorm_mode_32 3
		.amdhsa_float_denorm_mode_16_64 3
		.amdhsa_dx10_clamp 1
		.amdhsa_ieee_mode 1
		.amdhsa_fp16_overflow 0
		.amdhsa_tg_split 0
		.amdhsa_exception_fp_ieee_invalid_op 0
		.amdhsa_exception_fp_denorm_src 0
		.amdhsa_exception_fp_ieee_div_zero 0
		.amdhsa_exception_fp_ieee_overflow 0
		.amdhsa_exception_fp_ieee_underflow 0
		.amdhsa_exception_fp_ieee_inexact 0
		.amdhsa_exception_int_div_zero 0
	.end_amdhsa_kernel
	.section	.text._ZN2at6native32elementwise_kernel_manual_unrollILi128ELi4EZNS0_12_GLOBAL__N_142type_specialized_broadcast_kernel_launcherILi2EE5applyIZZZNS0_33launch_standard_gamma_grad_kernelERNS_18TensorIteratorBaseEENKUlvE_clEvENKUlvE0_clEvEUlffE_St5arrayIPcLm3EESB_IN3c1010ScalarTypeELm3EE16OffsetCalculatorILi3EjLb0EEEEvlT_T0_T1_T2_EUlibE_EEviSL_,"axG",@progbits,_ZN2at6native32elementwise_kernel_manual_unrollILi128ELi4EZNS0_12_GLOBAL__N_142type_specialized_broadcast_kernel_launcherILi2EE5applyIZZZNS0_33launch_standard_gamma_grad_kernelERNS_18TensorIteratorBaseEENKUlvE_clEvENKUlvE0_clEvEUlffE_St5arrayIPcLm3EESB_IN3c1010ScalarTypeELm3EE16OffsetCalculatorILi3EjLb0EEEEvlT_T0_T1_T2_EUlibE_EEviSL_,comdat
.Lfunc_end191:
	.size	_ZN2at6native32elementwise_kernel_manual_unrollILi128ELi4EZNS0_12_GLOBAL__N_142type_specialized_broadcast_kernel_launcherILi2EE5applyIZZZNS0_33launch_standard_gamma_grad_kernelERNS_18TensorIteratorBaseEENKUlvE_clEvENKUlvE0_clEvEUlffE_St5arrayIPcLm3EESB_IN3c1010ScalarTypeELm3EE16OffsetCalculatorILi3EjLb0EEEEvlT_T0_T1_T2_EUlibE_EEviSL_, .Lfunc_end191-_ZN2at6native32elementwise_kernel_manual_unrollILi128ELi4EZNS0_12_GLOBAL__N_142type_specialized_broadcast_kernel_launcherILi2EE5applyIZZZNS0_33launch_standard_gamma_grad_kernelERNS_18TensorIteratorBaseEENKUlvE_clEvENKUlvE0_clEvEUlffE_St5arrayIPcLm3EESB_IN3c1010ScalarTypeELm3EE16OffsetCalculatorILi3EjLb0EEEEvlT_T0_T1_T2_EUlibE_EEviSL_
                                        ; -- End function
	.section	.AMDGPU.csdata,"",@progbits
; Kernel info:
; codeLenInByte = 5128
; NumSgprs: 65
; NumVgprs: 52
; NumAgprs: 0
; TotalNumVgprs: 52
; ScratchSize: 0
; MemoryBound: 0
; FloatMode: 240
; IeeeMode: 1
; LDSByteSize: 0 bytes/workgroup (compile time only)
; SGPRBlocks: 8
; VGPRBlocks: 6
; NumSGPRsForWavesPerEU: 65
; NumVGPRsForWavesPerEU: 52
; AccumOffset: 52
; Occupancy: 8
; WaveLimiterHint : 1
; COMPUTE_PGM_RSRC2:SCRATCH_EN: 0
; COMPUTE_PGM_RSRC2:USER_SGPR: 8
; COMPUTE_PGM_RSRC2:TRAP_HANDLER: 0
; COMPUTE_PGM_RSRC2:TGID_X_EN: 1
; COMPUTE_PGM_RSRC2:TGID_Y_EN: 0
; COMPUTE_PGM_RSRC2:TGID_Z_EN: 0
; COMPUTE_PGM_RSRC2:TIDIG_COMP_CNT: 0
; COMPUTE_PGM_RSRC3_GFX90A:ACCUM_OFFSET: 12
; COMPUTE_PGM_RSRC3_GFX90A:TG_SPLIT: 0
	.section	.text._ZN2at6native32elementwise_kernel_manual_unrollILi128ELi4EZNS0_12_GLOBAL__N_142type_specialized_broadcast_kernel_launcherILi3EE5applyIZZZNS0_33launch_standard_gamma_grad_kernelERNS_18TensorIteratorBaseEENKUlvE_clEvENKUlvE0_clEvEUlffE_St5arrayIPcLm3EESB_IN3c1010ScalarTypeELm3EE16OffsetCalculatorILi3EjLb0EEEEvlT_T0_T1_T2_EUlibE_EEviSL_,"axG",@progbits,_ZN2at6native32elementwise_kernel_manual_unrollILi128ELi4EZNS0_12_GLOBAL__N_142type_specialized_broadcast_kernel_launcherILi3EE5applyIZZZNS0_33launch_standard_gamma_grad_kernelERNS_18TensorIteratorBaseEENKUlvE_clEvENKUlvE0_clEvEUlffE_St5arrayIPcLm3EESB_IN3c1010ScalarTypeELm3EE16OffsetCalculatorILi3EjLb0EEEEvlT_T0_T1_T2_EUlibE_EEviSL_,comdat
	.globl	_ZN2at6native32elementwise_kernel_manual_unrollILi128ELi4EZNS0_12_GLOBAL__N_142type_specialized_broadcast_kernel_launcherILi3EE5applyIZZZNS0_33launch_standard_gamma_grad_kernelERNS_18TensorIteratorBaseEENKUlvE_clEvENKUlvE0_clEvEUlffE_St5arrayIPcLm3EESB_IN3c1010ScalarTypeELm3EE16OffsetCalculatorILi3EjLb0EEEEvlT_T0_T1_T2_EUlibE_EEviSL_ ; -- Begin function _ZN2at6native32elementwise_kernel_manual_unrollILi128ELi4EZNS0_12_GLOBAL__N_142type_specialized_broadcast_kernel_launcherILi3EE5applyIZZZNS0_33launch_standard_gamma_grad_kernelERNS_18TensorIteratorBaseEENKUlvE_clEvENKUlvE0_clEvEUlffE_St5arrayIPcLm3EESB_IN3c1010ScalarTypeELm3EE16OffsetCalculatorILi3EjLb0EEEEvlT_T0_T1_T2_EUlibE_EEviSL_
	.p2align	8
	.type	_ZN2at6native32elementwise_kernel_manual_unrollILi128ELi4EZNS0_12_GLOBAL__N_142type_specialized_broadcast_kernel_launcherILi3EE5applyIZZZNS0_33launch_standard_gamma_grad_kernelERNS_18TensorIteratorBaseEENKUlvE_clEvENKUlvE0_clEvEUlffE_St5arrayIPcLm3EESB_IN3c1010ScalarTypeELm3EE16OffsetCalculatorILi3EjLb0EEEEvlT_T0_T1_T2_EUlibE_EEviSL_,@function
_ZN2at6native32elementwise_kernel_manual_unrollILi128ELi4EZNS0_12_GLOBAL__N_142type_specialized_broadcast_kernel_launcherILi3EE5applyIZZZNS0_33launch_standard_gamma_grad_kernelERNS_18TensorIteratorBaseEENKUlvE_clEvENKUlvE0_clEvEUlffE_St5arrayIPcLm3EESB_IN3c1010ScalarTypeELm3EE16OffsetCalculatorILi3EjLb0EEEEvlT_T0_T1_T2_EUlibE_EEviSL_: ; @_ZN2at6native32elementwise_kernel_manual_unrollILi128ELi4EZNS0_12_GLOBAL__N_142type_specialized_broadcast_kernel_launcherILi3EE5applyIZZZNS0_33launch_standard_gamma_grad_kernelERNS_18TensorIteratorBaseEENKUlvE_clEvENKUlvE0_clEvEUlffE_St5arrayIPcLm3EESB_IN3c1010ScalarTypeELm3EE16OffsetCalculatorILi3EjLb0EEEEvlT_T0_T1_T2_EUlibE_EEviSL_
; %bb.0:
	s_load_dword s58, s[4:5], 0x0
	s_load_dword s33, s[4:5], 0x8
	s_add_u32 flat_scratch_lo, s6, s9
	s_addc_u32 flat_scratch_hi, s7, 0
	s_add_u32 s0, s0, s9
	s_mov_b64 s[22:23], s[4:5]
	s_addc_u32 s1, s1, 0
	s_or_b32 s22, s22, 8
	v_lshl_or_b32 v40, s8, 9, v0
	s_waitcnt lgkmcnt(0)
	s_add_i32 s56, s33, -1
	v_or_b32_e32 v0, 0x180, v40
	s_cmp_gt_u32 s56, 1
	v_cmp_le_i32_e32 vcc, s58, v0
	s_cselect_b64 s[28:29], -1, 0
	s_mov_b32 s32, 0
	s_and_saveexec_b64 s[4:5], vcc
	s_xor_b64 s[34:35], exec, s[4:5]
	s_cbranch_execz .LBB192_50
; %bb.1:
	s_load_dwordx4 s[40:43], s[22:23], 0x4
	s_load_dwordx2 s[48:49], s[22:23], 0x14
	s_load_dwordx4 s[36:39], s[22:23], 0xc4
	s_load_dwordx2 s[46:47], s[22:23], 0xd4
	s_load_dwordx2 s[44:45], s[22:23], 0x198
	s_load_dwordx4 s[24:27], s[22:23], 0x188
	s_cmp_lg_u32 s33, 0
	s_cselect_b64 s[52:53], -1, 0
	s_min_u32 s57, s56, 15
	s_cmp_gt_u32 s33, 1
	s_cselect_b64 s[50:51], -1, 0
	v_cmp_gt_i32_e32 vcc, s58, v40
	s_and_saveexec_b64 s[54:55], vcc
	s_cbranch_execnz .LBB192_5
; %bb.2:
	s_or_b64 exec, exec, s[54:55]
	v_cmp_gt_i32_e32 vcc, s58, v40
	s_and_saveexec_b64 s[54:55], vcc
	s_cbranch_execnz .LBB192_16
.LBB192_3:
	s_or_b64 exec, exec, s[54:55]
	v_cmp_gt_i32_e32 vcc, s58, v40
	s_and_saveexec_b64 s[54:55], vcc
	s_cbranch_execnz .LBB192_27
.LBB192_4:
	s_or_b64 exec, exec, s[54:55]
	v_cmp_gt_i32_e32 vcc, s58, v40
	s_and_saveexec_b64 s[54:55], vcc
	s_cbranch_execnz .LBB192_38
	s_branch .LBB192_49
.LBB192_5:
	s_andn2_b64 vcc, exec, s[28:29]
	s_cbranch_vccnz .LBB192_12
; %bb.6:
	s_andn2_b64 vcc, exec, s[52:53]
	v_mov_b32_e32 v2, 0
	v_mov_b32_e32 v4, 0
	;; [unrolled: 1-line block ×3, first 2 shown]
	s_cbranch_vccnz .LBB192_11
; %bb.7:
	s_add_i32 s4, s57, 1
	s_and_b32 s6, s4, 30
	s_add_u32 s4, s22, 0xffffffec
	s_addc_u32 s5, s23, -1
	v_mov_b32_e32 v30, 0
	v_mov_b32_e32 v0, v40
	;; [unrolled: 1-line block ×4, first 2 shown]
.LBB192_8:                              ; =>This Inner Loop Header: Depth=1
	s_mov_b64 s[16:17], s[4:5]
	s_load_dwordx4 s[8:11], s[16:17], 0x18
	s_load_dwordx2 s[18:19], s[16:17], 0x28
	s_load_dwordx2 s[20:21], s[16:17], 0xe8
	s_load_dwordx4 s[12:15], s[16:17], 0xd8
	s_add_u32 s4, s16, 24
	s_waitcnt lgkmcnt(0)
	v_mul_hi_u32 v1, s9, v0
	v_add_u32_e32 v1, v0, v1
	v_lshrrev_b32_e32 v1, s10, v1
	v_mul_lo_u32 v3, v1, s8
	v_mul_hi_u32 v5, s18, v1
	v_sub_u32_e32 v0, v0, v3
	v_add_u32_e32 v3, v1, v5
	v_mul_lo_u32 v5, v0, s12
	v_mul_lo_u32 v6, v0, s13
	;; [unrolled: 1-line block ×3, first 2 shown]
	v_lshrrev_b32_e32 v0, s19, v3
	v_mul_lo_u32 v3, v0, s11
	v_sub_u32_e32 v1, v1, v3
	s_addc_u32 s5, s17, 0
	s_add_i32 s6, s6, -2
	v_mul_lo_u32 v3, v1, s15
	v_mul_lo_u32 v8, v1, s20
	;; [unrolled: 1-line block ×3, first 2 shown]
	s_cmp_lg_u32 s6, 0
	v_add3_u32 v30, v5, v30, v3
	v_add3_u32 v2, v7, v2, v1
	v_add3_u32 v4, v6, v4, v8
	s_cbranch_scc1 .LBB192_8
; %bb.9:
	s_bitcmp1_b32 s57, 0
	s_cselect_b64 s[6:7], -1, 0
	s_and_b64 vcc, exec, s[6:7]
	s_cbranch_vccnz .LBB192_11
; %bb.10:
	s_load_dwordx2 s[6:7], s[4:5], 0x18
	s_load_dword s10, s[4:5], 0x20
	s_load_dword s11, s[4:5], 0xe0
	s_load_dwordx2 s[8:9], s[4:5], 0xd8
	s_waitcnt lgkmcnt(0)
	v_mul_hi_u32 v1, s7, v0
	v_add_u32_e32 v1, v0, v1
	v_lshrrev_b32_e32 v1, s10, v1
	v_mul_lo_u32 v1, v1, s6
	v_sub_u32_e32 v0, v0, v1
	v_mad_u64_u32 v[30:31], s[4:5], v0, s8, v[30:31]
	v_mad_u64_u32 v[4:5], s[4:5], v0, s9, v[4:5]
	;; [unrolled: 1-line block ×3, first 2 shown]
.LBB192_11:
	s_cbranch_execz .LBB192_13
	s_branch .LBB192_15
.LBB192_12:
                                        ; implicit-def: $vgpr2
                                        ; implicit-def: $vgpr4
                                        ; implicit-def: $vgpr30
.LBB192_13:
	s_waitcnt lgkmcnt(0)
	v_mul_hi_u32 v0, s41, v40
	v_add_u32_e32 v0, v40, v0
	v_lshrrev_b32_e32 v0, s42, v0
	v_mul_lo_u32 v1, v0, s40
	v_sub_u32_e32 v1, v40, v1
	v_mul_lo_u32 v30, v1, s36
	v_mul_lo_u32 v2, v1, s38
	s_andn2_b64 vcc, exec, s[50:51]
	v_mul_lo_u32 v4, v1, s37
	s_cbranch_vccnz .LBB192_15
; %bb.14:
	v_mul_hi_u32 v1, s48, v0
	v_add_u32_e32 v1, v0, v1
	v_lshrrev_b32_e32 v1, s49, v1
	v_mul_lo_u32 v1, v1, s43
	v_sub_u32_e32 v0, v0, v1
	v_mad_u64_u32 v[30:31], s[4:5], v0, s39, v[30:31]
	v_mad_u64_u32 v[4:5], s[4:5], v0, s46, v[4:5]
	;; [unrolled: 1-line block ×3, first 2 shown]
.LBB192_15:
	s_waitcnt lgkmcnt(0)
	global_load_ushort v1, v2, s[44:45]
	global_load_dword v0, v4, s[26:27]
	s_getpc_b64 s[4:5]
	s_add_u32 s4, s4, _ZZZZN2at6native33launch_standard_gamma_grad_kernelERNS_18TensorIteratorBaseEENKUlvE_clEvENKUlvE0_clEvENKUlffE_clEff@rel32@lo+4
	s_addc_u32 s5, s5, _ZZZZN2at6native33launch_standard_gamma_grad_kernelERNS_18TensorIteratorBaseEENKUlvE_clEvENKUlvE0_clEvENKUlffE_clEff@rel32@hi+12
	s_waitcnt vmcnt(1)
	v_cvt_f32_f16_e32 v1, v1
	s_swappc_b64 s[30:31], s[4:5]
	v_add_u32_e32 v40, 0x80, v40
	global_store_dword v30, v0, s[24:25]
	s_or_b64 exec, exec, s[54:55]
	v_cmp_gt_i32_e32 vcc, s58, v40
	s_and_saveexec_b64 s[54:55], vcc
	s_cbranch_execz .LBB192_3
.LBB192_16:
	s_andn2_b64 vcc, exec, s[28:29]
	s_cbranch_vccnz .LBB192_23
; %bb.17:
	s_andn2_b64 vcc, exec, s[52:53]
	v_mov_b32_e32 v2, 0
	v_mov_b32_e32 v4, 0
	;; [unrolled: 1-line block ×3, first 2 shown]
	s_cbranch_vccnz .LBB192_22
; %bb.18:
	s_add_i32 s4, s57, 1
	s_and_b32 s6, s4, 30
	s_add_u32 s4, s22, 0xffffffec
	s_addc_u32 s5, s23, -1
	v_mov_b32_e32 v30, 0
	v_mov_b32_e32 v0, v40
	;; [unrolled: 1-line block ×4, first 2 shown]
.LBB192_19:                             ; =>This Inner Loop Header: Depth=1
	s_mov_b64 s[16:17], s[4:5]
	s_load_dwordx4 s[8:11], s[16:17], 0x18
	s_load_dwordx2 s[18:19], s[16:17], 0x28
	s_load_dwordx2 s[20:21], s[16:17], 0xe8
	s_load_dwordx4 s[12:15], s[16:17], 0xd8
	s_add_u32 s4, s16, 24
	s_waitcnt lgkmcnt(0)
	v_mul_hi_u32 v1, s9, v0
	v_add_u32_e32 v1, v0, v1
	v_lshrrev_b32_e32 v1, s10, v1
	v_mul_lo_u32 v3, v1, s8
	v_mul_hi_u32 v5, s18, v1
	v_sub_u32_e32 v0, v0, v3
	v_add_u32_e32 v3, v1, v5
	v_mul_lo_u32 v5, v0, s12
	v_mul_lo_u32 v6, v0, s13
	;; [unrolled: 1-line block ×3, first 2 shown]
	v_lshrrev_b32_e32 v0, s19, v3
	v_mul_lo_u32 v3, v0, s11
	v_sub_u32_e32 v1, v1, v3
	s_addc_u32 s5, s17, 0
	s_add_i32 s6, s6, -2
	v_mul_lo_u32 v3, v1, s15
	v_mul_lo_u32 v8, v1, s20
	;; [unrolled: 1-line block ×3, first 2 shown]
	s_cmp_eq_u32 s6, 0
	v_add3_u32 v30, v5, v30, v3
	v_add3_u32 v2, v7, v2, v1
	;; [unrolled: 1-line block ×3, first 2 shown]
	s_cbranch_scc0 .LBB192_19
; %bb.20:
	s_bitcmp1_b32 s57, 0
	s_cselect_b64 s[6:7], -1, 0
	s_and_b64 vcc, exec, s[6:7]
	s_cbranch_vccnz .LBB192_22
; %bb.21:
	s_load_dwordx2 s[6:7], s[4:5], 0x18
	s_load_dword s10, s[4:5], 0x20
	s_load_dword s11, s[4:5], 0xe0
	s_load_dwordx2 s[8:9], s[4:5], 0xd8
	s_waitcnt lgkmcnt(0)
	v_mul_hi_u32 v1, s7, v0
	v_add_u32_e32 v1, v0, v1
	v_lshrrev_b32_e32 v1, s10, v1
	v_mul_lo_u32 v1, v1, s6
	v_sub_u32_e32 v0, v0, v1
	v_mad_u64_u32 v[30:31], s[4:5], v0, s8, v[30:31]
	v_mad_u64_u32 v[4:5], s[4:5], v0, s9, v[4:5]
	;; [unrolled: 1-line block ×3, first 2 shown]
.LBB192_22:
	s_cbranch_execz .LBB192_24
	s_branch .LBB192_26
.LBB192_23:
                                        ; implicit-def: $vgpr2
                                        ; implicit-def: $vgpr4
                                        ; implicit-def: $vgpr30
.LBB192_24:
	s_waitcnt lgkmcnt(0)
	v_mul_hi_u32 v0, s41, v40
	v_add_u32_e32 v0, v40, v0
	v_lshrrev_b32_e32 v0, s42, v0
	v_mul_lo_u32 v1, v0, s40
	v_sub_u32_e32 v1, v40, v1
	v_mul_lo_u32 v30, v1, s36
	v_mul_lo_u32 v2, v1, s38
	s_andn2_b64 vcc, exec, s[50:51]
	v_mul_lo_u32 v4, v1, s37
	s_cbranch_vccnz .LBB192_26
; %bb.25:
	v_mul_hi_u32 v1, s48, v0
	v_add_u32_e32 v1, v0, v1
	v_lshrrev_b32_e32 v1, s49, v1
	v_mul_lo_u32 v1, v1, s43
	v_sub_u32_e32 v0, v0, v1
	v_mad_u64_u32 v[30:31], s[4:5], v0, s39, v[30:31]
	v_mad_u64_u32 v[4:5], s[4:5], v0, s46, v[4:5]
	;; [unrolled: 1-line block ×3, first 2 shown]
.LBB192_26:
	s_waitcnt lgkmcnt(0)
	global_load_ushort v1, v2, s[44:45]
	global_load_dword v0, v4, s[26:27]
	s_getpc_b64 s[4:5]
	s_add_u32 s4, s4, _ZZZZN2at6native33launch_standard_gamma_grad_kernelERNS_18TensorIteratorBaseEENKUlvE_clEvENKUlvE0_clEvENKUlffE_clEff@rel32@lo+4
	s_addc_u32 s5, s5, _ZZZZN2at6native33launch_standard_gamma_grad_kernelERNS_18TensorIteratorBaseEENKUlvE_clEvENKUlvE0_clEvENKUlffE_clEff@rel32@hi+12
	s_waitcnt vmcnt(1)
	v_cvt_f32_f16_e32 v1, v1
	s_swappc_b64 s[30:31], s[4:5]
	v_add_u32_e32 v40, 0x80, v40
	global_store_dword v30, v0, s[24:25]
	s_or_b64 exec, exec, s[54:55]
	v_cmp_gt_i32_e32 vcc, s58, v40
	s_and_saveexec_b64 s[54:55], vcc
	s_cbranch_execz .LBB192_4
.LBB192_27:
	s_andn2_b64 vcc, exec, s[28:29]
	s_cbranch_vccnz .LBB192_34
; %bb.28:
	s_andn2_b64 vcc, exec, s[52:53]
	v_mov_b32_e32 v2, 0
	v_mov_b32_e32 v4, 0
	;; [unrolled: 1-line block ×3, first 2 shown]
	s_cbranch_vccnz .LBB192_33
; %bb.29:
	s_add_i32 s4, s57, 1
	s_and_b32 s6, s4, 30
	s_add_u32 s4, s22, 0xffffffec
	s_addc_u32 s5, s23, -1
	v_mov_b32_e32 v30, 0
	v_mov_b32_e32 v0, v40
	;; [unrolled: 1-line block ×4, first 2 shown]
.LBB192_30:                             ; =>This Inner Loop Header: Depth=1
	s_mov_b64 s[16:17], s[4:5]
	s_load_dwordx4 s[8:11], s[16:17], 0x18
	s_load_dwordx2 s[18:19], s[16:17], 0x28
	s_load_dwordx2 s[20:21], s[16:17], 0xe8
	s_load_dwordx4 s[12:15], s[16:17], 0xd8
	s_add_u32 s4, s16, 24
	s_waitcnt lgkmcnt(0)
	v_mul_hi_u32 v1, s9, v0
	v_add_u32_e32 v1, v0, v1
	v_lshrrev_b32_e32 v1, s10, v1
	v_mul_lo_u32 v3, v1, s8
	v_mul_hi_u32 v5, s18, v1
	v_sub_u32_e32 v0, v0, v3
	v_add_u32_e32 v3, v1, v5
	v_mul_lo_u32 v5, v0, s12
	v_mul_lo_u32 v6, v0, s13
	;; [unrolled: 1-line block ×3, first 2 shown]
	v_lshrrev_b32_e32 v0, s19, v3
	v_mul_lo_u32 v3, v0, s11
	v_sub_u32_e32 v1, v1, v3
	s_addc_u32 s5, s17, 0
	s_add_i32 s6, s6, -2
	v_mul_lo_u32 v3, v1, s15
	v_mul_lo_u32 v8, v1, s20
	;; [unrolled: 1-line block ×3, first 2 shown]
	s_cmp_eq_u32 s6, 0
	v_add3_u32 v30, v5, v30, v3
	v_add3_u32 v2, v7, v2, v1
	;; [unrolled: 1-line block ×3, first 2 shown]
	s_cbranch_scc0 .LBB192_30
; %bb.31:
	s_bitcmp1_b32 s57, 0
	s_cselect_b64 s[6:7], -1, 0
	s_and_b64 vcc, exec, s[6:7]
	s_cbranch_vccnz .LBB192_33
; %bb.32:
	s_load_dwordx2 s[6:7], s[4:5], 0x18
	s_load_dword s10, s[4:5], 0x20
	s_load_dword s11, s[4:5], 0xe0
	s_load_dwordx2 s[8:9], s[4:5], 0xd8
	s_waitcnt lgkmcnt(0)
	v_mul_hi_u32 v1, s7, v0
	v_add_u32_e32 v1, v0, v1
	v_lshrrev_b32_e32 v1, s10, v1
	v_mul_lo_u32 v1, v1, s6
	v_sub_u32_e32 v0, v0, v1
	v_mad_u64_u32 v[30:31], s[4:5], v0, s8, v[30:31]
	v_mad_u64_u32 v[4:5], s[4:5], v0, s9, v[4:5]
	;; [unrolled: 1-line block ×3, first 2 shown]
.LBB192_33:
	s_cbranch_execz .LBB192_35
	s_branch .LBB192_37
.LBB192_34:
                                        ; implicit-def: $vgpr2
                                        ; implicit-def: $vgpr4
                                        ; implicit-def: $vgpr30
.LBB192_35:
	s_waitcnt lgkmcnt(0)
	v_mul_hi_u32 v0, s41, v40
	v_add_u32_e32 v0, v40, v0
	v_lshrrev_b32_e32 v0, s42, v0
	v_mul_lo_u32 v1, v0, s40
	v_sub_u32_e32 v1, v40, v1
	v_mul_lo_u32 v30, v1, s36
	v_mul_lo_u32 v2, v1, s38
	s_andn2_b64 vcc, exec, s[50:51]
	v_mul_lo_u32 v4, v1, s37
	s_cbranch_vccnz .LBB192_37
; %bb.36:
	v_mul_hi_u32 v1, s48, v0
	v_add_u32_e32 v1, v0, v1
	v_lshrrev_b32_e32 v1, s49, v1
	v_mul_lo_u32 v1, v1, s43
	v_sub_u32_e32 v0, v0, v1
	v_mad_u64_u32 v[30:31], s[4:5], v0, s39, v[30:31]
	v_mad_u64_u32 v[4:5], s[4:5], v0, s46, v[4:5]
	;; [unrolled: 1-line block ×3, first 2 shown]
.LBB192_37:
	s_waitcnt lgkmcnt(0)
	global_load_ushort v1, v2, s[44:45]
	global_load_dword v0, v4, s[26:27]
	s_getpc_b64 s[4:5]
	s_add_u32 s4, s4, _ZZZZN2at6native33launch_standard_gamma_grad_kernelERNS_18TensorIteratorBaseEENKUlvE_clEvENKUlvE0_clEvENKUlffE_clEff@rel32@lo+4
	s_addc_u32 s5, s5, _ZZZZN2at6native33launch_standard_gamma_grad_kernelERNS_18TensorIteratorBaseEENKUlvE_clEvENKUlvE0_clEvENKUlffE_clEff@rel32@hi+12
	s_waitcnt vmcnt(1)
	v_cvt_f32_f16_e32 v1, v1
	s_swappc_b64 s[30:31], s[4:5]
	v_add_u32_e32 v40, 0x80, v40
	global_store_dword v30, v0, s[24:25]
	s_or_b64 exec, exec, s[54:55]
	v_cmp_gt_i32_e32 vcc, s58, v40
	s_and_saveexec_b64 s[54:55], vcc
	s_cbranch_execz .LBB192_49
.LBB192_38:
	s_andn2_b64 vcc, exec, s[28:29]
	s_cbranch_vccnz .LBB192_45
; %bb.39:
	s_andn2_b64 vcc, exec, s[52:53]
	v_mov_b32_e32 v2, 0
	v_mov_b32_e32 v4, 0
	;; [unrolled: 1-line block ×3, first 2 shown]
	s_cbranch_vccnz .LBB192_44
; %bb.40:
	s_add_i32 s4, s57, 1
	s_and_b32 s6, s4, 30
	s_add_u32 s4, s22, 0xffffffec
	s_addc_u32 s5, s23, -1
	v_mov_b32_e32 v30, 0
	v_mov_b32_e32 v0, v40
	;; [unrolled: 1-line block ×4, first 2 shown]
.LBB192_41:                             ; =>This Inner Loop Header: Depth=1
	s_mov_b64 s[16:17], s[4:5]
	s_load_dwordx4 s[8:11], s[16:17], 0x18
	s_load_dwordx2 s[18:19], s[16:17], 0x28
	s_load_dwordx2 s[20:21], s[16:17], 0xe8
	s_load_dwordx4 s[12:15], s[16:17], 0xd8
	s_add_u32 s4, s16, 24
	s_waitcnt lgkmcnt(0)
	v_mul_hi_u32 v1, s9, v0
	v_add_u32_e32 v1, v0, v1
	v_lshrrev_b32_e32 v1, s10, v1
	v_mul_lo_u32 v3, v1, s8
	v_mul_hi_u32 v5, s18, v1
	v_sub_u32_e32 v0, v0, v3
	v_add_u32_e32 v3, v1, v5
	v_mul_lo_u32 v5, v0, s12
	v_mul_lo_u32 v6, v0, s13
	;; [unrolled: 1-line block ×3, first 2 shown]
	v_lshrrev_b32_e32 v0, s19, v3
	v_mul_lo_u32 v3, v0, s11
	v_sub_u32_e32 v1, v1, v3
	s_addc_u32 s5, s17, 0
	s_add_i32 s6, s6, -2
	v_mul_lo_u32 v3, v1, s15
	v_mul_lo_u32 v8, v1, s20
	;; [unrolled: 1-line block ×3, first 2 shown]
	s_cmp_eq_u32 s6, 0
	v_add3_u32 v30, v5, v30, v3
	v_add3_u32 v2, v7, v2, v1
	;; [unrolled: 1-line block ×3, first 2 shown]
	s_cbranch_scc0 .LBB192_41
; %bb.42:
	s_bitcmp1_b32 s57, 0
	s_cselect_b64 s[6:7], -1, 0
	s_and_b64 vcc, exec, s[6:7]
	s_cbranch_vccnz .LBB192_44
; %bb.43:
	s_load_dwordx2 s[6:7], s[4:5], 0x18
	s_load_dword s10, s[4:5], 0x20
	s_load_dword s11, s[4:5], 0xe0
	s_load_dwordx2 s[8:9], s[4:5], 0xd8
	s_waitcnt lgkmcnt(0)
	v_mul_hi_u32 v1, s7, v0
	v_add_u32_e32 v1, v0, v1
	v_lshrrev_b32_e32 v1, s10, v1
	v_mul_lo_u32 v1, v1, s6
	v_sub_u32_e32 v0, v0, v1
	v_mad_u64_u32 v[30:31], s[4:5], v0, s8, v[30:31]
	v_mad_u64_u32 v[4:5], s[4:5], v0, s9, v[4:5]
	;; [unrolled: 1-line block ×3, first 2 shown]
.LBB192_44:
	s_cbranch_execz .LBB192_46
	s_branch .LBB192_48
.LBB192_45:
                                        ; implicit-def: $vgpr2
                                        ; implicit-def: $vgpr4
                                        ; implicit-def: $vgpr30
.LBB192_46:
	s_waitcnt lgkmcnt(0)
	v_mul_hi_u32 v0, s41, v40
	v_add_u32_e32 v0, v40, v0
	v_lshrrev_b32_e32 v0, s42, v0
	v_mul_lo_u32 v1, v0, s40
	v_sub_u32_e32 v1, v40, v1
	v_mul_lo_u32 v30, v1, s36
	v_mul_lo_u32 v2, v1, s38
	s_andn2_b64 vcc, exec, s[50:51]
	v_mul_lo_u32 v4, v1, s37
	s_cbranch_vccnz .LBB192_48
; %bb.47:
	v_mul_hi_u32 v1, s48, v0
	v_add_u32_e32 v1, v0, v1
	v_lshrrev_b32_e32 v1, s49, v1
	v_mul_lo_u32 v1, v1, s43
	v_sub_u32_e32 v0, v0, v1
	v_mad_u64_u32 v[30:31], s[4:5], v0, s39, v[30:31]
	v_mad_u64_u32 v[4:5], s[4:5], v0, s46, v[4:5]
	;; [unrolled: 1-line block ×3, first 2 shown]
.LBB192_48:
	s_waitcnt lgkmcnt(0)
	global_load_ushort v1, v2, s[44:45]
	global_load_dword v0, v4, s[26:27]
	s_getpc_b64 s[4:5]
	s_add_u32 s4, s4, _ZZZZN2at6native33launch_standard_gamma_grad_kernelERNS_18TensorIteratorBaseEENKUlvE_clEvENKUlvE0_clEvENKUlffE_clEff@rel32@lo+4
	s_addc_u32 s5, s5, _ZZZZN2at6native33launch_standard_gamma_grad_kernelERNS_18TensorIteratorBaseEENKUlvE_clEvENKUlvE0_clEvENKUlffE_clEff@rel32@hi+12
	s_waitcnt vmcnt(1)
	v_cvt_f32_f16_e32 v1, v1
	s_swappc_b64 s[30:31], s[4:5]
	global_store_dword v30, v0, s[24:25]
.LBB192_49:
	s_or_b64 exec, exec, s[54:55]
                                        ; implicit-def: $vgpr0
                                        ; implicit-def: $vgpr40
.LBB192_50:
	s_andn2_saveexec_b64 s[4:5], s[34:35]
	s_cbranch_execz .LBB192_57
; %bb.51:
	v_cndmask_b32_e64 v1, 0, 1, s[28:29]
	v_cmp_ne_u32_e64 s[4:5], 1, v1
	s_andn2_b64 vcc, exec, s[28:29]
	s_cbranch_vccnz .LBB192_58
; %bb.52:
	s_cmp_lg_u32 s33, 0
	v_mov_b32_e32 v2, 0
	v_mov_b32_e32 v4, 0
	v_mov_b32_e32 v34, 0
	s_cbranch_scc0 .LBB192_59
; %bb.53:
	s_min_u32 s8, s56, 15
	s_add_i32 s6, s8, 1
	s_and_b32 s9, s6, 30
	s_add_u32 s6, s22, 0xffffffec
	s_addc_u32 s7, s23, -1
	v_mov_b32_e32 v34, 0
	v_mov_b32_e32 v1, v40
	v_mov_b32_e32 v4, 0
	v_mov_b32_e32 v2, 0
.LBB192_54:                             ; =>This Inner Loop Header: Depth=1
	s_mov_b64 s[10:11], s[6:7]
	s_load_dwordx4 s[12:15], s[10:11], 0x18
	s_load_dwordx2 s[20:21], s[10:11], 0x28
	s_waitcnt lgkmcnt(0)
	s_load_dwordx2 s[24:25], s[10:11], 0xe8
	s_load_dwordx4 s[16:19], s[10:11], 0xd8
	s_add_u32 s6, s10, 24
	v_mul_hi_u32 v3, s13, v1
	v_add_u32_e32 v3, v1, v3
	v_lshrrev_b32_e32 v3, s14, v3
	v_mul_lo_u32 v5, v3, s12
	v_mul_hi_u32 v6, s20, v3
	v_sub_u32_e32 v1, v1, v5
	v_add_u32_e32 v5, v3, v6
	s_waitcnt lgkmcnt(0)
	v_mul_lo_u32 v6, v1, s16
	v_mul_lo_u32 v7, v1, s17
	;; [unrolled: 1-line block ×3, first 2 shown]
	v_lshrrev_b32_e32 v1, s21, v5
	v_mul_lo_u32 v5, v1, s15
	v_sub_u32_e32 v3, v3, v5
	s_addc_u32 s7, s11, 0
	s_add_i32 s9, s9, -2
	v_mul_lo_u32 v5, v3, s19
	v_mul_lo_u32 v9, v3, s24
	;; [unrolled: 1-line block ×3, first 2 shown]
	s_cmp_lg_u32 s9, 0
	v_add3_u32 v34, v6, v34, v5
	v_add3_u32 v2, v8, v2, v3
	;; [unrolled: 1-line block ×3, first 2 shown]
	s_cbranch_scc1 .LBB192_54
; %bb.55:
	s_bitcmp1_b32 s8, 0
	s_cselect_b64 s[8:9], -1, 0
	s_and_b64 vcc, exec, s[8:9]
	s_cbranch_vccnz .LBB192_59
; %bb.56:
	s_load_dwordx2 s[8:9], s[6:7], 0x18
	s_load_dword s12, s[6:7], 0x20
	s_load_dword s13, s[6:7], 0xe0
	s_load_dwordx2 s[10:11], s[6:7], 0xd8
	s_waitcnt lgkmcnt(0)
	v_mul_hi_u32 v3, s9, v1
	v_add_u32_e32 v3, v1, v3
	v_lshrrev_b32_e32 v3, s12, v3
	v_mul_lo_u32 v3, v3, s8
	v_sub_u32_e32 v1, v1, v3
	v_mad_u64_u32 v[34:35], s[6:7], v1, s10, v[34:35]
	v_mad_u64_u32 v[4:5], s[6:7], v1, s11, v[4:5]
	;; [unrolled: 1-line block ×3, first 2 shown]
	s_cbranch_execz .LBB192_60
	s_branch .LBB192_62
.LBB192_57:
	s_endpgm
.LBB192_58:
                                        ; implicit-def: $vgpr2
                                        ; implicit-def: $vgpr4
                                        ; implicit-def: $vgpr34
	s_branch .LBB192_60
.LBB192_59:
	s_cbranch_execnz .LBB192_62
.LBB192_60:
	s_load_dwordx4 s[8:11], s[22:23], 0x4
	s_load_dwordx4 s[12:15], s[22:23], 0xc4
	s_cmp_lt_u32 s33, 2
	s_waitcnt lgkmcnt(0)
	v_mul_hi_u32 v1, s9, v40
	v_add_u32_e32 v1, v40, v1
	v_lshrrev_b32_e32 v1, s10, v1
	v_mul_lo_u32 v2, v1, s8
	v_sub_u32_e32 v3, v40, v2
	v_mul_lo_u32 v34, v3, s12
	v_mul_lo_u32 v2, v3, s14
	;; [unrolled: 1-line block ×3, first 2 shown]
	s_cbranch_scc1 .LBB192_62
; %bb.61:
	s_load_dwordx4 s[8:11], s[22:23], 0x10
	s_load_dwordx4 s[12:15], s[22:23], 0xd0
	s_waitcnt lgkmcnt(0)
	v_mul_hi_u32 v3, s9, v1
	v_add_u32_e32 v3, v1, v3
	v_lshrrev_b32_e32 v3, s10, v3
	v_mul_lo_u32 v3, v3, s8
	v_sub_u32_e32 v1, v1, v3
	v_mad_u64_u32 v[34:35], s[6:7], v1, s12, v[34:35]
	v_mad_u64_u32 v[4:5], s[6:7], v1, s13, v[4:5]
	;; [unrolled: 1-line block ×3, first 2 shown]
.LBB192_62:
	s_and_b64 vcc, exec, s[4:5]
	v_add_u32_e32 v1, 0x80, v40
	s_cbranch_vccnz .LBB192_68
; %bb.63:
	s_cmp_lg_u32 s33, 0
	v_mov_b32_e32 v32, 0
	v_mov_b32_e32 v38, 0
	;; [unrolled: 1-line block ×3, first 2 shown]
	s_cbranch_scc0 .LBB192_69
; %bb.64:
	s_min_u32 s8, s56, 15
	s_add_i32 s6, s8, 1
	s_and_b32 s9, s6, 30
	s_add_u32 s6, s22, 0xffffffec
	s_addc_u32 s7, s23, -1
	v_mov_b32_e32 v36, 0
	v_mov_b32_e32 v3, v1
	;; [unrolled: 1-line block ×4, first 2 shown]
.LBB192_65:                             ; =>This Inner Loop Header: Depth=1
	s_mov_b64 s[10:11], s[6:7]
	s_load_dwordx4 s[12:15], s[10:11], 0x18
	s_load_dwordx2 s[20:21], s[10:11], 0x28
	s_waitcnt lgkmcnt(0)
	s_load_dwordx2 s[24:25], s[10:11], 0xe8
	s_load_dwordx4 s[16:19], s[10:11], 0xd8
	s_add_u32 s6, s10, 24
	v_mul_hi_u32 v5, s13, v3
	v_add_u32_e32 v5, v3, v5
	v_lshrrev_b32_e32 v5, s14, v5
	v_mul_lo_u32 v6, v5, s12
	v_mul_hi_u32 v7, s20, v5
	v_sub_u32_e32 v3, v3, v6
	v_add_u32_e32 v6, v5, v7
	s_waitcnt lgkmcnt(0)
	v_mul_lo_u32 v7, v3, s16
	v_mul_lo_u32 v8, v3, s17
	;; [unrolled: 1-line block ×3, first 2 shown]
	v_lshrrev_b32_e32 v3, s21, v6
	v_mul_lo_u32 v6, v3, s15
	v_sub_u32_e32 v5, v5, v6
	s_addc_u32 s7, s11, 0
	s_add_i32 s9, s9, -2
	v_mul_lo_u32 v6, v5, s19
	v_mul_lo_u32 v10, v5, s24
	;; [unrolled: 1-line block ×3, first 2 shown]
	s_cmp_lg_u32 s9, 0
	v_add3_u32 v36, v7, v36, v6
	v_add3_u32 v32, v9, v32, v5
	;; [unrolled: 1-line block ×3, first 2 shown]
	s_cbranch_scc1 .LBB192_65
; %bb.66:
	s_bitcmp1_b32 s8, 0
	s_cselect_b64 s[8:9], -1, 0
	s_and_b64 vcc, exec, s[8:9]
	s_cbranch_vccnz .LBB192_69
; %bb.67:
	s_load_dwordx2 s[8:9], s[6:7], 0x18
	s_load_dword s12, s[6:7], 0x20
	s_load_dword s13, s[6:7], 0xe0
	s_load_dwordx2 s[10:11], s[6:7], 0xd8
	s_waitcnt lgkmcnt(0)
	v_mul_hi_u32 v5, s9, v3
	v_add_u32_e32 v5, v3, v5
	v_lshrrev_b32_e32 v5, s12, v5
	v_mul_lo_u32 v5, v5, s8
	v_sub_u32_e32 v3, v3, v5
	v_mad_u64_u32 v[36:37], s[6:7], v3, s10, v[36:37]
	v_mad_u64_u32 v[38:39], s[6:7], v3, s11, v[38:39]
	;; [unrolled: 1-line block ×3, first 2 shown]
	s_cbranch_execz .LBB192_70
	s_branch .LBB192_72
.LBB192_68:
                                        ; implicit-def: $vgpr32
                                        ; implicit-def: $vgpr38
                                        ; implicit-def: $vgpr36
	s_branch .LBB192_70
.LBB192_69:
	s_cbranch_execnz .LBB192_72
.LBB192_70:
	s_load_dwordx4 s[8:11], s[22:23], 0x4
	s_load_dwordx4 s[12:15], s[22:23], 0xc4
	s_cmp_lt_u32 s33, 2
	s_waitcnt lgkmcnt(0)
	v_mul_hi_u32 v3, s9, v1
	v_add_u32_e32 v3, v1, v3
	v_lshrrev_b32_e32 v3, s10, v3
	v_mul_lo_u32 v5, v3, s8
	v_sub_u32_e32 v1, v1, v5
	v_mul_lo_u32 v36, v1, s12
	v_mul_lo_u32 v32, v1, s14
	v_mul_lo_u32 v38, v1, s13
	s_cbranch_scc1 .LBB192_72
; %bb.71:
	s_load_dwordx4 s[8:11], s[22:23], 0x10
	s_load_dwordx4 s[12:15], s[22:23], 0xd0
	s_waitcnt lgkmcnt(0)
	v_mul_hi_u32 v1, s9, v3
	v_add_u32_e32 v1, v3, v1
	v_lshrrev_b32_e32 v1, s10, v1
	v_mul_lo_u32 v1, v1, s8
	v_sub_u32_e32 v1, v3, v1
	v_mad_u64_u32 v[36:37], s[6:7], v1, s12, v[36:37]
	v_mad_u64_u32 v[38:39], s[6:7], v1, s13, v[38:39]
	;; [unrolled: 1-line block ×3, first 2 shown]
.LBB192_72:
	s_and_b64 vcc, exec, s[4:5]
	v_add_u32_e32 v1, 0x100, v40
	s_cbranch_vccnz .LBB192_78
; %bb.73:
	s_cmp_lg_u32 s33, 0
	v_mov_b32_e32 v42, 0
	v_mov_b32_e32 v44, 0
	;; [unrolled: 1-line block ×3, first 2 shown]
	s_cbranch_scc0 .LBB192_79
; %bb.74:
	s_min_u32 s8, s56, 15
	s_add_i32 s6, s8, 1
	s_and_b32 s9, s6, 30
	s_add_u32 s6, s22, 0xffffffec
	s_addc_u32 s7, s23, -1
	v_mov_b32_e32 v40, 0
	v_mov_b32_e32 v3, v1
	;; [unrolled: 1-line block ×4, first 2 shown]
.LBB192_75:                             ; =>This Inner Loop Header: Depth=1
	s_mov_b64 s[10:11], s[6:7]
	s_load_dwordx4 s[12:15], s[10:11], 0x18
	s_load_dwordx2 s[20:21], s[10:11], 0x28
	s_waitcnt lgkmcnt(0)
	s_load_dwordx2 s[24:25], s[10:11], 0xe8
	s_load_dwordx4 s[16:19], s[10:11], 0xd8
	s_add_u32 s6, s10, 24
	v_mul_hi_u32 v5, s13, v3
	v_add_u32_e32 v5, v3, v5
	v_lshrrev_b32_e32 v5, s14, v5
	v_mul_lo_u32 v6, v5, s12
	v_mul_hi_u32 v7, s20, v5
	v_sub_u32_e32 v3, v3, v6
	v_add_u32_e32 v6, v5, v7
	s_waitcnt lgkmcnt(0)
	v_mul_lo_u32 v7, v3, s16
	v_mul_lo_u32 v8, v3, s17
	;; [unrolled: 1-line block ×3, first 2 shown]
	v_lshrrev_b32_e32 v3, s21, v6
	v_mul_lo_u32 v6, v3, s15
	v_sub_u32_e32 v5, v5, v6
	s_addc_u32 s7, s11, 0
	s_add_i32 s9, s9, -2
	v_mul_lo_u32 v6, v5, s19
	v_mul_lo_u32 v10, v5, s24
	;; [unrolled: 1-line block ×3, first 2 shown]
	s_cmp_lg_u32 s9, 0
	v_add3_u32 v40, v7, v40, v6
	v_add3_u32 v42, v9, v42, v5
	v_add3_u32 v44, v8, v44, v10
	s_cbranch_scc1 .LBB192_75
; %bb.76:
	s_bitcmp1_b32 s8, 0
	s_cselect_b64 s[8:9], -1, 0
	s_and_b64 vcc, exec, s[8:9]
	s_cbranch_vccnz .LBB192_79
; %bb.77:
	s_load_dwordx2 s[8:9], s[6:7], 0x18
	s_load_dword s12, s[6:7], 0x20
	s_load_dword s13, s[6:7], 0xe0
	s_load_dwordx2 s[10:11], s[6:7], 0xd8
	s_waitcnt lgkmcnt(0)
	v_mul_hi_u32 v5, s9, v3
	v_add_u32_e32 v5, v3, v5
	v_lshrrev_b32_e32 v5, s12, v5
	v_mul_lo_u32 v5, v5, s8
	v_sub_u32_e32 v3, v3, v5
	v_mad_u64_u32 v[40:41], s[6:7], v3, s10, v[40:41]
	v_mad_u64_u32 v[44:45], s[6:7], v3, s11, v[44:45]
	;; [unrolled: 1-line block ×3, first 2 shown]
	s_cbranch_execz .LBB192_80
	s_branch .LBB192_82
.LBB192_78:
                                        ; implicit-def: $vgpr42
                                        ; implicit-def: $vgpr44
                                        ; implicit-def: $vgpr40
	s_branch .LBB192_80
.LBB192_79:
	s_cbranch_execnz .LBB192_82
.LBB192_80:
	s_load_dwordx4 s[8:11], s[22:23], 0x4
	s_load_dwordx4 s[12:15], s[22:23], 0xc4
	s_cmp_lt_u32 s33, 2
	s_waitcnt lgkmcnt(0)
	v_mul_hi_u32 v3, s9, v1
	v_add_u32_e32 v3, v1, v3
	v_lshrrev_b32_e32 v3, s10, v3
	v_mul_lo_u32 v5, v3, s8
	v_sub_u32_e32 v1, v1, v5
	v_mul_lo_u32 v40, v1, s12
	v_mul_lo_u32 v42, v1, s14
	;; [unrolled: 1-line block ×3, first 2 shown]
	s_cbranch_scc1 .LBB192_82
; %bb.81:
	s_load_dwordx4 s[8:11], s[22:23], 0x10
	s_load_dwordx4 s[12:15], s[22:23], 0xd0
	s_waitcnt lgkmcnt(0)
	v_mul_hi_u32 v1, s9, v3
	v_add_u32_e32 v1, v3, v1
	v_lshrrev_b32_e32 v1, s10, v1
	v_mul_lo_u32 v1, v1, s8
	v_sub_u32_e32 v1, v3, v1
	v_mad_u64_u32 v[40:41], s[6:7], v1, s12, v[40:41]
	v_mad_u64_u32 v[44:45], s[6:7], v1, s13, v[44:45]
	;; [unrolled: 1-line block ×3, first 2 shown]
.LBB192_82:
	s_and_b64 vcc, exec, s[4:5]
	s_cbranch_vccnz .LBB192_88
; %bb.83:
	s_cmp_lg_u32 s33, 0
	v_mov_b32_e32 v48, 0
	v_mov_b32_e32 v50, 0
	;; [unrolled: 1-line block ×3, first 2 shown]
	s_cbranch_scc0 .LBB192_89
; %bb.84:
	s_min_u32 s6, s56, 15
	s_add_i32 s4, s6, 1
	s_and_b32 s7, s4, 30
	s_add_u32 s4, s22, 0xffffffec
	s_addc_u32 s5, s23, -1
	v_mov_b32_e32 v46, 0
	v_mov_b32_e32 v1, v0
	;; [unrolled: 1-line block ×4, first 2 shown]
.LBB192_85:                             ; =>This Inner Loop Header: Depth=1
	s_mov_b64 s[16:17], s[4:5]
	s_load_dwordx4 s[8:11], s[16:17], 0x18
	s_load_dwordx2 s[18:19], s[16:17], 0x28
	s_load_dwordx2 s[20:21], s[16:17], 0xe8
	s_load_dwordx4 s[12:15], s[16:17], 0xd8
	s_add_u32 s4, s16, 24
	s_waitcnt lgkmcnt(0)
	v_mul_hi_u32 v3, s9, v1
	v_add_u32_e32 v3, v1, v3
	v_lshrrev_b32_e32 v3, s10, v3
	v_mul_lo_u32 v5, v3, s8
	v_mul_hi_u32 v6, s18, v3
	v_sub_u32_e32 v1, v1, v5
	v_add_u32_e32 v5, v3, v6
	v_mul_lo_u32 v6, v1, s12
	v_mul_lo_u32 v7, v1, s13
	;; [unrolled: 1-line block ×3, first 2 shown]
	v_lshrrev_b32_e32 v1, s19, v5
	v_mul_lo_u32 v5, v1, s11
	v_sub_u32_e32 v3, v3, v5
	s_addc_u32 s5, s17, 0
	s_add_i32 s7, s7, -2
	v_mul_lo_u32 v5, v3, s15
	v_mul_lo_u32 v9, v3, s20
	;; [unrolled: 1-line block ×3, first 2 shown]
	s_cmp_lg_u32 s7, 0
	v_add3_u32 v46, v6, v46, v5
	v_add3_u32 v48, v8, v48, v3
	;; [unrolled: 1-line block ×3, first 2 shown]
	s_cbranch_scc1 .LBB192_85
; %bb.86:
	s_bitcmp1_b32 s6, 0
	s_cselect_b64 s[6:7], -1, 0
	s_and_b64 vcc, exec, s[6:7]
	s_cbranch_vccnz .LBB192_89
; %bb.87:
	s_load_dwordx2 s[6:7], s[4:5], 0x18
	s_load_dword s10, s[4:5], 0x20
	s_load_dword s11, s[4:5], 0xe0
	s_load_dwordx2 s[8:9], s[4:5], 0xd8
	s_waitcnt lgkmcnt(0)
	v_mul_hi_u32 v3, s7, v1
	v_add_u32_e32 v3, v1, v3
	v_lshrrev_b32_e32 v3, s10, v3
	v_mul_lo_u32 v3, v3, s6
	v_sub_u32_e32 v1, v1, v3
	v_mad_u64_u32 v[46:47], s[4:5], v1, s8, v[46:47]
	v_mad_u64_u32 v[50:51], s[4:5], v1, s9, v[50:51]
	;; [unrolled: 1-line block ×3, first 2 shown]
	s_cbranch_execz .LBB192_90
	s_branch .LBB192_92
.LBB192_88:
                                        ; implicit-def: $vgpr48
                                        ; implicit-def: $vgpr50
                                        ; implicit-def: $vgpr46
	s_branch .LBB192_90
.LBB192_89:
	s_cbranch_execnz .LBB192_92
.LBB192_90:
	s_load_dwordx4 s[4:7], s[22:23], 0x4
	s_load_dwordx4 s[8:11], s[22:23], 0xc4
	s_cmp_lt_u32 s33, 2
	s_waitcnt lgkmcnt(0)
	v_mul_hi_u32 v1, s5, v0
	v_add_u32_e32 v1, v0, v1
	v_lshrrev_b32_e32 v1, s6, v1
	v_mul_lo_u32 v3, v1, s4
	v_sub_u32_e32 v0, v0, v3
	v_mul_lo_u32 v46, v0, s8
	v_mul_lo_u32 v48, v0, s10
	v_mul_lo_u32 v50, v0, s9
	s_cbranch_scc1 .LBB192_92
; %bb.91:
	s_load_dwordx4 s[4:7], s[22:23], 0x10
	s_load_dwordx4 s[8:11], s[22:23], 0xd0
	s_waitcnt lgkmcnt(0)
	v_mul_hi_u32 v0, s5, v1
	v_add_u32_e32 v0, v1, v0
	v_lshrrev_b32_e32 v0, s6, v0
	v_mul_lo_u32 v0, v0, s4
	v_sub_u32_e32 v0, v1, v0
	v_mad_u64_u32 v[46:47], s[4:5], v0, s8, v[46:47]
	v_mad_u64_u32 v[50:51], s[4:5], v0, s9, v[50:51]
	;; [unrolled: 1-line block ×3, first 2 shown]
.LBB192_92:
	s_load_dwordx2 s[28:29], s[22:23], 0x198
	s_waitcnt lgkmcnt(0)
	s_load_dwordx4 s[24:27], s[22:23], 0x188
	s_getpc_b64 s[22:23]
	s_add_u32 s22, s22, _ZZZZN2at6native33launch_standard_gamma_grad_kernelERNS_18TensorIteratorBaseEENKUlvE_clEvENKUlvE0_clEvENKUlffE_clEff@rel32@lo+4
	s_addc_u32 s23, s23, _ZZZZN2at6native33launch_standard_gamma_grad_kernelERNS_18TensorIteratorBaseEENKUlvE_clEvENKUlvE0_clEvENKUlffE_clEff@rel32@hi+12
	global_load_ushort v1, v2, s[28:29]
	s_waitcnt lgkmcnt(0)
	global_load_dword v0, v4, s[26:27]
	s_waitcnt vmcnt(1)
	v_cvt_f32_f16_e32 v1, v1
	s_swappc_b64 s[30:31], s[22:23]
	v_mov_b32_e32 v30, v0
	global_load_ushort v1, v32, s[28:29]
	global_load_dword v0, v38, s[26:27]
	s_waitcnt vmcnt(1)
	v_cvt_f32_f16_e32 v1, v1
	s_swappc_b64 s[30:31], s[22:23]
	v_mov_b32_e32 v31, v0
	global_load_ushort v1, v42, s[28:29]
	;; [unrolled: 6-line block ×3, first 2 shown]
	global_load_dword v0, v50, s[26:27]
	s_waitcnt vmcnt(1)
	v_cvt_f32_f16_e32 v1, v1
	s_swappc_b64 s[30:31], s[22:23]
	global_store_dword v34, v30, s[24:25]
	global_store_dword v36, v31, s[24:25]
	;; [unrolled: 1-line block ×4, first 2 shown]
	s_endpgm
	.section	.rodata,"a",@progbits
	.p2align	6, 0x0
	.amdhsa_kernel _ZN2at6native32elementwise_kernel_manual_unrollILi128ELi4EZNS0_12_GLOBAL__N_142type_specialized_broadcast_kernel_launcherILi3EE5applyIZZZNS0_33launch_standard_gamma_grad_kernelERNS_18TensorIteratorBaseEENKUlvE_clEvENKUlvE0_clEvEUlffE_St5arrayIPcLm3EESB_IN3c1010ScalarTypeELm3EE16OffsetCalculatorILi3EjLb0EEEEvlT_T0_T1_T2_EUlibE_EEviSL_
		.amdhsa_group_segment_fixed_size 0
		.amdhsa_private_segment_fixed_size 0
		.amdhsa_kernarg_size 432
		.amdhsa_user_sgpr_count 8
		.amdhsa_user_sgpr_private_segment_buffer 1
		.amdhsa_user_sgpr_dispatch_ptr 0
		.amdhsa_user_sgpr_queue_ptr 0
		.amdhsa_user_sgpr_kernarg_segment_ptr 1
		.amdhsa_user_sgpr_dispatch_id 0
		.amdhsa_user_sgpr_flat_scratch_init 1
		.amdhsa_user_sgpr_kernarg_preload_length 0
		.amdhsa_user_sgpr_kernarg_preload_offset 0
		.amdhsa_user_sgpr_private_segment_size 0
		.amdhsa_uses_dynamic_stack 0
		.amdhsa_system_sgpr_private_segment_wavefront_offset 0
		.amdhsa_system_sgpr_workgroup_id_x 1
		.amdhsa_system_sgpr_workgroup_id_y 0
		.amdhsa_system_sgpr_workgroup_id_z 0
		.amdhsa_system_sgpr_workgroup_info 0
		.amdhsa_system_vgpr_workitem_id 0
		.amdhsa_next_free_vgpr 52
		.amdhsa_next_free_sgpr 59
		.amdhsa_accum_offset 52
		.amdhsa_reserve_vcc 1
		.amdhsa_reserve_flat_scratch 1
		.amdhsa_float_round_mode_32 0
		.amdhsa_float_round_mode_16_64 0
		.amdhsa_float_denorm_mode_32 3
		.amdhsa_float_denorm_mode_16_64 3
		.amdhsa_dx10_clamp 1
		.amdhsa_ieee_mode 1
		.amdhsa_fp16_overflow 0
		.amdhsa_tg_split 0
		.amdhsa_exception_fp_ieee_invalid_op 0
		.amdhsa_exception_fp_denorm_src 0
		.amdhsa_exception_fp_ieee_div_zero 0
		.amdhsa_exception_fp_ieee_overflow 0
		.amdhsa_exception_fp_ieee_underflow 0
		.amdhsa_exception_fp_ieee_inexact 0
		.amdhsa_exception_int_div_zero 0
	.end_amdhsa_kernel
	.section	.text._ZN2at6native32elementwise_kernel_manual_unrollILi128ELi4EZNS0_12_GLOBAL__N_142type_specialized_broadcast_kernel_launcherILi3EE5applyIZZZNS0_33launch_standard_gamma_grad_kernelERNS_18TensorIteratorBaseEENKUlvE_clEvENKUlvE0_clEvEUlffE_St5arrayIPcLm3EESB_IN3c1010ScalarTypeELm3EE16OffsetCalculatorILi3EjLb0EEEEvlT_T0_T1_T2_EUlibE_EEviSL_,"axG",@progbits,_ZN2at6native32elementwise_kernel_manual_unrollILi128ELi4EZNS0_12_GLOBAL__N_142type_specialized_broadcast_kernel_launcherILi3EE5applyIZZZNS0_33launch_standard_gamma_grad_kernelERNS_18TensorIteratorBaseEENKUlvE_clEvENKUlvE0_clEvEUlffE_St5arrayIPcLm3EESB_IN3c1010ScalarTypeELm3EE16OffsetCalculatorILi3EjLb0EEEEvlT_T0_T1_T2_EUlibE_EEviSL_,comdat
.Lfunc_end192:
	.size	_ZN2at6native32elementwise_kernel_manual_unrollILi128ELi4EZNS0_12_GLOBAL__N_142type_specialized_broadcast_kernel_launcherILi3EE5applyIZZZNS0_33launch_standard_gamma_grad_kernelERNS_18TensorIteratorBaseEENKUlvE_clEvENKUlvE0_clEvEUlffE_St5arrayIPcLm3EESB_IN3c1010ScalarTypeELm3EE16OffsetCalculatorILi3EjLb0EEEEvlT_T0_T1_T2_EUlibE_EEviSL_, .Lfunc_end192-_ZN2at6native32elementwise_kernel_manual_unrollILi128ELi4EZNS0_12_GLOBAL__N_142type_specialized_broadcast_kernel_launcherILi3EE5applyIZZZNS0_33launch_standard_gamma_grad_kernelERNS_18TensorIteratorBaseEENKUlvE_clEvENKUlvE0_clEvEUlffE_St5arrayIPcLm3EESB_IN3c1010ScalarTypeELm3EE16OffsetCalculatorILi3EjLb0EEEEvlT_T0_T1_T2_EUlibE_EEviSL_
                                        ; -- End function
	.section	.AMDGPU.csdata,"",@progbits
; Kernel info:
; codeLenInByte = 4832
; NumSgprs: 65
; NumVgprs: 52
; NumAgprs: 0
; TotalNumVgprs: 52
; ScratchSize: 0
; MemoryBound: 0
; FloatMode: 240
; IeeeMode: 1
; LDSByteSize: 0 bytes/workgroup (compile time only)
; SGPRBlocks: 8
; VGPRBlocks: 6
; NumSGPRsForWavesPerEU: 65
; NumVGPRsForWavesPerEU: 52
; AccumOffset: 52
; Occupancy: 8
; WaveLimiterHint : 1
; COMPUTE_PGM_RSRC2:SCRATCH_EN: 0
; COMPUTE_PGM_RSRC2:USER_SGPR: 8
; COMPUTE_PGM_RSRC2:TRAP_HANDLER: 0
; COMPUTE_PGM_RSRC2:TGID_X_EN: 1
; COMPUTE_PGM_RSRC2:TGID_Y_EN: 0
; COMPUTE_PGM_RSRC2:TGID_Z_EN: 0
; COMPUTE_PGM_RSRC2:TIDIG_COMP_CNT: 0
; COMPUTE_PGM_RSRC3_GFX90A:ACCUM_OFFSET: 12
; COMPUTE_PGM_RSRC3_GFX90A:TG_SPLIT: 0
	.section	.text._ZN2at6native32elementwise_kernel_manual_unrollILi128ELi4EZNS0_12_GLOBAL__N_142type_specialized_broadcast_kernel_launcherILi4EE5applyIZZZNS0_33launch_standard_gamma_grad_kernelERNS_18TensorIteratorBaseEENKUlvE_clEvENKUlvE0_clEvEUlffE_St5arrayIPcLm3EESB_IN3c1010ScalarTypeELm3EE16OffsetCalculatorILi3EjLb0EEEEvlT_T0_T1_T2_EUlibE_EEviSL_,"axG",@progbits,_ZN2at6native32elementwise_kernel_manual_unrollILi128ELi4EZNS0_12_GLOBAL__N_142type_specialized_broadcast_kernel_launcherILi4EE5applyIZZZNS0_33launch_standard_gamma_grad_kernelERNS_18TensorIteratorBaseEENKUlvE_clEvENKUlvE0_clEvEUlffE_St5arrayIPcLm3EESB_IN3c1010ScalarTypeELm3EE16OffsetCalculatorILi3EjLb0EEEEvlT_T0_T1_T2_EUlibE_EEviSL_,comdat
	.globl	_ZN2at6native32elementwise_kernel_manual_unrollILi128ELi4EZNS0_12_GLOBAL__N_142type_specialized_broadcast_kernel_launcherILi4EE5applyIZZZNS0_33launch_standard_gamma_grad_kernelERNS_18TensorIteratorBaseEENKUlvE_clEvENKUlvE0_clEvEUlffE_St5arrayIPcLm3EESB_IN3c1010ScalarTypeELm3EE16OffsetCalculatorILi3EjLb0EEEEvlT_T0_T1_T2_EUlibE_EEviSL_ ; -- Begin function _ZN2at6native32elementwise_kernel_manual_unrollILi128ELi4EZNS0_12_GLOBAL__N_142type_specialized_broadcast_kernel_launcherILi4EE5applyIZZZNS0_33launch_standard_gamma_grad_kernelERNS_18TensorIteratorBaseEENKUlvE_clEvENKUlvE0_clEvEUlffE_St5arrayIPcLm3EESB_IN3c1010ScalarTypeELm3EE16OffsetCalculatorILi3EjLb0EEEEvlT_T0_T1_T2_EUlibE_EEviSL_
	.p2align	8
	.type	_ZN2at6native32elementwise_kernel_manual_unrollILi128ELi4EZNS0_12_GLOBAL__N_142type_specialized_broadcast_kernel_launcherILi4EE5applyIZZZNS0_33launch_standard_gamma_grad_kernelERNS_18TensorIteratorBaseEENKUlvE_clEvENKUlvE0_clEvEUlffE_St5arrayIPcLm3EESB_IN3c1010ScalarTypeELm3EE16OffsetCalculatorILi3EjLb0EEEEvlT_T0_T1_T2_EUlibE_EEviSL_,@function
_ZN2at6native32elementwise_kernel_manual_unrollILi128ELi4EZNS0_12_GLOBAL__N_142type_specialized_broadcast_kernel_launcherILi4EE5applyIZZZNS0_33launch_standard_gamma_grad_kernelERNS_18TensorIteratorBaseEENKUlvE_clEvENKUlvE0_clEvEUlffE_St5arrayIPcLm3EESB_IN3c1010ScalarTypeELm3EE16OffsetCalculatorILi3EjLb0EEEEvlT_T0_T1_T2_EUlibE_EEviSL_: ; @_ZN2at6native32elementwise_kernel_manual_unrollILi128ELi4EZNS0_12_GLOBAL__N_142type_specialized_broadcast_kernel_launcherILi4EE5applyIZZZNS0_33launch_standard_gamma_grad_kernelERNS_18TensorIteratorBaseEENKUlvE_clEvENKUlvE0_clEvEUlffE_St5arrayIPcLm3EESB_IN3c1010ScalarTypeELm3EE16OffsetCalculatorILi3EjLb0EEEEvlT_T0_T1_T2_EUlibE_EEviSL_
; %bb.0:
	s_load_dword s58, s[4:5], 0x0
	s_load_dword s33, s[4:5], 0x8
	s_add_u32 flat_scratch_lo, s6, s9
	s_addc_u32 flat_scratch_hi, s7, 0
	s_add_u32 s0, s0, s9
	s_mov_b64 s[22:23], s[4:5]
	s_addc_u32 s1, s1, 0
	s_or_b32 s22, s22, 8
	v_lshl_or_b32 v40, s8, 9, v0
	s_waitcnt lgkmcnt(0)
	s_add_i32 s56, s33, -1
	v_or_b32_e32 v4, 0x180, v40
	s_cmp_gt_u32 s56, 1
	v_cmp_le_i32_e32 vcc, s58, v4
	s_cselect_b64 s[28:29], -1, 0
	s_mov_b32 s32, 0
	s_and_saveexec_b64 s[4:5], vcc
	s_xor_b64 s[34:35], exec, s[4:5]
	s_cbranch_execz .LBB193_50
; %bb.1:
	s_load_dwordx4 s[40:43], s[22:23], 0x4
	s_load_dwordx2 s[48:49], s[22:23], 0x14
	s_load_dwordx4 s[36:39], s[22:23], 0xc4
	s_load_dwordx2 s[46:47], s[22:23], 0xd4
	s_load_dwordx2 s[44:45], s[22:23], 0x198
	s_load_dwordx4 s[24:27], s[22:23], 0x188
	s_cmp_lg_u32 s33, 0
	s_cselect_b64 s[52:53], -1, 0
	s_min_u32 s57, s56, 15
	s_cmp_gt_u32 s33, 1
	s_cselect_b64 s[50:51], -1, 0
	v_cmp_gt_i32_e32 vcc, s58, v40
	s_and_saveexec_b64 s[54:55], vcc
	s_cbranch_execnz .LBB193_5
; %bb.2:
	s_or_b64 exec, exec, s[54:55]
	v_cmp_gt_i32_e32 vcc, s58, v40
	s_and_saveexec_b64 s[54:55], vcc
	s_cbranch_execnz .LBB193_16
.LBB193_3:
	s_or_b64 exec, exec, s[54:55]
	v_cmp_gt_i32_e32 vcc, s58, v40
	s_and_saveexec_b64 s[54:55], vcc
	s_cbranch_execnz .LBB193_27
.LBB193_4:
	s_or_b64 exec, exec, s[54:55]
	v_cmp_gt_i32_e32 vcc, s58, v40
	s_and_saveexec_b64 s[54:55], vcc
	s_cbranch_execnz .LBB193_38
	s_branch .LBB193_49
.LBB193_5:
	s_andn2_b64 vcc, exec, s[28:29]
	s_cbranch_vccnz .LBB193_12
; %bb.6:
	s_andn2_b64 vcc, exec, s[52:53]
	v_mov_b32_e32 v0, 0
	v_mov_b32_e32 v2, 0
	;; [unrolled: 1-line block ×3, first 2 shown]
	s_cbranch_vccnz .LBB193_11
; %bb.7:
	s_add_i32 s4, s57, 1
	s_and_b32 s6, s4, 30
	s_add_u32 s4, s22, 0xffffffec
	s_addc_u32 s5, s23, -1
	v_mov_b32_e32 v30, 0
	v_mov_b32_e32 v1, v40
	v_mov_b32_e32 v2, 0
	v_mov_b32_e32 v0, 0
.LBB193_8:                              ; =>This Inner Loop Header: Depth=1
	s_mov_b64 s[16:17], s[4:5]
	s_load_dwordx4 s[8:11], s[16:17], 0x18
	s_load_dwordx2 s[18:19], s[16:17], 0x28
	s_load_dwordx2 s[20:21], s[16:17], 0xe8
	s_load_dwordx4 s[12:15], s[16:17], 0xd8
	s_add_u32 s4, s16, 24
	s_waitcnt lgkmcnt(0)
	v_mul_hi_u32 v3, s9, v1
	v_add_u32_e32 v3, v1, v3
	v_lshrrev_b32_e32 v3, s10, v3
	v_mul_lo_u32 v4, v3, s8
	v_mul_hi_u32 v5, s18, v3
	v_sub_u32_e32 v1, v1, v4
	v_add_u32_e32 v4, v3, v5
	v_mul_lo_u32 v5, v1, s12
	v_mul_lo_u32 v6, v1, s13
	;; [unrolled: 1-line block ×3, first 2 shown]
	v_lshrrev_b32_e32 v1, s19, v4
	v_mul_lo_u32 v4, v1, s11
	v_sub_u32_e32 v3, v3, v4
	s_addc_u32 s5, s17, 0
	s_add_i32 s6, s6, -2
	v_mul_lo_u32 v4, v3, s15
	v_mul_lo_u32 v8, v3, s20
	;; [unrolled: 1-line block ×3, first 2 shown]
	s_cmp_lg_u32 s6, 0
	v_add3_u32 v30, v5, v30, v4
	v_add3_u32 v0, v7, v0, v3
	;; [unrolled: 1-line block ×3, first 2 shown]
	s_cbranch_scc1 .LBB193_8
; %bb.9:
	s_bitcmp1_b32 s57, 0
	s_cselect_b64 s[6:7], -1, 0
	s_and_b64 vcc, exec, s[6:7]
	s_cbranch_vccnz .LBB193_11
; %bb.10:
	s_load_dwordx2 s[6:7], s[4:5], 0x18
	s_load_dword s10, s[4:5], 0x20
	s_load_dword s11, s[4:5], 0xe0
	s_load_dwordx2 s[8:9], s[4:5], 0xd8
	s_waitcnt lgkmcnt(0)
	v_mul_hi_u32 v3, s7, v1
	v_add_u32_e32 v3, v1, v3
	v_lshrrev_b32_e32 v3, s10, v3
	v_mul_lo_u32 v3, v3, s6
	v_sub_u32_e32 v1, v1, v3
	v_mad_u64_u32 v[30:31], s[4:5], v1, s8, v[30:31]
	v_mad_u64_u32 v[2:3], s[4:5], v1, s9, v[2:3]
	;; [unrolled: 1-line block ×3, first 2 shown]
.LBB193_11:
	s_cbranch_execz .LBB193_13
	s_branch .LBB193_15
.LBB193_12:
                                        ; implicit-def: $vgpr0
                                        ; implicit-def: $vgpr2
                                        ; implicit-def: $vgpr30
.LBB193_13:
	s_waitcnt lgkmcnt(0)
	v_mul_hi_u32 v0, s41, v40
	v_add_u32_e32 v0, v40, v0
	v_lshrrev_b32_e32 v1, s42, v0
	v_mul_lo_u32 v0, v1, s40
	v_sub_u32_e32 v2, v40, v0
	v_mul_lo_u32 v30, v2, s36
	v_mul_lo_u32 v0, v2, s38
	s_andn2_b64 vcc, exec, s[50:51]
	v_mul_lo_u32 v2, v2, s37
	s_cbranch_vccnz .LBB193_15
; %bb.14:
	v_mul_hi_u32 v3, s48, v1
	v_add_u32_e32 v3, v1, v3
	v_lshrrev_b32_e32 v3, s49, v3
	v_mul_lo_u32 v3, v3, s43
	v_sub_u32_e32 v1, v1, v3
	v_mad_u64_u32 v[30:31], s[4:5], v1, s39, v[30:31]
	v_mad_u64_u32 v[2:3], s[4:5], v1, s46, v[2:3]
	;; [unrolled: 1-line block ×3, first 2 shown]
.LBB193_15:
	s_waitcnt lgkmcnt(0)
	global_load_ushort v3, v2, s[26:27]
	global_load_dword v1, v0, s[44:45]
	s_getpc_b64 s[4:5]
	s_add_u32 s4, s4, _ZZZZN2at6native33launch_standard_gamma_grad_kernelERNS_18TensorIteratorBaseEENKUlvE_clEvENKUlvE0_clEvENKUlffE_clEff@rel32@lo+4
	s_addc_u32 s5, s5, _ZZZZN2at6native33launch_standard_gamma_grad_kernelERNS_18TensorIteratorBaseEENKUlvE_clEvENKUlvE0_clEvENKUlffE_clEff@rel32@hi+12
	s_waitcnt vmcnt(1)
	v_cvt_f32_f16_e32 v0, v3
	s_swappc_b64 s[30:31], s[4:5]
	v_add_u32_e32 v40, 0x80, v40
	global_store_dword v30, v0, s[24:25]
	s_or_b64 exec, exec, s[54:55]
	v_cmp_gt_i32_e32 vcc, s58, v40
	s_and_saveexec_b64 s[54:55], vcc
	s_cbranch_execz .LBB193_3
.LBB193_16:
	s_andn2_b64 vcc, exec, s[28:29]
	s_cbranch_vccnz .LBB193_23
; %bb.17:
	s_andn2_b64 vcc, exec, s[52:53]
	v_mov_b32_e32 v0, 0
	v_mov_b32_e32 v2, 0
	;; [unrolled: 1-line block ×3, first 2 shown]
	s_cbranch_vccnz .LBB193_22
; %bb.18:
	s_add_i32 s4, s57, 1
	s_and_b32 s6, s4, 30
	s_add_u32 s4, s22, 0xffffffec
	s_addc_u32 s5, s23, -1
	v_mov_b32_e32 v30, 0
	v_mov_b32_e32 v1, v40
	;; [unrolled: 1-line block ×4, first 2 shown]
.LBB193_19:                             ; =>This Inner Loop Header: Depth=1
	s_mov_b64 s[16:17], s[4:5]
	s_load_dwordx4 s[8:11], s[16:17], 0x18
	s_load_dwordx2 s[18:19], s[16:17], 0x28
	s_load_dwordx2 s[20:21], s[16:17], 0xe8
	s_load_dwordx4 s[12:15], s[16:17], 0xd8
	s_add_u32 s4, s16, 24
	s_waitcnt lgkmcnt(0)
	v_mul_hi_u32 v3, s9, v1
	v_add_u32_e32 v3, v1, v3
	v_lshrrev_b32_e32 v3, s10, v3
	v_mul_lo_u32 v4, v3, s8
	v_mul_hi_u32 v5, s18, v3
	v_sub_u32_e32 v1, v1, v4
	v_add_u32_e32 v4, v3, v5
	v_mul_lo_u32 v5, v1, s12
	v_mul_lo_u32 v6, v1, s13
	;; [unrolled: 1-line block ×3, first 2 shown]
	v_lshrrev_b32_e32 v1, s19, v4
	v_mul_lo_u32 v4, v1, s11
	v_sub_u32_e32 v3, v3, v4
	s_addc_u32 s5, s17, 0
	s_add_i32 s6, s6, -2
	v_mul_lo_u32 v4, v3, s15
	v_mul_lo_u32 v8, v3, s20
	;; [unrolled: 1-line block ×3, first 2 shown]
	s_cmp_eq_u32 s6, 0
	v_add3_u32 v30, v5, v30, v4
	v_add3_u32 v0, v7, v0, v3
	;; [unrolled: 1-line block ×3, first 2 shown]
	s_cbranch_scc0 .LBB193_19
; %bb.20:
	s_bitcmp1_b32 s57, 0
	s_cselect_b64 s[6:7], -1, 0
	s_and_b64 vcc, exec, s[6:7]
	s_cbranch_vccnz .LBB193_22
; %bb.21:
	s_load_dwordx2 s[6:7], s[4:5], 0x18
	s_load_dword s10, s[4:5], 0x20
	s_load_dword s11, s[4:5], 0xe0
	s_load_dwordx2 s[8:9], s[4:5], 0xd8
	s_waitcnt lgkmcnt(0)
	v_mul_hi_u32 v3, s7, v1
	v_add_u32_e32 v3, v1, v3
	v_lshrrev_b32_e32 v3, s10, v3
	v_mul_lo_u32 v3, v3, s6
	v_sub_u32_e32 v1, v1, v3
	v_mad_u64_u32 v[30:31], s[4:5], v1, s8, v[30:31]
	v_mad_u64_u32 v[2:3], s[4:5], v1, s9, v[2:3]
	;; [unrolled: 1-line block ×3, first 2 shown]
.LBB193_22:
	s_cbranch_execz .LBB193_24
	s_branch .LBB193_26
.LBB193_23:
                                        ; implicit-def: $vgpr0
                                        ; implicit-def: $vgpr2
                                        ; implicit-def: $vgpr30
.LBB193_24:
	s_waitcnt lgkmcnt(0)
	v_mul_hi_u32 v0, s41, v40
	v_add_u32_e32 v0, v40, v0
	v_lshrrev_b32_e32 v1, s42, v0
	v_mul_lo_u32 v0, v1, s40
	v_sub_u32_e32 v2, v40, v0
	v_mul_lo_u32 v30, v2, s36
	v_mul_lo_u32 v0, v2, s38
	s_andn2_b64 vcc, exec, s[50:51]
	v_mul_lo_u32 v2, v2, s37
	s_cbranch_vccnz .LBB193_26
; %bb.25:
	v_mul_hi_u32 v3, s48, v1
	v_add_u32_e32 v3, v1, v3
	v_lshrrev_b32_e32 v3, s49, v3
	v_mul_lo_u32 v3, v3, s43
	v_sub_u32_e32 v1, v1, v3
	v_mad_u64_u32 v[30:31], s[4:5], v1, s39, v[30:31]
	v_mad_u64_u32 v[2:3], s[4:5], v1, s46, v[2:3]
	;; [unrolled: 1-line block ×3, first 2 shown]
.LBB193_26:
	s_waitcnt lgkmcnt(0)
	global_load_ushort v3, v2, s[26:27]
	global_load_dword v1, v0, s[44:45]
	s_getpc_b64 s[4:5]
	s_add_u32 s4, s4, _ZZZZN2at6native33launch_standard_gamma_grad_kernelERNS_18TensorIteratorBaseEENKUlvE_clEvENKUlvE0_clEvENKUlffE_clEff@rel32@lo+4
	s_addc_u32 s5, s5, _ZZZZN2at6native33launch_standard_gamma_grad_kernelERNS_18TensorIteratorBaseEENKUlvE_clEvENKUlvE0_clEvENKUlffE_clEff@rel32@hi+12
	s_waitcnt vmcnt(1)
	v_cvt_f32_f16_e32 v0, v3
	s_swappc_b64 s[30:31], s[4:5]
	v_add_u32_e32 v40, 0x80, v40
	global_store_dword v30, v0, s[24:25]
	s_or_b64 exec, exec, s[54:55]
	v_cmp_gt_i32_e32 vcc, s58, v40
	s_and_saveexec_b64 s[54:55], vcc
	s_cbranch_execz .LBB193_4
.LBB193_27:
	s_andn2_b64 vcc, exec, s[28:29]
	s_cbranch_vccnz .LBB193_34
; %bb.28:
	s_andn2_b64 vcc, exec, s[52:53]
	v_mov_b32_e32 v0, 0
	v_mov_b32_e32 v2, 0
	;; [unrolled: 1-line block ×3, first 2 shown]
	s_cbranch_vccnz .LBB193_33
; %bb.29:
	s_add_i32 s4, s57, 1
	s_and_b32 s6, s4, 30
	s_add_u32 s4, s22, 0xffffffec
	s_addc_u32 s5, s23, -1
	v_mov_b32_e32 v30, 0
	v_mov_b32_e32 v1, v40
	;; [unrolled: 1-line block ×4, first 2 shown]
.LBB193_30:                             ; =>This Inner Loop Header: Depth=1
	s_mov_b64 s[16:17], s[4:5]
	s_load_dwordx4 s[8:11], s[16:17], 0x18
	s_load_dwordx2 s[18:19], s[16:17], 0x28
	s_load_dwordx2 s[20:21], s[16:17], 0xe8
	s_load_dwordx4 s[12:15], s[16:17], 0xd8
	s_add_u32 s4, s16, 24
	s_waitcnt lgkmcnt(0)
	v_mul_hi_u32 v3, s9, v1
	v_add_u32_e32 v3, v1, v3
	v_lshrrev_b32_e32 v3, s10, v3
	v_mul_lo_u32 v4, v3, s8
	v_mul_hi_u32 v5, s18, v3
	v_sub_u32_e32 v1, v1, v4
	v_add_u32_e32 v4, v3, v5
	v_mul_lo_u32 v5, v1, s12
	v_mul_lo_u32 v6, v1, s13
	;; [unrolled: 1-line block ×3, first 2 shown]
	v_lshrrev_b32_e32 v1, s19, v4
	v_mul_lo_u32 v4, v1, s11
	v_sub_u32_e32 v3, v3, v4
	s_addc_u32 s5, s17, 0
	s_add_i32 s6, s6, -2
	v_mul_lo_u32 v4, v3, s15
	v_mul_lo_u32 v8, v3, s20
	;; [unrolled: 1-line block ×3, first 2 shown]
	s_cmp_eq_u32 s6, 0
	v_add3_u32 v30, v5, v30, v4
	v_add3_u32 v0, v7, v0, v3
	;; [unrolled: 1-line block ×3, first 2 shown]
	s_cbranch_scc0 .LBB193_30
; %bb.31:
	s_bitcmp1_b32 s57, 0
	s_cselect_b64 s[6:7], -1, 0
	s_and_b64 vcc, exec, s[6:7]
	s_cbranch_vccnz .LBB193_33
; %bb.32:
	s_load_dwordx2 s[6:7], s[4:5], 0x18
	s_load_dword s10, s[4:5], 0x20
	s_load_dword s11, s[4:5], 0xe0
	s_load_dwordx2 s[8:9], s[4:5], 0xd8
	s_waitcnt lgkmcnt(0)
	v_mul_hi_u32 v3, s7, v1
	v_add_u32_e32 v3, v1, v3
	v_lshrrev_b32_e32 v3, s10, v3
	v_mul_lo_u32 v3, v3, s6
	v_sub_u32_e32 v1, v1, v3
	v_mad_u64_u32 v[30:31], s[4:5], v1, s8, v[30:31]
	v_mad_u64_u32 v[2:3], s[4:5], v1, s9, v[2:3]
	;; [unrolled: 1-line block ×3, first 2 shown]
.LBB193_33:
	s_cbranch_execz .LBB193_35
	s_branch .LBB193_37
.LBB193_34:
                                        ; implicit-def: $vgpr0
                                        ; implicit-def: $vgpr2
                                        ; implicit-def: $vgpr30
.LBB193_35:
	s_waitcnt lgkmcnt(0)
	v_mul_hi_u32 v0, s41, v40
	v_add_u32_e32 v0, v40, v0
	v_lshrrev_b32_e32 v1, s42, v0
	v_mul_lo_u32 v0, v1, s40
	v_sub_u32_e32 v2, v40, v0
	v_mul_lo_u32 v30, v2, s36
	v_mul_lo_u32 v0, v2, s38
	s_andn2_b64 vcc, exec, s[50:51]
	v_mul_lo_u32 v2, v2, s37
	s_cbranch_vccnz .LBB193_37
; %bb.36:
	v_mul_hi_u32 v3, s48, v1
	v_add_u32_e32 v3, v1, v3
	v_lshrrev_b32_e32 v3, s49, v3
	v_mul_lo_u32 v3, v3, s43
	v_sub_u32_e32 v1, v1, v3
	v_mad_u64_u32 v[30:31], s[4:5], v1, s39, v[30:31]
	v_mad_u64_u32 v[2:3], s[4:5], v1, s46, v[2:3]
	;; [unrolled: 1-line block ×3, first 2 shown]
.LBB193_37:
	s_waitcnt lgkmcnt(0)
	global_load_ushort v3, v2, s[26:27]
	global_load_dword v1, v0, s[44:45]
	s_getpc_b64 s[4:5]
	s_add_u32 s4, s4, _ZZZZN2at6native33launch_standard_gamma_grad_kernelERNS_18TensorIteratorBaseEENKUlvE_clEvENKUlvE0_clEvENKUlffE_clEff@rel32@lo+4
	s_addc_u32 s5, s5, _ZZZZN2at6native33launch_standard_gamma_grad_kernelERNS_18TensorIteratorBaseEENKUlvE_clEvENKUlvE0_clEvENKUlffE_clEff@rel32@hi+12
	s_waitcnt vmcnt(1)
	v_cvt_f32_f16_e32 v0, v3
	s_swappc_b64 s[30:31], s[4:5]
	v_add_u32_e32 v40, 0x80, v40
	global_store_dword v30, v0, s[24:25]
	s_or_b64 exec, exec, s[54:55]
	v_cmp_gt_i32_e32 vcc, s58, v40
	s_and_saveexec_b64 s[54:55], vcc
	s_cbranch_execz .LBB193_49
.LBB193_38:
	s_andn2_b64 vcc, exec, s[28:29]
	s_cbranch_vccnz .LBB193_45
; %bb.39:
	s_andn2_b64 vcc, exec, s[52:53]
	v_mov_b32_e32 v0, 0
	v_mov_b32_e32 v2, 0
	;; [unrolled: 1-line block ×3, first 2 shown]
	s_cbranch_vccnz .LBB193_44
; %bb.40:
	s_add_i32 s4, s57, 1
	s_and_b32 s6, s4, 30
	s_add_u32 s4, s22, 0xffffffec
	s_addc_u32 s5, s23, -1
	v_mov_b32_e32 v30, 0
	v_mov_b32_e32 v1, v40
	;; [unrolled: 1-line block ×4, first 2 shown]
.LBB193_41:                             ; =>This Inner Loop Header: Depth=1
	s_mov_b64 s[16:17], s[4:5]
	s_load_dwordx4 s[8:11], s[16:17], 0x18
	s_load_dwordx2 s[18:19], s[16:17], 0x28
	s_load_dwordx2 s[20:21], s[16:17], 0xe8
	s_load_dwordx4 s[12:15], s[16:17], 0xd8
	s_add_u32 s4, s16, 24
	s_waitcnt lgkmcnt(0)
	v_mul_hi_u32 v3, s9, v1
	v_add_u32_e32 v3, v1, v3
	v_lshrrev_b32_e32 v3, s10, v3
	v_mul_lo_u32 v4, v3, s8
	v_mul_hi_u32 v5, s18, v3
	v_sub_u32_e32 v1, v1, v4
	v_add_u32_e32 v4, v3, v5
	v_mul_lo_u32 v5, v1, s12
	v_mul_lo_u32 v6, v1, s13
	;; [unrolled: 1-line block ×3, first 2 shown]
	v_lshrrev_b32_e32 v1, s19, v4
	v_mul_lo_u32 v4, v1, s11
	v_sub_u32_e32 v3, v3, v4
	s_addc_u32 s5, s17, 0
	s_add_i32 s6, s6, -2
	v_mul_lo_u32 v4, v3, s15
	v_mul_lo_u32 v8, v3, s20
	;; [unrolled: 1-line block ×3, first 2 shown]
	s_cmp_eq_u32 s6, 0
	v_add3_u32 v30, v5, v30, v4
	v_add3_u32 v0, v7, v0, v3
	;; [unrolled: 1-line block ×3, first 2 shown]
	s_cbranch_scc0 .LBB193_41
; %bb.42:
	s_bitcmp1_b32 s57, 0
	s_cselect_b64 s[6:7], -1, 0
	s_and_b64 vcc, exec, s[6:7]
	s_cbranch_vccnz .LBB193_44
; %bb.43:
	s_load_dwordx2 s[6:7], s[4:5], 0x18
	s_load_dword s10, s[4:5], 0x20
	s_load_dword s11, s[4:5], 0xe0
	s_load_dwordx2 s[8:9], s[4:5], 0xd8
	s_waitcnt lgkmcnt(0)
	v_mul_hi_u32 v3, s7, v1
	v_add_u32_e32 v3, v1, v3
	v_lshrrev_b32_e32 v3, s10, v3
	v_mul_lo_u32 v3, v3, s6
	v_sub_u32_e32 v1, v1, v3
	v_mad_u64_u32 v[30:31], s[4:5], v1, s8, v[30:31]
	v_mad_u64_u32 v[2:3], s[4:5], v1, s9, v[2:3]
	;; [unrolled: 1-line block ×3, first 2 shown]
.LBB193_44:
	s_cbranch_execz .LBB193_46
	s_branch .LBB193_48
.LBB193_45:
                                        ; implicit-def: $vgpr0
                                        ; implicit-def: $vgpr2
                                        ; implicit-def: $vgpr30
.LBB193_46:
	s_waitcnt lgkmcnt(0)
	v_mul_hi_u32 v0, s41, v40
	v_add_u32_e32 v0, v40, v0
	v_lshrrev_b32_e32 v1, s42, v0
	v_mul_lo_u32 v0, v1, s40
	v_sub_u32_e32 v2, v40, v0
	v_mul_lo_u32 v30, v2, s36
	v_mul_lo_u32 v0, v2, s38
	s_andn2_b64 vcc, exec, s[50:51]
	v_mul_lo_u32 v2, v2, s37
	s_cbranch_vccnz .LBB193_48
; %bb.47:
	v_mul_hi_u32 v3, s48, v1
	v_add_u32_e32 v3, v1, v3
	v_lshrrev_b32_e32 v3, s49, v3
	v_mul_lo_u32 v3, v3, s43
	v_sub_u32_e32 v1, v1, v3
	v_mad_u64_u32 v[30:31], s[4:5], v1, s39, v[30:31]
	v_mad_u64_u32 v[2:3], s[4:5], v1, s46, v[2:3]
	;; [unrolled: 1-line block ×3, first 2 shown]
.LBB193_48:
	s_waitcnt lgkmcnt(0)
	global_load_ushort v3, v2, s[26:27]
	global_load_dword v1, v0, s[44:45]
	s_getpc_b64 s[4:5]
	s_add_u32 s4, s4, _ZZZZN2at6native33launch_standard_gamma_grad_kernelERNS_18TensorIteratorBaseEENKUlvE_clEvENKUlvE0_clEvENKUlffE_clEff@rel32@lo+4
	s_addc_u32 s5, s5, _ZZZZN2at6native33launch_standard_gamma_grad_kernelERNS_18TensorIteratorBaseEENKUlvE_clEvENKUlvE0_clEvENKUlffE_clEff@rel32@hi+12
	s_waitcnt vmcnt(1)
	v_cvt_f32_f16_e32 v0, v3
	s_swappc_b64 s[30:31], s[4:5]
	global_store_dword v30, v0, s[24:25]
.LBB193_49:
	s_or_b64 exec, exec, s[54:55]
                                        ; implicit-def: $vgpr4
                                        ; implicit-def: $vgpr40
.LBB193_50:
	s_andn2_saveexec_b64 s[4:5], s[34:35]
	s_cbranch_execz .LBB193_57
; %bb.51:
	v_cndmask_b32_e64 v0, 0, 1, s[28:29]
	v_cmp_ne_u32_e64 s[4:5], 1, v0
	s_andn2_b64 vcc, exec, s[28:29]
	s_cbranch_vccnz .LBB193_58
; %bb.52:
	s_cmp_lg_u32 s33, 0
	v_mov_b32_e32 v0, 0
	v_mov_b32_e32 v2, 0
	v_mov_b32_e32 v34, 0
	s_cbranch_scc0 .LBB193_59
; %bb.53:
	s_min_u32 s8, s56, 15
	s_add_i32 s6, s8, 1
	s_and_b32 s9, s6, 30
	s_add_u32 s6, s22, 0xffffffec
	s_addc_u32 s7, s23, -1
	v_mov_b32_e32 v34, 0
	v_mov_b32_e32 v1, v40
	;; [unrolled: 1-line block ×4, first 2 shown]
.LBB193_54:                             ; =>This Inner Loop Header: Depth=1
	s_mov_b64 s[10:11], s[6:7]
	s_load_dwordx4 s[12:15], s[10:11], 0x18
	s_load_dwordx2 s[20:21], s[10:11], 0x28
	s_waitcnt lgkmcnt(0)
	s_load_dwordx2 s[24:25], s[10:11], 0xe8
	s_load_dwordx4 s[16:19], s[10:11], 0xd8
	s_add_u32 s6, s10, 24
	v_mul_hi_u32 v3, s13, v1
	v_add_u32_e32 v3, v1, v3
	v_lshrrev_b32_e32 v3, s14, v3
	v_mul_lo_u32 v5, v3, s12
	v_mul_hi_u32 v6, s20, v3
	v_sub_u32_e32 v1, v1, v5
	v_add_u32_e32 v5, v3, v6
	s_waitcnt lgkmcnt(0)
	v_mul_lo_u32 v6, v1, s16
	v_mul_lo_u32 v7, v1, s17
	;; [unrolled: 1-line block ×3, first 2 shown]
	v_lshrrev_b32_e32 v1, s21, v5
	v_mul_lo_u32 v5, v1, s15
	v_sub_u32_e32 v3, v3, v5
	s_addc_u32 s7, s11, 0
	s_add_i32 s9, s9, -2
	v_mul_lo_u32 v5, v3, s19
	v_mul_lo_u32 v9, v3, s24
	;; [unrolled: 1-line block ×3, first 2 shown]
	s_cmp_lg_u32 s9, 0
	v_add3_u32 v34, v6, v34, v5
	v_add3_u32 v0, v8, v0, v3
	;; [unrolled: 1-line block ×3, first 2 shown]
	s_cbranch_scc1 .LBB193_54
; %bb.55:
	s_bitcmp1_b32 s8, 0
	s_cselect_b64 s[8:9], -1, 0
	s_and_b64 vcc, exec, s[8:9]
	s_cbranch_vccnz .LBB193_59
; %bb.56:
	s_load_dwordx2 s[8:9], s[6:7], 0x18
	s_load_dword s12, s[6:7], 0x20
	s_load_dword s13, s[6:7], 0xe0
	s_load_dwordx2 s[10:11], s[6:7], 0xd8
	s_waitcnt lgkmcnt(0)
	v_mul_hi_u32 v3, s9, v1
	v_add_u32_e32 v3, v1, v3
	v_lshrrev_b32_e32 v3, s12, v3
	v_mul_lo_u32 v3, v3, s8
	v_sub_u32_e32 v1, v1, v3
	v_mad_u64_u32 v[34:35], s[6:7], v1, s10, v[34:35]
	v_mad_u64_u32 v[2:3], s[6:7], v1, s11, v[2:3]
	;; [unrolled: 1-line block ×3, first 2 shown]
	s_cbranch_execz .LBB193_60
	s_branch .LBB193_62
.LBB193_57:
	s_endpgm
.LBB193_58:
                                        ; implicit-def: $vgpr0
                                        ; implicit-def: $vgpr2
                                        ; implicit-def: $vgpr34
	s_branch .LBB193_60
.LBB193_59:
	s_cbranch_execnz .LBB193_62
.LBB193_60:
	s_load_dwordx4 s[8:11], s[22:23], 0x4
	s_load_dwordx4 s[12:15], s[22:23], 0xc4
	s_cmp_lt_u32 s33, 2
	s_waitcnt lgkmcnt(0)
	v_mul_hi_u32 v0, s9, v40
	v_add_u32_e32 v0, v40, v0
	v_lshrrev_b32_e32 v1, s10, v0
	v_mul_lo_u32 v0, v1, s8
	v_sub_u32_e32 v2, v40, v0
	v_mul_lo_u32 v34, v2, s12
	v_mul_lo_u32 v0, v2, s14
	;; [unrolled: 1-line block ×3, first 2 shown]
	s_cbranch_scc1 .LBB193_62
; %bb.61:
	s_load_dwordx4 s[8:11], s[22:23], 0x10
	s_load_dwordx4 s[12:15], s[22:23], 0xd0
	s_waitcnt lgkmcnt(0)
	v_mul_hi_u32 v3, s9, v1
	v_add_u32_e32 v3, v1, v3
	v_lshrrev_b32_e32 v3, s10, v3
	v_mul_lo_u32 v3, v3, s8
	v_sub_u32_e32 v1, v1, v3
	v_mad_u64_u32 v[34:35], s[6:7], v1, s12, v[34:35]
	v_mad_u64_u32 v[2:3], s[6:7], v1, s13, v[2:3]
	;; [unrolled: 1-line block ×3, first 2 shown]
.LBB193_62:
	s_and_b64 vcc, exec, s[4:5]
	v_add_u32_e32 v1, 0x80, v40
	s_cbranch_vccnz .LBB193_68
; %bb.63:
	s_cmp_lg_u32 s33, 0
	v_mov_b32_e32 v32, 0
	v_mov_b32_e32 v38, 0
	v_mov_b32_e32 v36, 0
	s_cbranch_scc0 .LBB193_69
; %bb.64:
	s_min_u32 s8, s56, 15
	s_add_i32 s6, s8, 1
	s_and_b32 s9, s6, 30
	s_add_u32 s6, s22, 0xffffffec
	s_addc_u32 s7, s23, -1
	v_mov_b32_e32 v36, 0
	v_mov_b32_e32 v3, v1
	;; [unrolled: 1-line block ×4, first 2 shown]
.LBB193_65:                             ; =>This Inner Loop Header: Depth=1
	s_mov_b64 s[10:11], s[6:7]
	s_load_dwordx4 s[12:15], s[10:11], 0x18
	s_load_dwordx2 s[20:21], s[10:11], 0x28
	s_waitcnt lgkmcnt(0)
	s_load_dwordx2 s[24:25], s[10:11], 0xe8
	s_load_dwordx4 s[16:19], s[10:11], 0xd8
	s_add_u32 s6, s10, 24
	v_mul_hi_u32 v5, s13, v3
	v_add_u32_e32 v5, v3, v5
	v_lshrrev_b32_e32 v5, s14, v5
	v_mul_lo_u32 v6, v5, s12
	v_mul_hi_u32 v7, s20, v5
	v_sub_u32_e32 v3, v3, v6
	v_add_u32_e32 v6, v5, v7
	s_waitcnt lgkmcnt(0)
	v_mul_lo_u32 v7, v3, s16
	v_mul_lo_u32 v8, v3, s17
	;; [unrolled: 1-line block ×3, first 2 shown]
	v_lshrrev_b32_e32 v3, s21, v6
	v_mul_lo_u32 v6, v3, s15
	v_sub_u32_e32 v5, v5, v6
	s_addc_u32 s7, s11, 0
	s_add_i32 s9, s9, -2
	v_mul_lo_u32 v6, v5, s19
	v_mul_lo_u32 v10, v5, s24
	;; [unrolled: 1-line block ×3, first 2 shown]
	s_cmp_lg_u32 s9, 0
	v_add3_u32 v36, v7, v36, v6
	v_add3_u32 v32, v9, v32, v5
	;; [unrolled: 1-line block ×3, first 2 shown]
	s_cbranch_scc1 .LBB193_65
; %bb.66:
	s_bitcmp1_b32 s8, 0
	s_cselect_b64 s[8:9], -1, 0
	s_and_b64 vcc, exec, s[8:9]
	s_cbranch_vccnz .LBB193_69
; %bb.67:
	s_load_dwordx2 s[8:9], s[6:7], 0x18
	s_load_dword s12, s[6:7], 0x20
	s_load_dword s13, s[6:7], 0xe0
	s_load_dwordx2 s[10:11], s[6:7], 0xd8
	s_waitcnt lgkmcnt(0)
	v_mul_hi_u32 v5, s9, v3
	v_add_u32_e32 v5, v3, v5
	v_lshrrev_b32_e32 v5, s12, v5
	v_mul_lo_u32 v5, v5, s8
	v_sub_u32_e32 v3, v3, v5
	v_mad_u64_u32 v[36:37], s[6:7], v3, s10, v[36:37]
	v_mad_u64_u32 v[38:39], s[6:7], v3, s11, v[38:39]
	;; [unrolled: 1-line block ×3, first 2 shown]
	s_cbranch_execz .LBB193_70
	s_branch .LBB193_72
.LBB193_68:
                                        ; implicit-def: $vgpr32
                                        ; implicit-def: $vgpr38
                                        ; implicit-def: $vgpr36
	s_branch .LBB193_70
.LBB193_69:
	s_cbranch_execnz .LBB193_72
.LBB193_70:
	s_load_dwordx4 s[8:11], s[22:23], 0x4
	s_load_dwordx4 s[12:15], s[22:23], 0xc4
	s_cmp_lt_u32 s33, 2
	s_waitcnt lgkmcnt(0)
	v_mul_hi_u32 v3, s9, v1
	v_add_u32_e32 v3, v1, v3
	v_lshrrev_b32_e32 v3, s10, v3
	v_mul_lo_u32 v5, v3, s8
	v_sub_u32_e32 v1, v1, v5
	v_mul_lo_u32 v36, v1, s12
	v_mul_lo_u32 v32, v1, s14
	;; [unrolled: 1-line block ×3, first 2 shown]
	s_cbranch_scc1 .LBB193_72
; %bb.71:
	s_load_dwordx4 s[8:11], s[22:23], 0x10
	s_load_dwordx4 s[12:15], s[22:23], 0xd0
	s_waitcnt lgkmcnt(0)
	v_mul_hi_u32 v1, s9, v3
	v_add_u32_e32 v1, v3, v1
	v_lshrrev_b32_e32 v1, s10, v1
	v_mul_lo_u32 v1, v1, s8
	v_sub_u32_e32 v1, v3, v1
	v_mad_u64_u32 v[36:37], s[6:7], v1, s12, v[36:37]
	v_mad_u64_u32 v[38:39], s[6:7], v1, s13, v[38:39]
	;; [unrolled: 1-line block ×3, first 2 shown]
.LBB193_72:
	s_and_b64 vcc, exec, s[4:5]
	v_add_u32_e32 v1, 0x100, v40
	s_cbranch_vccnz .LBB193_78
; %bb.73:
	s_cmp_lg_u32 s33, 0
	v_mov_b32_e32 v42, 0
	v_mov_b32_e32 v44, 0
	;; [unrolled: 1-line block ×3, first 2 shown]
	s_cbranch_scc0 .LBB193_79
; %bb.74:
	s_min_u32 s8, s56, 15
	s_add_i32 s6, s8, 1
	s_and_b32 s9, s6, 30
	s_add_u32 s6, s22, 0xffffffec
	s_addc_u32 s7, s23, -1
	v_mov_b32_e32 v40, 0
	v_mov_b32_e32 v3, v1
	;; [unrolled: 1-line block ×4, first 2 shown]
.LBB193_75:                             ; =>This Inner Loop Header: Depth=1
	s_mov_b64 s[10:11], s[6:7]
	s_load_dwordx4 s[12:15], s[10:11], 0x18
	s_load_dwordx2 s[20:21], s[10:11], 0x28
	s_waitcnt lgkmcnt(0)
	s_load_dwordx2 s[24:25], s[10:11], 0xe8
	s_load_dwordx4 s[16:19], s[10:11], 0xd8
	s_add_u32 s6, s10, 24
	v_mul_hi_u32 v5, s13, v3
	v_add_u32_e32 v5, v3, v5
	v_lshrrev_b32_e32 v5, s14, v5
	v_mul_lo_u32 v6, v5, s12
	v_mul_hi_u32 v7, s20, v5
	v_sub_u32_e32 v3, v3, v6
	v_add_u32_e32 v6, v5, v7
	s_waitcnt lgkmcnt(0)
	v_mul_lo_u32 v7, v3, s16
	v_mul_lo_u32 v8, v3, s17
	;; [unrolled: 1-line block ×3, first 2 shown]
	v_lshrrev_b32_e32 v3, s21, v6
	v_mul_lo_u32 v6, v3, s15
	v_sub_u32_e32 v5, v5, v6
	s_addc_u32 s7, s11, 0
	s_add_i32 s9, s9, -2
	v_mul_lo_u32 v6, v5, s19
	v_mul_lo_u32 v10, v5, s24
	;; [unrolled: 1-line block ×3, first 2 shown]
	s_cmp_lg_u32 s9, 0
	v_add3_u32 v40, v7, v40, v6
	v_add3_u32 v42, v9, v42, v5
	;; [unrolled: 1-line block ×3, first 2 shown]
	s_cbranch_scc1 .LBB193_75
; %bb.76:
	s_bitcmp1_b32 s8, 0
	s_cselect_b64 s[8:9], -1, 0
	s_and_b64 vcc, exec, s[8:9]
	s_cbranch_vccnz .LBB193_79
; %bb.77:
	s_load_dwordx2 s[8:9], s[6:7], 0x18
	s_load_dword s12, s[6:7], 0x20
	s_load_dword s13, s[6:7], 0xe0
	s_load_dwordx2 s[10:11], s[6:7], 0xd8
	s_waitcnt lgkmcnt(0)
	v_mul_hi_u32 v5, s9, v3
	v_add_u32_e32 v5, v3, v5
	v_lshrrev_b32_e32 v5, s12, v5
	v_mul_lo_u32 v5, v5, s8
	v_sub_u32_e32 v3, v3, v5
	v_mad_u64_u32 v[40:41], s[6:7], v3, s10, v[40:41]
	v_mad_u64_u32 v[44:45], s[6:7], v3, s11, v[44:45]
	;; [unrolled: 1-line block ×3, first 2 shown]
	s_cbranch_execz .LBB193_80
	s_branch .LBB193_82
.LBB193_78:
                                        ; implicit-def: $vgpr42
                                        ; implicit-def: $vgpr44
                                        ; implicit-def: $vgpr40
	s_branch .LBB193_80
.LBB193_79:
	s_cbranch_execnz .LBB193_82
.LBB193_80:
	s_load_dwordx4 s[8:11], s[22:23], 0x4
	s_load_dwordx4 s[12:15], s[22:23], 0xc4
	s_cmp_lt_u32 s33, 2
	s_waitcnt lgkmcnt(0)
	v_mul_hi_u32 v3, s9, v1
	v_add_u32_e32 v3, v1, v3
	v_lshrrev_b32_e32 v3, s10, v3
	v_mul_lo_u32 v5, v3, s8
	v_sub_u32_e32 v1, v1, v5
	v_mul_lo_u32 v40, v1, s12
	v_mul_lo_u32 v42, v1, s14
	;; [unrolled: 1-line block ×3, first 2 shown]
	s_cbranch_scc1 .LBB193_82
; %bb.81:
	s_load_dwordx4 s[8:11], s[22:23], 0x10
	s_load_dwordx4 s[12:15], s[22:23], 0xd0
	s_waitcnt lgkmcnt(0)
	v_mul_hi_u32 v1, s9, v3
	v_add_u32_e32 v1, v3, v1
	v_lshrrev_b32_e32 v1, s10, v1
	v_mul_lo_u32 v1, v1, s8
	v_sub_u32_e32 v1, v3, v1
	v_mad_u64_u32 v[40:41], s[6:7], v1, s12, v[40:41]
	v_mad_u64_u32 v[44:45], s[6:7], v1, s13, v[44:45]
	;; [unrolled: 1-line block ×3, first 2 shown]
.LBB193_82:
	s_and_b64 vcc, exec, s[4:5]
	s_cbranch_vccnz .LBB193_88
; %bb.83:
	s_cmp_lg_u32 s33, 0
	v_mov_b32_e32 v48, 0
	v_mov_b32_e32 v50, 0
	;; [unrolled: 1-line block ×3, first 2 shown]
	s_cbranch_scc0 .LBB193_89
; %bb.84:
	s_min_u32 s6, s56, 15
	s_add_i32 s4, s6, 1
	s_and_b32 s7, s4, 30
	s_add_u32 s4, s22, 0xffffffec
	s_addc_u32 s5, s23, -1
	v_mov_b32_e32 v46, 0
	v_mov_b32_e32 v1, v4
	;; [unrolled: 1-line block ×4, first 2 shown]
.LBB193_85:                             ; =>This Inner Loop Header: Depth=1
	s_mov_b64 s[16:17], s[4:5]
	s_load_dwordx4 s[8:11], s[16:17], 0x18
	s_load_dwordx2 s[18:19], s[16:17], 0x28
	s_load_dwordx2 s[20:21], s[16:17], 0xe8
	s_load_dwordx4 s[12:15], s[16:17], 0xd8
	s_add_u32 s4, s16, 24
	s_waitcnt lgkmcnt(0)
	v_mul_hi_u32 v3, s9, v1
	v_add_u32_e32 v3, v1, v3
	v_lshrrev_b32_e32 v3, s10, v3
	v_mul_lo_u32 v5, v3, s8
	v_mul_hi_u32 v6, s18, v3
	v_sub_u32_e32 v1, v1, v5
	v_add_u32_e32 v5, v3, v6
	v_mul_lo_u32 v6, v1, s12
	v_mul_lo_u32 v7, v1, s13
	;; [unrolled: 1-line block ×3, first 2 shown]
	v_lshrrev_b32_e32 v1, s19, v5
	v_mul_lo_u32 v5, v1, s11
	v_sub_u32_e32 v3, v3, v5
	s_addc_u32 s5, s17, 0
	s_add_i32 s7, s7, -2
	v_mul_lo_u32 v5, v3, s15
	v_mul_lo_u32 v9, v3, s20
	;; [unrolled: 1-line block ×3, first 2 shown]
	s_cmp_lg_u32 s7, 0
	v_add3_u32 v46, v6, v46, v5
	v_add3_u32 v48, v8, v48, v3
	;; [unrolled: 1-line block ×3, first 2 shown]
	s_cbranch_scc1 .LBB193_85
; %bb.86:
	s_bitcmp1_b32 s6, 0
	s_cselect_b64 s[6:7], -1, 0
	s_and_b64 vcc, exec, s[6:7]
	s_cbranch_vccnz .LBB193_89
; %bb.87:
	s_load_dwordx2 s[6:7], s[4:5], 0x18
	s_load_dword s10, s[4:5], 0x20
	s_load_dword s11, s[4:5], 0xe0
	s_load_dwordx2 s[8:9], s[4:5], 0xd8
	s_waitcnt lgkmcnt(0)
	v_mul_hi_u32 v3, s7, v1
	v_add_u32_e32 v3, v1, v3
	v_lshrrev_b32_e32 v3, s10, v3
	v_mul_lo_u32 v3, v3, s6
	v_sub_u32_e32 v1, v1, v3
	v_mad_u64_u32 v[46:47], s[4:5], v1, s8, v[46:47]
	v_mad_u64_u32 v[50:51], s[4:5], v1, s9, v[50:51]
	;; [unrolled: 1-line block ×3, first 2 shown]
	s_cbranch_execz .LBB193_90
	s_branch .LBB193_92
.LBB193_88:
                                        ; implicit-def: $vgpr48
                                        ; implicit-def: $vgpr50
                                        ; implicit-def: $vgpr46
	s_branch .LBB193_90
.LBB193_89:
	s_cbranch_execnz .LBB193_92
.LBB193_90:
	s_load_dwordx4 s[4:7], s[22:23], 0x4
	s_load_dwordx4 s[8:11], s[22:23], 0xc4
	s_cmp_lt_u32 s33, 2
	s_waitcnt lgkmcnt(0)
	v_mul_hi_u32 v1, s5, v4
	v_add_u32_e32 v1, v4, v1
	v_lshrrev_b32_e32 v1, s6, v1
	v_mul_lo_u32 v3, v1, s4
	v_sub_u32_e32 v3, v4, v3
	v_mul_lo_u32 v46, v3, s8
	v_mul_lo_u32 v48, v3, s10
	;; [unrolled: 1-line block ×3, first 2 shown]
	s_cbranch_scc1 .LBB193_92
; %bb.91:
	s_load_dwordx4 s[4:7], s[22:23], 0x10
	s_load_dwordx4 s[8:11], s[22:23], 0xd0
	s_waitcnt lgkmcnt(0)
	v_mul_hi_u32 v3, s5, v1
	v_add_u32_e32 v3, v1, v3
	v_lshrrev_b32_e32 v3, s6, v3
	v_mul_lo_u32 v3, v3, s4
	v_sub_u32_e32 v1, v1, v3
	v_mad_u64_u32 v[46:47], s[4:5], v1, s8, v[46:47]
	v_mad_u64_u32 v[50:51], s[4:5], v1, s9, v[50:51]
	;; [unrolled: 1-line block ×3, first 2 shown]
.LBB193_92:
	s_waitcnt lgkmcnt(0)
	s_load_dwordx4 s[24:27], s[22:23], 0x188
	s_load_dwordx2 s[28:29], s[22:23], 0x198
	s_getpc_b64 s[22:23]
	s_add_u32 s22, s22, _ZZZZN2at6native33launch_standard_gamma_grad_kernelERNS_18TensorIteratorBaseEENKUlvE_clEvENKUlvE0_clEvENKUlffE_clEff@rel32@lo+4
	s_addc_u32 s23, s23, _ZZZZN2at6native33launch_standard_gamma_grad_kernelERNS_18TensorIteratorBaseEENKUlvE_clEvENKUlvE0_clEvENKUlffE_clEff@rel32@hi+12
	s_waitcnt lgkmcnt(0)
	global_load_ushort v3, v2, s[26:27]
	global_load_dword v1, v0, s[28:29]
	s_waitcnt vmcnt(1)
	v_cvt_f32_f16_e32 v0, v3
	s_swappc_b64 s[30:31], s[22:23]
	v_mov_b32_e32 v30, v0
	global_load_ushort v0, v38, s[26:27]
	global_load_dword v1, v32, s[28:29]
	s_waitcnt vmcnt(1)
	v_cvt_f32_f16_e32 v0, v0
	s_swappc_b64 s[30:31], s[22:23]
	v_mov_b32_e32 v31, v0
	;; [unrolled: 6-line block ×3, first 2 shown]
	global_load_ushort v0, v50, s[26:27]
	global_load_dword v1, v48, s[28:29]
	s_waitcnt vmcnt(1)
	v_cvt_f32_f16_e32 v0, v0
	s_swappc_b64 s[30:31], s[22:23]
	global_store_dword v34, v30, s[24:25]
	global_store_dword v36, v31, s[24:25]
	;; [unrolled: 1-line block ×4, first 2 shown]
	s_endpgm
	.section	.rodata,"a",@progbits
	.p2align	6, 0x0
	.amdhsa_kernel _ZN2at6native32elementwise_kernel_manual_unrollILi128ELi4EZNS0_12_GLOBAL__N_142type_specialized_broadcast_kernel_launcherILi4EE5applyIZZZNS0_33launch_standard_gamma_grad_kernelERNS_18TensorIteratorBaseEENKUlvE_clEvENKUlvE0_clEvEUlffE_St5arrayIPcLm3EESB_IN3c1010ScalarTypeELm3EE16OffsetCalculatorILi3EjLb0EEEEvlT_T0_T1_T2_EUlibE_EEviSL_
		.amdhsa_group_segment_fixed_size 0
		.amdhsa_private_segment_fixed_size 0
		.amdhsa_kernarg_size 432
		.amdhsa_user_sgpr_count 8
		.amdhsa_user_sgpr_private_segment_buffer 1
		.amdhsa_user_sgpr_dispatch_ptr 0
		.amdhsa_user_sgpr_queue_ptr 0
		.amdhsa_user_sgpr_kernarg_segment_ptr 1
		.amdhsa_user_sgpr_dispatch_id 0
		.amdhsa_user_sgpr_flat_scratch_init 1
		.amdhsa_user_sgpr_kernarg_preload_length 0
		.amdhsa_user_sgpr_kernarg_preload_offset 0
		.amdhsa_user_sgpr_private_segment_size 0
		.amdhsa_uses_dynamic_stack 0
		.amdhsa_system_sgpr_private_segment_wavefront_offset 0
		.amdhsa_system_sgpr_workgroup_id_x 1
		.amdhsa_system_sgpr_workgroup_id_y 0
		.amdhsa_system_sgpr_workgroup_id_z 0
		.amdhsa_system_sgpr_workgroup_info 0
		.amdhsa_system_vgpr_workitem_id 0
		.amdhsa_next_free_vgpr 52
		.amdhsa_next_free_sgpr 59
		.amdhsa_accum_offset 52
		.amdhsa_reserve_vcc 1
		.amdhsa_reserve_flat_scratch 1
		.amdhsa_float_round_mode_32 0
		.amdhsa_float_round_mode_16_64 0
		.amdhsa_float_denorm_mode_32 3
		.amdhsa_float_denorm_mode_16_64 3
		.amdhsa_dx10_clamp 1
		.amdhsa_ieee_mode 1
		.amdhsa_fp16_overflow 0
		.amdhsa_tg_split 0
		.amdhsa_exception_fp_ieee_invalid_op 0
		.amdhsa_exception_fp_denorm_src 0
		.amdhsa_exception_fp_ieee_div_zero 0
		.amdhsa_exception_fp_ieee_overflow 0
		.amdhsa_exception_fp_ieee_underflow 0
		.amdhsa_exception_fp_ieee_inexact 0
		.amdhsa_exception_int_div_zero 0
	.end_amdhsa_kernel
	.section	.text._ZN2at6native32elementwise_kernel_manual_unrollILi128ELi4EZNS0_12_GLOBAL__N_142type_specialized_broadcast_kernel_launcherILi4EE5applyIZZZNS0_33launch_standard_gamma_grad_kernelERNS_18TensorIteratorBaseEENKUlvE_clEvENKUlvE0_clEvEUlffE_St5arrayIPcLm3EESB_IN3c1010ScalarTypeELm3EE16OffsetCalculatorILi3EjLb0EEEEvlT_T0_T1_T2_EUlibE_EEviSL_,"axG",@progbits,_ZN2at6native32elementwise_kernel_manual_unrollILi128ELi4EZNS0_12_GLOBAL__N_142type_specialized_broadcast_kernel_launcherILi4EE5applyIZZZNS0_33launch_standard_gamma_grad_kernelERNS_18TensorIteratorBaseEENKUlvE_clEvENKUlvE0_clEvEUlffE_St5arrayIPcLm3EESB_IN3c1010ScalarTypeELm3EE16OffsetCalculatorILi3EjLb0EEEEvlT_T0_T1_T2_EUlibE_EEviSL_,comdat
.Lfunc_end193:
	.size	_ZN2at6native32elementwise_kernel_manual_unrollILi128ELi4EZNS0_12_GLOBAL__N_142type_specialized_broadcast_kernel_launcherILi4EE5applyIZZZNS0_33launch_standard_gamma_grad_kernelERNS_18TensorIteratorBaseEENKUlvE_clEvENKUlvE0_clEvEUlffE_St5arrayIPcLm3EESB_IN3c1010ScalarTypeELm3EE16OffsetCalculatorILi3EjLb0EEEEvlT_T0_T1_T2_EUlibE_EEviSL_, .Lfunc_end193-_ZN2at6native32elementwise_kernel_manual_unrollILi128ELi4EZNS0_12_GLOBAL__N_142type_specialized_broadcast_kernel_launcherILi4EE5applyIZZZNS0_33launch_standard_gamma_grad_kernelERNS_18TensorIteratorBaseEENKUlvE_clEvENKUlvE0_clEvEUlffE_St5arrayIPcLm3EESB_IN3c1010ScalarTypeELm3EE16OffsetCalculatorILi3EjLb0EEEEvlT_T0_T1_T2_EUlibE_EEviSL_
                                        ; -- End function
	.section	.AMDGPU.csdata,"",@progbits
; Kernel info:
; codeLenInByte = 4832
; NumSgprs: 65
; NumVgprs: 52
; NumAgprs: 0
; TotalNumVgprs: 52
; ScratchSize: 0
; MemoryBound: 0
; FloatMode: 240
; IeeeMode: 1
; LDSByteSize: 0 bytes/workgroup (compile time only)
; SGPRBlocks: 8
; VGPRBlocks: 6
; NumSGPRsForWavesPerEU: 65
; NumVGPRsForWavesPerEU: 52
; AccumOffset: 52
; Occupancy: 8
; WaveLimiterHint : 1
; COMPUTE_PGM_RSRC2:SCRATCH_EN: 0
; COMPUTE_PGM_RSRC2:USER_SGPR: 8
; COMPUTE_PGM_RSRC2:TRAP_HANDLER: 0
; COMPUTE_PGM_RSRC2:TGID_X_EN: 1
; COMPUTE_PGM_RSRC2:TGID_Y_EN: 0
; COMPUTE_PGM_RSRC2:TGID_Z_EN: 0
; COMPUTE_PGM_RSRC2:TIDIG_COMP_CNT: 0
; COMPUTE_PGM_RSRC3_GFX90A:ACCUM_OFFSET: 12
; COMPUTE_PGM_RSRC3_GFX90A:TG_SPLIT: 0
	.section	.text._ZN2at6native32elementwise_kernel_manual_unrollILi128ELi4EZNS0_12_GLOBAL__N_142type_specialized_broadcast_kernel_launcherILi5EE5applyIZZZNS0_33launch_standard_gamma_grad_kernelERNS_18TensorIteratorBaseEENKUlvE_clEvENKUlvE0_clEvEUlffE_St5arrayIPcLm3EESB_IN3c1010ScalarTypeELm3EE16OffsetCalculatorILi3EjLb0EEEEvlT_T0_T1_T2_EUlibE_EEviSL_,"axG",@progbits,_ZN2at6native32elementwise_kernel_manual_unrollILi128ELi4EZNS0_12_GLOBAL__N_142type_specialized_broadcast_kernel_launcherILi5EE5applyIZZZNS0_33launch_standard_gamma_grad_kernelERNS_18TensorIteratorBaseEENKUlvE_clEvENKUlvE0_clEvEUlffE_St5arrayIPcLm3EESB_IN3c1010ScalarTypeELm3EE16OffsetCalculatorILi3EjLb0EEEEvlT_T0_T1_T2_EUlibE_EEviSL_,comdat
	.globl	_ZN2at6native32elementwise_kernel_manual_unrollILi128ELi4EZNS0_12_GLOBAL__N_142type_specialized_broadcast_kernel_launcherILi5EE5applyIZZZNS0_33launch_standard_gamma_grad_kernelERNS_18TensorIteratorBaseEENKUlvE_clEvENKUlvE0_clEvEUlffE_St5arrayIPcLm3EESB_IN3c1010ScalarTypeELm3EE16OffsetCalculatorILi3EjLb0EEEEvlT_T0_T1_T2_EUlibE_EEviSL_ ; -- Begin function _ZN2at6native32elementwise_kernel_manual_unrollILi128ELi4EZNS0_12_GLOBAL__N_142type_specialized_broadcast_kernel_launcherILi5EE5applyIZZZNS0_33launch_standard_gamma_grad_kernelERNS_18TensorIteratorBaseEENKUlvE_clEvENKUlvE0_clEvEUlffE_St5arrayIPcLm3EESB_IN3c1010ScalarTypeELm3EE16OffsetCalculatorILi3EjLb0EEEEvlT_T0_T1_T2_EUlibE_EEviSL_
	.p2align	8
	.type	_ZN2at6native32elementwise_kernel_manual_unrollILi128ELi4EZNS0_12_GLOBAL__N_142type_specialized_broadcast_kernel_launcherILi5EE5applyIZZZNS0_33launch_standard_gamma_grad_kernelERNS_18TensorIteratorBaseEENKUlvE_clEvENKUlvE0_clEvEUlffE_St5arrayIPcLm3EESB_IN3c1010ScalarTypeELm3EE16OffsetCalculatorILi3EjLb0EEEEvlT_T0_T1_T2_EUlibE_EEviSL_,@function
_ZN2at6native32elementwise_kernel_manual_unrollILi128ELi4EZNS0_12_GLOBAL__N_142type_specialized_broadcast_kernel_launcherILi5EE5applyIZZZNS0_33launch_standard_gamma_grad_kernelERNS_18TensorIteratorBaseEENKUlvE_clEvENKUlvE0_clEvEUlffE_St5arrayIPcLm3EESB_IN3c1010ScalarTypeELm3EE16OffsetCalculatorILi3EjLb0EEEEvlT_T0_T1_T2_EUlibE_EEviSL_: ; @_ZN2at6native32elementwise_kernel_manual_unrollILi128ELi4EZNS0_12_GLOBAL__N_142type_specialized_broadcast_kernel_launcherILi5EE5applyIZZZNS0_33launch_standard_gamma_grad_kernelERNS_18TensorIteratorBaseEENKUlvE_clEvENKUlvE0_clEvEUlffE_St5arrayIPcLm3EESB_IN3c1010ScalarTypeELm3EE16OffsetCalculatorILi3EjLb0EEEEvlT_T0_T1_T2_EUlibE_EEviSL_
; %bb.0:
	s_load_dword s58, s[4:5], 0x0
	s_load_dword s33, s[4:5], 0x8
	s_add_u32 flat_scratch_lo, s6, s9
	s_addc_u32 flat_scratch_hi, s7, 0
	s_add_u32 s0, s0, s9
	s_mov_b64 s[22:23], s[4:5]
	s_addc_u32 s1, s1, 0
	s_or_b32 s22, s22, 8
	v_lshl_or_b32 v40, s8, 9, v0
	s_waitcnt lgkmcnt(0)
	s_add_i32 s56, s33, -1
	v_or_b32_e32 v6, 0x180, v40
	s_cmp_gt_u32 s56, 1
	v_cmp_le_i32_e32 vcc, s58, v6
	s_cselect_b64 s[28:29], -1, 0
	s_mov_b64 s[36:37], 0
	s_mov_b32 s32, 0
                                        ; implicit-def: $vgpr50_vgpr51
                                        ; implicit-def: $vgpr0
	s_and_saveexec_b64 s[4:5], vcc
	s_xor_b64 s[34:35], exec, s[4:5]
	s_cbranch_execnz .LBB194_4
; %bb.1:
	s_andn2_saveexec_b64 s[34:35], s[34:35]
	s_cbranch_execnz .LBB194_53
.LBB194_2:
	s_or_b64 exec, exec, s[34:35]
	s_and_saveexec_b64 s[4:5], s[36:37]
	s_cbranch_execnz .LBB194_94
.LBB194_3:
	s_endpgm
.LBB194_4:
	s_load_dwordx4 s[40:43], s[22:23], 0x4
	s_load_dwordx2 s[48:49], s[22:23], 0x14
	s_load_dwordx4 s[36:39], s[22:23], 0xc4
	s_load_dwordx2 s[46:47], s[22:23], 0xd4
	s_load_dwordx2 s[44:45], s[22:23], 0x198
	s_load_dwordx4 s[24:27], s[22:23], 0x188
	s_cmp_lg_u32 s33, 0
	s_cselect_b64 s[52:53], -1, 0
	s_min_u32 s57, s56, 15
	s_cmp_gt_u32 s33, 1
	s_cselect_b64 s[50:51], -1, 0
	v_cmp_gt_i32_e32 vcc, s58, v40
	s_and_saveexec_b64 s[54:55], vcc
	s_cbranch_execnz .LBB194_7
; %bb.5:
	s_or_b64 exec, exec, s[54:55]
	v_cmp_gt_i32_e32 vcc, s58, v40
	s_and_saveexec_b64 s[54:55], vcc
	s_cbranch_execnz .LBB194_18
.LBB194_6:
	s_or_b64 exec, exec, s[54:55]
	v_cmp_gt_i32_e32 vcc, s58, v40
	s_and_saveexec_b64 s[54:55], vcc
	s_cbranch_execnz .LBB194_29
	s_branch .LBB194_40
.LBB194_7:
	s_andn2_b64 vcc, exec, s[28:29]
	s_cbranch_vccnz .LBB194_14
; %bb.8:
	s_andn2_b64 vcc, exec, s[52:53]
	v_mov_b32_e32 v0, 0
	v_mov_b32_e32 v2, 0
	;; [unrolled: 1-line block ×3, first 2 shown]
	s_cbranch_vccnz .LBB194_13
; %bb.9:
	s_add_i32 s4, s57, 1
	s_and_b32 s6, s4, 30
	s_add_u32 s4, s22, 0xffffffec
	s_addc_u32 s5, s23, -1
	v_mov_b32_e32 v30, 0
	v_mov_b32_e32 v1, v40
	;; [unrolled: 1-line block ×4, first 2 shown]
.LBB194_10:                             ; =>This Inner Loop Header: Depth=1
	s_mov_b64 s[16:17], s[4:5]
	s_load_dwordx4 s[8:11], s[16:17], 0x18
	s_load_dwordx2 s[18:19], s[16:17], 0x28
	s_load_dwordx2 s[20:21], s[16:17], 0xe8
	s_load_dwordx4 s[12:15], s[16:17], 0xd8
	s_add_u32 s4, s16, 24
	s_waitcnt lgkmcnt(0)
	v_mul_hi_u32 v3, s9, v1
	v_add_u32_e32 v3, v1, v3
	v_lshrrev_b32_e32 v3, s10, v3
	v_mul_lo_u32 v4, v3, s8
	v_mul_hi_u32 v5, s18, v3
	v_sub_u32_e32 v1, v1, v4
	v_add_u32_e32 v4, v3, v5
	v_mul_lo_u32 v5, v1, s12
	v_mul_lo_u32 v6, v1, s13
	v_mul_lo_u32 v7, v1, s14
	v_lshrrev_b32_e32 v1, s19, v4
	v_mul_lo_u32 v4, v1, s11
	v_sub_u32_e32 v3, v3, v4
	s_addc_u32 s5, s17, 0
	s_add_i32 s6, s6, -2
	v_mul_lo_u32 v4, v3, s15
	v_mul_lo_u32 v8, v3, s20
	;; [unrolled: 1-line block ×3, first 2 shown]
	s_cmp_lg_u32 s6, 0
	v_add3_u32 v30, v5, v30, v4
	v_add3_u32 v0, v7, v0, v3
	;; [unrolled: 1-line block ×3, first 2 shown]
	s_cbranch_scc1 .LBB194_10
; %bb.11:
	s_bitcmp1_b32 s57, 0
	s_cselect_b64 s[6:7], -1, 0
	s_and_b64 vcc, exec, s[6:7]
	s_cbranch_vccnz .LBB194_13
; %bb.12:
	s_load_dwordx2 s[6:7], s[4:5], 0x18
	s_load_dword s10, s[4:5], 0x20
	s_load_dword s11, s[4:5], 0xe0
	s_load_dwordx2 s[8:9], s[4:5], 0xd8
	s_waitcnt lgkmcnt(0)
	v_mul_hi_u32 v3, s7, v1
	v_add_u32_e32 v3, v1, v3
	v_lshrrev_b32_e32 v3, s10, v3
	v_mul_lo_u32 v3, v3, s6
	v_sub_u32_e32 v1, v1, v3
	v_mad_u64_u32 v[30:31], s[4:5], v1, s8, v[30:31]
	v_mad_u64_u32 v[2:3], s[4:5], v1, s9, v[2:3]
	;; [unrolled: 1-line block ×3, first 2 shown]
.LBB194_13:
	s_cbranch_execz .LBB194_15
	s_branch .LBB194_17
.LBB194_14:
                                        ; implicit-def: $vgpr0
                                        ; implicit-def: $vgpr2
                                        ; implicit-def: $vgpr30
.LBB194_15:
	s_waitcnt lgkmcnt(0)
	v_mul_hi_u32 v0, s41, v40
	v_add_u32_e32 v0, v40, v0
	v_lshrrev_b32_e32 v1, s42, v0
	v_mul_lo_u32 v0, v1, s40
	v_sub_u32_e32 v2, v40, v0
	v_mul_lo_u32 v30, v2, s36
	v_mul_lo_u32 v0, v2, s38
	s_andn2_b64 vcc, exec, s[50:51]
	v_mul_lo_u32 v2, v2, s37
	s_cbranch_vccnz .LBB194_17
; %bb.16:
	v_mul_hi_u32 v3, s48, v1
	v_add_u32_e32 v3, v1, v3
	v_lshrrev_b32_e32 v3, s49, v3
	v_mul_lo_u32 v3, v3, s43
	v_sub_u32_e32 v1, v1, v3
	v_mad_u64_u32 v[30:31], s[4:5], v1, s39, v[30:31]
	v_mad_u64_u32 v[2:3], s[4:5], v1, s46, v[2:3]
	;; [unrolled: 1-line block ×3, first 2 shown]
.LBB194_17:
	s_waitcnt lgkmcnt(0)
	global_load_ushort v3, v2, s[26:27]
	global_load_dword v1, v0, s[44:45]
	s_getpc_b64 s[4:5]
	s_add_u32 s4, s4, _ZZZZN2at6native33launch_standard_gamma_grad_kernelERNS_18TensorIteratorBaseEENKUlvE_clEvENKUlvE0_clEvENKUlffE_clEff@rel32@lo+4
	s_addc_u32 s5, s5, _ZZZZN2at6native33launch_standard_gamma_grad_kernelERNS_18TensorIteratorBaseEENKUlvE_clEvENKUlvE0_clEvENKUlffE_clEff@rel32@hi+12
	s_waitcnt vmcnt(1)
	v_cvt_f32_f16_e32 v0, v3
	s_swappc_b64 s[30:31], s[4:5]
	v_cvt_f16_f32_e32 v0, v0
	v_add_u32_e32 v40, 0x80, v40
	global_store_short v30, v0, s[24:25]
	s_or_b64 exec, exec, s[54:55]
	v_cmp_gt_i32_e32 vcc, s58, v40
	s_and_saveexec_b64 s[54:55], vcc
	s_cbranch_execz .LBB194_6
.LBB194_18:
	s_andn2_b64 vcc, exec, s[28:29]
	s_cbranch_vccnz .LBB194_25
; %bb.19:
	s_andn2_b64 vcc, exec, s[52:53]
	v_mov_b32_e32 v0, 0
	v_mov_b32_e32 v2, 0
	;; [unrolled: 1-line block ×3, first 2 shown]
	s_cbranch_vccnz .LBB194_24
; %bb.20:
	s_add_i32 s4, s57, 1
	s_and_b32 s6, s4, 30
	s_add_u32 s4, s22, 0xffffffec
	s_addc_u32 s5, s23, -1
	v_mov_b32_e32 v30, 0
	v_mov_b32_e32 v1, v40
	;; [unrolled: 1-line block ×4, first 2 shown]
.LBB194_21:                             ; =>This Inner Loop Header: Depth=1
	s_mov_b64 s[16:17], s[4:5]
	s_load_dwordx4 s[8:11], s[16:17], 0x18
	s_load_dwordx2 s[18:19], s[16:17], 0x28
	s_load_dwordx2 s[20:21], s[16:17], 0xe8
	s_load_dwordx4 s[12:15], s[16:17], 0xd8
	s_add_u32 s4, s16, 24
	s_waitcnt lgkmcnt(0)
	v_mul_hi_u32 v3, s9, v1
	v_add_u32_e32 v3, v1, v3
	v_lshrrev_b32_e32 v3, s10, v3
	v_mul_lo_u32 v4, v3, s8
	v_mul_hi_u32 v5, s18, v3
	v_sub_u32_e32 v1, v1, v4
	v_add_u32_e32 v4, v3, v5
	v_mul_lo_u32 v5, v1, s12
	v_mul_lo_u32 v6, v1, s13
	;; [unrolled: 1-line block ×3, first 2 shown]
	v_lshrrev_b32_e32 v1, s19, v4
	v_mul_lo_u32 v4, v1, s11
	v_sub_u32_e32 v3, v3, v4
	s_addc_u32 s5, s17, 0
	s_add_i32 s6, s6, -2
	v_mul_lo_u32 v4, v3, s15
	v_mul_lo_u32 v8, v3, s20
	;; [unrolled: 1-line block ×3, first 2 shown]
	s_cmp_eq_u32 s6, 0
	v_add3_u32 v30, v5, v30, v4
	v_add3_u32 v0, v7, v0, v3
	;; [unrolled: 1-line block ×3, first 2 shown]
	s_cbranch_scc0 .LBB194_21
; %bb.22:
	s_bitcmp1_b32 s57, 0
	s_cselect_b64 s[6:7], -1, 0
	s_and_b64 vcc, exec, s[6:7]
	s_cbranch_vccnz .LBB194_24
; %bb.23:
	s_load_dwordx2 s[6:7], s[4:5], 0x18
	s_load_dword s10, s[4:5], 0x20
	s_load_dword s11, s[4:5], 0xe0
	s_load_dwordx2 s[8:9], s[4:5], 0xd8
	s_waitcnt lgkmcnt(0)
	v_mul_hi_u32 v3, s7, v1
	v_add_u32_e32 v3, v1, v3
	v_lshrrev_b32_e32 v3, s10, v3
	v_mul_lo_u32 v3, v3, s6
	v_sub_u32_e32 v1, v1, v3
	v_mad_u64_u32 v[30:31], s[4:5], v1, s8, v[30:31]
	v_mad_u64_u32 v[2:3], s[4:5], v1, s9, v[2:3]
	;; [unrolled: 1-line block ×3, first 2 shown]
.LBB194_24:
	s_cbranch_execz .LBB194_26
	s_branch .LBB194_28
.LBB194_25:
                                        ; implicit-def: $vgpr0
                                        ; implicit-def: $vgpr2
                                        ; implicit-def: $vgpr30
.LBB194_26:
	s_waitcnt lgkmcnt(0)
	v_mul_hi_u32 v0, s41, v40
	v_add_u32_e32 v0, v40, v0
	v_lshrrev_b32_e32 v1, s42, v0
	v_mul_lo_u32 v0, v1, s40
	v_sub_u32_e32 v2, v40, v0
	v_mul_lo_u32 v30, v2, s36
	v_mul_lo_u32 v0, v2, s38
	s_andn2_b64 vcc, exec, s[50:51]
	v_mul_lo_u32 v2, v2, s37
	s_cbranch_vccnz .LBB194_28
; %bb.27:
	v_mul_hi_u32 v3, s48, v1
	v_add_u32_e32 v3, v1, v3
	v_lshrrev_b32_e32 v3, s49, v3
	v_mul_lo_u32 v3, v3, s43
	v_sub_u32_e32 v1, v1, v3
	v_mad_u64_u32 v[30:31], s[4:5], v1, s39, v[30:31]
	v_mad_u64_u32 v[2:3], s[4:5], v1, s46, v[2:3]
	;; [unrolled: 1-line block ×3, first 2 shown]
.LBB194_28:
	s_waitcnt lgkmcnt(0)
	global_load_ushort v3, v2, s[26:27]
	global_load_dword v1, v0, s[44:45]
	s_getpc_b64 s[4:5]
	s_add_u32 s4, s4, _ZZZZN2at6native33launch_standard_gamma_grad_kernelERNS_18TensorIteratorBaseEENKUlvE_clEvENKUlvE0_clEvENKUlffE_clEff@rel32@lo+4
	s_addc_u32 s5, s5, _ZZZZN2at6native33launch_standard_gamma_grad_kernelERNS_18TensorIteratorBaseEENKUlvE_clEvENKUlvE0_clEvENKUlffE_clEff@rel32@hi+12
	s_waitcnt vmcnt(1)
	v_cvt_f32_f16_e32 v0, v3
	s_swappc_b64 s[30:31], s[4:5]
	v_cvt_f16_f32_e32 v0, v0
	v_add_u32_e32 v40, 0x80, v40
	global_store_short v30, v0, s[24:25]
	s_or_b64 exec, exec, s[54:55]
	v_cmp_gt_i32_e32 vcc, s58, v40
	s_and_saveexec_b64 s[54:55], vcc
	s_cbranch_execz .LBB194_40
.LBB194_29:
	s_andn2_b64 vcc, exec, s[28:29]
	s_cbranch_vccnz .LBB194_36
; %bb.30:
	s_andn2_b64 vcc, exec, s[52:53]
	v_mov_b32_e32 v0, 0
	v_mov_b32_e32 v2, 0
	;; [unrolled: 1-line block ×3, first 2 shown]
	s_cbranch_vccnz .LBB194_35
; %bb.31:
	s_add_i32 s4, s57, 1
	s_and_b32 s6, s4, 30
	s_add_u32 s4, s22, 0xffffffec
	s_addc_u32 s5, s23, -1
	v_mov_b32_e32 v30, 0
	v_mov_b32_e32 v1, v40
	v_mov_b32_e32 v2, 0
	v_mov_b32_e32 v0, 0
.LBB194_32:                             ; =>This Inner Loop Header: Depth=1
	s_mov_b64 s[16:17], s[4:5]
	s_load_dwordx4 s[8:11], s[16:17], 0x18
	s_load_dwordx2 s[18:19], s[16:17], 0x28
	s_load_dwordx2 s[20:21], s[16:17], 0xe8
	s_load_dwordx4 s[12:15], s[16:17], 0xd8
	s_add_u32 s4, s16, 24
	s_waitcnt lgkmcnt(0)
	v_mul_hi_u32 v3, s9, v1
	v_add_u32_e32 v3, v1, v3
	v_lshrrev_b32_e32 v3, s10, v3
	v_mul_lo_u32 v4, v3, s8
	v_mul_hi_u32 v5, s18, v3
	v_sub_u32_e32 v1, v1, v4
	v_add_u32_e32 v4, v3, v5
	v_mul_lo_u32 v5, v1, s12
	v_mul_lo_u32 v6, v1, s13
	;; [unrolled: 1-line block ×3, first 2 shown]
	v_lshrrev_b32_e32 v1, s19, v4
	v_mul_lo_u32 v4, v1, s11
	v_sub_u32_e32 v3, v3, v4
	s_addc_u32 s5, s17, 0
	s_add_i32 s6, s6, -2
	v_mul_lo_u32 v4, v3, s15
	v_mul_lo_u32 v8, v3, s20
	v_mul_lo_u32 v3, v3, s21
	s_cmp_eq_u32 s6, 0
	v_add3_u32 v30, v5, v30, v4
	v_add3_u32 v0, v7, v0, v3
	;; [unrolled: 1-line block ×3, first 2 shown]
	s_cbranch_scc0 .LBB194_32
; %bb.33:
	s_bitcmp1_b32 s57, 0
	s_cselect_b64 s[6:7], -1, 0
	s_and_b64 vcc, exec, s[6:7]
	s_cbranch_vccnz .LBB194_35
; %bb.34:
	s_load_dwordx2 s[6:7], s[4:5], 0x18
	s_load_dword s10, s[4:5], 0x20
	s_load_dword s11, s[4:5], 0xe0
	s_load_dwordx2 s[8:9], s[4:5], 0xd8
	s_waitcnt lgkmcnt(0)
	v_mul_hi_u32 v3, s7, v1
	v_add_u32_e32 v3, v1, v3
	v_lshrrev_b32_e32 v3, s10, v3
	v_mul_lo_u32 v3, v3, s6
	v_sub_u32_e32 v1, v1, v3
	v_mad_u64_u32 v[30:31], s[4:5], v1, s8, v[30:31]
	v_mad_u64_u32 v[2:3], s[4:5], v1, s9, v[2:3]
	;; [unrolled: 1-line block ×3, first 2 shown]
.LBB194_35:
	s_cbranch_execz .LBB194_37
	s_branch .LBB194_39
.LBB194_36:
                                        ; implicit-def: $vgpr0
                                        ; implicit-def: $vgpr2
                                        ; implicit-def: $vgpr30
.LBB194_37:
	s_waitcnt lgkmcnt(0)
	v_mul_hi_u32 v0, s41, v40
	v_add_u32_e32 v0, v40, v0
	v_lshrrev_b32_e32 v1, s42, v0
	v_mul_lo_u32 v0, v1, s40
	v_sub_u32_e32 v2, v40, v0
	v_mul_lo_u32 v30, v2, s36
	v_mul_lo_u32 v0, v2, s38
	s_andn2_b64 vcc, exec, s[50:51]
	v_mul_lo_u32 v2, v2, s37
	s_cbranch_vccnz .LBB194_39
; %bb.38:
	v_mul_hi_u32 v3, s48, v1
	v_add_u32_e32 v3, v1, v3
	v_lshrrev_b32_e32 v3, s49, v3
	v_mul_lo_u32 v3, v3, s43
	v_sub_u32_e32 v1, v1, v3
	v_mad_u64_u32 v[30:31], s[4:5], v1, s39, v[30:31]
	v_mad_u64_u32 v[2:3], s[4:5], v1, s46, v[2:3]
	;; [unrolled: 1-line block ×3, first 2 shown]
.LBB194_39:
	s_waitcnt lgkmcnt(0)
	global_load_ushort v3, v2, s[26:27]
	global_load_dword v1, v0, s[44:45]
	s_getpc_b64 s[4:5]
	s_add_u32 s4, s4, _ZZZZN2at6native33launch_standard_gamma_grad_kernelERNS_18TensorIteratorBaseEENKUlvE_clEvENKUlvE0_clEvENKUlffE_clEff@rel32@lo+4
	s_addc_u32 s5, s5, _ZZZZN2at6native33launch_standard_gamma_grad_kernelERNS_18TensorIteratorBaseEENKUlvE_clEvENKUlvE0_clEvENKUlffE_clEff@rel32@hi+12
	s_waitcnt vmcnt(1)
	v_cvt_f32_f16_e32 v0, v3
	s_swappc_b64 s[30:31], s[4:5]
	v_cvt_f16_f32_e32 v0, v0
	v_add_u32_e32 v40, 0x80, v40
	global_store_short v30, v0, s[24:25]
.LBB194_40:
	s_or_b64 exec, exec, s[54:55]
	v_cmp_gt_i32_e32 vcc, s58, v40
	s_mov_b64 s[4:5], 0
                                        ; implicit-def: $vgpr50_vgpr51
                                        ; implicit-def: $vgpr0
	s_and_saveexec_b64 s[54:55], vcc
	s_cbranch_execz .LBB194_52
; %bb.41:
	s_andn2_b64 vcc, exec, s[28:29]
	s_cbranch_vccnz .LBB194_48
; %bb.42:
	s_andn2_b64 vcc, exec, s[52:53]
	v_mov_b32_e32 v0, 0
	v_mov_b32_e32 v4, 0
	v_mov_b32_e32 v2, 0
	s_cbranch_vccnz .LBB194_47
; %bb.43:
	s_add_i32 s4, s57, 1
	s_and_b32 s6, s4, 30
	s_add_u32 s4, s22, 0xffffffec
	s_addc_u32 s5, s23, -1
	v_mov_b32_e32 v2, 0
	v_mov_b32_e32 v1, v40
	;; [unrolled: 1-line block ×4, first 2 shown]
.LBB194_44:                             ; =>This Inner Loop Header: Depth=1
	s_mov_b64 s[16:17], s[4:5]
	s_load_dwordx4 s[8:11], s[16:17], 0x18
	s_load_dwordx2 s[18:19], s[16:17], 0x28
	s_load_dwordx2 s[20:21], s[16:17], 0xe8
	s_load_dwordx4 s[12:15], s[16:17], 0xd8
	s_add_u32 s4, s16, 24
	s_waitcnt lgkmcnt(0)
	v_mul_hi_u32 v3, s9, v1
	v_add_u32_e32 v3, v1, v3
	v_lshrrev_b32_e32 v3, s10, v3
	v_mul_lo_u32 v5, v3, s8
	v_mul_hi_u32 v6, s18, v3
	v_sub_u32_e32 v1, v1, v5
	v_add_u32_e32 v5, v3, v6
	v_mul_lo_u32 v6, v1, s12
	v_mul_lo_u32 v7, v1, s13
	;; [unrolled: 1-line block ×3, first 2 shown]
	v_lshrrev_b32_e32 v1, s19, v5
	v_mul_lo_u32 v5, v1, s11
	v_sub_u32_e32 v3, v3, v5
	s_addc_u32 s5, s17, 0
	s_add_i32 s6, s6, -2
	v_mul_lo_u32 v5, v3, s15
	v_mul_lo_u32 v9, v3, s20
	;; [unrolled: 1-line block ×3, first 2 shown]
	s_cmp_eq_u32 s6, 0
	v_add3_u32 v2, v6, v2, v5
	v_add3_u32 v0, v8, v0, v3
	;; [unrolled: 1-line block ×3, first 2 shown]
	s_cbranch_scc0 .LBB194_44
; %bb.45:
	s_bitcmp1_b32 s57, 0
	s_cselect_b64 s[6:7], -1, 0
	s_and_b64 vcc, exec, s[6:7]
	s_cbranch_vccnz .LBB194_47
; %bb.46:
	s_load_dwordx2 s[6:7], s[4:5], 0x18
	s_load_dword s10, s[4:5], 0x20
	s_load_dword s11, s[4:5], 0xe0
	s_load_dwordx2 s[8:9], s[4:5], 0xd8
	s_waitcnt lgkmcnt(0)
	v_mul_hi_u32 v3, s7, v1
	v_add_u32_e32 v3, v1, v3
	v_lshrrev_b32_e32 v3, s10, v3
	v_mul_lo_u32 v3, v3, s6
	v_sub_u32_e32 v1, v1, v3
	v_mad_u64_u32 v[2:3], s[4:5], v1, s8, v[2:3]
	v_mad_u64_u32 v[4:5], s[4:5], v1, s9, v[4:5]
	;; [unrolled: 1-line block ×3, first 2 shown]
.LBB194_47:
	s_cbranch_execz .LBB194_49
	s_branch .LBB194_51
.LBB194_48:
                                        ; implicit-def: $vgpr0
                                        ; implicit-def: $vgpr4
                                        ; implicit-def: $vgpr2
.LBB194_49:
	s_waitcnt lgkmcnt(0)
	v_mul_hi_u32 v0, s41, v40
	v_add_u32_e32 v0, v40, v0
	v_lshrrev_b32_e32 v1, s42, v0
	v_mul_lo_u32 v0, v1, s40
	v_sub_u32_e32 v3, v40, v0
	v_mul_lo_u32 v2, v3, s36
	v_mul_lo_u32 v0, v3, s38
	s_andn2_b64 vcc, exec, s[50:51]
	v_mul_lo_u32 v4, v3, s37
	s_cbranch_vccnz .LBB194_51
; %bb.50:
	v_mul_hi_u32 v3, s48, v1
	v_add_u32_e32 v3, v1, v3
	v_lshrrev_b32_e32 v3, s49, v3
	v_mul_lo_u32 v3, v3, s43
	v_sub_u32_e32 v1, v1, v3
	v_mad_u64_u32 v[2:3], s[4:5], v1, s39, v[2:3]
	v_mad_u64_u32 v[4:5], s[4:5], v1, s46, v[4:5]
	;; [unrolled: 1-line block ×3, first 2 shown]
.LBB194_51:
	s_waitcnt lgkmcnt(0)
	global_load_ushort v3, v4, s[26:27]
	global_load_dword v1, v0, s[44:45]
	v_mov_b32_e32 v4, s25
	v_add_co_u32_e32 v50, vcc, s24, v2
	s_getpc_b64 s[4:5]
	s_add_u32 s4, s4, _ZZZZN2at6native33launch_standard_gamma_grad_kernelERNS_18TensorIteratorBaseEENKUlvE_clEvENKUlvE0_clEvENKUlffE_clEff@rel32@lo+4
	s_addc_u32 s5, s5, _ZZZZN2at6native33launch_standard_gamma_grad_kernelERNS_18TensorIteratorBaseEENKUlvE_clEvENKUlvE0_clEvENKUlffE_clEff@rel32@hi+12
	v_addc_co_u32_e32 v51, vcc, 0, v4, vcc
	s_waitcnt vmcnt(1)
	v_cvt_f32_f16_e32 v0, v3
	s_swappc_b64 s[30:31], s[4:5]
	s_mov_b64 s[4:5], exec
.LBB194_52:
	s_or_b64 exec, exec, s[54:55]
	s_waitcnt lgkmcnt(0)
	s_and_b64 s[36:37], s[4:5], exec
                                        ; implicit-def: $vgpr6
                                        ; implicit-def: $vgpr40
	s_andn2_saveexec_b64 s[34:35], s[34:35]
	s_cbranch_execz .LBB194_2
.LBB194_53:
	v_cndmask_b32_e64 v0, 0, 1, s[28:29]
	v_cmp_ne_u32_e64 s[4:5], 1, v0
	s_andn2_b64 vcc, exec, s[28:29]
	s_cbranch_vccnz .LBB194_59
; %bb.54:
	s_cmp_lg_u32 s33, 0
	v_mov_b32_e32 v0, 0
	v_mov_b32_e32 v2, 0
	;; [unrolled: 1-line block ×3, first 2 shown]
	s_cbranch_scc0 .LBB194_60
; %bb.55:
	s_min_u32 s8, s56, 15
	s_add_i32 s6, s8, 1
	s_and_b32 s9, s6, 30
	s_add_u32 s6, s22, 0xffffffec
	s_addc_u32 s7, s23, -1
	v_mov_b32_e32 v34, 0
	v_mov_b32_e32 v1, v40
	;; [unrolled: 1-line block ×4, first 2 shown]
.LBB194_56:                             ; =>This Inner Loop Header: Depth=1
	s_mov_b64 s[10:11], s[6:7]
	s_load_dwordx4 s[12:15], s[10:11], 0x18
	s_load_dwordx2 s[20:21], s[10:11], 0x28
	s_load_dwordx2 s[24:25], s[10:11], 0xe8
	s_load_dwordx4 s[16:19], s[10:11], 0xd8
	s_add_u32 s6, s10, 24
	s_waitcnt lgkmcnt(0)
	v_mul_hi_u32 v3, s13, v1
	v_add_u32_e32 v3, v1, v3
	v_lshrrev_b32_e32 v3, s14, v3
	v_mul_lo_u32 v4, v3, s12
	v_mul_hi_u32 v5, s20, v3
	v_sub_u32_e32 v1, v1, v4
	v_add_u32_e32 v4, v3, v5
	v_mul_lo_u32 v5, v1, s16
	v_mul_lo_u32 v7, v1, s17
	;; [unrolled: 1-line block ×3, first 2 shown]
	v_lshrrev_b32_e32 v1, s21, v4
	v_mul_lo_u32 v4, v1, s15
	v_sub_u32_e32 v3, v3, v4
	s_addc_u32 s7, s11, 0
	s_add_i32 s9, s9, -2
	v_mul_lo_u32 v4, v3, s19
	v_mul_lo_u32 v9, v3, s24
	;; [unrolled: 1-line block ×3, first 2 shown]
	s_cmp_lg_u32 s9, 0
	v_add3_u32 v34, v5, v34, v4
	v_add3_u32 v0, v8, v0, v3
	;; [unrolled: 1-line block ×3, first 2 shown]
	s_cbranch_scc1 .LBB194_56
; %bb.57:
	s_bitcmp1_b32 s8, 0
	s_cselect_b64 s[8:9], -1, 0
	s_and_b64 vcc, exec, s[8:9]
	s_cbranch_vccnz .LBB194_60
; %bb.58:
	s_load_dwordx2 s[8:9], s[6:7], 0x18
	s_load_dword s12, s[6:7], 0x20
	s_load_dword s13, s[6:7], 0xe0
	s_load_dwordx2 s[10:11], s[6:7], 0xd8
	s_waitcnt lgkmcnt(0)
	v_mul_hi_u32 v3, s9, v1
	v_add_u32_e32 v3, v1, v3
	v_lshrrev_b32_e32 v3, s12, v3
	v_mul_lo_u32 v3, v3, s8
	v_sub_u32_e32 v1, v1, v3
	v_mad_u64_u32 v[34:35], s[6:7], v1, s10, v[34:35]
	v_mad_u64_u32 v[2:3], s[6:7], v1, s11, v[2:3]
	;; [unrolled: 1-line block ×3, first 2 shown]
	s_cbranch_execz .LBB194_61
	s_branch .LBB194_63
.LBB194_59:
                                        ; implicit-def: $vgpr0
                                        ; implicit-def: $vgpr2
                                        ; implicit-def: $vgpr34
	s_branch .LBB194_61
.LBB194_60:
	s_cbranch_execnz .LBB194_63
.LBB194_61:
	s_load_dwordx4 s[8:11], s[22:23], 0x4
	s_load_dwordx4 s[12:15], s[22:23], 0xc4
	s_cmp_lt_u32 s33, 2
	s_waitcnt lgkmcnt(0)
	v_mul_hi_u32 v0, s9, v40
	v_add_u32_e32 v0, v40, v0
	v_lshrrev_b32_e32 v1, s10, v0
	v_mul_lo_u32 v0, v1, s8
	v_sub_u32_e32 v2, v40, v0
	v_mul_lo_u32 v34, v2, s12
	v_mul_lo_u32 v0, v2, s14
	;; [unrolled: 1-line block ×3, first 2 shown]
	s_cbranch_scc1 .LBB194_63
; %bb.62:
	s_load_dwordx4 s[8:11], s[22:23], 0x10
	s_load_dwordx4 s[12:15], s[22:23], 0xd0
	s_waitcnt lgkmcnt(0)
	v_mul_hi_u32 v3, s9, v1
	v_add_u32_e32 v3, v1, v3
	v_lshrrev_b32_e32 v3, s10, v3
	v_mul_lo_u32 v3, v3, s8
	v_sub_u32_e32 v1, v1, v3
	v_mad_u64_u32 v[34:35], s[6:7], v1, s12, v[34:35]
	v_mad_u64_u32 v[2:3], s[6:7], v1, s13, v[2:3]
	;; [unrolled: 1-line block ×3, first 2 shown]
.LBB194_63:
	s_and_b64 vcc, exec, s[4:5]
	v_add_u32_e32 v1, 0x80, v40
	s_cbranch_vccnz .LBB194_69
; %bb.64:
	s_cmp_lg_u32 s33, 0
	v_mov_b32_e32 v32, 0
	v_mov_b32_e32 v38, 0
	;; [unrolled: 1-line block ×3, first 2 shown]
	s_cbranch_scc0 .LBB194_70
; %bb.65:
	s_min_u32 s8, s56, 15
	s_add_i32 s6, s8, 1
	s_and_b32 s9, s6, 30
	s_add_u32 s6, s22, 0xffffffec
	s_addc_u32 s7, s23, -1
	v_mov_b32_e32 v36, 0
	v_mov_b32_e32 v3, v1
	;; [unrolled: 1-line block ×4, first 2 shown]
.LBB194_66:                             ; =>This Inner Loop Header: Depth=1
	s_mov_b64 s[10:11], s[6:7]
	s_load_dwordx4 s[12:15], s[10:11], 0x18
	s_load_dwordx2 s[20:21], s[10:11], 0x28
	s_load_dwordx2 s[24:25], s[10:11], 0xe8
	s_load_dwordx4 s[16:19], s[10:11], 0xd8
	s_add_u32 s6, s10, 24
	s_waitcnt lgkmcnt(0)
	v_mul_hi_u32 v4, s13, v3
	v_add_u32_e32 v4, v3, v4
	v_lshrrev_b32_e32 v4, s14, v4
	v_mul_lo_u32 v5, v4, s12
	v_mul_hi_u32 v7, s20, v4
	v_sub_u32_e32 v3, v3, v5
	v_add_u32_e32 v5, v4, v7
	v_mul_lo_u32 v7, v3, s16
	v_mul_lo_u32 v8, v3, s17
	;; [unrolled: 1-line block ×3, first 2 shown]
	v_lshrrev_b32_e32 v3, s21, v5
	v_mul_lo_u32 v5, v3, s15
	v_sub_u32_e32 v4, v4, v5
	s_addc_u32 s7, s11, 0
	s_add_i32 s9, s9, -2
	v_mul_lo_u32 v5, v4, s19
	v_mul_lo_u32 v10, v4, s24
	;; [unrolled: 1-line block ×3, first 2 shown]
	s_cmp_lg_u32 s9, 0
	v_add3_u32 v36, v7, v36, v5
	v_add3_u32 v32, v9, v32, v4
	;; [unrolled: 1-line block ×3, first 2 shown]
	s_cbranch_scc1 .LBB194_66
; %bb.67:
	s_bitcmp1_b32 s8, 0
	s_cselect_b64 s[8:9], -1, 0
	s_and_b64 vcc, exec, s[8:9]
	s_cbranch_vccnz .LBB194_70
; %bb.68:
	s_load_dwordx2 s[8:9], s[6:7], 0x18
	s_load_dword s12, s[6:7], 0x20
	s_load_dword s13, s[6:7], 0xe0
	s_load_dwordx2 s[10:11], s[6:7], 0xd8
	s_waitcnt lgkmcnt(0)
	v_mul_hi_u32 v4, s9, v3
	v_add_u32_e32 v4, v3, v4
	v_lshrrev_b32_e32 v4, s12, v4
	v_mul_lo_u32 v4, v4, s8
	v_sub_u32_e32 v3, v3, v4
	v_mad_u64_u32 v[36:37], s[6:7], v3, s10, v[36:37]
	v_mad_u64_u32 v[38:39], s[6:7], v3, s11, v[38:39]
	;; [unrolled: 1-line block ×3, first 2 shown]
	s_cbranch_execz .LBB194_71
	s_branch .LBB194_73
.LBB194_69:
                                        ; implicit-def: $vgpr32
                                        ; implicit-def: $vgpr38
                                        ; implicit-def: $vgpr36
	s_branch .LBB194_71
.LBB194_70:
	s_cbranch_execnz .LBB194_73
.LBB194_71:
	s_load_dwordx4 s[8:11], s[22:23], 0x4
	s_load_dwordx4 s[12:15], s[22:23], 0xc4
	s_cmp_lt_u32 s33, 2
	s_waitcnt lgkmcnt(0)
	v_mul_hi_u32 v3, s9, v1
	v_add_u32_e32 v3, v1, v3
	v_lshrrev_b32_e32 v3, s10, v3
	v_mul_lo_u32 v4, v3, s8
	v_sub_u32_e32 v1, v1, v4
	v_mul_lo_u32 v36, v1, s12
	v_mul_lo_u32 v32, v1, s14
	;; [unrolled: 1-line block ×3, first 2 shown]
	s_cbranch_scc1 .LBB194_73
; %bb.72:
	s_load_dwordx4 s[8:11], s[22:23], 0x10
	s_load_dwordx4 s[12:15], s[22:23], 0xd0
	s_waitcnt lgkmcnt(0)
	v_mul_hi_u32 v1, s9, v3
	v_add_u32_e32 v1, v3, v1
	v_lshrrev_b32_e32 v1, s10, v1
	v_mul_lo_u32 v1, v1, s8
	v_sub_u32_e32 v1, v3, v1
	v_mad_u64_u32 v[36:37], s[6:7], v1, s12, v[36:37]
	v_mad_u64_u32 v[38:39], s[6:7], v1, s13, v[38:39]
	;; [unrolled: 1-line block ×3, first 2 shown]
.LBB194_73:
	s_and_b64 vcc, exec, s[4:5]
	v_add_u32_e32 v1, 0x100, v40
	s_cbranch_vccnz .LBB194_79
; %bb.74:
	s_cmp_lg_u32 s33, 0
	v_mov_b32_e32 v42, 0
	v_mov_b32_e32 v44, 0
	;; [unrolled: 1-line block ×3, first 2 shown]
	s_cbranch_scc0 .LBB194_80
; %bb.75:
	s_min_u32 s8, s56, 15
	s_add_i32 s6, s8, 1
	s_and_b32 s9, s6, 30
	s_add_u32 s6, s22, 0xffffffec
	s_addc_u32 s7, s23, -1
	v_mov_b32_e32 v40, 0
	v_mov_b32_e32 v3, v1
	;; [unrolled: 1-line block ×4, first 2 shown]
.LBB194_76:                             ; =>This Inner Loop Header: Depth=1
	s_mov_b64 s[10:11], s[6:7]
	s_load_dwordx4 s[12:15], s[10:11], 0x18
	s_load_dwordx2 s[20:21], s[10:11], 0x28
	s_load_dwordx2 s[24:25], s[10:11], 0xe8
	s_load_dwordx4 s[16:19], s[10:11], 0xd8
	s_add_u32 s6, s10, 24
	s_waitcnt lgkmcnt(0)
	v_mul_hi_u32 v4, s13, v3
	v_add_u32_e32 v4, v3, v4
	v_lshrrev_b32_e32 v4, s14, v4
	v_mul_lo_u32 v5, v4, s12
	v_mul_hi_u32 v7, s20, v4
	v_sub_u32_e32 v3, v3, v5
	v_add_u32_e32 v5, v4, v7
	v_mul_lo_u32 v7, v3, s16
	v_mul_lo_u32 v8, v3, s17
	v_mul_lo_u32 v9, v3, s18
	v_lshrrev_b32_e32 v3, s21, v5
	v_mul_lo_u32 v5, v3, s15
	v_sub_u32_e32 v4, v4, v5
	s_addc_u32 s7, s11, 0
	s_add_i32 s9, s9, -2
	v_mul_lo_u32 v5, v4, s19
	v_mul_lo_u32 v10, v4, s24
	;; [unrolled: 1-line block ×3, first 2 shown]
	s_cmp_lg_u32 s9, 0
	v_add3_u32 v40, v7, v40, v5
	v_add3_u32 v42, v9, v42, v4
	;; [unrolled: 1-line block ×3, first 2 shown]
	s_cbranch_scc1 .LBB194_76
; %bb.77:
	s_bitcmp1_b32 s8, 0
	s_cselect_b64 s[8:9], -1, 0
	s_and_b64 vcc, exec, s[8:9]
	s_cbranch_vccnz .LBB194_80
; %bb.78:
	s_load_dwordx2 s[8:9], s[6:7], 0x18
	s_load_dword s12, s[6:7], 0x20
	s_load_dword s13, s[6:7], 0xe0
	s_load_dwordx2 s[10:11], s[6:7], 0xd8
	s_waitcnt lgkmcnt(0)
	v_mul_hi_u32 v4, s9, v3
	v_add_u32_e32 v4, v3, v4
	v_lshrrev_b32_e32 v4, s12, v4
	v_mul_lo_u32 v4, v4, s8
	v_sub_u32_e32 v3, v3, v4
	v_mad_u64_u32 v[40:41], s[6:7], v3, s10, v[40:41]
	v_mad_u64_u32 v[44:45], s[6:7], v3, s11, v[44:45]
	;; [unrolled: 1-line block ×3, first 2 shown]
	s_cbranch_execz .LBB194_81
	s_branch .LBB194_83
.LBB194_79:
                                        ; implicit-def: $vgpr42
                                        ; implicit-def: $vgpr44
                                        ; implicit-def: $vgpr40
	s_branch .LBB194_81
.LBB194_80:
	s_cbranch_execnz .LBB194_83
.LBB194_81:
	s_load_dwordx4 s[8:11], s[22:23], 0x4
	s_load_dwordx4 s[12:15], s[22:23], 0xc4
	s_cmp_lt_u32 s33, 2
	s_waitcnt lgkmcnt(0)
	v_mul_hi_u32 v3, s9, v1
	v_add_u32_e32 v3, v1, v3
	v_lshrrev_b32_e32 v3, s10, v3
	v_mul_lo_u32 v4, v3, s8
	v_sub_u32_e32 v1, v1, v4
	v_mul_lo_u32 v40, v1, s12
	v_mul_lo_u32 v42, v1, s14
	;; [unrolled: 1-line block ×3, first 2 shown]
	s_cbranch_scc1 .LBB194_83
; %bb.82:
	s_load_dwordx4 s[8:11], s[22:23], 0x10
	s_load_dwordx4 s[12:15], s[22:23], 0xd0
	s_waitcnt lgkmcnt(0)
	v_mul_hi_u32 v1, s9, v3
	v_add_u32_e32 v1, v3, v1
	v_lshrrev_b32_e32 v1, s10, v1
	v_mul_lo_u32 v1, v1, s8
	v_sub_u32_e32 v1, v3, v1
	v_mad_u64_u32 v[40:41], s[6:7], v1, s12, v[40:41]
	v_mad_u64_u32 v[44:45], s[6:7], v1, s13, v[44:45]
	;; [unrolled: 1-line block ×3, first 2 shown]
.LBB194_83:
	s_and_b64 vcc, exec, s[4:5]
	s_cbranch_vccnz .LBB194_89
; %bb.84:
	s_cmp_lg_u32 s33, 0
	v_mov_b32_e32 v46, 0
	v_mov_b32_e32 v48, 0
	;; [unrolled: 1-line block ×3, first 2 shown]
	s_cbranch_scc0 .LBB194_90
; %bb.85:
	s_min_u32 s6, s56, 15
	s_add_i32 s4, s6, 1
	s_and_b32 s7, s4, 30
	s_add_u32 s4, s22, 0xffffffec
	s_addc_u32 s5, s23, -1
	v_mov_b32_e32 v4, 0
	v_mov_b32_e32 v1, v6
	;; [unrolled: 1-line block ×4, first 2 shown]
.LBB194_86:                             ; =>This Inner Loop Header: Depth=1
	s_mov_b64 s[16:17], s[4:5]
	s_load_dwordx4 s[8:11], s[16:17], 0x18
	s_load_dwordx2 s[18:19], s[16:17], 0x28
	s_load_dwordx2 s[20:21], s[16:17], 0xe8
	s_load_dwordx4 s[12:15], s[16:17], 0xd8
	s_add_u32 s4, s16, 24
	s_waitcnt lgkmcnt(0)
	v_mul_hi_u32 v3, s9, v1
	v_add_u32_e32 v3, v1, v3
	v_lshrrev_b32_e32 v3, s10, v3
	v_mul_lo_u32 v5, v3, s8
	v_mul_hi_u32 v7, s18, v3
	v_sub_u32_e32 v1, v1, v5
	v_add_u32_e32 v5, v3, v7
	v_mul_lo_u32 v7, v1, s12
	v_mul_lo_u32 v8, v1, s13
	;; [unrolled: 1-line block ×3, first 2 shown]
	v_lshrrev_b32_e32 v1, s19, v5
	v_mul_lo_u32 v5, v1, s11
	v_sub_u32_e32 v3, v3, v5
	s_addc_u32 s5, s17, 0
	s_add_i32 s7, s7, -2
	v_mul_lo_u32 v5, v3, s15
	v_mul_lo_u32 v10, v3, s20
	;; [unrolled: 1-line block ×3, first 2 shown]
	s_cmp_lg_u32 s7, 0
	v_add3_u32 v4, v7, v4, v5
	v_add3_u32 v46, v9, v46, v3
	;; [unrolled: 1-line block ×3, first 2 shown]
	s_cbranch_scc1 .LBB194_86
; %bb.87:
	s_bitcmp1_b32 s6, 0
	s_cselect_b64 s[6:7], -1, 0
	s_and_b64 vcc, exec, s[6:7]
	s_cbranch_vccnz .LBB194_90
; %bb.88:
	s_load_dwordx2 s[6:7], s[4:5], 0x18
	s_load_dword s10, s[4:5], 0x20
	s_load_dword s11, s[4:5], 0xe0
	s_load_dwordx2 s[8:9], s[4:5], 0xd8
	s_waitcnt lgkmcnt(0)
	v_mul_hi_u32 v3, s7, v1
	v_add_u32_e32 v3, v1, v3
	v_lshrrev_b32_e32 v3, s10, v3
	v_mul_lo_u32 v3, v3, s6
	v_sub_u32_e32 v1, v1, v3
	v_mad_u64_u32 v[4:5], s[4:5], v1, s8, v[4:5]
	v_mad_u64_u32 v[48:49], s[4:5], v1, s9, v[48:49]
	;; [unrolled: 1-line block ×3, first 2 shown]
	s_cbranch_execz .LBB194_91
	s_branch .LBB194_93
.LBB194_89:
                                        ; implicit-def: $vgpr46
                                        ; implicit-def: $vgpr48
                                        ; implicit-def: $vgpr4
	s_branch .LBB194_91
.LBB194_90:
	s_cbranch_execnz .LBB194_93
.LBB194_91:
	s_load_dwordx4 s[4:7], s[22:23], 0x4
	s_load_dwordx4 s[8:11], s[22:23], 0xc4
	s_cmp_lt_u32 s33, 2
	s_waitcnt lgkmcnt(0)
	v_mul_hi_u32 v1, s5, v6
	v_add_u32_e32 v1, v6, v1
	v_lshrrev_b32_e32 v1, s6, v1
	v_mul_lo_u32 v3, v1, s4
	v_sub_u32_e32 v3, v6, v3
	v_mul_lo_u32 v4, v3, s8
	v_mul_lo_u32 v46, v3, s10
	;; [unrolled: 1-line block ×3, first 2 shown]
	s_cbranch_scc1 .LBB194_93
; %bb.92:
	s_load_dwordx4 s[4:7], s[22:23], 0x10
	s_load_dwordx4 s[8:11], s[22:23], 0xd0
	s_waitcnt lgkmcnt(0)
	v_mul_hi_u32 v3, s5, v1
	v_add_u32_e32 v3, v1, v3
	v_lshrrev_b32_e32 v3, s6, v3
	v_mul_lo_u32 v3, v3, s4
	v_sub_u32_e32 v1, v1, v3
	v_mad_u64_u32 v[4:5], s[4:5], v1, s8, v[4:5]
	v_mad_u64_u32 v[48:49], s[4:5], v1, s9, v[48:49]
	;; [unrolled: 1-line block ×3, first 2 shown]
.LBB194_93:
	s_load_dwordx4 s[24:27], s[22:23], 0x188
	s_load_dwordx2 s[28:29], s[22:23], 0x198
	s_getpc_b64 s[22:23]
	s_add_u32 s22, s22, _ZZZZN2at6native33launch_standard_gamma_grad_kernelERNS_18TensorIteratorBaseEENKUlvE_clEvENKUlvE0_clEvENKUlffE_clEff@rel32@lo+4
	s_addc_u32 s23, s23, _ZZZZN2at6native33launch_standard_gamma_grad_kernelERNS_18TensorIteratorBaseEENKUlvE_clEvENKUlvE0_clEvENKUlffE_clEff@rel32@hi+12
	s_waitcnt lgkmcnt(0)
	global_load_ushort v3, v2, s[26:27]
	global_load_dword v1, v0, s[28:29]
	v_mov_b32_e32 v2, s25
	v_add_co_u32_e32 v50, vcc, s24, v4
	v_addc_co_u32_e32 v51, vcc, 0, v2, vcc
	s_waitcnt vmcnt(1)
	v_cvt_f32_f16_e32 v0, v3
	s_swappc_b64 s[30:31], s[22:23]
	v_mov_b32_e32 v30, v0
	global_load_ushort v0, v38, s[26:27]
	global_load_dword v1, v32, s[28:29]
	s_waitcnt vmcnt(1)
	v_cvt_f32_f16_e32 v0, v0
	s_swappc_b64 s[30:31], s[22:23]
	v_mov_b32_e32 v31, v0
	global_load_ushort v0, v44, s[26:27]
	global_load_dword v1, v42, s[28:29]
	;; [unrolled: 6-line block ×3, first 2 shown]
	s_waitcnt vmcnt(1)
	v_cvt_f32_f16_e32 v0, v0
	s_swappc_b64 s[30:31], s[22:23]
	v_cvt_f16_f32_e32 v1, v30
	v_cvt_f16_f32_e32 v2, v31
	v_cvt_f16_f32_e32 v3, v32
	s_or_b64 s[36:37], s[36:37], exec
	global_store_short v34, v1, s[24:25]
	global_store_short v36, v2, s[24:25]
	global_store_short v40, v3, s[24:25]
	s_or_b64 exec, exec, s[34:35]
	s_and_saveexec_b64 s[4:5], s[36:37]
	s_cbranch_execz .LBB194_3
.LBB194_94:
	v_cvt_f16_f32_e32 v0, v0
	global_store_short v[50:51], v0, off
	s_endpgm
	.section	.rodata,"a",@progbits
	.p2align	6, 0x0
	.amdhsa_kernel _ZN2at6native32elementwise_kernel_manual_unrollILi128ELi4EZNS0_12_GLOBAL__N_142type_specialized_broadcast_kernel_launcherILi5EE5applyIZZZNS0_33launch_standard_gamma_grad_kernelERNS_18TensorIteratorBaseEENKUlvE_clEvENKUlvE0_clEvEUlffE_St5arrayIPcLm3EESB_IN3c1010ScalarTypeELm3EE16OffsetCalculatorILi3EjLb0EEEEvlT_T0_T1_T2_EUlibE_EEviSL_
		.amdhsa_group_segment_fixed_size 0
		.amdhsa_private_segment_fixed_size 0
		.amdhsa_kernarg_size 432
		.amdhsa_user_sgpr_count 8
		.amdhsa_user_sgpr_private_segment_buffer 1
		.amdhsa_user_sgpr_dispatch_ptr 0
		.amdhsa_user_sgpr_queue_ptr 0
		.amdhsa_user_sgpr_kernarg_segment_ptr 1
		.amdhsa_user_sgpr_dispatch_id 0
		.amdhsa_user_sgpr_flat_scratch_init 1
		.amdhsa_user_sgpr_kernarg_preload_length 0
		.amdhsa_user_sgpr_kernarg_preload_offset 0
		.amdhsa_user_sgpr_private_segment_size 0
		.amdhsa_uses_dynamic_stack 0
		.amdhsa_system_sgpr_private_segment_wavefront_offset 0
		.amdhsa_system_sgpr_workgroup_id_x 1
		.amdhsa_system_sgpr_workgroup_id_y 0
		.amdhsa_system_sgpr_workgroup_id_z 0
		.amdhsa_system_sgpr_workgroup_info 0
		.amdhsa_system_vgpr_workitem_id 0
		.amdhsa_next_free_vgpr 52
		.amdhsa_next_free_sgpr 59
		.amdhsa_accum_offset 52
		.amdhsa_reserve_vcc 1
		.amdhsa_reserve_flat_scratch 1
		.amdhsa_float_round_mode_32 0
		.amdhsa_float_round_mode_16_64 0
		.amdhsa_float_denorm_mode_32 3
		.amdhsa_float_denorm_mode_16_64 3
		.amdhsa_dx10_clamp 1
		.amdhsa_ieee_mode 1
		.amdhsa_fp16_overflow 0
		.amdhsa_tg_split 0
		.amdhsa_exception_fp_ieee_invalid_op 0
		.amdhsa_exception_fp_denorm_src 0
		.amdhsa_exception_fp_ieee_div_zero 0
		.amdhsa_exception_fp_ieee_overflow 0
		.amdhsa_exception_fp_ieee_underflow 0
		.amdhsa_exception_fp_ieee_inexact 0
		.amdhsa_exception_int_div_zero 0
	.end_amdhsa_kernel
	.section	.text._ZN2at6native32elementwise_kernel_manual_unrollILi128ELi4EZNS0_12_GLOBAL__N_142type_specialized_broadcast_kernel_launcherILi5EE5applyIZZZNS0_33launch_standard_gamma_grad_kernelERNS_18TensorIteratorBaseEENKUlvE_clEvENKUlvE0_clEvEUlffE_St5arrayIPcLm3EESB_IN3c1010ScalarTypeELm3EE16OffsetCalculatorILi3EjLb0EEEEvlT_T0_T1_T2_EUlibE_EEviSL_,"axG",@progbits,_ZN2at6native32elementwise_kernel_manual_unrollILi128ELi4EZNS0_12_GLOBAL__N_142type_specialized_broadcast_kernel_launcherILi5EE5applyIZZZNS0_33launch_standard_gamma_grad_kernelERNS_18TensorIteratorBaseEENKUlvE_clEvENKUlvE0_clEvEUlffE_St5arrayIPcLm3EESB_IN3c1010ScalarTypeELm3EE16OffsetCalculatorILi3EjLb0EEEEvlT_T0_T1_T2_EUlibE_EEviSL_,comdat
.Lfunc_end194:
	.size	_ZN2at6native32elementwise_kernel_manual_unrollILi128ELi4EZNS0_12_GLOBAL__N_142type_specialized_broadcast_kernel_launcherILi5EE5applyIZZZNS0_33launch_standard_gamma_grad_kernelERNS_18TensorIteratorBaseEENKUlvE_clEvENKUlvE0_clEvEUlffE_St5arrayIPcLm3EESB_IN3c1010ScalarTypeELm3EE16OffsetCalculatorILi3EjLb0EEEEvlT_T0_T1_T2_EUlibE_EEviSL_, .Lfunc_end194-_ZN2at6native32elementwise_kernel_manual_unrollILi128ELi4EZNS0_12_GLOBAL__N_142type_specialized_broadcast_kernel_launcherILi5EE5applyIZZZNS0_33launch_standard_gamma_grad_kernelERNS_18TensorIteratorBaseEENKUlvE_clEvENKUlvE0_clEvEUlffE_St5arrayIPcLm3EESB_IN3c1010ScalarTypeELm3EE16OffsetCalculatorILi3EjLb0EEEEvlT_T0_T1_T2_EUlibE_EEviSL_
                                        ; -- End function
	.section	.AMDGPU.csdata,"",@progbits
; Kernel info:
; codeLenInByte = 4900
; NumSgprs: 65
; NumVgprs: 52
; NumAgprs: 0
; TotalNumVgprs: 52
; ScratchSize: 0
; MemoryBound: 0
; FloatMode: 240
; IeeeMode: 1
; LDSByteSize: 0 bytes/workgroup (compile time only)
; SGPRBlocks: 8
; VGPRBlocks: 6
; NumSGPRsForWavesPerEU: 65
; NumVGPRsForWavesPerEU: 52
; AccumOffset: 52
; Occupancy: 8
; WaveLimiterHint : 1
; COMPUTE_PGM_RSRC2:SCRATCH_EN: 0
; COMPUTE_PGM_RSRC2:USER_SGPR: 8
; COMPUTE_PGM_RSRC2:TRAP_HANDLER: 0
; COMPUTE_PGM_RSRC2:TGID_X_EN: 1
; COMPUTE_PGM_RSRC2:TGID_Y_EN: 0
; COMPUTE_PGM_RSRC2:TGID_Z_EN: 0
; COMPUTE_PGM_RSRC2:TIDIG_COMP_CNT: 0
; COMPUTE_PGM_RSRC3_GFX90A:ACCUM_OFFSET: 12
; COMPUTE_PGM_RSRC3_GFX90A:TG_SPLIT: 0
	.section	.text._ZN2at6native32elementwise_kernel_manual_unrollILi128ELi4EZNS0_15gpu_kernel_implIZZZNS0_33launch_standard_gamma_grad_kernelERNS_18TensorIteratorBaseEENKUlvE_clEvENKUlvE0_clEvEUlffE_EEvS4_RKT_EUlibE0_EEviT1_,"axG",@progbits,_ZN2at6native32elementwise_kernel_manual_unrollILi128ELi4EZNS0_15gpu_kernel_implIZZZNS0_33launch_standard_gamma_grad_kernelERNS_18TensorIteratorBaseEENKUlvE_clEvENKUlvE0_clEvEUlffE_EEvS4_RKT_EUlibE0_EEviT1_,comdat
	.globl	_ZN2at6native32elementwise_kernel_manual_unrollILi128ELi4EZNS0_15gpu_kernel_implIZZZNS0_33launch_standard_gamma_grad_kernelERNS_18TensorIteratorBaseEENKUlvE_clEvENKUlvE0_clEvEUlffE_EEvS4_RKT_EUlibE0_EEviT1_ ; -- Begin function _ZN2at6native32elementwise_kernel_manual_unrollILi128ELi4EZNS0_15gpu_kernel_implIZZZNS0_33launch_standard_gamma_grad_kernelERNS_18TensorIteratorBaseEENKUlvE_clEvENKUlvE0_clEvEUlffE_EEvS4_RKT_EUlibE0_EEviT1_
	.p2align	8
	.type	_ZN2at6native32elementwise_kernel_manual_unrollILi128ELi4EZNS0_15gpu_kernel_implIZZZNS0_33launch_standard_gamma_grad_kernelERNS_18TensorIteratorBaseEENKUlvE_clEvENKUlvE0_clEvEUlffE_EEvS4_RKT_EUlibE0_EEviT1_,@function
_ZN2at6native32elementwise_kernel_manual_unrollILi128ELi4EZNS0_15gpu_kernel_implIZZZNS0_33launch_standard_gamma_grad_kernelERNS_18TensorIteratorBaseEENKUlvE_clEvENKUlvE0_clEvEUlffE_EEvS4_RKT_EUlibE0_EEviT1_: ; @_ZN2at6native32elementwise_kernel_manual_unrollILi128ELi4EZNS0_15gpu_kernel_implIZZZNS0_33launch_standard_gamma_grad_kernelERNS_18TensorIteratorBaseEENKUlvE_clEvENKUlvE0_clEvEUlffE_EEvS4_RKT_EUlibE0_EEviT1_
; %bb.0:
	s_load_dword s82, s[4:5], 0x0
	s_load_dword s33, s[4:5], 0x8
	s_add_u32 flat_scratch_lo, s6, s9
	s_addc_u32 flat_scratch_hi, s7, 0
	s_add_u32 s0, s0, s9
	s_addc_u32 s1, s1, 0
	s_or_b32 s22, s4, 8
	v_lshl_or_b32 v34, s8, 9, v0
	s_waitcnt lgkmcnt(0)
	s_add_i32 s80, s33, -1
	v_or_b32_e32 v16, 0x180, v34
	s_cmp_gt_u32 s80, 1
	s_mov_b32 s23, s5
	v_cmp_le_i32_e32 vcc, s82, v16
	s_cselect_b64 s[34:35], -1, 0
	s_mov_b64 s[28:29], 0
	s_mov_b64 s[36:37], 0
	s_mov_b32 s32, 0
	s_and_saveexec_b64 s[6:7], vcc
	s_xor_b64 s[44:45], exec, s[6:7]
	s_cbranch_execz .LBB195_1585
; %bb.1:
	v_mov_b32_e32 v0, 0
	global_load_ushort v32, v0, s[22:23] offset:417
	global_load_sbyte v33, v0, s[22:23] offset:419
	s_load_dwordx4 s[40:43], s[22:23], 0x4
	s_load_dwordx2 s[50:51], s[22:23], 0x14
	s_load_dwordx4 s[36:39], s[22:23], 0xc4
	s_load_dwordx2 s[48:49], s[22:23], 0xd4
	s_load_dwordx2 s[46:47], s[22:23], 0x198
	s_load_dwordx4 s[24:27], s[22:23], 0x188
	s_cmp_lg_u32 s33, 0
	s_cselect_b64 s[54:55], -1, 0
	s_min_u32 s81, s80, 15
	s_cmp_gt_u32 s33, 1
	v_cmp_gt_i32_e32 vcc, s82, v34
	s_mov_b64 s[6:7], -1
	s_mov_b64 s[66:67], 0
	s_mov_b64 s[60:61], 0
	s_mov_b64 s[58:59], 0
	s_cselect_b64 s[52:53], -1, 0
	s_mov_b64 s[56:57], 0
	s_waitcnt vmcnt(1)
	v_lshrrev_b32_e32 v35, 8, v32
	s_and_saveexec_b64 s[62:63], vcc
	s_cbranch_execz .LBB195_393
; %bb.2:
	s_andn2_b64 vcc, exec, s[34:35]
	s_cbranch_vccnz .LBB195_9
; %bb.3:
	s_andn2_b64 vcc, exec, s[54:55]
	v_mov_b32_e32 v2, 0
	v_mov_b32_e32 v0, 0
	;; [unrolled: 1-line block ×3, first 2 shown]
	s_cbranch_vccnz .LBB195_8
; %bb.4:
	s_add_i32 s6, s81, 1
	s_and_b32 s8, s6, 30
	s_add_u32 s6, s22, 0xffffffec
	s_addc_u32 s7, s23, -1
	v_mov_b32_e32 v30, 0
	v_mov_b32_e32 v1, v34
	;; [unrolled: 1-line block ×4, first 2 shown]
.LBB195_5:                              ; =>This Inner Loop Header: Depth=1
	s_mov_b64 s[10:11], s[6:7]
	s_load_dwordx4 s[12:15], s[10:11], 0x18
	s_load_dwordx2 s[20:21], s[10:11], 0x28
	s_load_dwordx2 s[30:31], s[10:11], 0xe8
	s_load_dwordx4 s[16:19], s[10:11], 0xd8
	s_add_u32 s6, s10, 24
	s_waitcnt lgkmcnt(0)
	v_mul_hi_u32 v3, s13, v1
	v_add_u32_e32 v3, v1, v3
	v_lshrrev_b32_e32 v3, s14, v3
	v_mul_lo_u32 v4, v3, s12
	v_mul_hi_u32 v5, s20, v3
	v_sub_u32_e32 v1, v1, v4
	v_add_u32_e32 v4, v3, v5
	v_mul_lo_u32 v5, v1, s16
	v_mul_lo_u32 v6, v1, s17
	v_mul_lo_u32 v7, v1, s18
	v_lshrrev_b32_e32 v1, s21, v4
	v_mul_lo_u32 v4, v1, s15
	v_sub_u32_e32 v3, v3, v4
	s_addc_u32 s7, s11, 0
	s_add_i32 s8, s8, -2
	v_mul_lo_u32 v4, v3, s19
	v_mul_lo_u32 v8, v3, s30
	;; [unrolled: 1-line block ×3, first 2 shown]
	s_cmp_lg_u32 s8, 0
	v_add3_u32 v30, v5, v30, v4
	v_add3_u32 v2, v7, v2, v3
	;; [unrolled: 1-line block ×3, first 2 shown]
	s_cbranch_scc1 .LBB195_5
; %bb.6:
	s_bitcmp1_b32 s81, 0
	s_cselect_b64 s[8:9], -1, 0
	s_and_b64 vcc, exec, s[8:9]
	s_cbranch_vccnz .LBB195_8
; %bb.7:
	s_load_dwordx2 s[8:9], s[6:7], 0x18
	s_load_dword s10, s[6:7], 0x20
	s_load_dword s11, s[6:7], 0xe0
	s_nop 0
	s_load_dwordx2 s[6:7], s[6:7], 0xd8
	s_waitcnt lgkmcnt(0)
	v_mul_hi_u32 v3, s9, v1
	v_add_u32_e32 v3, v1, v3
	v_lshrrev_b32_e32 v3, s10, v3
	v_mul_lo_u32 v3, v3, s8
	v_sub_u32_e32 v3, v1, v3
	v_mad_u64_u32 v[30:31], s[8:9], v3, s6, v[30:31]
	v_mad_u64_u32 v[0:1], s[6:7], v3, s7, v[0:1]
	;; [unrolled: 1-line block ×3, first 2 shown]
.LBB195_8:
	s_cbranch_execz .LBB195_10
	s_branch .LBB195_12
.LBB195_9:
                                        ; implicit-def: $vgpr2
                                        ; implicit-def: $vgpr0
                                        ; implicit-def: $vgpr30
	s_andn2_b64 vcc, exec, s[6:7]
	s_cbranch_vccnz .LBB195_12
.LBB195_10:
	s_waitcnt lgkmcnt(0)
	v_mul_hi_u32 v0, s41, v34
	v_add_u32_e32 v0, v34, v0
	v_lshrrev_b32_e32 v1, s42, v0
	v_mul_lo_u32 v0, v1, s40
	v_sub_u32_e32 v0, v34, v0
	v_mul_lo_u32 v30, v0, s36
	v_mul_lo_u32 v2, v0, s38
	s_andn2_b64 vcc, exec, s[52:53]
	v_mul_lo_u32 v0, v0, s37
	s_cbranch_vccnz .LBB195_12
; %bb.11:
	v_mul_hi_u32 v3, s50, v1
	v_add_u32_e32 v3, v1, v3
	v_lshrrev_b32_e32 v3, s51, v3
	v_mul_lo_u32 v3, v3, s43
	v_sub_u32_e32 v3, v1, v3
	v_mad_u64_u32 v[30:31], s[6:7], v3, s39, v[30:31]
	v_mad_u64_u32 v[0:1], s[6:7], v3, s48, v[0:1]
	;; [unrolled: 1-line block ×3, first 2 shown]
.LBB195_12:
	s_waitcnt lgkmcnt(0)
	v_mov_b32_e32 v1, s27
	v_add_co_u32_e32 v4, vcc, s26, v0
	v_mov_b32_e32 v0, 11
	v_addc_co_u32_e32 v5, vcc, 0, v1, vcc
	v_cmp_lt_i16_sdwa s[6:7], v35, v0 src0_sel:BYTE_0 src1_sel:DWORD
	s_and_b64 vcc, exec, s[6:7]
	s_cbranch_vccnz .LBB195_19
; %bb.13:
	v_mov_b32_e32 v0, 25
	v_cmp_gt_i16_sdwa s[6:7], v35, v0 src0_sel:BYTE_0 src1_sel:DWORD
	s_and_b64 vcc, exec, s[6:7]
	s_cbranch_vccz .LBB195_28
; %bb.14:
	v_mov_b32_e32 v0, 28
	v_cmp_gt_i16_sdwa s[6:7], v35, v0 src0_sel:BYTE_0 src1_sel:DWORD
	s_and_b64 vcc, exec, s[6:7]
	s_cbranch_vccz .LBB195_38
	;; [unrolled: 5-line block ×4, first 2 shown]
; %bb.17:
	v_mov_b32_e32 v0, 46
	v_cmp_eq_u16_sdwa s[6:7], v35, v0 src0_sel:BYTE_0 src1_sel:DWORD
	s_mov_b64 s[8:9], 0
	s_and_b64 vcc, exec, s[6:7]
	s_cbranch_vccz .LBB195_47
; %bb.18:
	global_load_dword v0, v[4:5], off
	s_mov_b64 s[6:7], -1
	s_mov_b64 s[60:61], 0
	s_waitcnt vmcnt(0)
	v_lshlrev_b32_e32 v0, 16, v0
	s_branch .LBB195_49
.LBB195_19:
	s_mov_b64 s[60:61], 0
                                        ; implicit-def: $vgpr0
	s_mov_b64 s[6:7], 0
	s_cbranch_execnz .LBB195_115
.LBB195_20:
	s_andn2_b64 vcc, exec, s[6:7]
	s_cbranch_vccnz .LBB195_162
.LBB195_21:
	v_mov_b32_e32 v1, s47
	v_add_co_u32_e32 v2, vcc, s46, v2
	v_addc_co_u32_e32 v3, vcc, 0, v1, vcc
	v_mov_b32_e32 v1, 11
	s_waitcnt vmcnt(0)
	v_cmp_lt_i16_sdwa s[6:7], v33, v1 src0_sel:BYTE_0 src1_sel:DWORD
	s_and_b64 vcc, exec, s[6:7]
	s_cbranch_vccnz .LBB195_29
; %bb.22:
	v_mov_b32_e32 v1, 25
	v_cmp_gt_i16_sdwa s[6:7], v33, v1 src0_sel:BYTE_0 src1_sel:DWORD
	s_and_b64 vcc, exec, s[6:7]
	s_cbranch_vccz .LBB195_39
; %bb.23:
	v_mov_b32_e32 v1, 28
	v_cmp_gt_i16_sdwa s[6:7], v33, v1 src0_sel:BYTE_0 src1_sel:DWORD
	s_and_b64 vcc, exec, s[6:7]
	s_cbranch_vccz .LBB195_42
	;; [unrolled: 5-line block ×4, first 2 shown]
; %bb.26:
	v_mov_b32_e32 v1, 46
	v_cmp_eq_u16_sdwa s[6:7], v33, v1 src0_sel:BYTE_0 src1_sel:DWORD
	s_mov_b64 s[8:9], 0
	s_and_b64 vcc, exec, s[6:7]
	s_cbranch_vccz .LBB195_163
; %bb.27:
	global_load_dword v1, v[2:3], off
	s_mov_b64 s[6:7], -1
	s_mov_b64 s[58:59], 0
	s_waitcnt vmcnt(0)
	v_lshlrev_b32_e32 v1, 16, v1
	s_branch .LBB195_165
.LBB195_28:
	s_mov_b64 s[60:61], 0
	s_mov_b64 s[6:7], 0
                                        ; implicit-def: $vgpr0
	s_cbranch_execnz .LBB195_80
	s_branch .LBB195_114
.LBB195_29:
	s_mov_b64 s[58:59], 0
                                        ; implicit-def: $vgpr1
	s_mov_b64 s[6:7], 0
	s_cbranch_execnz .LBB195_342
.LBB195_30:
	s_andn2_b64 vcc, exec, s[6:7]
	s_cbranch_vccnz .LBB195_390
.LBB195_31:
	s_mov_b64 s[56:57], s[4:5]
	s_getpc_b64 s[4:5]
	s_add_u32 s4, s4, _ZZZZN2at6native33launch_standard_gamma_grad_kernelERNS_18TensorIteratorBaseEENKUlvE_clEvENKUlvE0_clEvENKUlffE_clEff@rel32@lo+4
	s_addc_u32 s5, s5, _ZZZZN2at6native33launch_standard_gamma_grad_kernelERNS_18TensorIteratorBaseEENKUlvE_clEvENKUlvE0_clEvENKUlffE_clEff@rel32@hi+12
	s_swappc_b64 s[30:31], s[4:5]
	v_mov_b32_e32 v1, s25
	v_add_co_u32_e32 v2, vcc, s24, v30
	v_addc_co_u32_e32 v3, vcc, 0, v1, vcc
	v_mov_b32_e32 v1, 11
	v_cmp_lt_i16_sdwa s[4:5], v32, v1 src0_sel:BYTE_0 src1_sel:DWORD
	s_and_b64 vcc, exec, s[4:5]
	s_cbranch_vccnz .LBB195_40
; %bb.32:
	v_mov_b32_e32 v1, 25
	v_cmp_gt_i16_sdwa s[4:5], v32, v1 src0_sel:BYTE_0 src1_sel:DWORD
	s_and_b64 vcc, exec, s[4:5]
	s_cbranch_vccz .LBB195_43
; %bb.33:
	v_mov_b32_e32 v1, 28
	v_cmp_gt_i16_sdwa s[4:5], v32, v1 src0_sel:BYTE_0 src1_sel:DWORD
	s_and_b64 vcc, exec, s[4:5]
	s_mov_b64 s[4:5], s[56:57]
	s_cbranch_vccz .LBB195_46
; %bb.34:
	v_mov_b32_e32 v1, 43
	v_cmp_gt_i16_sdwa s[6:7], v32, v1 src0_sel:BYTE_0 src1_sel:DWORD
	s_and_b64 vcc, exec, s[6:7]
	s_cbranch_vccz .LBB195_53
; %bb.35:
	v_mov_b32_e32 v1, 45
	v_cmp_gt_i16_sdwa s[6:7], v32, v1 src0_sel:BYTE_0 src1_sel:DWORD
	s_and_b64 vcc, exec, s[6:7]
	s_cbranch_vccz .LBB195_168
; %bb.36:
	v_mov_b32_e32 v1, 46
	v_cmp_eq_u16_sdwa s[8:9], v32, v1 src0_sel:BYTE_0 src1_sel:DWORD
	s_mov_b64 s[10:11], 0
	s_mov_b64 s[6:7], -1
	s_and_b64 vcc, exec, s[8:9]
	s_mov_b64 s[8:9], 0
	s_cbranch_vccz .LBB195_169
; %bb.37:
	v_bfe_u32 v1, v0, 16, 1
	s_movk_i32 s6, 0x7fff
	v_add3_u32 v1, v0, v1, s6
	v_lshrrev_b32_e32 v1, 16, v1
	v_mov_b32_e32 v4, 0x7fc0
	v_cmp_o_f32_e32 vcc, v0, v0
	v_cndmask_b32_e32 v1, v4, v1, vcc
	global_store_dword v[2:3], v1, off
	s_mov_b64 s[8:9], -1
	s_mov_b64 s[6:7], 0
	s_branch .LBB195_169
.LBB195_38:
	s_mov_b64 s[8:9], -1
	s_mov_b64 s[60:61], 0
	s_mov_b64 s[6:7], 0
                                        ; implicit-def: $vgpr0
	s_branch .LBB195_61
.LBB195_39:
	s_mov_b64 s[8:9], -1
	s_mov_b64 s[58:59], 0
	s_mov_b64 s[6:7], 0
                                        ; implicit-def: $vgpr1
	s_branch .LBB195_306
.LBB195_40:
	s_mov_b64 s[10:11], -1
	s_mov_b64 s[6:7], 0
	s_mov_b64 s[8:9], 0
	;; [unrolled: 1-line block ×3, first 2 shown]
	s_branch .LBB195_238
.LBB195_41:
	s_mov_b64 s[8:9], -1
	s_mov_b64 s[60:61], 0
	s_mov_b64 s[6:7], 0
                                        ; implicit-def: $vgpr0
	s_branch .LBB195_56
.LBB195_42:
	s_mov_b64 s[8:9], -1
	s_mov_b64 s[58:59], 0
	s_mov_b64 s[6:7], 0
                                        ; implicit-def: $vgpr1
	s_branch .LBB195_287
.LBB195_43:
	s_mov_b64 s[10:11], -1
	s_mov_b64 s[6:7], 0
	s_mov_b64 s[8:9], 0
	;; [unrolled: 1-line block ×3, first 2 shown]
	s_branch .LBB195_196
.LBB195_44:
	s_mov_b64 s[8:9], -1
	s_mov_b64 s[60:61], 0
	s_branch .LBB195_48
.LBB195_45:
	s_mov_b64 s[8:9], -1
	s_mov_b64 s[58:59], 0
	s_mov_b64 s[6:7], 0
                                        ; implicit-def: $vgpr1
	s_branch .LBB195_282
.LBB195_46:
	s_mov_b64 s[10:11], -1
	s_mov_b64 s[6:7], 0
	s_mov_b64 s[8:9], 0
	s_branch .LBB195_179
.LBB195_47:
	s_mov_b64 s[60:61], -1
.LBB195_48:
	s_mov_b64 s[6:7], 0
                                        ; implicit-def: $vgpr0
.LBB195_49:
	s_and_b64 vcc, exec, s[8:9]
	s_cbranch_vccz .LBB195_55
; %bb.50:
	v_mov_b32_e32 v0, 44
	v_cmp_eq_u16_sdwa s[8:9], v35, v0 src0_sel:BYTE_0 src1_sel:DWORD
	s_and_b64 vcc, exec, s[8:9]
	s_cbranch_vccz .LBB195_54
; %bb.51:
	global_load_ubyte v0, v[4:5], off
	s_movk_i32 s8, 0xff
	v_mov_b32_e32 v1, 0x7f800001
	v_mov_b32_e32 v3, 0x400000
	s_mov_b64 s[6:7], -1
	s_mov_b64 s[60:61], 0
	s_waitcnt vmcnt(0)
	v_lshlrev_b32_e32 v6, 23, v0
	v_cmp_ne_u32_e32 vcc, s8, v0
	v_cndmask_b32_e32 v1, v1, v6, vcc
	v_cmp_ne_u32_e32 vcc, 0, v0
	v_cndmask_b32_e32 v0, v3, v1, vcc
	s_branch .LBB195_55
.LBB195_52:
	s_mov_b64 s[8:9], -1
	s_mov_b64 s[58:59], 0
	s_branch .LBB195_164
.LBB195_53:
	s_mov_b64 s[10:11], -1
	s_mov_b64 s[6:7], 0
	s_mov_b64 s[8:9], 0
	s_branch .LBB195_175
.LBB195_54:
	s_mov_b64 s[60:61], -1
                                        ; implicit-def: $vgpr0
.LBB195_55:
	s_mov_b64 s[8:9], 0
.LBB195_56:
	s_and_b64 vcc, exec, s[8:9]
	s_cbranch_vccz .LBB195_60
; %bb.57:
	v_mov_b32_e32 v0, 29
	v_cmp_eq_u16_sdwa s[8:9], v35, v0 src0_sel:BYTE_0 src1_sel:DWORD
	s_and_b64 vcc, exec, s[8:9]
	s_cbranch_vccz .LBB195_59
; %bb.58:
	global_load_dwordx2 v[0:1], v[4:5], off
	s_mov_b64 s[6:7], -1
	s_mov_b64 s[60:61], 0
	s_mov_b64 s[8:9], 0
	s_waitcnt vmcnt(0)
	v_ffbh_u32_e32 v3, v1
	v_min_u32_e32 v3, 32, v3
	v_lshlrev_b64 v[0:1], v3, v[0:1]
	v_min_u32_e32 v0, 1, v0
	v_or_b32_e32 v0, v1, v0
	v_cvt_f32_u32_e32 v0, v0
	v_sub_u32_e32 v1, 32, v3
	v_ldexp_f32 v0, v0, v1
	s_branch .LBB195_61
.LBB195_59:
	s_mov_b64 s[60:61], -1
                                        ; implicit-def: $vgpr0
.LBB195_60:
	s_mov_b64 s[8:9], 0
.LBB195_61:
	s_and_b64 vcc, exec, s[8:9]
	s_cbranch_vccz .LBB195_79
; %bb.62:
	v_mov_b32_e32 v0, 27
	v_cmp_lt_i16_sdwa s[6:7], v35, v0 src0_sel:BYTE_0 src1_sel:DWORD
	s_and_b64 vcc, exec, s[6:7]
	s_cbranch_vccnz .LBB195_65
; %bb.63:
	v_cmp_gt_i16_sdwa s[6:7], v35, v0 src0_sel:BYTE_0 src1_sel:DWORD
	s_and_b64 vcc, exec, s[6:7]
	s_cbranch_vccz .LBB195_66
; %bb.64:
	global_load_dword v0, v[4:5], off
	s_mov_b64 s[6:7], 0
	s_waitcnt vmcnt(0)
	v_cvt_f32_u32_e32 v0, v0
	s_branch .LBB195_67
.LBB195_65:
	s_mov_b64 s[6:7], -1
                                        ; implicit-def: $vgpr0
	s_branch .LBB195_70
.LBB195_66:
	s_mov_b64 s[6:7], -1
                                        ; implicit-def: $vgpr0
.LBB195_67:
	s_andn2_b64 vcc, exec, s[6:7]
	s_cbranch_vccnz .LBB195_69
; %bb.68:
	global_load_ushort v0, v[4:5], off
	s_waitcnt vmcnt(0)
	v_cvt_f32_u32_e32 v0, v0
.LBB195_69:
	s_mov_b64 s[6:7], 0
.LBB195_70:
	s_andn2_b64 vcc, exec, s[6:7]
	s_cbranch_vccnz .LBB195_78
; %bb.71:
	global_load_ubyte v1, v[4:5], off
	s_movk_i32 s6, 0x7f
                                        ; implicit-def: $sgpr12
	s_waitcnt vmcnt(0)
	v_cmp_lt_i16_e32 vcc, s6, v1
	s_mov_b64 s[6:7], 0
	s_and_saveexec_b64 s[8:9], vcc
	s_xor_b64 s[8:9], exec, s[8:9]
	s_cbranch_execz .LBB195_91
; %bb.72:
	s_movk_i32 s6, 0x80
	v_cmp_eq_u16_e32 vcc, s6, v1
	s_mov_b64 s[6:7], -1
                                        ; implicit-def: $sgpr12
	s_and_saveexec_b64 s[10:11], vcc
; %bb.73:
	s_mov_b32 s12, 0x7f800001
	s_xor_b64 s[6:7], exec, -1
; %bb.74:
	s_or_b64 exec, exec, s[10:11]
	s_and_b64 s[6:7], s[6:7], exec
	s_or_saveexec_b64 s[8:9], s[8:9]
	v_mov_b32_e32 v0, s12
	s_xor_b64 exec, exec, s[8:9]
	s_cbranch_execnz .LBB195_92
.LBB195_75:
	s_or_b64 exec, exec, s[8:9]
	s_and_saveexec_b64 s[8:9], s[6:7]
	s_cbranch_execz .LBB195_77
.LBB195_76:
	v_lshlrev_b32_e32 v0, 24, v1
	v_and_b32_e32 v1, 0xffff, v1
	v_and_b32_e32 v3, 7, v1
	v_ffbh_u32_e32 v7, v3
	v_min_u32_e32 v7, 32, v7
	v_subrev_u32_e32 v8, 28, v7
	v_bfe_u32 v6, v1, 3, 4
	v_lshlrev_b32_e32 v1, v8, v1
	v_sub_u32_e32 v7, 29, v7
	v_and_b32_e32 v1, 7, v1
	v_cmp_eq_u32_e32 vcc, 0, v6
	v_cndmask_b32_e32 v6, v6, v7, vcc
	v_cndmask_b32_e32 v1, v3, v1, vcc
	v_mov_b32_e32 v3, 0x3b800000
	v_lshlrev_b32_e32 v1, 20, v1
	v_and_b32_e32 v0, 0x80000000, v0
	v_lshl_add_u32 v3, v6, 23, v3
	v_or3_b32 v0, v0, v3, v1
.LBB195_77:
	s_or_b64 exec, exec, s[8:9]
.LBB195_78:
	s_mov_b64 s[6:7], -1
.LBB195_79:
	s_branch .LBB195_114
.LBB195_80:
	v_mov_b32_e32 v0, 22
	v_cmp_gt_i16_sdwa s[8:9], v35, v0 src0_sel:BYTE_0 src1_sel:DWORD
	s_and_b64 vcc, exec, s[8:9]
	s_cbranch_vccz .LBB195_90
; %bb.81:
	v_mov_b32_e32 v0, 24
	v_cmp_lt_i16_sdwa s[6:7], v35, v0 src0_sel:BYTE_0 src1_sel:DWORD
	s_and_b64 vcc, exec, s[6:7]
	s_cbranch_vccnz .LBB195_93
; %bb.82:
	v_cmp_gt_i16_sdwa s[6:7], v35, v0 src0_sel:BYTE_0 src1_sel:DWORD
	s_and_b64 vcc, exec, s[6:7]
	s_cbranch_vccz .LBB195_94
; %bb.83:
	global_load_ubyte v1, v[4:5], off
	s_movk_i32 s6, 0x7f
                                        ; implicit-def: $sgpr12
	s_waitcnt vmcnt(0)
	v_cmp_lt_i16_e32 vcc, s6, v1
	s_mov_b64 s[6:7], 0
	s_and_saveexec_b64 s[8:9], vcc
	s_xor_b64 s[8:9], exec, s[8:9]
	s_cbranch_execz .LBB195_106
; %bb.84:
	s_movk_i32 s6, 0x80
	v_cmp_eq_u16_e32 vcc, s6, v1
	s_mov_b64 s[6:7], -1
                                        ; implicit-def: $sgpr12
	s_and_saveexec_b64 s[10:11], vcc
; %bb.85:
	s_mov_b32 s12, 0x7f800001
	s_xor_b64 s[6:7], exec, -1
; %bb.86:
	s_or_b64 exec, exec, s[10:11]
	s_and_b64 s[6:7], s[6:7], exec
	s_or_saveexec_b64 s[8:9], s[8:9]
	v_mov_b32_e32 v0, s12
	s_xor_b64 exec, exec, s[8:9]
	s_cbranch_execnz .LBB195_107
.LBB195_87:
	s_or_b64 exec, exec, s[8:9]
	s_and_saveexec_b64 s[8:9], s[6:7]
	s_cbranch_execz .LBB195_89
.LBB195_88:
	v_lshlrev_b32_e32 v0, 24, v1
	v_and_b32_e32 v1, 0xffff, v1
	v_and_b32_e32 v3, 3, v1
	v_ffbh_u32_e32 v7, v3
	v_min_u32_e32 v7, 32, v7
	v_subrev_u32_e32 v8, 29, v7
	v_bfe_u32 v6, v1, 2, 5
	v_lshlrev_b32_e32 v1, v8, v1
	v_sub_u32_e32 v7, 30, v7
	v_and_b32_e32 v1, 3, v1
	v_cmp_eq_u32_e32 vcc, 0, v6
	v_cndmask_b32_e32 v6, v6, v7, vcc
	v_cndmask_b32_e32 v1, v3, v1, vcc
	v_mov_b32_e32 v3, 0x37800000
	v_lshlrev_b32_e32 v1, 21, v1
	v_and_b32_e32 v0, 0x80000000, v0
	v_lshl_add_u32 v3, v6, 23, v3
	v_or3_b32 v0, v0, v3, v1
.LBB195_89:
	s_or_b64 exec, exec, s[8:9]
	s_mov_b64 s[6:7], 0
	s_branch .LBB195_95
.LBB195_90:
	s_mov_b64 s[8:9], -1
                                        ; implicit-def: $vgpr0
	s_branch .LBB195_101
.LBB195_91:
	s_or_saveexec_b64 s[8:9], s[8:9]
	v_mov_b32_e32 v0, s12
	s_xor_b64 exec, exec, s[8:9]
	s_cbranch_execz .LBB195_75
.LBB195_92:
	v_cmp_ne_u16_e32 vcc, 0, v1
	s_andn2_b64 s[6:7], s[6:7], exec
	s_and_b64 s[10:11], vcc, exec
	v_mov_b32_e32 v0, 0
	s_or_b64 s[6:7], s[6:7], s[10:11]
	s_or_b64 exec, exec, s[8:9]
	s_and_saveexec_b64 s[8:9], s[6:7]
	s_cbranch_execnz .LBB195_76
	s_branch .LBB195_77
.LBB195_93:
	s_mov_b64 s[6:7], -1
                                        ; implicit-def: $vgpr0
	s_branch .LBB195_98
.LBB195_94:
	s_mov_b64 s[6:7], -1
                                        ; implicit-def: $vgpr0
.LBB195_95:
	s_and_b64 vcc, exec, s[6:7]
	s_cbranch_vccz .LBB195_97
; %bb.96:
	global_load_ubyte v0, v[4:5], off
	s_mov_b32 s6, 0x7f800000
	s_waitcnt vmcnt(0)
	v_lshlrev_b32_e32 v0, 24, v0
	v_and_b32_e32 v1, 0x7f000000, v0
	v_ffbh_u32_e32 v3, v1
	v_min_u32_e32 v3, 32, v3
	v_sub_u32_e64 v3, v3, 4 clamp
	v_lshlrev_b32_e32 v7, v3, v1
	v_lshlrev_b32_e32 v3, 23, v3
	v_lshrrev_b32_e32 v7, 4, v7
	v_add_u32_e32 v6, 0x1000000, v1
	v_sub_u32_e32 v3, v7, v3
	v_ashrrev_i32_e32 v6, 8, v6
	v_add_u32_e32 v3, 0x3c000000, v3
	v_and_or_b32 v3, v6, s6, v3
	v_cmp_ne_u32_e32 vcc, 0, v1
	v_cndmask_b32_e32 v1, 0, v3, vcc
	s_brev_b32 s6, 1
	v_and_or_b32 v0, v0, s6, v1
.LBB195_97:
	s_mov_b64 s[6:7], 0
.LBB195_98:
	s_andn2_b64 vcc, exec, s[6:7]
	s_cbranch_vccnz .LBB195_100
; %bb.99:
	global_load_ubyte v0, v[4:5], off
	s_movk_i32 s6, 0x7f00
	s_brev_b32 s7, 16
	s_waitcnt vmcnt(0)
	v_lshlrev_b16_e32 v1, 8, v0
	v_lshlrev_b32_e32 v0, 25, v0
	v_lshrrev_b32_e32 v3, 4, v0
	v_and_or_b32 v6, v1, s6, 0.5
	v_or_b32_e32 v3, 0x70000000, v3
	v_add_f32_e32 v6, -0.5, v6
	v_mul_f32_e32 v3, 0x7800000, v3
	v_cmp_gt_u32_e32 vcc, s7, v0
	v_bfe_i32 v1, v1, 0, 16
	v_cndmask_b32_e32 v0, v3, v6, vcc
	s_brev_b32 s6, 1
	v_and_or_b32 v0, v1, s6, v0
.LBB195_100:
	s_mov_b64 s[8:9], 0
	s_mov_b64 s[6:7], -1
.LBB195_101:
	s_andn2_b64 vcc, exec, s[8:9]
	s_cbranch_vccnz .LBB195_114
; %bb.102:
	v_mov_b32_e32 v0, 14
	v_cmp_gt_i16_sdwa s[8:9], v35, v0 src0_sel:BYTE_0 src1_sel:DWORD
	s_and_b64 vcc, exec, s[8:9]
	s_cbranch_vccz .LBB195_105
; %bb.103:
	v_mov_b32_e32 v0, 15
	v_cmp_eq_u16_sdwa s[8:9], v35, v0 src0_sel:BYTE_0 src1_sel:DWORD
	s_and_b64 vcc, exec, s[8:9]
	s_cbranch_vccz .LBB195_108
; %bb.104:
	global_load_ushort v0, v[4:5], off
	s_mov_b64 s[6:7], -1
	s_mov_b64 s[60:61], 0
	s_waitcnt vmcnt(0)
	v_lshlrev_b32_e32 v0, 16, v0
	s_branch .LBB195_109
.LBB195_105:
	s_mov_b64 s[8:9], -1
                                        ; implicit-def: $vgpr0
	s_branch .LBB195_110
.LBB195_106:
	s_or_saveexec_b64 s[8:9], s[8:9]
	v_mov_b32_e32 v0, s12
	s_xor_b64 exec, exec, s[8:9]
	s_cbranch_execz .LBB195_87
.LBB195_107:
	v_cmp_ne_u16_e32 vcc, 0, v1
	s_andn2_b64 s[6:7], s[6:7], exec
	s_and_b64 s[10:11], vcc, exec
	v_mov_b32_e32 v0, 0
	s_or_b64 s[6:7], s[6:7], s[10:11]
	s_or_b64 exec, exec, s[8:9]
	s_and_saveexec_b64 s[8:9], s[6:7]
	s_cbranch_execnz .LBB195_88
	s_branch .LBB195_89
.LBB195_108:
	s_mov_b64 s[60:61], -1
                                        ; implicit-def: $vgpr0
.LBB195_109:
	s_mov_b64 s[8:9], 0
.LBB195_110:
	s_and_b64 vcc, exec, s[8:9]
	s_cbranch_vccz .LBB195_114
; %bb.111:
	v_mov_b32_e32 v0, 11
	v_cmp_eq_u16_sdwa s[8:9], v35, v0 src0_sel:BYTE_0 src1_sel:DWORD
	s_and_b64 vcc, exec, s[8:9]
	s_cbranch_vccz .LBB195_113
; %bb.112:
	global_load_ubyte v0, v[4:5], off
	s_mov_b64 s[6:7], -1
	s_mov_b64 s[60:61], 0
	s_waitcnt vmcnt(0)
	v_cmp_ne_u16_e32 vcc, 0, v0
	v_cndmask_b32_e64 v0, 0, 1.0, vcc
	s_branch .LBB195_114
.LBB195_113:
	s_mov_b64 s[60:61], -1
                                        ; implicit-def: $vgpr0
.LBB195_114:
	s_branch .LBB195_20
.LBB195_115:
	v_mov_b32_e32 v0, 5
	v_cmp_lt_i16_sdwa s[6:7], v35, v0 src0_sel:BYTE_0 src1_sel:DWORD
	s_and_b64 vcc, exec, s[6:7]
	s_cbranch_vccnz .LBB195_120
; %bb.116:
	v_mov_b32_e32 v0, 8
	v_cmp_lt_i16_sdwa s[6:7], v35, v0 src0_sel:BYTE_0 src1_sel:DWORD
	s_and_b64 vcc, exec, s[6:7]
	s_cbranch_vccnz .LBB195_121
; %bb.117:
	v_mov_b32_e32 v0, 9
	v_cmp_lt_i16_sdwa s[6:7], v35, v0 src0_sel:BYTE_0 src1_sel:DWORD
	s_and_b64 vcc, exec, s[6:7]
	s_cbranch_vccnz .LBB195_122
; %bb.118:
	v_cmp_gt_i16_sdwa s[6:7], v35, v0 src0_sel:BYTE_0 src1_sel:DWORD
	s_and_b64 vcc, exec, s[6:7]
	s_cbranch_vccz .LBB195_123
; %bb.119:
	global_load_dwordx2 v[0:1], v[4:5], off
	s_mov_b64 s[6:7], 0
	s_waitcnt vmcnt(0)
	v_cvt_f32_f64_e32 v0, v[0:1]
	s_branch .LBB195_124
.LBB195_120:
                                        ; implicit-def: $vgpr0
	s_branch .LBB195_142
.LBB195_121:
	s_mov_b64 s[6:7], -1
                                        ; implicit-def: $vgpr0
	s_branch .LBB195_130
.LBB195_122:
	s_mov_b64 s[6:7], -1
                                        ; implicit-def: $vgpr0
	s_branch .LBB195_127
.LBB195_123:
	s_mov_b64 s[6:7], -1
                                        ; implicit-def: $vgpr0
.LBB195_124:
	s_andn2_b64 vcc, exec, s[6:7]
	s_cbranch_vccnz .LBB195_126
; %bb.125:
	global_load_dword v0, v[4:5], off
.LBB195_126:
	s_mov_b64 s[6:7], 0
.LBB195_127:
	s_andn2_b64 vcc, exec, s[6:7]
	s_cbranch_vccnz .LBB195_129
; %bb.128:
	global_load_dword v0, v[4:5], off
	s_waitcnt vmcnt(0)
	v_cvt_f32_f16_e32 v0, v0
.LBB195_129:
	s_mov_b64 s[6:7], 0
.LBB195_130:
	s_andn2_b64 vcc, exec, s[6:7]
	s_cbranch_vccnz .LBB195_141
; %bb.131:
	s_waitcnt vmcnt(0)
	v_mov_b32_e32 v0, 6
	v_cmp_lt_i16_sdwa s[6:7], v35, v0 src0_sel:BYTE_0 src1_sel:DWORD
	s_and_b64 vcc, exec, s[6:7]
	s_cbranch_vccnz .LBB195_134
; %bb.132:
	v_cmp_gt_i16_sdwa s[6:7], v35, v0 src0_sel:BYTE_0 src1_sel:DWORD
	s_and_b64 vcc, exec, s[6:7]
	s_cbranch_vccz .LBB195_135
; %bb.133:
	global_load_dwordx2 v[0:1], v[4:5], off
	s_mov_b64 s[6:7], 0
	s_waitcnt vmcnt(0)
	v_cvt_f32_f64_e32 v0, v[0:1]
	s_branch .LBB195_136
.LBB195_134:
	s_mov_b64 s[6:7], -1
                                        ; implicit-def: $vgpr0
	s_branch .LBB195_139
.LBB195_135:
	s_mov_b64 s[6:7], -1
                                        ; implicit-def: $vgpr0
.LBB195_136:
	s_andn2_b64 vcc, exec, s[6:7]
	s_cbranch_vccnz .LBB195_138
; %bb.137:
	global_load_dword v0, v[4:5], off
.LBB195_138:
	s_mov_b64 s[6:7], 0
.LBB195_139:
	s_andn2_b64 vcc, exec, s[6:7]
	s_cbranch_vccnz .LBB195_141
; %bb.140:
	global_load_ushort v0, v[4:5], off
	s_waitcnt vmcnt(0)
	v_cvt_f32_f16_e32 v0, v0
.LBB195_141:
	s_cbranch_execnz .LBB195_161
.LBB195_142:
	s_waitcnt vmcnt(0)
	v_mov_b32_e32 v0, 2
	v_cmp_lt_i16_sdwa s[6:7], v35, v0 src0_sel:BYTE_0 src1_sel:DWORD
	s_and_b64 vcc, exec, s[6:7]
	s_cbranch_vccnz .LBB195_146
; %bb.143:
	v_mov_b32_e32 v0, 3
	v_cmp_lt_i16_sdwa s[6:7], v35, v0 src0_sel:BYTE_0 src1_sel:DWORD
	s_and_b64 vcc, exec, s[6:7]
	s_cbranch_vccnz .LBB195_147
; %bb.144:
	v_cmp_gt_i16_sdwa s[6:7], v35, v0 src0_sel:BYTE_0 src1_sel:DWORD
	s_and_b64 vcc, exec, s[6:7]
	s_cbranch_vccz .LBB195_148
; %bb.145:
	global_load_dwordx2 v[0:1], v[4:5], off
	s_mov_b64 s[6:7], 0
	s_waitcnt vmcnt(0)
	v_xor_b32_e32 v6, v0, v1
	v_ffbh_i32_e32 v3, v1
	v_ashrrev_i32_e32 v6, 31, v6
	v_add_u32_e32 v3, -1, v3
	v_add_u32_e32 v6, 32, v6
	v_min_u32_e32 v3, v3, v6
	v_lshlrev_b64 v[0:1], v3, v[0:1]
	v_min_u32_e32 v0, 1, v0
	v_or_b32_e32 v0, v1, v0
	v_cvt_f32_i32_e32 v0, v0
	v_sub_u32_e32 v1, 32, v3
	v_ldexp_f32 v0, v0, v1
	s_branch .LBB195_149
.LBB195_146:
	s_mov_b64 s[6:7], -1
                                        ; implicit-def: $vgpr0
	s_branch .LBB195_155
.LBB195_147:
	s_mov_b64 s[6:7], -1
                                        ; implicit-def: $vgpr0
	s_branch .LBB195_152
.LBB195_148:
	s_mov_b64 s[6:7], -1
                                        ; implicit-def: $vgpr0
.LBB195_149:
	s_andn2_b64 vcc, exec, s[6:7]
	s_cbranch_vccnz .LBB195_151
; %bb.150:
	global_load_dword v0, v[4:5], off
	s_waitcnt vmcnt(0)
	v_cvt_f32_i32_e32 v0, v0
.LBB195_151:
	s_mov_b64 s[6:7], 0
.LBB195_152:
	s_andn2_b64 vcc, exec, s[6:7]
	s_cbranch_vccnz .LBB195_154
; %bb.153:
	global_load_sshort v0, v[4:5], off
	s_waitcnt vmcnt(0)
	v_cvt_f32_i32_e32 v0, v0
.LBB195_154:
	s_mov_b64 s[6:7], 0
.LBB195_155:
	s_andn2_b64 vcc, exec, s[6:7]
	s_cbranch_vccnz .LBB195_161
; %bb.156:
	v_mov_b32_e32 v0, 0
	v_cmp_gt_i16_sdwa s[6:7], v35, v0 src0_sel:BYTE_0 src1_sel:DWORD
	s_and_b64 vcc, exec, s[6:7]
	s_cbranch_vccz .LBB195_158
; %bb.157:
	global_load_sbyte v0, v[4:5], off
	s_mov_b64 s[6:7], 0
	s_waitcnt vmcnt(0)
	v_cvt_f32_i32_e32 v0, v0
	s_branch .LBB195_159
.LBB195_158:
	s_mov_b64 s[6:7], -1
                                        ; implicit-def: $vgpr0
.LBB195_159:
	s_andn2_b64 vcc, exec, s[6:7]
	s_cbranch_vccnz .LBB195_161
; %bb.160:
	global_load_ubyte v0, v[4:5], off
	s_waitcnt vmcnt(0)
	v_cvt_f32_ubyte0_e32 v0, v0
.LBB195_161:
	s_branch .LBB195_21
.LBB195_162:
	s_mov_b64 s[6:7], 0
	s_mov_b64 s[58:59], 0
	s_branch .LBB195_391
.LBB195_163:
	s_mov_b64 s[58:59], -1
.LBB195_164:
	s_mov_b64 s[6:7], 0
                                        ; implicit-def: $vgpr1
.LBB195_165:
	s_and_b64 vcc, exec, s[8:9]
	s_cbranch_vccz .LBB195_281
; %bb.166:
	v_mov_b32_e32 v1, 44
	v_cmp_eq_u16_sdwa s[8:9], v33, v1 src0_sel:BYTE_0 src1_sel:DWORD
	s_and_b64 vcc, exec, s[8:9]
	s_cbranch_vccz .LBB195_280
; %bb.167:
	global_load_ubyte v1, v[2:3], off
	s_movk_i32 s8, 0xff
	v_mov_b32_e32 v4, 0x7f800001
	v_mov_b32_e32 v5, 0x400000
	s_mov_b64 s[6:7], -1
	s_mov_b64 s[58:59], 0
	s_waitcnt vmcnt(0)
	v_lshlrev_b32_e32 v6, 23, v1
	v_cmp_ne_u32_e32 vcc, s8, v1
	v_cndmask_b32_e32 v4, v4, v6, vcc
	v_cmp_ne_u32_e32 vcc, 0, v1
	v_cndmask_b32_e32 v1, v5, v4, vcc
	s_branch .LBB195_281
.LBB195_168:
	s_mov_b64 s[10:11], -1
	s_mov_b64 s[6:7], 0
	s_mov_b64 s[8:9], 0
.LBB195_169:
	s_and_b64 vcc, exec, s[10:11]
	s_cbranch_vccz .LBB195_174
; %bb.170:
	v_mov_b32_e32 v1, 44
	v_cmp_eq_u16_sdwa s[10:11], v32, v1 src0_sel:BYTE_0 src1_sel:DWORD
	s_mov_b64 s[6:7], -1
	s_and_b64 vcc, exec, s[10:11]
	s_cbranch_vccz .LBB195_174
; %bb.171:
	v_bfe_u32 v1, v0, 23, 8
	s_movk_i32 s6, 0xff
	v_cmp_ne_u32_e32 vcc, s6, v1
	v_mov_b32_e32 v4, 0xff
	s_and_saveexec_b64 s[8:9], vcc
; %bb.172:
	s_mov_b32 s6, 0x3fffff
	v_and_b32_e32 v5, 0x400000, v0
	v_and_or_b32 v1, v0, s6, v1
	v_cmp_ne_u32_e32 vcc, 0, v5
	v_cmp_ne_u32_e64 s[6:7], 0, v1
	s_and_b64 s[6:7], vcc, s[6:7]
	v_lshrrev_b32_e32 v4, 23, v0
	v_cndmask_b32_e64 v1, 0, 1, s[6:7]
	v_add_u32_e32 v4, v4, v1
; %bb.173:
	s_or_b64 exec, exec, s[8:9]
	s_mov_b64 s[8:9], -1
	s_mov_b64 s[6:7], 0
	global_store_byte v[2:3], v4, off
.LBB195_174:
	s_mov_b64 s[10:11], 0
.LBB195_175:
	s_and_b64 vcc, exec, s[10:11]
	s_cbranch_vccz .LBB195_178
; %bb.176:
	v_mov_b32_e32 v1, 29
	v_cmp_eq_u16_sdwa s[10:11], v32, v1 src0_sel:BYTE_0 src1_sel:DWORD
	s_mov_b64 s[6:7], -1
	s_and_b64 vcc, exec, s[10:11]
	s_cbranch_vccz .LBB195_178
; %bb.177:
	v_trunc_f32_e32 v1, v0
	v_mul_f32_e32 v4, 0x2f800000, v1
	v_floor_f32_e32 v4, v4
	v_fmac_f32_e32 v1, 0xcf800000, v4
	v_cvt_u32_f32_e32 v5, v4
	v_cvt_u32_f32_e32 v4, v1
	s_mov_b64 s[8:9], -1
	s_mov_b64 s[6:7], 0
	s_mov_b64 s[10:11], 0
	global_store_dwordx2 v[2:3], v[4:5], off
	s_branch .LBB195_179
.LBB195_178:
	s_mov_b64 s[10:11], 0
.LBB195_179:
	s_and_b64 vcc, exec, s[10:11]
	s_cbranch_vccz .LBB195_195
; %bb.180:
	v_mov_b32_e32 v1, 27
	v_cmp_lt_i16_sdwa s[10:11], v32, v1 src0_sel:BYTE_0 src1_sel:DWORD
	s_mov_b64 s[8:9], -1
	s_and_b64 vcc, exec, s[10:11]
	s_cbranch_vccnz .LBB195_186
; %bb.181:
	v_cmp_gt_i16_sdwa s[10:11], v32, v1 src0_sel:BYTE_0 src1_sel:DWORD
	v_cvt_u32_f32_e32 v1, v0
	s_and_b64 vcc, exec, s[10:11]
	s_cbranch_vccz .LBB195_183
; %bb.182:
	s_mov_b64 s[8:9], 0
	global_store_dword v[2:3], v1, off
.LBB195_183:
	s_andn2_b64 vcc, exec, s[8:9]
	s_cbranch_vccnz .LBB195_185
; %bb.184:
	global_store_short v[2:3], v1, off
.LBB195_185:
	s_mov_b64 s[8:9], 0
.LBB195_186:
	s_andn2_b64 vcc, exec, s[8:9]
	s_cbranch_vccnz .LBB195_194
; %bb.187:
	v_and_b32_e32 v1, 0x7fffffff, v0
	s_mov_b32 s8, 0x43800000
	v_cmp_gt_u32_e32 vcc, s8, v1
	v_mov_b32_e32 v4, 0x80
	s_and_saveexec_b64 s[8:9], vcc
	s_cbranch_execz .LBB195_193
; %bb.188:
	s_mov_b32 s10, 0x3bffffff
	v_cmp_lt_u32_e32 vcc, s10, v1
	s_mov_b64 s[10:11], 0
                                        ; implicit-def: $vgpr1
	s_and_saveexec_b64 s[12:13], vcc
	s_xor_b64 s[12:13], exec, s[12:13]
	s_cbranch_execz .LBB195_432
; %bb.189:
	v_bfe_u32 v1, v0, 20, 1
	s_mov_b32 s14, 0x487ffff
	v_add3_u32 v1, v0, v1, s14
	s_mov_b64 s[10:11], exec
	v_lshrrev_b32_e32 v1, 20, v1
	s_or_saveexec_b64 s[12:13], s[12:13]
                                        ; implicit-def: $sgpr14
	s_xor_b64 exec, exec, s[12:13]
	s_cbranch_execnz .LBB195_433
.LBB195_190:
	s_or_b64 exec, exec, s[12:13]
	v_mov_b32_e32 v4, s14
	s_and_saveexec_b64 s[12:13], s[10:11]
.LBB195_191:
	v_lshrrev_b32_e32 v4, 24, v0
	s_movk_i32 s10, 0x80
	v_and_or_b32 v4, v4, s10, v1
.LBB195_192:
	s_or_b64 exec, exec, s[12:13]
.LBB195_193:
	s_or_b64 exec, exec, s[8:9]
	global_store_byte v[2:3], v4, off
.LBB195_194:
	s_mov_b64 s[8:9], -1
.LBB195_195:
	s_mov_b64 s[10:11], 0
.LBB195_196:
	s_and_b64 vcc, exec, s[10:11]
	s_cbranch_vccz .LBB195_237
; %bb.197:
	v_mov_b32_e32 v1, 22
	v_cmp_gt_i16_sdwa s[12:13], v32, v1 src0_sel:BYTE_0 src1_sel:DWORD
	s_mov_b64 s[10:11], -1
	s_and_b64 vcc, exec, s[12:13]
	s_cbranch_vccz .LBB195_229
; %bb.198:
	v_mov_b32_e32 v1, 24
	v_cmp_lt_i16_sdwa s[10:11], v32, v1 src0_sel:BYTE_0 src1_sel:DWORD
	s_mov_b64 s[8:9], -1
	s_and_b64 vcc, exec, s[10:11]
	s_cbranch_vccnz .LBB195_218
; %bb.199:
	v_cmp_gt_i16_sdwa s[10:11], v32, v1 src0_sel:BYTE_0 src1_sel:DWORD
	s_and_b64 vcc, exec, s[10:11]
	s_cbranch_vccz .LBB195_207
; %bb.200:
	v_and_b32_e32 v1, 0x7fffffff, v0
	s_mov_b32 s8, 0x47800000
	v_cmp_gt_u32_e32 vcc, s8, v1
	v_mov_b32_e32 v4, 0x80
	s_and_saveexec_b64 s[8:9], vcc
	s_cbranch_execz .LBB195_206
; %bb.201:
	s_mov_b32 s10, 0x37ffffff
	v_cmp_lt_u32_e32 vcc, s10, v1
	s_mov_b64 s[10:11], 0
                                        ; implicit-def: $vgpr1
	s_and_saveexec_b64 s[12:13], vcc
	s_xor_b64 s[12:13], exec, s[12:13]
	s_cbranch_execz .LBB195_551
; %bb.202:
	v_bfe_u32 v1, v0, 21, 1
	s_mov_b32 s14, 0x88fffff
	v_add3_u32 v1, v0, v1, s14
	s_mov_b64 s[10:11], exec
	v_lshrrev_b32_e32 v1, 21, v1
	s_or_saveexec_b64 s[12:13], s[12:13]
                                        ; implicit-def: $sgpr14
	s_xor_b64 exec, exec, s[12:13]
	s_cbranch_execnz .LBB195_552
.LBB195_203:
	s_or_b64 exec, exec, s[12:13]
	v_mov_b32_e32 v4, s14
	s_and_saveexec_b64 s[12:13], s[10:11]
.LBB195_204:
	v_lshrrev_b32_e32 v4, 24, v0
	s_movk_i32 s10, 0x80
	v_and_or_b32 v4, v4, s10, v1
.LBB195_205:
	s_or_b64 exec, exec, s[12:13]
.LBB195_206:
	s_or_b64 exec, exec, s[8:9]
	s_mov_b64 s[8:9], 0
	global_store_byte v[2:3], v4, off
.LBB195_207:
	s_and_b64 vcc, exec, s[8:9]
	s_cbranch_vccz .LBB195_217
; %bb.208:
	v_and_b32_e32 v4, 0x7fffffff, v0
	s_mov_b32 s8, 0x43f00000
	v_cmp_gt_u32_e32 vcc, s8, v4
                                        ; implicit-def: $vgpr1
	s_and_saveexec_b64 s[8:9], vcc
	s_xor_b64 s[8:9], exec, s[8:9]
	s_cbranch_execz .LBB195_214
; %bb.209:
	s_mov_b32 s10, 0x3c7fffff
	v_cmp_lt_u32_e32 vcc, s10, v4
                                        ; implicit-def: $vgpr1
	s_and_saveexec_b64 s[10:11], vcc
	s_xor_b64 s[10:11], exec, s[10:11]
; %bb.210:
	v_bfe_u32 v1, v0, 20, 1
	s_mov_b32 s12, 0x407ffff
	v_add3_u32 v1, v0, v1, s12
	v_lshrrev_b32_e32 v4, 20, v1
	v_and_b32_e32 v1, 0xff00000, v1
	s_mov_b32 s12, 0x7f00000
	v_mov_b32_e32 v5, 0x7e
	v_cmp_ne_u32_e32 vcc, s12, v1
	v_cndmask_b32_e32 v1, v5, v4, vcc
; %bb.211:
	s_andn2_saveexec_b64 s[10:11], s[10:11]
; %bb.212:
	s_mov_b32 s12, 0x46800000
	v_add_f32_e64 v1, |v0|, s12
; %bb.213:
	s_or_b64 exec, exec, s[10:11]
                                        ; implicit-def: $vgpr4
.LBB195_214:
	s_andn2_saveexec_b64 s[8:9], s[8:9]
; %bb.215:
	s_mov_b32 s10, 0x7f800000
	v_mov_b32_e32 v1, 0x7e
	v_mov_b32_e32 v5, 0x7f
	v_cmp_lt_u32_e32 vcc, s10, v4
	v_cndmask_b32_e32 v1, v1, v5, vcc
; %bb.216:
	s_or_b64 exec, exec, s[8:9]
	v_lshrrev_b32_e32 v4, 24, v0
	s_movk_i32 s8, 0x80
	v_and_or_b32 v1, v4, s8, v1
	global_store_byte v[2:3], v1, off
.LBB195_217:
	s_mov_b64 s[8:9], 0
.LBB195_218:
	s_andn2_b64 vcc, exec, s[8:9]
	s_cbranch_vccnz .LBB195_228
; %bb.219:
	v_and_b32_e32 v4, 0x7fffffff, v0
	s_mov_b32 s8, 0x47800000
	v_cmp_gt_u32_e32 vcc, s8, v4
                                        ; implicit-def: $vgpr1
	s_and_saveexec_b64 s[8:9], vcc
	s_xor_b64 s[8:9], exec, s[8:9]
	s_cbranch_execz .LBB195_225
; %bb.220:
	s_mov_b32 s10, 0x387fffff
	v_cmp_lt_u32_e32 vcc, s10, v4
                                        ; implicit-def: $vgpr1
	s_and_saveexec_b64 s[10:11], vcc
	s_xor_b64 s[10:11], exec, s[10:11]
; %bb.221:
	v_bfe_u32 v1, v0, 21, 1
	s_mov_b32 s12, 0x80fffff
	v_add3_u32 v1, v0, v1, s12
	v_lshrrev_b32_e32 v1, 21, v1
; %bb.222:
	s_andn2_saveexec_b64 s[10:11], s[10:11]
; %bb.223:
	s_mov_b32 s12, 0x43000000
	v_add_f32_e64 v1, |v0|, s12
; %bb.224:
	s_or_b64 exec, exec, s[10:11]
                                        ; implicit-def: $vgpr4
.LBB195_225:
	s_andn2_saveexec_b64 s[8:9], s[8:9]
; %bb.226:
	s_mov_b32 s10, 0x7f800000
	v_mov_b32_e32 v1, 0x7c
	v_mov_b32_e32 v5, 0x7f
	v_cmp_lt_u32_e32 vcc, s10, v4
	v_cndmask_b32_e32 v1, v1, v5, vcc
; %bb.227:
	s_or_b64 exec, exec, s[8:9]
	v_lshrrev_b32_e32 v4, 24, v0
	s_movk_i32 s8, 0x80
	v_and_or_b32 v1, v4, s8, v1
	global_store_byte v[2:3], v1, off
.LBB195_228:
	s_mov_b64 s[10:11], 0
	s_mov_b64 s[8:9], -1
.LBB195_229:
	s_andn2_b64 vcc, exec, s[10:11]
	s_cbranch_vccnz .LBB195_237
; %bb.230:
	v_mov_b32_e32 v1, 14
	v_cmp_gt_i16_sdwa s[12:13], v32, v1 src0_sel:BYTE_0 src1_sel:DWORD
	s_mov_b64 s[10:11], -1
	s_and_b64 vcc, exec, s[12:13]
	s_cbranch_vccz .LBB195_234
; %bb.231:
	v_mov_b32_e32 v1, 15
	v_cmp_eq_u16_sdwa s[10:11], v32, v1 src0_sel:BYTE_0 src1_sel:DWORD
	s_mov_b64 s[6:7], -1
	s_and_b64 vcc, exec, s[10:11]
	s_cbranch_vccz .LBB195_233
; %bb.232:
	v_bfe_u32 v1, v0, 16, 1
	s_movk_i32 s6, 0x7fff
	v_add3_u32 v1, v0, v1, s6
	v_lshrrev_b32_e32 v1, 16, v1
	v_mov_b32_e32 v4, 0x7fc0
	v_cmp_o_f32_e32 vcc, v0, v0
	v_cndmask_b32_e32 v1, v4, v1, vcc
	global_store_short v[2:3], v1, off
	s_mov_b64 s[8:9], -1
	s_mov_b64 s[6:7], 0
.LBB195_233:
	s_mov_b64 s[10:11], 0
.LBB195_234:
	s_and_b64 vcc, exec, s[10:11]
	s_cbranch_vccz .LBB195_237
; %bb.235:
	v_mov_b32_e32 v1, 11
	v_cmp_eq_u16_sdwa s[10:11], v32, v1 src0_sel:BYTE_0 src1_sel:DWORD
	s_mov_b64 s[6:7], -1
	s_and_b64 vcc, exec, s[10:11]
	s_cbranch_vccz .LBB195_237
; %bb.236:
	v_cmp_neq_f32_e32 vcc, 0, v0
	v_cndmask_b32_e64 v1, 0, 1, vcc
	s_mov_b64 s[8:9], -1
	s_mov_b64 s[6:7], 0
	global_store_byte v[2:3], v1, off
.LBB195_237:
	s_mov_b64 s[10:11], 0
.LBB195_238:
	s_and_b64 vcc, exec, s[10:11]
	s_cbranch_vccz .LBB195_277
; %bb.239:
	v_mov_b32_e32 v1, 5
	v_cmp_lt_i16_sdwa s[10:11], v32, v1 src0_sel:BYTE_0 src1_sel:DWORD
	s_mov_b64 s[8:9], -1
	s_and_b64 vcc, exec, s[10:11]
	s_cbranch_vccnz .LBB195_260
; %bb.240:
	v_mov_b32_e32 v1, 8
	v_cmp_lt_i16_sdwa s[10:11], v32, v1 src0_sel:BYTE_0 src1_sel:DWORD
	s_and_b64 vcc, exec, s[10:11]
	s_cbranch_vccnz .LBB195_250
; %bb.241:
	v_mov_b32_e32 v1, 9
	v_cmp_lt_i16_sdwa s[10:11], v32, v1 src0_sel:BYTE_0 src1_sel:DWORD
	s_and_b64 vcc, exec, s[10:11]
	s_cbranch_vccnz .LBB195_247
; %bb.242:
	v_cmp_gt_i16_sdwa s[10:11], v32, v1 src0_sel:BYTE_0 src1_sel:DWORD
	s_and_b64 vcc, exec, s[10:11]
	s_cbranch_vccz .LBB195_244
; %bb.243:
	v_mov_b32_e32 v6, 0
	v_cvt_f64_f32_e32 v[4:5], v0
	v_mov_b32_e32 v7, v6
	global_store_dwordx4 v[2:3], v[4:7], off
	s_mov_b64 s[8:9], 0
.LBB195_244:
	s_andn2_b64 vcc, exec, s[8:9]
	s_cbranch_vccnz .LBB195_246
; %bb.245:
	v_mov_b32_e32 v1, 0
	global_store_dwordx2 v[2:3], v[0:1], off
.LBB195_246:
	s_mov_b64 s[8:9], 0
.LBB195_247:
	s_andn2_b64 vcc, exec, s[8:9]
	s_cbranch_vccnz .LBB195_249
; %bb.248:
	v_cvt_f16_f32_e32 v1, v0
	global_store_dword v[2:3], v1, off
.LBB195_249:
	s_mov_b64 s[8:9], 0
.LBB195_250:
	s_andn2_b64 vcc, exec, s[8:9]
	s_cbranch_vccnz .LBB195_259
; %bb.251:
	v_mov_b32_e32 v1, 6
	v_cmp_lt_i16_sdwa s[10:11], v32, v1 src0_sel:BYTE_0 src1_sel:DWORD
	s_mov_b64 s[8:9], -1
	s_and_b64 vcc, exec, s[10:11]
	s_cbranch_vccnz .LBB195_257
; %bb.252:
	v_cmp_gt_i16_sdwa s[10:11], v32, v1 src0_sel:BYTE_0 src1_sel:DWORD
	s_and_b64 vcc, exec, s[10:11]
	s_cbranch_vccz .LBB195_254
; %bb.253:
	v_cvt_f64_f32_e32 v[4:5], v0
	global_store_dwordx2 v[2:3], v[4:5], off
	s_mov_b64 s[8:9], 0
.LBB195_254:
	s_andn2_b64 vcc, exec, s[8:9]
	s_cbranch_vccnz .LBB195_256
; %bb.255:
	global_store_dword v[2:3], v0, off
.LBB195_256:
	s_mov_b64 s[8:9], 0
.LBB195_257:
	s_andn2_b64 vcc, exec, s[8:9]
	s_cbranch_vccnz .LBB195_259
; %bb.258:
	v_cvt_f16_f32_e32 v1, v0
	global_store_short v[2:3], v1, off
.LBB195_259:
	s_mov_b64 s[8:9], 0
.LBB195_260:
	s_andn2_b64 vcc, exec, s[8:9]
	s_cbranch_vccnz .LBB195_276
; %bb.261:
	v_mov_b32_e32 v1, 2
	v_cmp_lt_i16_sdwa s[10:11], v32, v1 src0_sel:BYTE_0 src1_sel:DWORD
	s_mov_b64 s[8:9], -1
	s_and_b64 vcc, exec, s[10:11]
	s_cbranch_vccnz .LBB195_271
; %bb.262:
	v_mov_b32_e32 v1, 3
	v_cmp_lt_i16_sdwa s[10:11], v32, v1 src0_sel:BYTE_0 src1_sel:DWORD
	s_and_b64 vcc, exec, s[10:11]
	s_cbranch_vccnz .LBB195_268
; %bb.263:
	v_cmp_gt_i16_sdwa s[10:11], v32, v1 src0_sel:BYTE_0 src1_sel:DWORD
	s_and_b64 vcc, exec, s[10:11]
	s_cbranch_vccz .LBB195_265
; %bb.264:
	v_trunc_f32_e32 v1, v0
	s_mov_b32 s8, 0x2f800000
	v_mul_f32_e64 v4, |v1|, s8
	v_floor_f32_e32 v4, v4
	s_mov_b32 s8, 0xcf800000
	v_cvt_u32_f32_e32 v5, v4
	v_fma_f32 v4, v4, s8, |v1|
	v_cvt_u32_f32_e32 v4, v4
	v_ashrrev_i32_e32 v1, 31, v1
	v_xor_b32_e32 v5, v5, v1
	s_mov_b64 s[8:9], 0
	v_xor_b32_e32 v4, v4, v1
	v_sub_co_u32_e32 v4, vcc, v4, v1
	v_subb_co_u32_e32 v5, vcc, v5, v1, vcc
	global_store_dwordx2 v[2:3], v[4:5], off
.LBB195_265:
	s_andn2_b64 vcc, exec, s[8:9]
	s_cbranch_vccnz .LBB195_267
; %bb.266:
	v_cvt_i32_f32_e32 v1, v0
	global_store_dword v[2:3], v1, off
.LBB195_267:
	s_mov_b64 s[8:9], 0
.LBB195_268:
	s_andn2_b64 vcc, exec, s[8:9]
	s_cbranch_vccnz .LBB195_270
; %bb.269:
	v_cvt_i32_f32_e32 v1, v0
	global_store_short v[2:3], v1, off
.LBB195_270:
	s_mov_b64 s[8:9], 0
.LBB195_271:
	s_andn2_b64 vcc, exec, s[8:9]
	s_cbranch_vccnz .LBB195_276
; %bb.272:
	v_mov_b32_e32 v1, 0
	v_cmp_gt_i16_sdwa s[10:11], v32, v1 src0_sel:BYTE_0 src1_sel:DWORD
	s_mov_b64 s[8:9], -1
	s_and_b64 vcc, exec, s[10:11]
	s_cbranch_vccz .LBB195_274
; %bb.273:
	v_cvt_i32_f32_e32 v1, v0
	s_mov_b64 s[8:9], 0
	global_store_byte v[2:3], v1, off
.LBB195_274:
	s_andn2_b64 vcc, exec, s[8:9]
	s_cbranch_vccnz .LBB195_276
; %bb.275:
	v_trunc_f32_e32 v0, v0
	s_mov_b32 s8, 0x2f800000
	v_mul_f32_e64 v1, |v0|, s8
	v_floor_f32_e32 v1, v1
	s_mov_b32 s8, 0xcf800000
	v_fma_f32 v1, v1, s8, |v0|
	v_cvt_u32_f32_e32 v1, v1
	v_ashrrev_i32_e32 v0, 31, v0
	v_xor_b32_e32 v1, v1, v0
	v_sub_u32_e32 v0, v1, v0
	global_store_byte v[2:3], v0, off
.LBB195_276:
	s_mov_b64 s[8:9], -1
.LBB195_277:
	s_andn2_b64 vcc, exec, s[8:9]
	s_cbranch_vccnz .LBB195_279
; %bb.278:
	v_add_u32_e32 v34, 0x80, v34
	s_mov_b64 s[8:9], -1
	s_branch .LBB195_392
.LBB195_279:
	s_mov_b64 s[8:9], 0
                                        ; implicit-def: $vgpr34
	s_branch .LBB195_392
.LBB195_280:
	s_mov_b64 s[58:59], -1
                                        ; implicit-def: $vgpr1
.LBB195_281:
	s_mov_b64 s[8:9], 0
.LBB195_282:
	s_and_b64 vcc, exec, s[8:9]
	s_cbranch_vccz .LBB195_286
; %bb.283:
	v_mov_b32_e32 v1, 29
	v_cmp_eq_u16_sdwa s[8:9], v33, v1 src0_sel:BYTE_0 src1_sel:DWORD
	s_and_b64 vcc, exec, s[8:9]
	s_cbranch_vccz .LBB195_285
; %bb.284:
	global_load_dwordx2 v[4:5], v[2:3], off
	s_mov_b64 s[6:7], -1
	s_mov_b64 s[58:59], 0
	s_mov_b64 s[8:9], 0
	s_waitcnt vmcnt(0)
	v_ffbh_u32_e32 v1, v5
	v_min_u32_e32 v1, 32, v1
	v_lshlrev_b64 v[4:5], v1, v[4:5]
	v_min_u32_e32 v4, 1, v4
	v_or_b32_e32 v4, v5, v4
	v_cvt_f32_u32_e32 v4, v4
	v_sub_u32_e32 v1, 32, v1
	v_ldexp_f32 v1, v4, v1
	s_branch .LBB195_287
.LBB195_285:
	s_mov_b64 s[58:59], -1
                                        ; implicit-def: $vgpr1
.LBB195_286:
	s_mov_b64 s[8:9], 0
.LBB195_287:
	s_and_b64 vcc, exec, s[8:9]
	s_cbranch_vccz .LBB195_305
; %bb.288:
	v_mov_b32_e32 v1, 27
	v_cmp_lt_i16_sdwa s[6:7], v33, v1 src0_sel:BYTE_0 src1_sel:DWORD
	s_and_b64 vcc, exec, s[6:7]
	s_cbranch_vccnz .LBB195_291
; %bb.289:
	v_cmp_gt_i16_sdwa s[6:7], v33, v1 src0_sel:BYTE_0 src1_sel:DWORD
	s_and_b64 vcc, exec, s[6:7]
	s_cbranch_vccz .LBB195_292
; %bb.290:
	global_load_dword v1, v[2:3], off
	s_mov_b64 s[6:7], 0
	s_waitcnt vmcnt(0)
	v_cvt_f32_u32_e32 v1, v1
	s_branch .LBB195_293
.LBB195_291:
	s_mov_b64 s[6:7], -1
                                        ; implicit-def: $vgpr1
	s_branch .LBB195_296
.LBB195_292:
	s_mov_b64 s[6:7], -1
                                        ; implicit-def: $vgpr1
.LBB195_293:
	s_andn2_b64 vcc, exec, s[6:7]
	s_cbranch_vccnz .LBB195_295
; %bb.294:
	global_load_ushort v1, v[2:3], off
	s_waitcnt vmcnt(0)
	v_cvt_f32_u32_e32 v1, v1
.LBB195_295:
	s_mov_b64 s[6:7], 0
.LBB195_296:
	s_andn2_b64 vcc, exec, s[6:7]
	s_cbranch_vccnz .LBB195_304
; %bb.297:
	global_load_ubyte v4, v[2:3], off
	s_movk_i32 s6, 0x7f
                                        ; implicit-def: $sgpr12
	s_waitcnt vmcnt(0)
	v_cmp_lt_i16_e32 vcc, s6, v4
	s_mov_b64 s[6:7], 0
	s_and_saveexec_b64 s[8:9], vcc
	s_xor_b64 s[8:9], exec, s[8:9]
	s_cbranch_execz .LBB195_318
; %bb.298:
	s_movk_i32 s6, 0x80
	v_cmp_eq_u16_e32 vcc, s6, v4
	s_mov_b64 s[6:7], -1
                                        ; implicit-def: $sgpr12
	s_and_saveexec_b64 s[10:11], vcc
; %bb.299:
	s_mov_b32 s12, 0x7f800001
	s_xor_b64 s[6:7], exec, -1
; %bb.300:
	s_or_b64 exec, exec, s[10:11]
	s_and_b64 s[6:7], s[6:7], exec
	s_or_saveexec_b64 s[8:9], s[8:9]
	v_mov_b32_e32 v1, s12
	s_xor_b64 exec, exec, s[8:9]
	s_cbranch_execnz .LBB195_319
.LBB195_301:
	s_or_b64 exec, exec, s[8:9]
	s_and_saveexec_b64 s[8:9], s[6:7]
	s_cbranch_execz .LBB195_303
.LBB195_302:
	v_lshlrev_b32_e32 v1, 24, v4
	v_and_b32_e32 v4, 0xffff, v4
	v_and_b32_e32 v5, 7, v4
	v_ffbh_u32_e32 v7, v5
	v_min_u32_e32 v7, 32, v7
	v_subrev_u32_e32 v8, 28, v7
	v_bfe_u32 v6, v4, 3, 4
	v_lshlrev_b32_e32 v4, v8, v4
	v_sub_u32_e32 v7, 29, v7
	v_and_b32_e32 v4, 7, v4
	v_cmp_eq_u32_e32 vcc, 0, v6
	v_cndmask_b32_e32 v6, v6, v7, vcc
	v_cndmask_b32_e32 v4, v5, v4, vcc
	v_mov_b32_e32 v5, 0x3b800000
	v_lshlrev_b32_e32 v4, 20, v4
	v_and_b32_e32 v1, 0x80000000, v1
	v_lshl_add_u32 v5, v6, 23, v5
	v_or3_b32 v1, v1, v5, v4
.LBB195_303:
	s_or_b64 exec, exec, s[8:9]
.LBB195_304:
	s_mov_b64 s[6:7], -1
.LBB195_305:
	s_mov_b64 s[8:9], 0
.LBB195_306:
	s_and_b64 vcc, exec, s[8:9]
	s_cbranch_vccz .LBB195_341
; %bb.307:
	v_mov_b32_e32 v1, 22
	v_cmp_gt_i16_sdwa s[8:9], v33, v1 src0_sel:BYTE_0 src1_sel:DWORD
	s_and_b64 vcc, exec, s[8:9]
	s_cbranch_vccz .LBB195_317
; %bb.308:
	v_mov_b32_e32 v1, 24
	v_cmp_lt_i16_sdwa s[6:7], v33, v1 src0_sel:BYTE_0 src1_sel:DWORD
	s_and_b64 vcc, exec, s[6:7]
	s_cbranch_vccnz .LBB195_320
; %bb.309:
	v_cmp_gt_i16_sdwa s[6:7], v33, v1 src0_sel:BYTE_0 src1_sel:DWORD
	s_and_b64 vcc, exec, s[6:7]
	s_cbranch_vccz .LBB195_321
; %bb.310:
	global_load_ubyte v4, v[2:3], off
	s_movk_i32 s6, 0x7f
                                        ; implicit-def: $sgpr12
	s_waitcnt vmcnt(0)
	v_cmp_lt_i16_e32 vcc, s6, v4
	s_mov_b64 s[6:7], 0
	s_and_saveexec_b64 s[8:9], vcc
	s_xor_b64 s[8:9], exec, s[8:9]
	s_cbranch_execz .LBB195_333
; %bb.311:
	s_movk_i32 s6, 0x80
	v_cmp_eq_u16_e32 vcc, s6, v4
	s_mov_b64 s[6:7], -1
                                        ; implicit-def: $sgpr12
	s_and_saveexec_b64 s[10:11], vcc
; %bb.312:
	s_mov_b32 s12, 0x7f800001
	s_xor_b64 s[6:7], exec, -1
; %bb.313:
	s_or_b64 exec, exec, s[10:11]
	s_and_b64 s[6:7], s[6:7], exec
	s_or_saveexec_b64 s[8:9], s[8:9]
	v_mov_b32_e32 v1, s12
	s_xor_b64 exec, exec, s[8:9]
	s_cbranch_execnz .LBB195_334
.LBB195_314:
	s_or_b64 exec, exec, s[8:9]
	s_and_saveexec_b64 s[8:9], s[6:7]
	s_cbranch_execz .LBB195_316
.LBB195_315:
	v_lshlrev_b32_e32 v1, 24, v4
	v_and_b32_e32 v4, 0xffff, v4
	v_and_b32_e32 v5, 3, v4
	v_ffbh_u32_e32 v7, v5
	v_min_u32_e32 v7, 32, v7
	v_subrev_u32_e32 v8, 29, v7
	v_bfe_u32 v6, v4, 2, 5
	v_lshlrev_b32_e32 v4, v8, v4
	v_sub_u32_e32 v7, 30, v7
	v_and_b32_e32 v4, 3, v4
	v_cmp_eq_u32_e32 vcc, 0, v6
	v_cndmask_b32_e32 v6, v6, v7, vcc
	v_cndmask_b32_e32 v4, v5, v4, vcc
	v_mov_b32_e32 v5, 0x37800000
	v_lshlrev_b32_e32 v4, 21, v4
	v_and_b32_e32 v1, 0x80000000, v1
	v_lshl_add_u32 v5, v6, 23, v5
	v_or3_b32 v1, v1, v5, v4
.LBB195_316:
	s_or_b64 exec, exec, s[8:9]
	s_mov_b64 s[6:7], 0
	s_branch .LBB195_322
.LBB195_317:
	s_mov_b64 s[8:9], -1
                                        ; implicit-def: $vgpr1
	s_branch .LBB195_328
.LBB195_318:
	s_or_saveexec_b64 s[8:9], s[8:9]
	v_mov_b32_e32 v1, s12
	s_xor_b64 exec, exec, s[8:9]
	s_cbranch_execz .LBB195_301
.LBB195_319:
	v_cmp_ne_u16_e32 vcc, 0, v4
	s_andn2_b64 s[6:7], s[6:7], exec
	s_and_b64 s[10:11], vcc, exec
	v_mov_b32_e32 v1, 0
	s_or_b64 s[6:7], s[6:7], s[10:11]
	s_or_b64 exec, exec, s[8:9]
	s_and_saveexec_b64 s[8:9], s[6:7]
	s_cbranch_execnz .LBB195_302
	s_branch .LBB195_303
.LBB195_320:
	s_mov_b64 s[6:7], -1
                                        ; implicit-def: $vgpr1
	s_branch .LBB195_325
.LBB195_321:
	s_mov_b64 s[6:7], -1
                                        ; implicit-def: $vgpr1
.LBB195_322:
	s_and_b64 vcc, exec, s[6:7]
	s_cbranch_vccz .LBB195_324
; %bb.323:
	global_load_ubyte v1, v[2:3], off
	s_mov_b32 s6, 0x7f800000
	s_waitcnt vmcnt(0)
	v_lshlrev_b32_e32 v1, 24, v1
	v_and_b32_e32 v4, 0x7f000000, v1
	v_ffbh_u32_e32 v5, v4
	v_min_u32_e32 v5, 32, v5
	v_sub_u32_e64 v5, v5, 4 clamp
	v_lshlrev_b32_e32 v7, v5, v4
	v_lshlrev_b32_e32 v5, 23, v5
	v_lshrrev_b32_e32 v7, 4, v7
	v_add_u32_e32 v6, 0x1000000, v4
	v_sub_u32_e32 v5, v7, v5
	v_ashrrev_i32_e32 v6, 8, v6
	v_add_u32_e32 v5, 0x3c000000, v5
	v_and_or_b32 v5, v6, s6, v5
	v_cmp_ne_u32_e32 vcc, 0, v4
	v_cndmask_b32_e32 v4, 0, v5, vcc
	s_brev_b32 s6, 1
	v_and_or_b32 v1, v1, s6, v4
.LBB195_324:
	s_mov_b64 s[6:7], 0
.LBB195_325:
	s_andn2_b64 vcc, exec, s[6:7]
	s_cbranch_vccnz .LBB195_327
; %bb.326:
	global_load_ubyte v1, v[2:3], off
	s_movk_i32 s6, 0x7f00
	s_brev_b32 s7, 16
	s_waitcnt vmcnt(0)
	v_lshlrev_b16_e32 v4, 8, v1
	v_lshlrev_b32_e32 v1, 25, v1
	v_lshrrev_b32_e32 v5, 4, v1
	v_and_or_b32 v6, v4, s6, 0.5
	v_or_b32_e32 v5, 0x70000000, v5
	v_add_f32_e32 v6, -0.5, v6
	v_mul_f32_e32 v5, 0x7800000, v5
	v_cmp_gt_u32_e32 vcc, s7, v1
	v_bfe_i32 v4, v4, 0, 16
	v_cndmask_b32_e32 v1, v5, v6, vcc
	s_brev_b32 s6, 1
	v_and_or_b32 v1, v4, s6, v1
.LBB195_327:
	s_mov_b64 s[8:9], 0
	s_mov_b64 s[6:7], -1
.LBB195_328:
	s_andn2_b64 vcc, exec, s[8:9]
	s_cbranch_vccnz .LBB195_341
; %bb.329:
	v_mov_b32_e32 v1, 14
	v_cmp_gt_i16_sdwa s[8:9], v33, v1 src0_sel:BYTE_0 src1_sel:DWORD
	s_and_b64 vcc, exec, s[8:9]
	s_cbranch_vccz .LBB195_332
; %bb.330:
	v_mov_b32_e32 v1, 15
	v_cmp_eq_u16_sdwa s[8:9], v33, v1 src0_sel:BYTE_0 src1_sel:DWORD
	s_and_b64 vcc, exec, s[8:9]
	s_cbranch_vccz .LBB195_335
; %bb.331:
	global_load_ushort v1, v[2:3], off
	s_mov_b64 s[6:7], -1
	s_mov_b64 s[58:59], 0
	s_waitcnt vmcnt(0)
	v_lshlrev_b32_e32 v1, 16, v1
	s_branch .LBB195_336
.LBB195_332:
	s_mov_b64 s[8:9], -1
                                        ; implicit-def: $vgpr1
	s_branch .LBB195_337
.LBB195_333:
	s_or_saveexec_b64 s[8:9], s[8:9]
	v_mov_b32_e32 v1, s12
	s_xor_b64 exec, exec, s[8:9]
	s_cbranch_execz .LBB195_314
.LBB195_334:
	v_cmp_ne_u16_e32 vcc, 0, v4
	s_andn2_b64 s[6:7], s[6:7], exec
	s_and_b64 s[10:11], vcc, exec
	v_mov_b32_e32 v1, 0
	s_or_b64 s[6:7], s[6:7], s[10:11]
	s_or_b64 exec, exec, s[8:9]
	s_and_saveexec_b64 s[8:9], s[6:7]
	s_cbranch_execnz .LBB195_315
	s_branch .LBB195_316
.LBB195_335:
	s_mov_b64 s[58:59], -1
                                        ; implicit-def: $vgpr1
.LBB195_336:
	s_mov_b64 s[8:9], 0
.LBB195_337:
	s_and_b64 vcc, exec, s[8:9]
	s_cbranch_vccz .LBB195_341
; %bb.338:
	v_mov_b32_e32 v1, 11
	v_cmp_eq_u16_sdwa s[8:9], v33, v1 src0_sel:BYTE_0 src1_sel:DWORD
	s_and_b64 vcc, exec, s[8:9]
	s_cbranch_vccz .LBB195_340
; %bb.339:
	global_load_ubyte v1, v[2:3], off
	s_mov_b64 s[6:7], -1
	s_mov_b64 s[58:59], 0
	s_waitcnt vmcnt(0)
	v_cmp_ne_u16_e32 vcc, 0, v1
	v_cndmask_b32_e64 v1, 0, 1.0, vcc
	s_branch .LBB195_341
.LBB195_340:
	s_mov_b64 s[58:59], -1
                                        ; implicit-def: $vgpr1
.LBB195_341:
	s_branch .LBB195_30
.LBB195_342:
	v_mov_b32_e32 v1, 5
	v_cmp_lt_i16_sdwa s[6:7], v33, v1 src0_sel:BYTE_0 src1_sel:DWORD
	s_and_b64 vcc, exec, s[6:7]
	s_cbranch_vccnz .LBB195_347
; %bb.343:
	v_mov_b32_e32 v1, 8
	v_cmp_lt_i16_sdwa s[6:7], v33, v1 src0_sel:BYTE_0 src1_sel:DWORD
	s_and_b64 vcc, exec, s[6:7]
	s_cbranch_vccnz .LBB195_348
; %bb.344:
	v_mov_b32_e32 v1, 9
	v_cmp_lt_i16_sdwa s[6:7], v33, v1 src0_sel:BYTE_0 src1_sel:DWORD
	s_and_b64 vcc, exec, s[6:7]
	s_cbranch_vccnz .LBB195_349
; %bb.345:
	v_cmp_gt_i16_sdwa s[6:7], v33, v1 src0_sel:BYTE_0 src1_sel:DWORD
	s_and_b64 vcc, exec, s[6:7]
	s_cbranch_vccz .LBB195_350
; %bb.346:
	global_load_dwordx2 v[4:5], v[2:3], off
	s_mov_b64 s[6:7], 0
	s_waitcnt vmcnt(0)
	v_cvt_f32_f64_e32 v1, v[4:5]
	s_branch .LBB195_351
.LBB195_347:
	s_mov_b64 s[6:7], -1
                                        ; implicit-def: $vgpr1
	s_branch .LBB195_369
.LBB195_348:
	s_mov_b64 s[6:7], -1
                                        ; implicit-def: $vgpr1
	s_branch .LBB195_357
.LBB195_349:
	s_mov_b64 s[6:7], -1
                                        ; implicit-def: $vgpr1
	s_branch .LBB195_354
.LBB195_350:
	s_mov_b64 s[6:7], -1
                                        ; implicit-def: $vgpr1
.LBB195_351:
	s_andn2_b64 vcc, exec, s[6:7]
	s_cbranch_vccnz .LBB195_353
; %bb.352:
	global_load_dword v1, v[2:3], off
.LBB195_353:
	s_mov_b64 s[6:7], 0
.LBB195_354:
	s_andn2_b64 vcc, exec, s[6:7]
	s_cbranch_vccnz .LBB195_356
; %bb.355:
	global_load_dword v1, v[2:3], off
	s_waitcnt vmcnt(0)
	v_cvt_f32_f16_e32 v1, v1
.LBB195_356:
	s_mov_b64 s[6:7], 0
.LBB195_357:
	s_andn2_b64 vcc, exec, s[6:7]
	s_cbranch_vccnz .LBB195_368
; %bb.358:
	s_waitcnt vmcnt(0)
	v_mov_b32_e32 v1, 6
	v_cmp_lt_i16_sdwa s[6:7], v33, v1 src0_sel:BYTE_0 src1_sel:DWORD
	s_and_b64 vcc, exec, s[6:7]
	s_cbranch_vccnz .LBB195_361
; %bb.359:
	v_cmp_gt_i16_sdwa s[6:7], v33, v1 src0_sel:BYTE_0 src1_sel:DWORD
	s_and_b64 vcc, exec, s[6:7]
	s_cbranch_vccz .LBB195_362
; %bb.360:
	global_load_dwordx2 v[4:5], v[2:3], off
	s_mov_b64 s[6:7], 0
	s_waitcnt vmcnt(0)
	v_cvt_f32_f64_e32 v1, v[4:5]
	s_branch .LBB195_363
.LBB195_361:
	s_mov_b64 s[6:7], -1
                                        ; implicit-def: $vgpr1
	s_branch .LBB195_366
.LBB195_362:
	s_mov_b64 s[6:7], -1
                                        ; implicit-def: $vgpr1
.LBB195_363:
	s_andn2_b64 vcc, exec, s[6:7]
	s_cbranch_vccnz .LBB195_365
; %bb.364:
	global_load_dword v1, v[2:3], off
.LBB195_365:
	s_mov_b64 s[6:7], 0
.LBB195_366:
	s_andn2_b64 vcc, exec, s[6:7]
	s_cbranch_vccnz .LBB195_368
; %bb.367:
	global_load_ushort v1, v[2:3], off
	s_waitcnt vmcnt(0)
	v_cvt_f32_f16_e32 v1, v1
.LBB195_368:
	s_mov_b64 s[6:7], 0
.LBB195_369:
	s_andn2_b64 vcc, exec, s[6:7]
	s_cbranch_vccnz .LBB195_389
; %bb.370:
	s_waitcnt vmcnt(0)
	v_mov_b32_e32 v1, 2
	v_cmp_lt_i16_sdwa s[6:7], v33, v1 src0_sel:BYTE_0 src1_sel:DWORD
	s_and_b64 vcc, exec, s[6:7]
	s_cbranch_vccnz .LBB195_374
; %bb.371:
	v_mov_b32_e32 v1, 3
	v_cmp_lt_i16_sdwa s[6:7], v33, v1 src0_sel:BYTE_0 src1_sel:DWORD
	s_and_b64 vcc, exec, s[6:7]
	s_cbranch_vccnz .LBB195_375
; %bb.372:
	v_cmp_gt_i16_sdwa s[6:7], v33, v1 src0_sel:BYTE_0 src1_sel:DWORD
	s_and_b64 vcc, exec, s[6:7]
	s_cbranch_vccz .LBB195_376
; %bb.373:
	global_load_dwordx2 v[4:5], v[2:3], off
	s_mov_b64 s[6:7], 0
	s_waitcnt vmcnt(0)
	v_xor_b32_e32 v6, v4, v5
	v_ffbh_i32_e32 v1, v5
	v_ashrrev_i32_e32 v6, 31, v6
	v_add_u32_e32 v1, -1, v1
	v_add_u32_e32 v6, 32, v6
	v_min_u32_e32 v1, v1, v6
	v_lshlrev_b64 v[4:5], v1, v[4:5]
	v_min_u32_e32 v4, 1, v4
	v_or_b32_e32 v4, v5, v4
	v_cvt_f32_i32_e32 v4, v4
	v_sub_u32_e32 v1, 32, v1
	v_ldexp_f32 v1, v4, v1
	s_branch .LBB195_377
.LBB195_374:
	s_mov_b64 s[6:7], -1
                                        ; implicit-def: $vgpr1
	s_branch .LBB195_383
.LBB195_375:
	s_mov_b64 s[6:7], -1
                                        ; implicit-def: $vgpr1
	s_branch .LBB195_380
.LBB195_376:
	s_mov_b64 s[6:7], -1
                                        ; implicit-def: $vgpr1
.LBB195_377:
	s_andn2_b64 vcc, exec, s[6:7]
	s_cbranch_vccnz .LBB195_379
; %bb.378:
	global_load_dword v1, v[2:3], off
	s_waitcnt vmcnt(0)
	v_cvt_f32_i32_e32 v1, v1
.LBB195_379:
	s_mov_b64 s[6:7], 0
.LBB195_380:
	s_andn2_b64 vcc, exec, s[6:7]
	s_cbranch_vccnz .LBB195_382
; %bb.381:
	global_load_sshort v1, v[2:3], off
	s_waitcnt vmcnt(0)
	v_cvt_f32_i32_e32 v1, v1
.LBB195_382:
	s_mov_b64 s[6:7], 0
.LBB195_383:
	s_andn2_b64 vcc, exec, s[6:7]
	s_cbranch_vccnz .LBB195_389
; %bb.384:
	v_mov_b32_e32 v1, 0
	v_cmp_gt_i16_sdwa s[6:7], v33, v1 src0_sel:BYTE_0 src1_sel:DWORD
	s_and_b64 vcc, exec, s[6:7]
	s_cbranch_vccz .LBB195_386
; %bb.385:
	global_load_sbyte v1, v[2:3], off
	s_mov_b64 s[6:7], 0
	s_waitcnt vmcnt(0)
	v_cvt_f32_i32_e32 v1, v1
	s_branch .LBB195_387
.LBB195_386:
	s_mov_b64 s[6:7], -1
                                        ; implicit-def: $vgpr1
.LBB195_387:
	s_andn2_b64 vcc, exec, s[6:7]
	s_cbranch_vccnz .LBB195_389
; %bb.388:
	global_load_ubyte v1, v[2:3], off
	s_waitcnt vmcnt(0)
	v_cvt_f32_ubyte0_e32 v1, v1
.LBB195_389:
	s_branch .LBB195_31
.LBB195_390:
	s_mov_b64 s[6:7], 0
.LBB195_391:
                                        ; implicit-def: $vgpr34
	s_mov_b64 s[8:9], 0
.LBB195_392:
	s_and_b64 s[56:57], s[6:7], exec
	s_and_b64 s[58:59], s[58:59], exec
	;; [unrolled: 1-line block ×3, first 2 shown]
	s_orn2_b64 s[6:7], s[8:9], exec
.LBB195_393:
	s_or_b64 exec, exec, s[62:63]
	s_mov_b64 s[10:11], 0
	s_mov_b64 s[8:9], 0
                                        ; implicit-def: $vgpr1
                                        ; implicit-def: $vgpr4_vgpr5
                                        ; implicit-def: $vgpr0
                                        ; implicit-def: $vgpr30
                                        ; implicit-def: $vgpr2
	s_and_saveexec_b64 s[62:63], s[6:7]
	s_cbranch_execz .LBB195_402
; %bb.394:
	v_cmp_gt_i32_e32 vcc, s82, v34
	s_mov_b64 s[6:7], -1
	s_mov_b64 s[64:65], s[60:61]
	s_mov_b64 s[66:67], s[58:59]
	;; [unrolled: 1-line block ×3, first 2 shown]
	s_and_saveexec_b64 s[70:71], vcc
	s_cbranch_execz .LBB195_793
; %bb.395:
	s_andn2_b64 vcc, exec, s[34:35]
	s_cbranch_vccnz .LBB195_405
; %bb.396:
	s_andn2_b64 vcc, exec, s[54:55]
	v_mov_b32_e32 v2, 0
	s_waitcnt vmcnt(0)
	v_mov_b32_e32 v0, 0
	v_mov_b32_e32 v30, 0
	s_cbranch_vccnz .LBB195_401
; %bb.397:
	s_add_i32 s6, s81, 1
	s_and_b32 s8, s6, 30
	s_add_u32 s6, s22, 0xffffffec
	s_addc_u32 s7, s23, -1
	v_mov_b32_e32 v30, 0
	v_mov_b32_e32 v1, v34
	;; [unrolled: 1-line block ×4, first 2 shown]
.LBB195_398:                            ; =>This Inner Loop Header: Depth=1
	s_mov_b64 s[10:11], s[6:7]
	s_load_dwordx4 s[12:15], s[10:11], 0x18
	s_load_dwordx2 s[20:21], s[10:11], 0x28
	s_load_dwordx2 s[30:31], s[10:11], 0xe8
	s_load_dwordx4 s[16:19], s[10:11], 0xd8
	s_add_u32 s6, s10, 24
	s_waitcnt lgkmcnt(0)
	v_mul_hi_u32 v3, s13, v1
	v_add_u32_e32 v3, v1, v3
	v_lshrrev_b32_e32 v3, s14, v3
	v_mul_lo_u32 v4, v3, s12
	v_mul_hi_u32 v5, s20, v3
	v_sub_u32_e32 v1, v1, v4
	v_add_u32_e32 v4, v3, v5
	v_mul_lo_u32 v5, v1, s16
	v_mul_lo_u32 v6, v1, s17
	;; [unrolled: 1-line block ×3, first 2 shown]
	v_lshrrev_b32_e32 v1, s21, v4
	v_mul_lo_u32 v4, v1, s15
	v_sub_u32_e32 v3, v3, v4
	s_addc_u32 s7, s11, 0
	s_add_i32 s8, s8, -2
	v_mul_lo_u32 v4, v3, s19
	v_mul_lo_u32 v8, v3, s30
	;; [unrolled: 1-line block ×3, first 2 shown]
	s_cmp_eq_u32 s8, 0
	v_add3_u32 v30, v5, v30, v4
	v_add3_u32 v2, v7, v2, v3
	;; [unrolled: 1-line block ×3, first 2 shown]
	s_cbranch_scc0 .LBB195_398
; %bb.399:
	s_bitcmp1_b32 s81, 0
	s_cselect_b64 s[8:9], -1, 0
	s_and_b64 vcc, exec, s[8:9]
	s_cbranch_vccnz .LBB195_401
; %bb.400:
	s_load_dwordx2 s[8:9], s[6:7], 0x18
	s_load_dword s10, s[6:7], 0x20
	s_load_dword s11, s[6:7], 0xe0
	s_nop 0
	s_load_dwordx2 s[6:7], s[6:7], 0xd8
	s_waitcnt lgkmcnt(0)
	v_mul_hi_u32 v3, s9, v1
	v_add_u32_e32 v3, v1, v3
	v_lshrrev_b32_e32 v3, s10, v3
	v_mul_lo_u32 v3, v3, s8
	v_sub_u32_e32 v3, v1, v3
	v_mad_u64_u32 v[30:31], s[8:9], v3, s6, v[30:31]
	v_mad_u64_u32 v[0:1], s[6:7], v3, s7, v[0:1]
	;; [unrolled: 1-line block ×3, first 2 shown]
.LBB195_401:
	s_cbranch_execz .LBB195_406
	s_branch .LBB195_408
.LBB195_402:
	s_or_b64 exec, exec, s[62:63]
	s_waitcnt lgkmcnt(0)
	s_mov_b64 s[26:27], 0
	s_and_saveexec_b64 s[6:7], s[60:61]
	s_cbranch_execnz .LBB195_1289
.LBB195_403:
	s_or_b64 exec, exec, s[6:7]
	s_and_saveexec_b64 s[6:7], s[66:67]
	s_xor_b64 s[6:7], exec, s[6:7]
	s_cbranch_execz .LBB195_1290
.LBB195_404:
	global_load_ubyte v2, v[4:5], off
	s_or_b64 s[8:9], s[8:9], exec
	s_waitcnt vmcnt(0)
	v_cmp_ne_u16_e32 vcc, 0, v2
	v_cndmask_b32_e64 v2, 0, 1.0, vcc
	s_or_b64 exec, exec, s[6:7]
	s_and_saveexec_b64 s[6:7], s[10:11]
	s_cbranch_execz .LBB195_1336
	s_branch .LBB195_1291
.LBB195_405:
                                        ; implicit-def: $vgpr2
                                        ; implicit-def: $vgpr0
                                        ; implicit-def: $vgpr30
	s_andn2_b64 vcc, exec, s[6:7]
	s_cbranch_vccnz .LBB195_408
.LBB195_406:
	s_waitcnt vmcnt(0) lgkmcnt(0)
	v_mul_hi_u32 v0, s41, v34
	v_add_u32_e32 v0, v34, v0
	v_lshrrev_b32_e32 v1, s42, v0
	v_mul_lo_u32 v0, v1, s40
	v_sub_u32_e32 v0, v34, v0
	v_mul_lo_u32 v30, v0, s36
	v_mul_lo_u32 v2, v0, s38
	s_andn2_b64 vcc, exec, s[52:53]
	v_mul_lo_u32 v0, v0, s37
	s_cbranch_vccnz .LBB195_408
; %bb.407:
	v_mul_hi_u32 v3, s50, v1
	v_add_u32_e32 v3, v1, v3
	v_lshrrev_b32_e32 v3, s51, v3
	v_mul_lo_u32 v3, v3, s43
	v_sub_u32_e32 v3, v1, v3
	v_mad_u64_u32 v[30:31], s[6:7], v3, s39, v[30:31]
	v_mad_u64_u32 v[0:1], s[6:7], v3, s48, v[0:1]
	;; [unrolled: 1-line block ×3, first 2 shown]
.LBB195_408:
	s_waitcnt vmcnt(0) lgkmcnt(0)
	v_mov_b32_e32 v1, s27
	v_add_co_u32_e32 v4, vcc, s26, v0
	v_mov_b32_e32 v0, 11
	v_addc_co_u32_e32 v5, vcc, 0, v1, vcc
	v_cmp_lt_i16_sdwa s[6:7], v35, v0 src0_sel:BYTE_0 src1_sel:DWORD
	s_and_b64 vcc, exec, s[6:7]
	s_cbranch_vccnz .LBB195_415
; %bb.409:
	v_mov_b32_e32 v0, 25
	v_cmp_gt_i16_sdwa s[6:7], v35, v0 src0_sel:BYTE_0 src1_sel:DWORD
	s_and_b64 vcc, exec, s[6:7]
	s_cbranch_vccz .LBB195_424
; %bb.410:
	v_mov_b32_e32 v0, 28
	v_cmp_gt_i16_sdwa s[6:7], v35, v0 src0_sel:BYTE_0 src1_sel:DWORD
	s_and_b64 vcc, exec, s[6:7]
	s_cbranch_vccz .LBB195_426
	;; [unrolled: 5-line block ×4, first 2 shown]
; %bb.413:
	v_mov_b32_e32 v0, 46
	v_cmp_eq_u16_sdwa s[6:7], v35, v0 src0_sel:BYTE_0 src1_sel:DWORD
	s_mov_b64 s[8:9], 0
	s_and_b64 vcc, exec, s[6:7]
	s_cbranch_vccz .LBB195_434
; %bb.414:
	global_load_dword v0, v[4:5], off
	s_mov_b64 s[6:7], -1
	s_mov_b64 s[64:65], 0
	s_waitcnt vmcnt(0)
	v_lshlrev_b32_e32 v0, 16, v0
	s_branch .LBB195_435
.LBB195_415:
	s_mov_b64 s[6:7], 0
                                        ; implicit-def: $vgpr0
	s_mov_b64 s[64:65], s[60:61]
	s_cbranch_execnz .LBB195_501
.LBB195_416:
	s_andn2_b64 vcc, exec, s[6:7]
	s_cbranch_vccnz .LBB195_549
.LBB195_417:
	v_mov_b32_e32 v1, s47
	v_add_co_u32_e32 v2, vcc, s46, v2
	v_addc_co_u32_e32 v3, vcc, 0, v1, vcc
	v_mov_b32_e32 v1, 11
	v_cmp_lt_i16_sdwa s[6:7], v33, v1 src0_sel:BYTE_0 src1_sel:DWORD
	s_and_b64 vcc, exec, s[6:7]
	s_cbranch_vccnz .LBB195_425
; %bb.418:
	v_mov_b32_e32 v1, 25
	v_cmp_gt_i16_sdwa s[6:7], v33, v1 src0_sel:BYTE_0 src1_sel:DWORD
	s_and_b64 vcc, exec, s[6:7]
	s_cbranch_vccz .LBB195_427
; %bb.419:
	v_mov_b32_e32 v1, 28
	v_cmp_gt_i16_sdwa s[6:7], v33, v1 src0_sel:BYTE_0 src1_sel:DWORD
	s_and_b64 vcc, exec, s[6:7]
	s_cbranch_vccz .LBB195_429
	;; [unrolled: 5-line block ×4, first 2 shown]
; %bb.422:
	v_mov_b32_e32 v1, 46
	v_cmp_eq_u16_sdwa s[6:7], v33, v1 src0_sel:BYTE_0 src1_sel:DWORD
	s_mov_b64 s[8:9], 0
	s_and_b64 vcc, exec, s[6:7]
	s_cbranch_vccz .LBB195_553
; %bb.423:
	global_load_dword v1, v[2:3], off
	s_mov_b64 s[6:7], -1
	s_mov_b64 s[66:67], 0
	s_waitcnt vmcnt(0)
	v_lshlrev_b32_e32 v1, 16, v1
	s_branch .LBB195_554
.LBB195_424:
	s_mov_b64 s[8:9], -1
	s_mov_b64 s[6:7], 0
	s_mov_b64 s[64:65], s[60:61]
                                        ; implicit-def: $vgpr0
	s_branch .LBB195_465
.LBB195_425:
	s_mov_b64 s[8:9], -1
	s_mov_b64 s[6:7], 0
                                        ; implicit-def: $vgpr1
	s_mov_b64 s[66:67], s[58:59]
	s_branch .LBB195_619
.LBB195_426:
	s_mov_b64 s[8:9], -1
	s_mov_b64 s[6:7], 0
	s_mov_b64 s[64:65], s[60:61]
                                        ; implicit-def: $vgpr0
	s_branch .LBB195_446
.LBB195_427:
	s_mov_b64 s[8:9], -1
	s_mov_b64 s[6:7], 0
	s_mov_b64 s[66:67], s[58:59]
                                        ; implicit-def: $vgpr1
	s_branch .LBB195_583
.LBB195_428:
	s_mov_b64 s[8:9], -1
	s_mov_b64 s[6:7], 0
	s_mov_b64 s[64:65], s[60:61]
                                        ; implicit-def: $vgpr0
	s_branch .LBB195_441
.LBB195_429:
	s_mov_b64 s[8:9], -1
	s_mov_b64 s[6:7], 0
	s_mov_b64 s[66:67], s[58:59]
                                        ; implicit-def: $vgpr1
	s_branch .LBB195_564
.LBB195_430:
	s_mov_b64 s[8:9], -1
	s_mov_b64 s[6:7], 0
	s_mov_b64 s[64:65], s[60:61]
                                        ; implicit-def: $vgpr0
	s_branch .LBB195_435
.LBB195_431:
	s_mov_b64 s[8:9], -1
	s_mov_b64 s[6:7], 0
	s_mov_b64 s[66:67], s[58:59]
                                        ; implicit-def: $vgpr1
	s_branch .LBB195_559
.LBB195_432:
	s_or_saveexec_b64 s[12:13], s[12:13]
                                        ; implicit-def: $sgpr14
	s_xor_b64 exec, exec, s[12:13]
	s_cbranch_execz .LBB195_190
.LBB195_433:
	s_mov_b32 s14, 0x46000000
	v_add_f32_e64 v1, |v0|, s14
	v_and_b32_e32 v1, 0xff, v1
	v_cmp_ne_u32_e32 vcc, 0, v1
	s_andn2_b64 s[10:11], s[10:11], exec
	s_and_b64 s[16:17], vcc, exec
	s_mov_b32 s14, 0
	s_or_b64 s[10:11], s[10:11], s[16:17]
	s_or_b64 exec, exec, s[12:13]
	v_mov_b32_e32 v4, s14
	s_and_saveexec_b64 s[12:13], s[10:11]
	s_cbranch_execnz .LBB195_191
	s_branch .LBB195_192
.LBB195_434:
	s_mov_b64 s[64:65], -1
                                        ; implicit-def: $vgpr0
	s_mov_b64 s[6:7], 0
.LBB195_435:
	s_and_b64 vcc, exec, s[8:9]
	s_cbranch_vccz .LBB195_440
; %bb.436:
	v_mov_b32_e32 v0, 44
	v_cmp_eq_u16_sdwa s[8:9], v35, v0 src0_sel:BYTE_0 src1_sel:DWORD
	s_and_b64 vcc, exec, s[8:9]
	s_cbranch_vccz .LBB195_439
; %bb.437:
	global_load_ubyte v0, v[4:5], off
	s_movk_i32 s8, 0xff
	v_mov_b32_e32 v1, 0x7f800001
	v_mov_b32_e32 v3, 0x400000
	s_mov_b64 s[6:7], -1
	s_mov_b64 s[64:65], 0
	s_waitcnt vmcnt(0)
	v_lshlrev_b32_e32 v6, 23, v0
	v_cmp_ne_u32_e32 vcc, s8, v0
	v_cndmask_b32_e32 v1, v1, v6, vcc
	v_cmp_ne_u32_e32 vcc, 0, v0
	v_cndmask_b32_e32 v0, v3, v1, vcc
	s_branch .LBB195_440
.LBB195_438:
	s_mov_b64 s[8:9], -1
	s_mov_b64 s[6:7], 0
	s_mov_b64 s[66:67], s[58:59]
                                        ; implicit-def: $vgpr1
	s_branch .LBB195_554
.LBB195_439:
	s_mov_b64 s[64:65], -1
                                        ; implicit-def: $vgpr0
.LBB195_440:
	s_mov_b64 s[8:9], 0
.LBB195_441:
	s_and_b64 vcc, exec, s[8:9]
	s_cbranch_vccz .LBB195_445
; %bb.442:
	v_mov_b32_e32 v0, 29
	v_cmp_eq_u16_sdwa s[8:9], v35, v0 src0_sel:BYTE_0 src1_sel:DWORD
	s_and_b64 vcc, exec, s[8:9]
	s_cbranch_vccz .LBB195_444
; %bb.443:
	global_load_dwordx2 v[0:1], v[4:5], off
	s_mov_b64 s[6:7], -1
	s_mov_b64 s[64:65], 0
	s_mov_b64 s[8:9], 0
	s_waitcnt vmcnt(0)
	v_ffbh_u32_e32 v3, v1
	v_min_u32_e32 v3, 32, v3
	v_lshlrev_b64 v[0:1], v3, v[0:1]
	v_min_u32_e32 v0, 1, v0
	v_or_b32_e32 v0, v1, v0
	v_cvt_f32_u32_e32 v0, v0
	v_sub_u32_e32 v1, 32, v3
	v_ldexp_f32 v0, v0, v1
	s_branch .LBB195_446
.LBB195_444:
	s_mov_b64 s[64:65], -1
                                        ; implicit-def: $vgpr0
.LBB195_445:
	s_mov_b64 s[8:9], 0
.LBB195_446:
	s_and_b64 vcc, exec, s[8:9]
	s_cbranch_vccz .LBB195_464
; %bb.447:
	v_mov_b32_e32 v0, 27
	v_cmp_lt_i16_sdwa s[6:7], v35, v0 src0_sel:BYTE_0 src1_sel:DWORD
	s_and_b64 vcc, exec, s[6:7]
	s_cbranch_vccnz .LBB195_450
; %bb.448:
	v_cmp_gt_i16_sdwa s[6:7], v35, v0 src0_sel:BYTE_0 src1_sel:DWORD
	s_and_b64 vcc, exec, s[6:7]
	s_cbranch_vccz .LBB195_451
; %bb.449:
	global_load_dword v0, v[4:5], off
	s_mov_b64 s[6:7], 0
	s_waitcnt vmcnt(0)
	v_cvt_f32_u32_e32 v0, v0
	s_branch .LBB195_452
.LBB195_450:
	s_mov_b64 s[6:7], -1
                                        ; implicit-def: $vgpr0
	s_branch .LBB195_455
.LBB195_451:
	s_mov_b64 s[6:7], -1
                                        ; implicit-def: $vgpr0
.LBB195_452:
	s_andn2_b64 vcc, exec, s[6:7]
	s_cbranch_vccnz .LBB195_454
; %bb.453:
	global_load_ushort v0, v[4:5], off
	s_waitcnt vmcnt(0)
	v_cvt_f32_u32_e32 v0, v0
.LBB195_454:
	s_mov_b64 s[6:7], 0
.LBB195_455:
	s_andn2_b64 vcc, exec, s[6:7]
	s_cbranch_vccnz .LBB195_463
; %bb.456:
	global_load_ubyte v1, v[4:5], off
	s_movk_i32 s6, 0x7f
                                        ; implicit-def: $sgpr12
	s_waitcnt vmcnt(0)
	v_cmp_lt_i16_e32 vcc, s6, v1
	s_mov_b64 s[6:7], 0
	s_and_saveexec_b64 s[8:9], vcc
	s_xor_b64 s[8:9], exec, s[8:9]
	s_cbranch_execz .LBB195_477
; %bb.457:
	s_movk_i32 s6, 0x80
	v_cmp_eq_u16_e32 vcc, s6, v1
	s_mov_b64 s[6:7], -1
                                        ; implicit-def: $sgpr12
	s_and_saveexec_b64 s[10:11], vcc
; %bb.458:
	s_mov_b32 s12, 0x7f800001
	s_xor_b64 s[6:7], exec, -1
; %bb.459:
	s_or_b64 exec, exec, s[10:11]
	s_and_b64 s[6:7], s[6:7], exec
	s_or_saveexec_b64 s[8:9], s[8:9]
	v_mov_b32_e32 v0, s12
	s_xor_b64 exec, exec, s[8:9]
	s_cbranch_execnz .LBB195_478
.LBB195_460:
	s_or_b64 exec, exec, s[8:9]
	s_and_saveexec_b64 s[8:9], s[6:7]
	s_cbranch_execz .LBB195_462
.LBB195_461:
	v_lshlrev_b32_e32 v0, 24, v1
	v_and_b32_e32 v1, 0xffff, v1
	v_and_b32_e32 v3, 7, v1
	v_ffbh_u32_e32 v7, v3
	v_min_u32_e32 v7, 32, v7
	v_subrev_u32_e32 v8, 28, v7
	v_bfe_u32 v6, v1, 3, 4
	v_lshlrev_b32_e32 v1, v8, v1
	v_sub_u32_e32 v7, 29, v7
	v_and_b32_e32 v1, 7, v1
	v_cmp_eq_u32_e32 vcc, 0, v6
	v_cndmask_b32_e32 v6, v6, v7, vcc
	v_cndmask_b32_e32 v1, v3, v1, vcc
	v_mov_b32_e32 v3, 0x3b800000
	v_lshlrev_b32_e32 v1, 20, v1
	v_and_b32_e32 v0, 0x80000000, v0
	v_lshl_add_u32 v3, v6, 23, v3
	v_or3_b32 v0, v0, v3, v1
.LBB195_462:
	s_or_b64 exec, exec, s[8:9]
.LBB195_463:
	s_mov_b64 s[6:7], -1
.LBB195_464:
	s_mov_b64 s[8:9], 0
.LBB195_465:
	s_and_b64 vcc, exec, s[8:9]
	s_cbranch_vccz .LBB195_500
; %bb.466:
	v_mov_b32_e32 v0, 22
	v_cmp_gt_i16_sdwa s[8:9], v35, v0 src0_sel:BYTE_0 src1_sel:DWORD
	s_and_b64 vcc, exec, s[8:9]
	s_cbranch_vccz .LBB195_476
; %bb.467:
	v_mov_b32_e32 v0, 24
	v_cmp_lt_i16_sdwa s[6:7], v35, v0 src0_sel:BYTE_0 src1_sel:DWORD
	s_and_b64 vcc, exec, s[6:7]
	s_cbranch_vccnz .LBB195_479
; %bb.468:
	v_cmp_gt_i16_sdwa s[6:7], v35, v0 src0_sel:BYTE_0 src1_sel:DWORD
	s_and_b64 vcc, exec, s[6:7]
	s_cbranch_vccz .LBB195_480
; %bb.469:
	global_load_ubyte v1, v[4:5], off
	s_movk_i32 s6, 0x7f
                                        ; implicit-def: $sgpr12
	s_waitcnt vmcnt(0)
	v_cmp_lt_i16_e32 vcc, s6, v1
	s_mov_b64 s[6:7], 0
	s_and_saveexec_b64 s[8:9], vcc
	s_xor_b64 s[8:9], exec, s[8:9]
	s_cbranch_execz .LBB195_492
; %bb.470:
	s_movk_i32 s6, 0x80
	v_cmp_eq_u16_e32 vcc, s6, v1
	s_mov_b64 s[6:7], -1
                                        ; implicit-def: $sgpr12
	s_and_saveexec_b64 s[10:11], vcc
; %bb.471:
	s_mov_b32 s12, 0x7f800001
	s_xor_b64 s[6:7], exec, -1
; %bb.472:
	s_or_b64 exec, exec, s[10:11]
	s_and_b64 s[6:7], s[6:7], exec
	s_or_saveexec_b64 s[8:9], s[8:9]
	v_mov_b32_e32 v0, s12
	s_xor_b64 exec, exec, s[8:9]
	s_cbranch_execnz .LBB195_493
.LBB195_473:
	s_or_b64 exec, exec, s[8:9]
	s_and_saveexec_b64 s[8:9], s[6:7]
	s_cbranch_execz .LBB195_475
.LBB195_474:
	v_lshlrev_b32_e32 v0, 24, v1
	v_and_b32_e32 v1, 0xffff, v1
	v_and_b32_e32 v3, 3, v1
	v_ffbh_u32_e32 v7, v3
	v_min_u32_e32 v7, 32, v7
	v_subrev_u32_e32 v8, 29, v7
	v_bfe_u32 v6, v1, 2, 5
	v_lshlrev_b32_e32 v1, v8, v1
	v_sub_u32_e32 v7, 30, v7
	v_and_b32_e32 v1, 3, v1
	v_cmp_eq_u32_e32 vcc, 0, v6
	v_cndmask_b32_e32 v6, v6, v7, vcc
	v_cndmask_b32_e32 v1, v3, v1, vcc
	v_mov_b32_e32 v3, 0x37800000
	v_lshlrev_b32_e32 v1, 21, v1
	v_and_b32_e32 v0, 0x80000000, v0
	v_lshl_add_u32 v3, v6, 23, v3
	v_or3_b32 v0, v0, v3, v1
.LBB195_475:
	s_or_b64 exec, exec, s[8:9]
	s_mov_b64 s[6:7], 0
	s_branch .LBB195_481
.LBB195_476:
	s_mov_b64 s[8:9], -1
                                        ; implicit-def: $vgpr0
	s_branch .LBB195_487
.LBB195_477:
	s_or_saveexec_b64 s[8:9], s[8:9]
	v_mov_b32_e32 v0, s12
	s_xor_b64 exec, exec, s[8:9]
	s_cbranch_execz .LBB195_460
.LBB195_478:
	v_cmp_ne_u16_e32 vcc, 0, v1
	s_andn2_b64 s[6:7], s[6:7], exec
	s_and_b64 s[10:11], vcc, exec
	v_mov_b32_e32 v0, 0
	s_or_b64 s[6:7], s[6:7], s[10:11]
	s_or_b64 exec, exec, s[8:9]
	s_and_saveexec_b64 s[8:9], s[6:7]
	s_cbranch_execnz .LBB195_461
	s_branch .LBB195_462
.LBB195_479:
	s_mov_b64 s[6:7], -1
                                        ; implicit-def: $vgpr0
	s_branch .LBB195_484
.LBB195_480:
	s_mov_b64 s[6:7], -1
                                        ; implicit-def: $vgpr0
.LBB195_481:
	s_and_b64 vcc, exec, s[6:7]
	s_cbranch_vccz .LBB195_483
; %bb.482:
	global_load_ubyte v0, v[4:5], off
	s_mov_b32 s6, 0x7f800000
	s_waitcnt vmcnt(0)
	v_lshlrev_b32_e32 v0, 24, v0
	v_and_b32_e32 v1, 0x7f000000, v0
	v_ffbh_u32_e32 v3, v1
	v_min_u32_e32 v3, 32, v3
	v_sub_u32_e64 v3, v3, 4 clamp
	v_lshlrev_b32_e32 v7, v3, v1
	v_lshlrev_b32_e32 v3, 23, v3
	v_lshrrev_b32_e32 v7, 4, v7
	v_add_u32_e32 v6, 0x1000000, v1
	v_sub_u32_e32 v3, v7, v3
	v_ashrrev_i32_e32 v6, 8, v6
	v_add_u32_e32 v3, 0x3c000000, v3
	v_and_or_b32 v3, v6, s6, v3
	v_cmp_ne_u32_e32 vcc, 0, v1
	v_cndmask_b32_e32 v1, 0, v3, vcc
	s_brev_b32 s6, 1
	v_and_or_b32 v0, v0, s6, v1
.LBB195_483:
	s_mov_b64 s[6:7], 0
.LBB195_484:
	s_andn2_b64 vcc, exec, s[6:7]
	s_cbranch_vccnz .LBB195_486
; %bb.485:
	global_load_ubyte v0, v[4:5], off
	s_movk_i32 s6, 0x7f00
	s_brev_b32 s7, 16
	s_waitcnt vmcnt(0)
	v_lshlrev_b16_e32 v1, 8, v0
	v_lshlrev_b32_e32 v0, 25, v0
	v_lshrrev_b32_e32 v3, 4, v0
	v_and_or_b32 v6, v1, s6, 0.5
	v_or_b32_e32 v3, 0x70000000, v3
	v_add_f32_e32 v6, -0.5, v6
	v_mul_f32_e32 v3, 0x7800000, v3
	v_cmp_gt_u32_e32 vcc, s7, v0
	v_bfe_i32 v1, v1, 0, 16
	v_cndmask_b32_e32 v0, v3, v6, vcc
	s_brev_b32 s6, 1
	v_and_or_b32 v0, v1, s6, v0
.LBB195_486:
	s_mov_b64 s[8:9], 0
	s_mov_b64 s[6:7], -1
.LBB195_487:
	s_andn2_b64 vcc, exec, s[8:9]
	s_cbranch_vccnz .LBB195_500
; %bb.488:
	v_mov_b32_e32 v0, 14
	v_cmp_gt_i16_sdwa s[8:9], v35, v0 src0_sel:BYTE_0 src1_sel:DWORD
	s_and_b64 vcc, exec, s[8:9]
	s_cbranch_vccz .LBB195_491
; %bb.489:
	v_mov_b32_e32 v0, 15
	v_cmp_eq_u16_sdwa s[8:9], v35, v0 src0_sel:BYTE_0 src1_sel:DWORD
	s_and_b64 vcc, exec, s[8:9]
	s_cbranch_vccz .LBB195_494
; %bb.490:
	global_load_ushort v0, v[4:5], off
	s_mov_b64 s[6:7], -1
	s_mov_b64 s[64:65], 0
	s_waitcnt vmcnt(0)
	v_lshlrev_b32_e32 v0, 16, v0
	s_branch .LBB195_495
.LBB195_491:
	s_mov_b64 s[8:9], -1
                                        ; implicit-def: $vgpr0
	s_branch .LBB195_496
.LBB195_492:
	s_or_saveexec_b64 s[8:9], s[8:9]
	v_mov_b32_e32 v0, s12
	s_xor_b64 exec, exec, s[8:9]
	s_cbranch_execz .LBB195_473
.LBB195_493:
	v_cmp_ne_u16_e32 vcc, 0, v1
	s_andn2_b64 s[6:7], s[6:7], exec
	s_and_b64 s[10:11], vcc, exec
	v_mov_b32_e32 v0, 0
	s_or_b64 s[6:7], s[6:7], s[10:11]
	s_or_b64 exec, exec, s[8:9]
	s_and_saveexec_b64 s[8:9], s[6:7]
	s_cbranch_execnz .LBB195_474
	s_branch .LBB195_475
.LBB195_494:
	s_mov_b64 s[64:65], -1
                                        ; implicit-def: $vgpr0
.LBB195_495:
	s_mov_b64 s[8:9], 0
.LBB195_496:
	s_and_b64 vcc, exec, s[8:9]
	s_cbranch_vccz .LBB195_500
; %bb.497:
	v_mov_b32_e32 v0, 11
	v_cmp_eq_u16_sdwa s[8:9], v35, v0 src0_sel:BYTE_0 src1_sel:DWORD
	s_and_b64 vcc, exec, s[8:9]
	s_cbranch_vccz .LBB195_499
; %bb.498:
	global_load_ubyte v0, v[4:5], off
	s_mov_b64 s[6:7], -1
	s_mov_b64 s[64:65], 0
	s_waitcnt vmcnt(0)
	v_cmp_ne_u16_e32 vcc, 0, v0
	v_cndmask_b32_e64 v0, 0, 1.0, vcc
	s_branch .LBB195_500
.LBB195_499:
	s_mov_b64 s[64:65], -1
                                        ; implicit-def: $vgpr0
.LBB195_500:
	s_branch .LBB195_416
.LBB195_501:
	v_mov_b32_e32 v0, 5
	v_cmp_lt_i16_sdwa s[6:7], v35, v0 src0_sel:BYTE_0 src1_sel:DWORD
	s_and_b64 vcc, exec, s[6:7]
	s_cbranch_vccnz .LBB195_506
; %bb.502:
	v_mov_b32_e32 v0, 8
	v_cmp_lt_i16_sdwa s[6:7], v35, v0 src0_sel:BYTE_0 src1_sel:DWORD
	s_and_b64 vcc, exec, s[6:7]
	s_cbranch_vccnz .LBB195_507
; %bb.503:
	;; [unrolled: 5-line block ×3, first 2 shown]
	v_cmp_gt_i16_sdwa s[6:7], v35, v0 src0_sel:BYTE_0 src1_sel:DWORD
	s_and_b64 vcc, exec, s[6:7]
	s_cbranch_vccz .LBB195_509
; %bb.505:
	global_load_dwordx2 v[0:1], v[4:5], off
	s_mov_b64 s[6:7], 0
	s_waitcnt vmcnt(0)
	v_cvt_f32_f64_e32 v0, v[0:1]
	s_branch .LBB195_510
.LBB195_506:
	s_mov_b64 s[6:7], -1
                                        ; implicit-def: $vgpr0
	s_branch .LBB195_528
.LBB195_507:
	s_mov_b64 s[6:7], -1
                                        ; implicit-def: $vgpr0
	s_branch .LBB195_516
.LBB195_508:
	s_mov_b64 s[6:7], -1
                                        ; implicit-def: $vgpr0
	s_branch .LBB195_513
.LBB195_509:
	s_mov_b64 s[6:7], -1
                                        ; implicit-def: $vgpr0
.LBB195_510:
	s_andn2_b64 vcc, exec, s[6:7]
	s_cbranch_vccnz .LBB195_512
; %bb.511:
	global_load_dword v0, v[4:5], off
.LBB195_512:
	s_mov_b64 s[6:7], 0
.LBB195_513:
	s_andn2_b64 vcc, exec, s[6:7]
	s_cbranch_vccnz .LBB195_515
; %bb.514:
	global_load_dword v0, v[4:5], off
	s_waitcnt vmcnt(0)
	v_cvt_f32_f16_e32 v0, v0
.LBB195_515:
	s_mov_b64 s[6:7], 0
.LBB195_516:
	s_andn2_b64 vcc, exec, s[6:7]
	s_cbranch_vccnz .LBB195_527
; %bb.517:
	s_waitcnt vmcnt(0)
	v_mov_b32_e32 v0, 6
	v_cmp_lt_i16_sdwa s[6:7], v35, v0 src0_sel:BYTE_0 src1_sel:DWORD
	s_and_b64 vcc, exec, s[6:7]
	s_cbranch_vccnz .LBB195_520
; %bb.518:
	v_cmp_gt_i16_sdwa s[6:7], v35, v0 src0_sel:BYTE_0 src1_sel:DWORD
	s_and_b64 vcc, exec, s[6:7]
	s_cbranch_vccz .LBB195_521
; %bb.519:
	global_load_dwordx2 v[0:1], v[4:5], off
	s_mov_b64 s[6:7], 0
	s_waitcnt vmcnt(0)
	v_cvt_f32_f64_e32 v0, v[0:1]
	s_branch .LBB195_522
.LBB195_520:
	s_mov_b64 s[6:7], -1
                                        ; implicit-def: $vgpr0
	s_branch .LBB195_525
.LBB195_521:
	s_mov_b64 s[6:7], -1
                                        ; implicit-def: $vgpr0
.LBB195_522:
	s_andn2_b64 vcc, exec, s[6:7]
	s_cbranch_vccnz .LBB195_524
; %bb.523:
	global_load_dword v0, v[4:5], off
.LBB195_524:
	s_mov_b64 s[6:7], 0
.LBB195_525:
	s_andn2_b64 vcc, exec, s[6:7]
	s_cbranch_vccnz .LBB195_527
; %bb.526:
	global_load_ushort v0, v[4:5], off
	s_waitcnt vmcnt(0)
	v_cvt_f32_f16_e32 v0, v0
.LBB195_527:
	s_mov_b64 s[6:7], 0
.LBB195_528:
	s_andn2_b64 vcc, exec, s[6:7]
	s_cbranch_vccnz .LBB195_548
; %bb.529:
	s_waitcnt vmcnt(0)
	v_mov_b32_e32 v0, 2
	v_cmp_lt_i16_sdwa s[6:7], v35, v0 src0_sel:BYTE_0 src1_sel:DWORD
	s_and_b64 vcc, exec, s[6:7]
	s_cbranch_vccnz .LBB195_533
; %bb.530:
	v_mov_b32_e32 v0, 3
	v_cmp_lt_i16_sdwa s[6:7], v35, v0 src0_sel:BYTE_0 src1_sel:DWORD
	s_and_b64 vcc, exec, s[6:7]
	s_cbranch_vccnz .LBB195_534
; %bb.531:
	v_cmp_gt_i16_sdwa s[6:7], v35, v0 src0_sel:BYTE_0 src1_sel:DWORD
	s_and_b64 vcc, exec, s[6:7]
	s_cbranch_vccz .LBB195_535
; %bb.532:
	global_load_dwordx2 v[0:1], v[4:5], off
	s_mov_b64 s[6:7], 0
	s_waitcnt vmcnt(0)
	v_xor_b32_e32 v6, v0, v1
	v_ffbh_i32_e32 v3, v1
	v_ashrrev_i32_e32 v6, 31, v6
	v_add_u32_e32 v3, -1, v3
	v_add_u32_e32 v6, 32, v6
	v_min_u32_e32 v3, v3, v6
	v_lshlrev_b64 v[0:1], v3, v[0:1]
	v_min_u32_e32 v0, 1, v0
	v_or_b32_e32 v0, v1, v0
	v_cvt_f32_i32_e32 v0, v0
	v_sub_u32_e32 v1, 32, v3
	v_ldexp_f32 v0, v0, v1
	s_branch .LBB195_536
.LBB195_533:
	s_mov_b64 s[6:7], -1
                                        ; implicit-def: $vgpr0
	s_branch .LBB195_542
.LBB195_534:
	s_mov_b64 s[6:7], -1
                                        ; implicit-def: $vgpr0
	s_branch .LBB195_539
.LBB195_535:
	s_mov_b64 s[6:7], -1
                                        ; implicit-def: $vgpr0
.LBB195_536:
	s_andn2_b64 vcc, exec, s[6:7]
	s_cbranch_vccnz .LBB195_538
; %bb.537:
	global_load_dword v0, v[4:5], off
	s_waitcnt vmcnt(0)
	v_cvt_f32_i32_e32 v0, v0
.LBB195_538:
	s_mov_b64 s[6:7], 0
.LBB195_539:
	s_andn2_b64 vcc, exec, s[6:7]
	s_cbranch_vccnz .LBB195_541
; %bb.540:
	global_load_sshort v0, v[4:5], off
	s_waitcnt vmcnt(0)
	v_cvt_f32_i32_e32 v0, v0
.LBB195_541:
	s_mov_b64 s[6:7], 0
.LBB195_542:
	s_andn2_b64 vcc, exec, s[6:7]
	s_cbranch_vccnz .LBB195_548
; %bb.543:
	v_mov_b32_e32 v0, 0
	v_cmp_gt_i16_sdwa s[6:7], v35, v0 src0_sel:BYTE_0 src1_sel:DWORD
	s_and_b64 vcc, exec, s[6:7]
	s_cbranch_vccz .LBB195_545
; %bb.544:
	global_load_sbyte v0, v[4:5], off
	s_mov_b64 s[6:7], 0
	s_waitcnt vmcnt(0)
	v_cvt_f32_i32_e32 v0, v0
	s_branch .LBB195_546
.LBB195_545:
	s_mov_b64 s[6:7], -1
                                        ; implicit-def: $vgpr0
.LBB195_546:
	s_andn2_b64 vcc, exec, s[6:7]
	s_cbranch_vccnz .LBB195_548
; %bb.547:
	global_load_ubyte v0, v[4:5], off
	s_waitcnt vmcnt(0)
	v_cvt_f32_ubyte0_e32 v0, v0
.LBB195_548:
	s_branch .LBB195_417
.LBB195_549:
	s_mov_b64 s[8:9], 0
	s_mov_b64 s[6:7], s[56:57]
	;; [unrolled: 1-line block ×3, first 2 shown]
.LBB195_550:
                                        ; implicit-def: $vgpr34
	s_branch .LBB195_792
.LBB195_551:
	s_or_saveexec_b64 s[12:13], s[12:13]
                                        ; implicit-def: $sgpr14
	s_xor_b64 exec, exec, s[12:13]
	s_cbranch_execz .LBB195_203
.LBB195_552:
	s_mov_b32 s14, 0x42800000
	v_add_f32_e64 v1, |v0|, s14
	v_and_b32_e32 v1, 0xff, v1
	v_cmp_ne_u32_e32 vcc, 0, v1
	s_andn2_b64 s[10:11], s[10:11], exec
	s_and_b64 s[16:17], vcc, exec
	s_mov_b32 s14, 0
	s_or_b64 s[10:11], s[10:11], s[16:17]
	s_or_b64 exec, exec, s[12:13]
	v_mov_b32_e32 v4, s14
	s_and_saveexec_b64 s[12:13], s[10:11]
	s_cbranch_execnz .LBB195_204
	s_branch .LBB195_205
.LBB195_553:
	s_mov_b64 s[66:67], -1
                                        ; implicit-def: $vgpr1
	s_mov_b64 s[6:7], 0
.LBB195_554:
	s_and_b64 vcc, exec, s[8:9]
	s_cbranch_vccz .LBB195_558
; %bb.555:
	v_mov_b32_e32 v1, 44
	v_cmp_eq_u16_sdwa s[8:9], v33, v1 src0_sel:BYTE_0 src1_sel:DWORD
	s_and_b64 vcc, exec, s[8:9]
	s_cbranch_vccz .LBB195_557
; %bb.556:
	global_load_ubyte v1, v[2:3], off
	s_movk_i32 s8, 0xff
	v_mov_b32_e32 v4, 0x7f800001
	v_mov_b32_e32 v5, 0x400000
	s_mov_b64 s[6:7], -1
	s_mov_b64 s[66:67], 0
	s_waitcnt vmcnt(0)
	v_lshlrev_b32_e32 v6, 23, v1
	v_cmp_ne_u32_e32 vcc, s8, v1
	v_cndmask_b32_e32 v4, v4, v6, vcc
	v_cmp_ne_u32_e32 vcc, 0, v1
	v_cndmask_b32_e32 v1, v5, v4, vcc
	s_branch .LBB195_558
.LBB195_557:
	s_mov_b64 s[66:67], -1
                                        ; implicit-def: $vgpr1
.LBB195_558:
	s_mov_b64 s[8:9], 0
.LBB195_559:
	s_and_b64 vcc, exec, s[8:9]
	s_cbranch_vccz .LBB195_563
; %bb.560:
	v_mov_b32_e32 v1, 29
	v_cmp_eq_u16_sdwa s[8:9], v33, v1 src0_sel:BYTE_0 src1_sel:DWORD
	s_and_b64 vcc, exec, s[8:9]
	s_cbranch_vccz .LBB195_562
; %bb.561:
	global_load_dwordx2 v[4:5], v[2:3], off
	s_mov_b64 s[6:7], -1
	s_mov_b64 s[66:67], 0
	s_mov_b64 s[8:9], 0
	s_waitcnt vmcnt(0)
	v_ffbh_u32_e32 v1, v5
	v_min_u32_e32 v1, 32, v1
	v_lshlrev_b64 v[4:5], v1, v[4:5]
	v_min_u32_e32 v4, 1, v4
	v_or_b32_e32 v4, v5, v4
	v_cvt_f32_u32_e32 v4, v4
	v_sub_u32_e32 v1, 32, v1
	v_ldexp_f32 v1, v4, v1
	s_branch .LBB195_564
.LBB195_562:
	s_mov_b64 s[66:67], -1
                                        ; implicit-def: $vgpr1
.LBB195_563:
	s_mov_b64 s[8:9], 0
.LBB195_564:
	s_and_b64 vcc, exec, s[8:9]
	s_cbranch_vccz .LBB195_582
; %bb.565:
	v_mov_b32_e32 v1, 27
	v_cmp_lt_i16_sdwa s[6:7], v33, v1 src0_sel:BYTE_0 src1_sel:DWORD
	s_and_b64 vcc, exec, s[6:7]
	s_cbranch_vccnz .LBB195_568
; %bb.566:
	v_cmp_gt_i16_sdwa s[6:7], v33, v1 src0_sel:BYTE_0 src1_sel:DWORD
	s_and_b64 vcc, exec, s[6:7]
	s_cbranch_vccz .LBB195_569
; %bb.567:
	global_load_dword v1, v[2:3], off
	s_mov_b64 s[6:7], 0
	s_waitcnt vmcnt(0)
	v_cvt_f32_u32_e32 v1, v1
	s_branch .LBB195_570
.LBB195_568:
	s_mov_b64 s[6:7], -1
                                        ; implicit-def: $vgpr1
	s_branch .LBB195_573
.LBB195_569:
	s_mov_b64 s[6:7], -1
                                        ; implicit-def: $vgpr1
.LBB195_570:
	s_andn2_b64 vcc, exec, s[6:7]
	s_cbranch_vccnz .LBB195_572
; %bb.571:
	global_load_ushort v1, v[2:3], off
	s_waitcnt vmcnt(0)
	v_cvt_f32_u32_e32 v1, v1
.LBB195_572:
	s_mov_b64 s[6:7], 0
.LBB195_573:
	s_andn2_b64 vcc, exec, s[6:7]
	s_cbranch_vccnz .LBB195_581
; %bb.574:
	global_load_ubyte v4, v[2:3], off
	s_movk_i32 s6, 0x7f
                                        ; implicit-def: $sgpr12
	s_waitcnt vmcnt(0)
	v_cmp_lt_i16_e32 vcc, s6, v4
	s_mov_b64 s[6:7], 0
	s_and_saveexec_b64 s[8:9], vcc
	s_xor_b64 s[8:9], exec, s[8:9]
	s_cbranch_execz .LBB195_595
; %bb.575:
	s_movk_i32 s6, 0x80
	v_cmp_eq_u16_e32 vcc, s6, v4
	s_mov_b64 s[6:7], -1
                                        ; implicit-def: $sgpr12
	s_and_saveexec_b64 s[10:11], vcc
; %bb.576:
	s_mov_b32 s12, 0x7f800001
	s_xor_b64 s[6:7], exec, -1
; %bb.577:
	s_or_b64 exec, exec, s[10:11]
	s_and_b64 s[6:7], s[6:7], exec
	s_or_saveexec_b64 s[8:9], s[8:9]
	v_mov_b32_e32 v1, s12
	s_xor_b64 exec, exec, s[8:9]
	s_cbranch_execnz .LBB195_596
.LBB195_578:
	s_or_b64 exec, exec, s[8:9]
	s_and_saveexec_b64 s[8:9], s[6:7]
	s_cbranch_execz .LBB195_580
.LBB195_579:
	v_lshlrev_b32_e32 v1, 24, v4
	v_and_b32_e32 v4, 0xffff, v4
	v_and_b32_e32 v5, 7, v4
	v_ffbh_u32_e32 v7, v5
	v_min_u32_e32 v7, 32, v7
	v_subrev_u32_e32 v8, 28, v7
	v_bfe_u32 v6, v4, 3, 4
	v_lshlrev_b32_e32 v4, v8, v4
	v_sub_u32_e32 v7, 29, v7
	v_and_b32_e32 v4, 7, v4
	v_cmp_eq_u32_e32 vcc, 0, v6
	v_cndmask_b32_e32 v6, v6, v7, vcc
	v_cndmask_b32_e32 v4, v5, v4, vcc
	v_mov_b32_e32 v5, 0x3b800000
	v_lshlrev_b32_e32 v4, 20, v4
	v_and_b32_e32 v1, 0x80000000, v1
	v_lshl_add_u32 v5, v6, 23, v5
	v_or3_b32 v1, v1, v5, v4
.LBB195_580:
	s_or_b64 exec, exec, s[8:9]
.LBB195_581:
	s_mov_b64 s[6:7], -1
.LBB195_582:
	s_mov_b64 s[8:9], 0
.LBB195_583:
	s_and_b64 vcc, exec, s[8:9]
	s_cbranch_vccz .LBB195_618
; %bb.584:
	v_mov_b32_e32 v1, 22
	v_cmp_gt_i16_sdwa s[8:9], v33, v1 src0_sel:BYTE_0 src1_sel:DWORD
	s_and_b64 vcc, exec, s[8:9]
	s_cbranch_vccz .LBB195_594
; %bb.585:
	v_mov_b32_e32 v1, 24
	v_cmp_lt_i16_sdwa s[6:7], v33, v1 src0_sel:BYTE_0 src1_sel:DWORD
	s_and_b64 vcc, exec, s[6:7]
	s_cbranch_vccnz .LBB195_597
; %bb.586:
	v_cmp_gt_i16_sdwa s[6:7], v33, v1 src0_sel:BYTE_0 src1_sel:DWORD
	s_and_b64 vcc, exec, s[6:7]
	s_cbranch_vccz .LBB195_598
; %bb.587:
	global_load_ubyte v4, v[2:3], off
	s_movk_i32 s6, 0x7f
                                        ; implicit-def: $sgpr12
	s_waitcnt vmcnt(0)
	v_cmp_lt_i16_e32 vcc, s6, v4
	s_mov_b64 s[6:7], 0
	s_and_saveexec_b64 s[8:9], vcc
	s_xor_b64 s[8:9], exec, s[8:9]
	s_cbranch_execz .LBB195_610
; %bb.588:
	s_movk_i32 s6, 0x80
	v_cmp_eq_u16_e32 vcc, s6, v4
	s_mov_b64 s[6:7], -1
                                        ; implicit-def: $sgpr12
	s_and_saveexec_b64 s[10:11], vcc
; %bb.589:
	s_mov_b32 s12, 0x7f800001
	s_xor_b64 s[6:7], exec, -1
; %bb.590:
	s_or_b64 exec, exec, s[10:11]
	s_and_b64 s[6:7], s[6:7], exec
	s_or_saveexec_b64 s[8:9], s[8:9]
	v_mov_b32_e32 v1, s12
	s_xor_b64 exec, exec, s[8:9]
	s_cbranch_execnz .LBB195_611
.LBB195_591:
	s_or_b64 exec, exec, s[8:9]
	s_and_saveexec_b64 s[8:9], s[6:7]
	s_cbranch_execz .LBB195_593
.LBB195_592:
	v_lshlrev_b32_e32 v1, 24, v4
	v_and_b32_e32 v4, 0xffff, v4
	v_and_b32_e32 v5, 3, v4
	v_ffbh_u32_e32 v7, v5
	v_min_u32_e32 v7, 32, v7
	v_subrev_u32_e32 v8, 29, v7
	v_bfe_u32 v6, v4, 2, 5
	v_lshlrev_b32_e32 v4, v8, v4
	v_sub_u32_e32 v7, 30, v7
	v_and_b32_e32 v4, 3, v4
	v_cmp_eq_u32_e32 vcc, 0, v6
	v_cndmask_b32_e32 v6, v6, v7, vcc
	v_cndmask_b32_e32 v4, v5, v4, vcc
	v_mov_b32_e32 v5, 0x37800000
	v_lshlrev_b32_e32 v4, 21, v4
	v_and_b32_e32 v1, 0x80000000, v1
	v_lshl_add_u32 v5, v6, 23, v5
	v_or3_b32 v1, v1, v5, v4
.LBB195_593:
	s_or_b64 exec, exec, s[8:9]
	s_mov_b64 s[6:7], 0
	s_branch .LBB195_599
.LBB195_594:
	s_mov_b64 s[8:9], -1
                                        ; implicit-def: $vgpr1
	s_branch .LBB195_605
.LBB195_595:
	s_or_saveexec_b64 s[8:9], s[8:9]
	v_mov_b32_e32 v1, s12
	s_xor_b64 exec, exec, s[8:9]
	s_cbranch_execz .LBB195_578
.LBB195_596:
	v_cmp_ne_u16_e32 vcc, 0, v4
	s_andn2_b64 s[6:7], s[6:7], exec
	s_and_b64 s[10:11], vcc, exec
	v_mov_b32_e32 v1, 0
	s_or_b64 s[6:7], s[6:7], s[10:11]
	s_or_b64 exec, exec, s[8:9]
	s_and_saveexec_b64 s[8:9], s[6:7]
	s_cbranch_execnz .LBB195_579
	s_branch .LBB195_580
.LBB195_597:
	s_mov_b64 s[6:7], -1
                                        ; implicit-def: $vgpr1
	s_branch .LBB195_602
.LBB195_598:
	s_mov_b64 s[6:7], -1
                                        ; implicit-def: $vgpr1
.LBB195_599:
	s_and_b64 vcc, exec, s[6:7]
	s_cbranch_vccz .LBB195_601
; %bb.600:
	global_load_ubyte v1, v[2:3], off
	s_mov_b32 s6, 0x7f800000
	s_waitcnt vmcnt(0)
	v_lshlrev_b32_e32 v1, 24, v1
	v_and_b32_e32 v4, 0x7f000000, v1
	v_ffbh_u32_e32 v5, v4
	v_min_u32_e32 v5, 32, v5
	v_sub_u32_e64 v5, v5, 4 clamp
	v_lshlrev_b32_e32 v7, v5, v4
	v_lshlrev_b32_e32 v5, 23, v5
	v_lshrrev_b32_e32 v7, 4, v7
	v_add_u32_e32 v6, 0x1000000, v4
	v_sub_u32_e32 v5, v7, v5
	v_ashrrev_i32_e32 v6, 8, v6
	v_add_u32_e32 v5, 0x3c000000, v5
	v_and_or_b32 v5, v6, s6, v5
	v_cmp_ne_u32_e32 vcc, 0, v4
	v_cndmask_b32_e32 v4, 0, v5, vcc
	s_brev_b32 s6, 1
	v_and_or_b32 v1, v1, s6, v4
.LBB195_601:
	s_mov_b64 s[6:7], 0
.LBB195_602:
	s_andn2_b64 vcc, exec, s[6:7]
	s_cbranch_vccnz .LBB195_604
; %bb.603:
	global_load_ubyte v1, v[2:3], off
	s_movk_i32 s6, 0x7f00
	s_brev_b32 s7, 16
	s_waitcnt vmcnt(0)
	v_lshlrev_b16_e32 v4, 8, v1
	v_lshlrev_b32_e32 v1, 25, v1
	v_lshrrev_b32_e32 v5, 4, v1
	v_and_or_b32 v6, v4, s6, 0.5
	v_or_b32_e32 v5, 0x70000000, v5
	v_add_f32_e32 v6, -0.5, v6
	v_mul_f32_e32 v5, 0x7800000, v5
	v_cmp_gt_u32_e32 vcc, s7, v1
	v_bfe_i32 v4, v4, 0, 16
	v_cndmask_b32_e32 v1, v5, v6, vcc
	s_brev_b32 s6, 1
	v_and_or_b32 v1, v4, s6, v1
.LBB195_604:
	s_mov_b64 s[8:9], 0
	s_mov_b64 s[6:7], -1
.LBB195_605:
	s_andn2_b64 vcc, exec, s[8:9]
	s_cbranch_vccnz .LBB195_618
; %bb.606:
	v_mov_b32_e32 v1, 14
	v_cmp_gt_i16_sdwa s[8:9], v33, v1 src0_sel:BYTE_0 src1_sel:DWORD
	s_and_b64 vcc, exec, s[8:9]
	s_cbranch_vccz .LBB195_609
; %bb.607:
	v_mov_b32_e32 v1, 15
	v_cmp_eq_u16_sdwa s[8:9], v33, v1 src0_sel:BYTE_0 src1_sel:DWORD
	s_and_b64 vcc, exec, s[8:9]
	s_cbranch_vccz .LBB195_612
; %bb.608:
	global_load_ushort v1, v[2:3], off
	s_mov_b64 s[6:7], -1
	s_mov_b64 s[66:67], 0
	s_waitcnt vmcnt(0)
	v_lshlrev_b32_e32 v1, 16, v1
	s_branch .LBB195_613
.LBB195_609:
	s_mov_b64 s[8:9], -1
                                        ; implicit-def: $vgpr1
	s_branch .LBB195_614
.LBB195_610:
	s_or_saveexec_b64 s[8:9], s[8:9]
	v_mov_b32_e32 v1, s12
	s_xor_b64 exec, exec, s[8:9]
	s_cbranch_execz .LBB195_591
.LBB195_611:
	v_cmp_ne_u16_e32 vcc, 0, v4
	s_andn2_b64 s[6:7], s[6:7], exec
	s_and_b64 s[10:11], vcc, exec
	v_mov_b32_e32 v1, 0
	s_or_b64 s[6:7], s[6:7], s[10:11]
	s_or_b64 exec, exec, s[8:9]
	s_and_saveexec_b64 s[8:9], s[6:7]
	s_cbranch_execnz .LBB195_592
	s_branch .LBB195_593
.LBB195_612:
	s_mov_b64 s[66:67], -1
                                        ; implicit-def: $vgpr1
.LBB195_613:
	s_mov_b64 s[8:9], 0
.LBB195_614:
	s_and_b64 vcc, exec, s[8:9]
	s_cbranch_vccz .LBB195_618
; %bb.615:
	v_mov_b32_e32 v1, 11
	v_cmp_eq_u16_sdwa s[8:9], v33, v1 src0_sel:BYTE_0 src1_sel:DWORD
	s_and_b64 vcc, exec, s[8:9]
	s_cbranch_vccz .LBB195_617
; %bb.616:
	global_load_ubyte v1, v[2:3], off
	s_mov_b64 s[6:7], -1
	s_mov_b64 s[66:67], 0
	s_waitcnt vmcnt(0)
	v_cmp_ne_u16_e32 vcc, 0, v1
	v_cndmask_b32_e64 v1, 0, 1.0, vcc
	s_branch .LBB195_618
.LBB195_617:
	s_mov_b64 s[66:67], -1
                                        ; implicit-def: $vgpr1
.LBB195_618:
	s_mov_b64 s[8:9], 0
.LBB195_619:
	s_and_b64 vcc, exec, s[8:9]
	s_cbranch_vccz .LBB195_668
; %bb.620:
	v_mov_b32_e32 v1, 5
	v_cmp_lt_i16_sdwa s[6:7], v33, v1 src0_sel:BYTE_0 src1_sel:DWORD
	s_and_b64 vcc, exec, s[6:7]
	s_cbranch_vccnz .LBB195_625
; %bb.621:
	v_mov_b32_e32 v1, 8
	v_cmp_lt_i16_sdwa s[6:7], v33, v1 src0_sel:BYTE_0 src1_sel:DWORD
	s_and_b64 vcc, exec, s[6:7]
	s_cbranch_vccnz .LBB195_626
	;; [unrolled: 5-line block ×3, first 2 shown]
; %bb.623:
	v_cmp_gt_i16_sdwa s[6:7], v33, v1 src0_sel:BYTE_0 src1_sel:DWORD
	s_and_b64 vcc, exec, s[6:7]
	s_cbranch_vccz .LBB195_628
; %bb.624:
	global_load_dwordx2 v[4:5], v[2:3], off
	s_mov_b64 s[6:7], 0
	s_waitcnt vmcnt(0)
	v_cvt_f32_f64_e32 v1, v[4:5]
	s_branch .LBB195_629
.LBB195_625:
	s_mov_b64 s[6:7], -1
                                        ; implicit-def: $vgpr1
	s_branch .LBB195_647
.LBB195_626:
	s_mov_b64 s[6:7], -1
                                        ; implicit-def: $vgpr1
	s_branch .LBB195_635
.LBB195_627:
	s_mov_b64 s[6:7], -1
                                        ; implicit-def: $vgpr1
	s_branch .LBB195_632
.LBB195_628:
	s_mov_b64 s[6:7], -1
                                        ; implicit-def: $vgpr1
.LBB195_629:
	s_andn2_b64 vcc, exec, s[6:7]
	s_cbranch_vccnz .LBB195_631
; %bb.630:
	global_load_dword v1, v[2:3], off
.LBB195_631:
	s_mov_b64 s[6:7], 0
.LBB195_632:
	s_andn2_b64 vcc, exec, s[6:7]
	s_cbranch_vccnz .LBB195_634
; %bb.633:
	global_load_dword v1, v[2:3], off
	s_waitcnt vmcnt(0)
	v_cvt_f32_f16_e32 v1, v1
.LBB195_634:
	s_mov_b64 s[6:7], 0
.LBB195_635:
	s_andn2_b64 vcc, exec, s[6:7]
	s_cbranch_vccnz .LBB195_646
; %bb.636:
	s_waitcnt vmcnt(0)
	v_mov_b32_e32 v1, 6
	v_cmp_lt_i16_sdwa s[6:7], v33, v1 src0_sel:BYTE_0 src1_sel:DWORD
	s_and_b64 vcc, exec, s[6:7]
	s_cbranch_vccnz .LBB195_639
; %bb.637:
	v_cmp_gt_i16_sdwa s[6:7], v33, v1 src0_sel:BYTE_0 src1_sel:DWORD
	s_and_b64 vcc, exec, s[6:7]
	s_cbranch_vccz .LBB195_640
; %bb.638:
	global_load_dwordx2 v[4:5], v[2:3], off
	s_mov_b64 s[6:7], 0
	s_waitcnt vmcnt(0)
	v_cvt_f32_f64_e32 v1, v[4:5]
	s_branch .LBB195_641
.LBB195_639:
	s_mov_b64 s[6:7], -1
                                        ; implicit-def: $vgpr1
	s_branch .LBB195_644
.LBB195_640:
	s_mov_b64 s[6:7], -1
                                        ; implicit-def: $vgpr1
.LBB195_641:
	s_andn2_b64 vcc, exec, s[6:7]
	s_cbranch_vccnz .LBB195_643
; %bb.642:
	global_load_dword v1, v[2:3], off
.LBB195_643:
	s_mov_b64 s[6:7], 0
.LBB195_644:
	s_andn2_b64 vcc, exec, s[6:7]
	s_cbranch_vccnz .LBB195_646
; %bb.645:
	global_load_ushort v1, v[2:3], off
	s_waitcnt vmcnt(0)
	v_cvt_f32_f16_e32 v1, v1
.LBB195_646:
	s_mov_b64 s[6:7], 0
.LBB195_647:
	s_andn2_b64 vcc, exec, s[6:7]
	s_cbranch_vccnz .LBB195_667
; %bb.648:
	s_waitcnt vmcnt(0)
	v_mov_b32_e32 v1, 2
	v_cmp_lt_i16_sdwa s[6:7], v33, v1 src0_sel:BYTE_0 src1_sel:DWORD
	s_and_b64 vcc, exec, s[6:7]
	s_cbranch_vccnz .LBB195_652
; %bb.649:
	v_mov_b32_e32 v1, 3
	v_cmp_lt_i16_sdwa s[6:7], v33, v1 src0_sel:BYTE_0 src1_sel:DWORD
	s_and_b64 vcc, exec, s[6:7]
	s_cbranch_vccnz .LBB195_653
; %bb.650:
	v_cmp_gt_i16_sdwa s[6:7], v33, v1 src0_sel:BYTE_0 src1_sel:DWORD
	s_and_b64 vcc, exec, s[6:7]
	s_cbranch_vccz .LBB195_654
; %bb.651:
	global_load_dwordx2 v[4:5], v[2:3], off
	s_mov_b64 s[6:7], 0
	s_waitcnt vmcnt(0)
	v_xor_b32_e32 v6, v4, v5
	v_ffbh_i32_e32 v1, v5
	v_ashrrev_i32_e32 v6, 31, v6
	v_add_u32_e32 v1, -1, v1
	v_add_u32_e32 v6, 32, v6
	v_min_u32_e32 v1, v1, v6
	v_lshlrev_b64 v[4:5], v1, v[4:5]
	v_min_u32_e32 v4, 1, v4
	v_or_b32_e32 v4, v5, v4
	v_cvt_f32_i32_e32 v4, v4
	v_sub_u32_e32 v1, 32, v1
	v_ldexp_f32 v1, v4, v1
	s_branch .LBB195_655
.LBB195_652:
	s_mov_b64 s[6:7], -1
                                        ; implicit-def: $vgpr1
	s_branch .LBB195_661
.LBB195_653:
	s_mov_b64 s[6:7], -1
                                        ; implicit-def: $vgpr1
	s_branch .LBB195_658
.LBB195_654:
	s_mov_b64 s[6:7], -1
                                        ; implicit-def: $vgpr1
.LBB195_655:
	s_andn2_b64 vcc, exec, s[6:7]
	s_cbranch_vccnz .LBB195_657
; %bb.656:
	global_load_dword v1, v[2:3], off
	s_waitcnt vmcnt(0)
	v_cvt_f32_i32_e32 v1, v1
.LBB195_657:
	s_mov_b64 s[6:7], 0
.LBB195_658:
	s_andn2_b64 vcc, exec, s[6:7]
	s_cbranch_vccnz .LBB195_660
; %bb.659:
	global_load_sshort v1, v[2:3], off
	s_waitcnt vmcnt(0)
	v_cvt_f32_i32_e32 v1, v1
.LBB195_660:
	s_mov_b64 s[6:7], 0
.LBB195_661:
	s_andn2_b64 vcc, exec, s[6:7]
	s_cbranch_vccnz .LBB195_667
; %bb.662:
	v_mov_b32_e32 v1, 0
	v_cmp_gt_i16_sdwa s[6:7], v33, v1 src0_sel:BYTE_0 src1_sel:DWORD
	s_and_b64 vcc, exec, s[6:7]
	s_cbranch_vccz .LBB195_664
; %bb.663:
	global_load_sbyte v1, v[2:3], off
	s_mov_b64 s[6:7], 0
	s_waitcnt vmcnt(0)
	v_cvt_f32_i32_e32 v1, v1
	s_branch .LBB195_665
.LBB195_664:
	s_mov_b64 s[6:7], -1
                                        ; implicit-def: $vgpr1
.LBB195_665:
	s_andn2_b64 vcc, exec, s[6:7]
	s_cbranch_vccnz .LBB195_667
; %bb.666:
	global_load_ubyte v1, v[2:3], off
	s_waitcnt vmcnt(0)
	v_cvt_f32_ubyte0_e32 v1, v1
.LBB195_667:
	s_mov_b64 s[6:7], -1
.LBB195_668:
	s_andn2_b64 vcc, exec, s[6:7]
	s_cbranch_vccnz .LBB195_676
; %bb.669:
	s_mov_b64 s[68:69], s[4:5]
	s_getpc_b64 s[4:5]
	s_add_u32 s4, s4, _ZZZZN2at6native33launch_standard_gamma_grad_kernelERNS_18TensorIteratorBaseEENKUlvE_clEvENKUlvE0_clEvENKUlffE_clEff@rel32@lo+4
	s_addc_u32 s5, s5, _ZZZZN2at6native33launch_standard_gamma_grad_kernelERNS_18TensorIteratorBaseEENKUlvE_clEvENKUlvE0_clEvENKUlffE_clEff@rel32@hi+12
	s_swappc_b64 s[30:31], s[4:5]
	v_mov_b32_e32 v1, s25
	v_add_co_u32_e32 v2, vcc, s24, v30
	v_addc_co_u32_e32 v3, vcc, 0, v1, vcc
	v_mov_b32_e32 v1, 11
	v_cmp_lt_i16_sdwa s[4:5], v32, v1 src0_sel:BYTE_0 src1_sel:DWORD
	s_and_b64 vcc, exec, s[4:5]
	s_cbranch_vccnz .LBB195_677
; %bb.670:
	v_mov_b32_e32 v1, 25
	v_cmp_gt_i16_sdwa s[4:5], v32, v1 src0_sel:BYTE_0 src1_sel:DWORD
	s_and_b64 vcc, exec, s[4:5]
	s_cbranch_vccz .LBB195_678
; %bb.671:
	v_mov_b32_e32 v1, 28
	v_cmp_gt_i16_sdwa s[4:5], v32, v1 src0_sel:BYTE_0 src1_sel:DWORD
	s_and_b64 vcc, exec, s[4:5]
	s_mov_b64 s[4:5], s[68:69]
	s_cbranch_vccz .LBB195_679
; %bb.672:
	v_mov_b32_e32 v1, 43
	v_cmp_gt_i16_sdwa s[6:7], v32, v1 src0_sel:BYTE_0 src1_sel:DWORD
	s_and_b64 vcc, exec, s[6:7]
	s_cbranch_vccz .LBB195_680
; %bb.673:
	v_mov_b32_e32 v1, 45
	v_cmp_gt_i16_sdwa s[6:7], v32, v1 src0_sel:BYTE_0 src1_sel:DWORD
	s_and_b64 vcc, exec, s[6:7]
	s_cbranch_vccz .LBB195_681
; %bb.674:
	v_mov_b32_e32 v1, 46
	v_cmp_eq_u16_sdwa s[8:9], v32, v1 src0_sel:BYTE_0 src1_sel:DWORD
	s_mov_b64 s[10:11], 0
	s_mov_b64 s[6:7], -1
	s_and_b64 vcc, exec, s[8:9]
	s_mov_b64 s[8:9], 0
	s_cbranch_vccz .LBB195_682
; %bb.675:
	v_bfe_u32 v1, v0, 16, 1
	s_movk_i32 s6, 0x7fff
	v_add3_u32 v1, v0, v1, s6
	v_lshrrev_b32_e32 v1, 16, v1
	v_mov_b32_e32 v4, 0x7fc0
	v_cmp_o_f32_e32 vcc, v0, v0
	v_cndmask_b32_e32 v1, v4, v1, vcc
	global_store_dword v[2:3], v1, off
	s_mov_b64 s[8:9], -1
	s_mov_b64 s[6:7], 0
	s_branch .LBB195_682
.LBB195_676:
	s_mov_b64 s[8:9], 0
                                        ; implicit-def: $vgpr34
	s_mov_b64 s[6:7], s[56:57]
	s_branch .LBB195_792
.LBB195_677:
	s_mov_b64 s[10:11], -1
	s_mov_b64 s[8:9], 0
	s_mov_b64 s[6:7], s[56:57]
	;; [unrolled: 1-line block ×3, first 2 shown]
	s_branch .LBB195_751
.LBB195_678:
	s_mov_b64 s[10:11], -1
	s_mov_b64 s[8:9], 0
	s_mov_b64 s[6:7], s[56:57]
	;; [unrolled: 1-line block ×3, first 2 shown]
	s_branch .LBB195_709
.LBB195_679:
	s_mov_b64 s[10:11], -1
	s_mov_b64 s[8:9], 0
	s_mov_b64 s[6:7], s[56:57]
	s_branch .LBB195_692
.LBB195_680:
	s_mov_b64 s[10:11], -1
	s_mov_b64 s[8:9], 0
	s_mov_b64 s[6:7], s[56:57]
	s_branch .LBB195_688
.LBB195_681:
	s_mov_b64 s[10:11], -1
	s_mov_b64 s[8:9], 0
	s_mov_b64 s[6:7], s[56:57]
.LBB195_682:
	s_and_b64 vcc, exec, s[10:11]
	s_cbranch_vccz .LBB195_687
; %bb.683:
	v_mov_b32_e32 v1, 44
	v_cmp_eq_u16_sdwa s[10:11], v32, v1 src0_sel:BYTE_0 src1_sel:DWORD
	s_mov_b64 s[6:7], -1
	s_and_b64 vcc, exec, s[10:11]
	s_cbranch_vccz .LBB195_687
; %bb.684:
	v_bfe_u32 v1, v0, 23, 8
	s_movk_i32 s6, 0xff
	v_cmp_ne_u32_e32 vcc, s6, v1
	v_mov_b32_e32 v4, 0xff
	s_and_saveexec_b64 s[8:9], vcc
; %bb.685:
	s_mov_b32 s6, 0x3fffff
	v_and_b32_e32 v5, 0x400000, v0
	v_and_or_b32 v1, v0, s6, v1
	v_cmp_ne_u32_e32 vcc, 0, v5
	v_cmp_ne_u32_e64 s[6:7], 0, v1
	s_and_b64 s[6:7], vcc, s[6:7]
	v_lshrrev_b32_e32 v4, 23, v0
	v_cndmask_b32_e64 v1, 0, 1, s[6:7]
	v_add_u32_e32 v4, v4, v1
; %bb.686:
	s_or_b64 exec, exec, s[8:9]
	s_mov_b64 s[8:9], -1
	s_mov_b64 s[6:7], 0
	global_store_byte v[2:3], v4, off
.LBB195_687:
	s_mov_b64 s[10:11], 0
.LBB195_688:
	s_and_b64 vcc, exec, s[10:11]
	s_cbranch_vccz .LBB195_691
; %bb.689:
	v_mov_b32_e32 v1, 29
	v_cmp_eq_u16_sdwa s[10:11], v32, v1 src0_sel:BYTE_0 src1_sel:DWORD
	s_mov_b64 s[6:7], -1
	s_and_b64 vcc, exec, s[10:11]
	s_cbranch_vccz .LBB195_691
; %bb.690:
	v_trunc_f32_e32 v1, v0
	v_mul_f32_e32 v4, 0x2f800000, v1
	v_floor_f32_e32 v4, v4
	v_fmac_f32_e32 v1, 0xcf800000, v4
	v_cvt_u32_f32_e32 v5, v4
	v_cvt_u32_f32_e32 v4, v1
	s_mov_b64 s[8:9], -1
	s_mov_b64 s[6:7], 0
	s_mov_b64 s[10:11], 0
	global_store_dwordx2 v[2:3], v[4:5], off
	s_branch .LBB195_692
.LBB195_691:
	s_mov_b64 s[10:11], 0
.LBB195_692:
	s_and_b64 vcc, exec, s[10:11]
	s_cbranch_vccz .LBB195_708
; %bb.693:
	v_mov_b32_e32 v1, 27
	v_cmp_lt_i16_sdwa s[10:11], v32, v1 src0_sel:BYTE_0 src1_sel:DWORD
	s_mov_b64 s[8:9], -1
	s_and_b64 vcc, exec, s[10:11]
	s_cbranch_vccnz .LBB195_699
; %bb.694:
	v_cmp_gt_i16_sdwa s[10:11], v32, v1 src0_sel:BYTE_0 src1_sel:DWORD
	v_cvt_u32_f32_e32 v1, v0
	s_and_b64 vcc, exec, s[10:11]
	s_cbranch_vccz .LBB195_696
; %bb.695:
	s_mov_b64 s[8:9], 0
	global_store_dword v[2:3], v1, off
.LBB195_696:
	s_andn2_b64 vcc, exec, s[8:9]
	s_cbranch_vccnz .LBB195_698
; %bb.697:
	global_store_short v[2:3], v1, off
.LBB195_698:
	s_mov_b64 s[8:9], 0
.LBB195_699:
	s_andn2_b64 vcc, exec, s[8:9]
	s_cbranch_vccnz .LBB195_707
; %bb.700:
	v_and_b32_e32 v1, 0x7fffffff, v0
	s_mov_b32 s8, 0x43800000
	v_cmp_gt_u32_e32 vcc, s8, v1
	v_mov_b32_e32 v4, 0x80
	s_and_saveexec_b64 s[8:9], vcc
	s_cbranch_execz .LBB195_706
; %bb.701:
	s_mov_b32 s10, 0x3bffffff
	v_cmp_lt_u32_e32 vcc, s10, v1
	s_mov_b64 s[10:11], 0
                                        ; implicit-def: $vgpr1
	s_and_saveexec_b64 s[12:13], vcc
	s_xor_b64 s[12:13], exec, s[12:13]
	s_cbranch_execz .LBB195_819
; %bb.702:
	v_bfe_u32 v1, v0, 20, 1
	s_mov_b32 s14, 0x487ffff
	v_add3_u32 v1, v0, v1, s14
	s_mov_b64 s[10:11], exec
	v_lshrrev_b32_e32 v1, 20, v1
	s_or_saveexec_b64 s[12:13], s[12:13]
                                        ; implicit-def: $sgpr14
	s_xor_b64 exec, exec, s[12:13]
	s_cbranch_execnz .LBB195_820
.LBB195_703:
	s_or_b64 exec, exec, s[12:13]
	v_mov_b32_e32 v4, s14
	s_and_saveexec_b64 s[12:13], s[10:11]
.LBB195_704:
	v_lshrrev_b32_e32 v4, 24, v0
	s_movk_i32 s10, 0x80
	v_and_or_b32 v4, v4, s10, v1
.LBB195_705:
	s_or_b64 exec, exec, s[12:13]
.LBB195_706:
	s_or_b64 exec, exec, s[8:9]
	global_store_byte v[2:3], v4, off
.LBB195_707:
	s_mov_b64 s[8:9], -1
.LBB195_708:
	s_mov_b64 s[10:11], 0
.LBB195_709:
	s_and_b64 vcc, exec, s[10:11]
	s_cbranch_vccz .LBB195_750
; %bb.710:
	v_mov_b32_e32 v1, 22
	v_cmp_gt_i16_sdwa s[12:13], v32, v1 src0_sel:BYTE_0 src1_sel:DWORD
	s_mov_b64 s[10:11], -1
	s_and_b64 vcc, exec, s[12:13]
	s_cbranch_vccz .LBB195_742
; %bb.711:
	v_mov_b32_e32 v1, 24
	v_cmp_lt_i16_sdwa s[10:11], v32, v1 src0_sel:BYTE_0 src1_sel:DWORD
	s_mov_b64 s[8:9], -1
	s_and_b64 vcc, exec, s[10:11]
	s_cbranch_vccnz .LBB195_731
; %bb.712:
	v_cmp_gt_i16_sdwa s[10:11], v32, v1 src0_sel:BYTE_0 src1_sel:DWORD
	s_and_b64 vcc, exec, s[10:11]
	s_cbranch_vccz .LBB195_720
; %bb.713:
	v_and_b32_e32 v1, 0x7fffffff, v0
	s_mov_b32 s8, 0x47800000
	v_cmp_gt_u32_e32 vcc, s8, v1
	v_mov_b32_e32 v4, 0x80
	s_and_saveexec_b64 s[8:9], vcc
	s_cbranch_execz .LBB195_719
; %bb.714:
	s_mov_b32 s10, 0x37ffffff
	v_cmp_lt_u32_e32 vcc, s10, v1
	s_mov_b64 s[10:11], 0
                                        ; implicit-def: $vgpr1
	s_and_saveexec_b64 s[12:13], vcc
	s_xor_b64 s[12:13], exec, s[12:13]
	s_cbranch_execz .LBB195_951
; %bb.715:
	v_bfe_u32 v1, v0, 21, 1
	s_mov_b32 s14, 0x88fffff
	v_add3_u32 v1, v0, v1, s14
	s_mov_b64 s[10:11], exec
	v_lshrrev_b32_e32 v1, 21, v1
	s_or_saveexec_b64 s[12:13], s[12:13]
                                        ; implicit-def: $sgpr14
	s_xor_b64 exec, exec, s[12:13]
	s_cbranch_execnz .LBB195_952
.LBB195_716:
	s_or_b64 exec, exec, s[12:13]
	v_mov_b32_e32 v4, s14
	s_and_saveexec_b64 s[12:13], s[10:11]
.LBB195_717:
	v_lshrrev_b32_e32 v4, 24, v0
	s_movk_i32 s10, 0x80
	v_and_or_b32 v4, v4, s10, v1
.LBB195_718:
	s_or_b64 exec, exec, s[12:13]
.LBB195_719:
	s_or_b64 exec, exec, s[8:9]
	s_mov_b64 s[8:9], 0
	global_store_byte v[2:3], v4, off
.LBB195_720:
	s_and_b64 vcc, exec, s[8:9]
	s_cbranch_vccz .LBB195_730
; %bb.721:
	v_and_b32_e32 v4, 0x7fffffff, v0
	s_mov_b32 s8, 0x43f00000
	v_cmp_gt_u32_e32 vcc, s8, v4
                                        ; implicit-def: $vgpr1
	s_and_saveexec_b64 s[8:9], vcc
	s_xor_b64 s[8:9], exec, s[8:9]
	s_cbranch_execz .LBB195_727
; %bb.722:
	s_mov_b32 s10, 0x3c7fffff
	v_cmp_lt_u32_e32 vcc, s10, v4
                                        ; implicit-def: $vgpr1
	s_and_saveexec_b64 s[10:11], vcc
	s_xor_b64 s[10:11], exec, s[10:11]
; %bb.723:
	v_bfe_u32 v1, v0, 20, 1
	s_mov_b32 s12, 0x407ffff
	v_add3_u32 v1, v0, v1, s12
	v_lshrrev_b32_e32 v4, 20, v1
	v_and_b32_e32 v1, 0xff00000, v1
	s_mov_b32 s12, 0x7f00000
	v_mov_b32_e32 v5, 0x7e
	v_cmp_ne_u32_e32 vcc, s12, v1
	v_cndmask_b32_e32 v1, v5, v4, vcc
; %bb.724:
	s_andn2_saveexec_b64 s[10:11], s[10:11]
; %bb.725:
	s_mov_b32 s12, 0x46800000
	v_add_f32_e64 v1, |v0|, s12
; %bb.726:
	s_or_b64 exec, exec, s[10:11]
                                        ; implicit-def: $vgpr4
.LBB195_727:
	s_andn2_saveexec_b64 s[8:9], s[8:9]
; %bb.728:
	s_mov_b32 s10, 0x7f800000
	v_mov_b32_e32 v1, 0x7e
	v_mov_b32_e32 v5, 0x7f
	v_cmp_lt_u32_e32 vcc, s10, v4
	v_cndmask_b32_e32 v1, v1, v5, vcc
; %bb.729:
	s_or_b64 exec, exec, s[8:9]
	v_lshrrev_b32_e32 v4, 24, v0
	s_movk_i32 s8, 0x80
	v_and_or_b32 v1, v4, s8, v1
	global_store_byte v[2:3], v1, off
.LBB195_730:
	s_mov_b64 s[8:9], 0
.LBB195_731:
	s_andn2_b64 vcc, exec, s[8:9]
	s_cbranch_vccnz .LBB195_741
; %bb.732:
	v_and_b32_e32 v4, 0x7fffffff, v0
	s_mov_b32 s8, 0x47800000
	v_cmp_gt_u32_e32 vcc, s8, v4
                                        ; implicit-def: $vgpr1
	s_and_saveexec_b64 s[8:9], vcc
	s_xor_b64 s[8:9], exec, s[8:9]
	s_cbranch_execz .LBB195_738
; %bb.733:
	s_mov_b32 s10, 0x387fffff
	v_cmp_lt_u32_e32 vcc, s10, v4
                                        ; implicit-def: $vgpr1
	s_and_saveexec_b64 s[10:11], vcc
	s_xor_b64 s[10:11], exec, s[10:11]
; %bb.734:
	v_bfe_u32 v1, v0, 21, 1
	s_mov_b32 s12, 0x80fffff
	v_add3_u32 v1, v0, v1, s12
	v_lshrrev_b32_e32 v1, 21, v1
; %bb.735:
	s_andn2_saveexec_b64 s[10:11], s[10:11]
; %bb.736:
	s_mov_b32 s12, 0x43000000
	v_add_f32_e64 v1, |v0|, s12
; %bb.737:
	s_or_b64 exec, exec, s[10:11]
                                        ; implicit-def: $vgpr4
.LBB195_738:
	s_andn2_saveexec_b64 s[8:9], s[8:9]
; %bb.739:
	s_mov_b32 s10, 0x7f800000
	v_mov_b32_e32 v1, 0x7c
	v_mov_b32_e32 v5, 0x7f
	v_cmp_lt_u32_e32 vcc, s10, v4
	v_cndmask_b32_e32 v1, v1, v5, vcc
; %bb.740:
	s_or_b64 exec, exec, s[8:9]
	v_lshrrev_b32_e32 v4, 24, v0
	s_movk_i32 s8, 0x80
	v_and_or_b32 v1, v4, s8, v1
	global_store_byte v[2:3], v1, off
.LBB195_741:
	s_mov_b64 s[10:11], 0
	s_mov_b64 s[8:9], -1
.LBB195_742:
	s_andn2_b64 vcc, exec, s[10:11]
	s_cbranch_vccnz .LBB195_750
; %bb.743:
	v_mov_b32_e32 v1, 14
	v_cmp_gt_i16_sdwa s[12:13], v32, v1 src0_sel:BYTE_0 src1_sel:DWORD
	s_mov_b64 s[10:11], -1
	s_and_b64 vcc, exec, s[12:13]
	s_cbranch_vccz .LBB195_747
; %bb.744:
	v_mov_b32_e32 v1, 15
	v_cmp_eq_u16_sdwa s[10:11], v32, v1 src0_sel:BYTE_0 src1_sel:DWORD
	s_mov_b64 s[6:7], -1
	s_and_b64 vcc, exec, s[10:11]
	s_cbranch_vccz .LBB195_746
; %bb.745:
	v_bfe_u32 v1, v0, 16, 1
	s_movk_i32 s6, 0x7fff
	v_add3_u32 v1, v0, v1, s6
	v_lshrrev_b32_e32 v1, 16, v1
	v_mov_b32_e32 v4, 0x7fc0
	v_cmp_o_f32_e32 vcc, v0, v0
	v_cndmask_b32_e32 v1, v4, v1, vcc
	global_store_short v[2:3], v1, off
	s_mov_b64 s[8:9], -1
	s_mov_b64 s[6:7], 0
.LBB195_746:
	s_mov_b64 s[10:11], 0
.LBB195_747:
	s_and_b64 vcc, exec, s[10:11]
	s_cbranch_vccz .LBB195_750
; %bb.748:
	v_mov_b32_e32 v1, 11
	v_cmp_eq_u16_sdwa s[10:11], v32, v1 src0_sel:BYTE_0 src1_sel:DWORD
	s_mov_b64 s[6:7], -1
	s_and_b64 vcc, exec, s[10:11]
	s_cbranch_vccz .LBB195_750
; %bb.749:
	v_cmp_neq_f32_e32 vcc, 0, v0
	v_cndmask_b32_e64 v1, 0, 1, vcc
	s_mov_b64 s[8:9], -1
	s_mov_b64 s[6:7], 0
	global_store_byte v[2:3], v1, off
.LBB195_750:
	s_mov_b64 s[10:11], 0
.LBB195_751:
	s_and_b64 vcc, exec, s[10:11]
	s_cbranch_vccz .LBB195_790
; %bb.752:
	v_mov_b32_e32 v1, 5
	v_cmp_lt_i16_sdwa s[10:11], v32, v1 src0_sel:BYTE_0 src1_sel:DWORD
	s_mov_b64 s[8:9], -1
	s_and_b64 vcc, exec, s[10:11]
	s_cbranch_vccnz .LBB195_773
; %bb.753:
	v_mov_b32_e32 v1, 8
	v_cmp_lt_i16_sdwa s[10:11], v32, v1 src0_sel:BYTE_0 src1_sel:DWORD
	s_and_b64 vcc, exec, s[10:11]
	s_cbranch_vccnz .LBB195_763
; %bb.754:
	v_mov_b32_e32 v1, 9
	v_cmp_lt_i16_sdwa s[10:11], v32, v1 src0_sel:BYTE_0 src1_sel:DWORD
	s_and_b64 vcc, exec, s[10:11]
	s_cbranch_vccnz .LBB195_760
; %bb.755:
	v_cmp_gt_i16_sdwa s[10:11], v32, v1 src0_sel:BYTE_0 src1_sel:DWORD
	s_and_b64 vcc, exec, s[10:11]
	s_cbranch_vccz .LBB195_757
; %bb.756:
	v_mov_b32_e32 v6, 0
	v_cvt_f64_f32_e32 v[4:5], v0
	v_mov_b32_e32 v7, v6
	s_mov_b64 s[8:9], 0
	global_store_dwordx4 v[2:3], v[4:7], off
.LBB195_757:
	s_andn2_b64 vcc, exec, s[8:9]
	s_cbranch_vccnz .LBB195_759
; %bb.758:
	v_mov_b32_e32 v1, 0
	global_store_dwordx2 v[2:3], v[0:1], off
.LBB195_759:
	s_mov_b64 s[8:9], 0
.LBB195_760:
	s_andn2_b64 vcc, exec, s[8:9]
	s_cbranch_vccnz .LBB195_762
; %bb.761:
	v_cvt_f16_f32_e32 v1, v0
	global_store_dword v[2:3], v1, off
.LBB195_762:
	s_mov_b64 s[8:9], 0
.LBB195_763:
	s_andn2_b64 vcc, exec, s[8:9]
	s_cbranch_vccnz .LBB195_772
; %bb.764:
	v_mov_b32_e32 v1, 6
	v_cmp_lt_i16_sdwa s[10:11], v32, v1 src0_sel:BYTE_0 src1_sel:DWORD
	s_mov_b64 s[8:9], -1
	s_and_b64 vcc, exec, s[10:11]
	s_cbranch_vccnz .LBB195_770
; %bb.765:
	v_cmp_gt_i16_sdwa s[10:11], v32, v1 src0_sel:BYTE_0 src1_sel:DWORD
	s_and_b64 vcc, exec, s[10:11]
	s_cbranch_vccz .LBB195_767
; %bb.766:
	v_cvt_f64_f32_e32 v[4:5], v0
	s_mov_b64 s[8:9], 0
	global_store_dwordx2 v[2:3], v[4:5], off
.LBB195_767:
	s_andn2_b64 vcc, exec, s[8:9]
	s_cbranch_vccnz .LBB195_769
; %bb.768:
	global_store_dword v[2:3], v0, off
.LBB195_769:
	s_mov_b64 s[8:9], 0
.LBB195_770:
	s_andn2_b64 vcc, exec, s[8:9]
	s_cbranch_vccnz .LBB195_772
; %bb.771:
	v_cvt_f16_f32_e32 v1, v0
	global_store_short v[2:3], v1, off
.LBB195_772:
	s_mov_b64 s[8:9], 0
.LBB195_773:
	s_andn2_b64 vcc, exec, s[8:9]
	s_cbranch_vccnz .LBB195_789
; %bb.774:
	v_mov_b32_e32 v1, 2
	v_cmp_lt_i16_sdwa s[10:11], v32, v1 src0_sel:BYTE_0 src1_sel:DWORD
	s_mov_b64 s[8:9], -1
	s_and_b64 vcc, exec, s[10:11]
	s_cbranch_vccnz .LBB195_784
; %bb.775:
	v_mov_b32_e32 v1, 3
	v_cmp_lt_i16_sdwa s[10:11], v32, v1 src0_sel:BYTE_0 src1_sel:DWORD
	s_and_b64 vcc, exec, s[10:11]
	s_cbranch_vccnz .LBB195_781
; %bb.776:
	v_cmp_gt_i16_sdwa s[10:11], v32, v1 src0_sel:BYTE_0 src1_sel:DWORD
	s_and_b64 vcc, exec, s[10:11]
	s_cbranch_vccz .LBB195_778
; %bb.777:
	v_trunc_f32_e32 v1, v0
	s_mov_b32 s8, 0x2f800000
	v_mul_f32_e64 v4, |v1|, s8
	v_floor_f32_e32 v4, v4
	s_mov_b32 s8, 0xcf800000
	v_cvt_u32_f32_e32 v5, v4
	v_fma_f32 v4, v4, s8, |v1|
	v_cvt_u32_f32_e32 v4, v4
	v_ashrrev_i32_e32 v1, 31, v1
	v_xor_b32_e32 v5, v5, v1
	s_mov_b64 s[8:9], 0
	v_xor_b32_e32 v4, v4, v1
	v_sub_co_u32_e32 v4, vcc, v4, v1
	v_subb_co_u32_e32 v5, vcc, v5, v1, vcc
	global_store_dwordx2 v[2:3], v[4:5], off
.LBB195_778:
	s_andn2_b64 vcc, exec, s[8:9]
	s_cbranch_vccnz .LBB195_780
; %bb.779:
	v_cvt_i32_f32_e32 v1, v0
	global_store_dword v[2:3], v1, off
.LBB195_780:
	s_mov_b64 s[8:9], 0
.LBB195_781:
	s_andn2_b64 vcc, exec, s[8:9]
	s_cbranch_vccnz .LBB195_783
; %bb.782:
	v_cvt_i32_f32_e32 v1, v0
	global_store_short v[2:3], v1, off
.LBB195_783:
	s_mov_b64 s[8:9], 0
.LBB195_784:
	s_andn2_b64 vcc, exec, s[8:9]
	s_cbranch_vccnz .LBB195_789
; %bb.785:
	v_mov_b32_e32 v1, 0
	v_cmp_gt_i16_sdwa s[10:11], v32, v1 src0_sel:BYTE_0 src1_sel:DWORD
	s_mov_b64 s[8:9], -1
	s_and_b64 vcc, exec, s[10:11]
	s_cbranch_vccz .LBB195_787
; %bb.786:
	v_cvt_i32_f32_e32 v1, v0
	s_mov_b64 s[8:9], 0
	global_store_byte v[2:3], v1, off
.LBB195_787:
	s_andn2_b64 vcc, exec, s[8:9]
	s_cbranch_vccnz .LBB195_789
; %bb.788:
	v_trunc_f32_e32 v0, v0
	s_mov_b32 s8, 0x2f800000
	v_mul_f32_e64 v1, |v0|, s8
	v_floor_f32_e32 v1, v1
	s_mov_b32 s8, 0xcf800000
	v_fma_f32 v1, v1, s8, |v0|
	v_cvt_u32_f32_e32 v1, v1
	v_ashrrev_i32_e32 v0, 31, v0
	v_xor_b32_e32 v1, v1, v0
	v_sub_u32_e32 v0, v1, v0
	global_store_byte v[2:3], v0, off
.LBB195_789:
	s_mov_b64 s[8:9], -1
.LBB195_790:
	s_andn2_b64 vcc, exec, s[8:9]
	s_cbranch_vccnz .LBB195_814
; %bb.791:
	v_add_u32_e32 v34, 0x80, v34
	s_mov_b64 s[8:9], -1
.LBB195_792:
	s_andn2_b64 s[10:11], s[56:57], exec
	s_and_b64 s[6:7], s[6:7], exec
	s_or_b64 s[68:69], s[10:11], s[6:7]
	s_andn2_b64 s[6:7], s[58:59], exec
	s_and_b64 s[10:11], s[66:67], exec
	s_or_b64 s[66:67], s[6:7], s[10:11]
	;; [unrolled: 3-line block ×3, first 2 shown]
	s_orn2_b64 s[6:7], s[8:9], exec
.LBB195_793:
	s_or_b64 exec, exec, s[70:71]
	s_mov_b64 s[12:13], 0
	s_mov_b64 s[10:11], 0
	;; [unrolled: 1-line block ×3, first 2 shown]
                                        ; implicit-def: $vgpr1
                                        ; implicit-def: $vgpr4_vgpr5
                                        ; implicit-def: $vgpr0
                                        ; implicit-def: $vgpr30
                                        ; implicit-def: $vgpr2
	s_and_saveexec_b64 s[70:71], s[6:7]
	s_cbranch_execz .LBB195_1288
; %bb.794:
	v_cmp_gt_i32_e32 vcc, s82, v34
	s_mov_b64 s[20:21], -1
	s_mov_b64 s[6:7], s[64:65]
	s_mov_b64 s[8:9], s[66:67]
	;; [unrolled: 1-line block ×3, first 2 shown]
	s_and_saveexec_b64 s[72:73], vcc
	s_cbranch_execz .LBB195_1193
; %bb.795:
	s_andn2_b64 vcc, exec, s[34:35]
	s_cbranch_vccnz .LBB195_802
; %bb.796:
	s_andn2_b64 vcc, exec, s[54:55]
	v_mov_b32_e32 v2, 0
	s_waitcnt vmcnt(0)
	v_mov_b32_e32 v0, 0
	v_mov_b32_e32 v30, 0
	s_cbranch_vccnz .LBB195_801
; %bb.797:
	s_add_i32 s6, s81, 1
	s_and_b32 s8, s6, 30
	s_add_u32 s6, s22, 0xffffffec
	s_addc_u32 s7, s23, -1
	v_mov_b32_e32 v30, 0
	v_mov_b32_e32 v1, v34
	;; [unrolled: 1-line block ×4, first 2 shown]
.LBB195_798:                            ; =>This Inner Loop Header: Depth=1
	s_mov_b64 s[10:11], s[6:7]
	s_load_dwordx4 s[12:15], s[10:11], 0x18
	s_load_dwordx2 s[20:21], s[10:11], 0x28
	s_load_dwordx2 s[30:31], s[10:11], 0xe8
	s_load_dwordx4 s[16:19], s[10:11], 0xd8
	s_add_u32 s6, s10, 24
	s_waitcnt lgkmcnt(0)
	v_mul_hi_u32 v3, s13, v1
	v_add_u32_e32 v3, v1, v3
	v_lshrrev_b32_e32 v3, s14, v3
	v_mul_lo_u32 v4, v3, s12
	v_mul_hi_u32 v5, s20, v3
	v_sub_u32_e32 v1, v1, v4
	v_add_u32_e32 v4, v3, v5
	v_mul_lo_u32 v5, v1, s16
	v_mul_lo_u32 v6, v1, s17
	;; [unrolled: 1-line block ×3, first 2 shown]
	v_lshrrev_b32_e32 v1, s21, v4
	v_mul_lo_u32 v4, v1, s15
	v_sub_u32_e32 v3, v3, v4
	s_addc_u32 s7, s11, 0
	s_add_i32 s8, s8, -2
	v_mul_lo_u32 v4, v3, s19
	v_mul_lo_u32 v8, v3, s30
	;; [unrolled: 1-line block ×3, first 2 shown]
	s_cmp_eq_u32 s8, 0
	v_add3_u32 v30, v5, v30, v4
	v_add3_u32 v2, v7, v2, v3
	;; [unrolled: 1-line block ×3, first 2 shown]
	s_cbranch_scc0 .LBB195_798
; %bb.799:
	s_bitcmp1_b32 s81, 0
	s_cselect_b64 s[8:9], -1, 0
	s_and_b64 vcc, exec, s[8:9]
	s_cbranch_vccnz .LBB195_801
; %bb.800:
	s_load_dwordx2 s[8:9], s[6:7], 0x18
	s_load_dword s10, s[6:7], 0x20
	s_load_dword s11, s[6:7], 0xe0
	s_nop 0
	s_load_dwordx2 s[6:7], s[6:7], 0xd8
	s_waitcnt lgkmcnt(0)
	v_mul_hi_u32 v3, s9, v1
	v_add_u32_e32 v3, v1, v3
	v_lshrrev_b32_e32 v3, s10, v3
	v_mul_lo_u32 v3, v3, s8
	v_sub_u32_e32 v3, v1, v3
	v_mad_u64_u32 v[30:31], s[8:9], v3, s6, v[30:31]
	v_mad_u64_u32 v[0:1], s[6:7], v3, s7, v[0:1]
	;; [unrolled: 1-line block ×3, first 2 shown]
.LBB195_801:
	s_mov_b64 s[6:7], 0
	s_branch .LBB195_803
.LBB195_802:
	s_mov_b64 s[6:7], -1
                                        ; implicit-def: $vgpr2
                                        ; implicit-def: $vgpr0
                                        ; implicit-def: $vgpr30
.LBB195_803:
	s_andn2_b64 vcc, exec, s[6:7]
	s_cbranch_vccnz .LBB195_806
; %bb.804:
	s_waitcnt vmcnt(0) lgkmcnt(0)
	v_mul_hi_u32 v0, s41, v34
	v_add_u32_e32 v0, v34, v0
	v_lshrrev_b32_e32 v1, s42, v0
	v_mul_lo_u32 v0, v1, s40
	v_sub_u32_e32 v0, v34, v0
	v_mul_lo_u32 v30, v0, s36
	v_mul_lo_u32 v2, v0, s38
	s_andn2_b64 vcc, exec, s[52:53]
	v_mul_lo_u32 v0, v0, s37
	s_cbranch_vccnz .LBB195_806
; %bb.805:
	v_mul_hi_u32 v3, s50, v1
	v_add_u32_e32 v3, v1, v3
	v_lshrrev_b32_e32 v3, s51, v3
	v_mul_lo_u32 v3, v3, s43
	v_sub_u32_e32 v3, v1, v3
	v_mad_u64_u32 v[30:31], s[6:7], v3, s39, v[30:31]
	v_mad_u64_u32 v[0:1], s[6:7], v3, s48, v[0:1]
	;; [unrolled: 1-line block ×3, first 2 shown]
.LBB195_806:
	s_waitcnt vmcnt(0) lgkmcnt(0)
	v_mov_b32_e32 v1, s27
	v_add_co_u32_e32 v4, vcc, s26, v0
	v_mov_b32_e32 v0, 11
	v_addc_co_u32_e32 v5, vcc, 0, v1, vcc
	v_cmp_lt_i16_sdwa s[6:7], v35, v0 src0_sel:BYTE_0 src1_sel:DWORD
	s_and_b64 vcc, exec, s[6:7]
	s_cbranch_vccnz .LBB195_813
; %bb.807:
	v_mov_b32_e32 v0, 25
	v_cmp_gt_i16_sdwa s[6:7], v35, v0 src0_sel:BYTE_0 src1_sel:DWORD
	s_and_b64 vcc, exec, s[6:7]
	s_cbranch_vccz .LBB195_815
; %bb.808:
	v_mov_b32_e32 v0, 28
	v_cmp_gt_i16_sdwa s[6:7], v35, v0 src0_sel:BYTE_0 src1_sel:DWORD
	s_and_b64 vcc, exec, s[6:7]
	s_cbranch_vccz .LBB195_816
	;; [unrolled: 5-line block ×4, first 2 shown]
; %bb.811:
	v_mov_b32_e32 v0, 46
	v_cmp_eq_u16_sdwa s[6:7], v35, v0 src0_sel:BYTE_0 src1_sel:DWORD
	s_mov_b64 s[8:9], 0
	s_and_b64 vcc, exec, s[6:7]
	s_cbranch_vccz .LBB195_821
; %bb.812:
	global_load_dword v0, v[4:5], off
	s_mov_b64 s[6:7], -1
	s_mov_b64 s[74:75], 0
	s_waitcnt vmcnt(0)
	v_lshlrev_b32_e32 v0, 16, v0
	s_branch .LBB195_822
.LBB195_813:
	s_mov_b64 s[8:9], -1
	s_mov_b64 s[6:7], 0
                                        ; implicit-def: $vgpr0
	s_mov_b64 s[74:75], s[64:65]
	s_branch .LBB195_887
.LBB195_814:
	s_mov_b64 s[8:9], 0
	s_branch .LBB195_550
.LBB195_815:
	s_mov_b64 s[8:9], -1
	s_mov_b64 s[6:7], 0
	s_mov_b64 s[74:75], s[64:65]
                                        ; implicit-def: $vgpr0
	s_branch .LBB195_851
.LBB195_816:
	s_mov_b64 s[8:9], -1
	s_mov_b64 s[6:7], 0
	s_mov_b64 s[74:75], s[64:65]
                                        ; implicit-def: $vgpr0
	s_branch .LBB195_832
.LBB195_817:
	s_mov_b64 s[8:9], -1
	s_mov_b64 s[6:7], 0
	s_mov_b64 s[74:75], s[64:65]
                                        ; implicit-def: $vgpr0
	s_branch .LBB195_827
.LBB195_818:
	s_mov_b64 s[8:9], -1
	s_mov_b64 s[6:7], 0
	s_mov_b64 s[74:75], s[64:65]
                                        ; implicit-def: $vgpr0
	s_branch .LBB195_822
.LBB195_819:
	s_or_saveexec_b64 s[12:13], s[12:13]
                                        ; implicit-def: $sgpr14
	s_xor_b64 exec, exec, s[12:13]
	s_cbranch_execz .LBB195_703
.LBB195_820:
	s_mov_b32 s14, 0x46000000
	v_add_f32_e64 v1, |v0|, s14
	v_and_b32_e32 v1, 0xff, v1
	v_cmp_ne_u32_e32 vcc, 0, v1
	s_andn2_b64 s[10:11], s[10:11], exec
	s_and_b64 s[16:17], vcc, exec
	s_mov_b32 s14, 0
	s_or_b64 s[10:11], s[10:11], s[16:17]
	s_or_b64 exec, exec, s[12:13]
	v_mov_b32_e32 v4, s14
	s_and_saveexec_b64 s[12:13], s[10:11]
	s_cbranch_execnz .LBB195_704
	s_branch .LBB195_705
.LBB195_821:
	s_mov_b64 s[74:75], -1
                                        ; implicit-def: $vgpr0
	s_mov_b64 s[6:7], 0
.LBB195_822:
	s_and_b64 vcc, exec, s[8:9]
	s_cbranch_vccz .LBB195_826
; %bb.823:
	v_mov_b32_e32 v0, 44
	v_cmp_eq_u16_sdwa s[8:9], v35, v0 src0_sel:BYTE_0 src1_sel:DWORD
	s_and_b64 vcc, exec, s[8:9]
	s_cbranch_vccz .LBB195_825
; %bb.824:
	global_load_ubyte v0, v[4:5], off
	s_movk_i32 s8, 0xff
	v_mov_b32_e32 v1, 0x7f800001
	v_mov_b32_e32 v3, 0x400000
	s_mov_b64 s[6:7], -1
	s_mov_b64 s[74:75], 0
	s_waitcnt vmcnt(0)
	v_lshlrev_b32_e32 v6, 23, v0
	v_cmp_ne_u32_e32 vcc, s8, v0
	v_cndmask_b32_e32 v1, v1, v6, vcc
	v_cmp_ne_u32_e32 vcc, 0, v0
	v_cndmask_b32_e32 v0, v3, v1, vcc
	s_branch .LBB195_826
.LBB195_825:
	s_mov_b64 s[74:75], -1
                                        ; implicit-def: $vgpr0
.LBB195_826:
	s_mov_b64 s[8:9], 0
.LBB195_827:
	s_and_b64 vcc, exec, s[8:9]
	s_cbranch_vccz .LBB195_831
; %bb.828:
	v_mov_b32_e32 v0, 29
	v_cmp_eq_u16_sdwa s[8:9], v35, v0 src0_sel:BYTE_0 src1_sel:DWORD
	s_and_b64 vcc, exec, s[8:9]
	s_cbranch_vccz .LBB195_830
; %bb.829:
	global_load_dwordx2 v[0:1], v[4:5], off
	s_mov_b64 s[6:7], -1
	s_mov_b64 s[74:75], 0
	s_mov_b64 s[8:9], 0
	s_waitcnt vmcnt(0)
	v_ffbh_u32_e32 v3, v1
	v_min_u32_e32 v3, 32, v3
	v_lshlrev_b64 v[0:1], v3, v[0:1]
	v_min_u32_e32 v0, 1, v0
	v_or_b32_e32 v0, v1, v0
	v_cvt_f32_u32_e32 v0, v0
	v_sub_u32_e32 v1, 32, v3
	v_ldexp_f32 v0, v0, v1
	s_branch .LBB195_832
.LBB195_830:
	s_mov_b64 s[74:75], -1
                                        ; implicit-def: $vgpr0
.LBB195_831:
	s_mov_b64 s[8:9], 0
.LBB195_832:
	s_and_b64 vcc, exec, s[8:9]
	s_cbranch_vccz .LBB195_850
; %bb.833:
	v_mov_b32_e32 v0, 27
	v_cmp_lt_i16_sdwa s[6:7], v35, v0 src0_sel:BYTE_0 src1_sel:DWORD
	s_and_b64 vcc, exec, s[6:7]
	s_cbranch_vccnz .LBB195_836
; %bb.834:
	v_cmp_gt_i16_sdwa s[6:7], v35, v0 src0_sel:BYTE_0 src1_sel:DWORD
	s_and_b64 vcc, exec, s[6:7]
	s_cbranch_vccz .LBB195_837
; %bb.835:
	global_load_dword v0, v[4:5], off
	s_mov_b64 s[6:7], 0
	s_waitcnt vmcnt(0)
	v_cvt_f32_u32_e32 v0, v0
	s_branch .LBB195_838
.LBB195_836:
	s_mov_b64 s[6:7], -1
                                        ; implicit-def: $vgpr0
	s_branch .LBB195_841
.LBB195_837:
	s_mov_b64 s[6:7], -1
                                        ; implicit-def: $vgpr0
.LBB195_838:
	s_andn2_b64 vcc, exec, s[6:7]
	s_cbranch_vccnz .LBB195_840
; %bb.839:
	global_load_ushort v0, v[4:5], off
	s_waitcnt vmcnt(0)
	v_cvt_f32_u32_e32 v0, v0
.LBB195_840:
	s_mov_b64 s[6:7], 0
.LBB195_841:
	s_andn2_b64 vcc, exec, s[6:7]
	s_cbranch_vccnz .LBB195_849
; %bb.842:
	global_load_ubyte v1, v[4:5], off
	s_movk_i32 s6, 0x7f
                                        ; implicit-def: $sgpr12
	s_waitcnt vmcnt(0)
	v_cmp_lt_i16_e32 vcc, s6, v1
	s_mov_b64 s[6:7], 0
	s_and_saveexec_b64 s[8:9], vcc
	s_xor_b64 s[8:9], exec, s[8:9]
	s_cbranch_execz .LBB195_863
; %bb.843:
	s_movk_i32 s6, 0x80
	v_cmp_eq_u16_e32 vcc, s6, v1
	s_mov_b64 s[6:7], -1
                                        ; implicit-def: $sgpr12
	s_and_saveexec_b64 s[10:11], vcc
; %bb.844:
	s_mov_b32 s12, 0x7f800001
	s_xor_b64 s[6:7], exec, -1
; %bb.845:
	s_or_b64 exec, exec, s[10:11]
	s_and_b64 s[6:7], s[6:7], exec
	s_or_saveexec_b64 s[8:9], s[8:9]
	v_mov_b32_e32 v0, s12
	s_xor_b64 exec, exec, s[8:9]
	s_cbranch_execnz .LBB195_864
.LBB195_846:
	s_or_b64 exec, exec, s[8:9]
	s_and_saveexec_b64 s[8:9], s[6:7]
	s_cbranch_execz .LBB195_848
.LBB195_847:
	v_lshlrev_b32_e32 v0, 24, v1
	v_and_b32_e32 v1, 0xffff, v1
	v_and_b32_e32 v3, 7, v1
	v_ffbh_u32_e32 v7, v3
	v_min_u32_e32 v7, 32, v7
	v_subrev_u32_e32 v8, 28, v7
	v_bfe_u32 v6, v1, 3, 4
	v_lshlrev_b32_e32 v1, v8, v1
	v_sub_u32_e32 v7, 29, v7
	v_and_b32_e32 v1, 7, v1
	v_cmp_eq_u32_e32 vcc, 0, v6
	v_cndmask_b32_e32 v6, v6, v7, vcc
	v_cndmask_b32_e32 v1, v3, v1, vcc
	v_mov_b32_e32 v3, 0x3b800000
	v_lshlrev_b32_e32 v1, 20, v1
	v_and_b32_e32 v0, 0x80000000, v0
	v_lshl_add_u32 v3, v6, 23, v3
	v_or3_b32 v0, v0, v3, v1
.LBB195_848:
	s_or_b64 exec, exec, s[8:9]
.LBB195_849:
	s_mov_b64 s[6:7], -1
.LBB195_850:
	s_mov_b64 s[8:9], 0
.LBB195_851:
	s_and_b64 vcc, exec, s[8:9]
	s_cbranch_vccz .LBB195_886
; %bb.852:
	v_mov_b32_e32 v0, 22
	v_cmp_gt_i16_sdwa s[8:9], v35, v0 src0_sel:BYTE_0 src1_sel:DWORD
	s_and_b64 vcc, exec, s[8:9]
	s_cbranch_vccz .LBB195_862
; %bb.853:
	v_mov_b32_e32 v0, 24
	v_cmp_lt_i16_sdwa s[6:7], v35, v0 src0_sel:BYTE_0 src1_sel:DWORD
	s_and_b64 vcc, exec, s[6:7]
	s_cbranch_vccnz .LBB195_865
; %bb.854:
	v_cmp_gt_i16_sdwa s[6:7], v35, v0 src0_sel:BYTE_0 src1_sel:DWORD
	s_and_b64 vcc, exec, s[6:7]
	s_cbranch_vccz .LBB195_866
; %bb.855:
	global_load_ubyte v1, v[4:5], off
	s_movk_i32 s6, 0x7f
                                        ; implicit-def: $sgpr12
	s_waitcnt vmcnt(0)
	v_cmp_lt_i16_e32 vcc, s6, v1
	s_mov_b64 s[6:7], 0
	s_and_saveexec_b64 s[8:9], vcc
	s_xor_b64 s[8:9], exec, s[8:9]
	s_cbranch_execz .LBB195_878
; %bb.856:
	s_movk_i32 s6, 0x80
	v_cmp_eq_u16_e32 vcc, s6, v1
	s_mov_b64 s[6:7], -1
                                        ; implicit-def: $sgpr12
	s_and_saveexec_b64 s[10:11], vcc
; %bb.857:
	s_mov_b32 s12, 0x7f800001
	s_xor_b64 s[6:7], exec, -1
; %bb.858:
	s_or_b64 exec, exec, s[10:11]
	s_and_b64 s[6:7], s[6:7], exec
	s_or_saveexec_b64 s[8:9], s[8:9]
	v_mov_b32_e32 v0, s12
	s_xor_b64 exec, exec, s[8:9]
	s_cbranch_execnz .LBB195_879
.LBB195_859:
	s_or_b64 exec, exec, s[8:9]
	s_and_saveexec_b64 s[8:9], s[6:7]
	s_cbranch_execz .LBB195_861
.LBB195_860:
	v_lshlrev_b32_e32 v0, 24, v1
	v_and_b32_e32 v1, 0xffff, v1
	v_and_b32_e32 v3, 3, v1
	v_ffbh_u32_e32 v7, v3
	v_min_u32_e32 v7, 32, v7
	v_subrev_u32_e32 v8, 29, v7
	v_bfe_u32 v6, v1, 2, 5
	v_lshlrev_b32_e32 v1, v8, v1
	v_sub_u32_e32 v7, 30, v7
	v_and_b32_e32 v1, 3, v1
	v_cmp_eq_u32_e32 vcc, 0, v6
	v_cndmask_b32_e32 v6, v6, v7, vcc
	v_cndmask_b32_e32 v1, v3, v1, vcc
	v_mov_b32_e32 v3, 0x37800000
	v_lshlrev_b32_e32 v1, 21, v1
	v_and_b32_e32 v0, 0x80000000, v0
	v_lshl_add_u32 v3, v6, 23, v3
	v_or3_b32 v0, v0, v3, v1
.LBB195_861:
	s_or_b64 exec, exec, s[8:9]
	s_mov_b64 s[6:7], 0
	s_branch .LBB195_867
.LBB195_862:
	s_mov_b64 s[8:9], -1
                                        ; implicit-def: $vgpr0
	s_branch .LBB195_873
.LBB195_863:
	s_or_saveexec_b64 s[8:9], s[8:9]
	v_mov_b32_e32 v0, s12
	s_xor_b64 exec, exec, s[8:9]
	s_cbranch_execz .LBB195_846
.LBB195_864:
	v_cmp_ne_u16_e32 vcc, 0, v1
	s_andn2_b64 s[6:7], s[6:7], exec
	s_and_b64 s[10:11], vcc, exec
	v_mov_b32_e32 v0, 0
	s_or_b64 s[6:7], s[6:7], s[10:11]
	s_or_b64 exec, exec, s[8:9]
	s_and_saveexec_b64 s[8:9], s[6:7]
	s_cbranch_execnz .LBB195_847
	s_branch .LBB195_848
.LBB195_865:
	s_mov_b64 s[6:7], -1
                                        ; implicit-def: $vgpr0
	s_branch .LBB195_870
.LBB195_866:
	s_mov_b64 s[6:7], -1
                                        ; implicit-def: $vgpr0
.LBB195_867:
	s_and_b64 vcc, exec, s[6:7]
	s_cbranch_vccz .LBB195_869
; %bb.868:
	global_load_ubyte v0, v[4:5], off
	s_mov_b32 s6, 0x7f800000
	s_waitcnt vmcnt(0)
	v_lshlrev_b32_e32 v0, 24, v0
	v_and_b32_e32 v1, 0x7f000000, v0
	v_ffbh_u32_e32 v3, v1
	v_min_u32_e32 v3, 32, v3
	v_sub_u32_e64 v3, v3, 4 clamp
	v_lshlrev_b32_e32 v7, v3, v1
	v_lshlrev_b32_e32 v3, 23, v3
	v_lshrrev_b32_e32 v7, 4, v7
	v_add_u32_e32 v6, 0x1000000, v1
	v_sub_u32_e32 v3, v7, v3
	v_ashrrev_i32_e32 v6, 8, v6
	v_add_u32_e32 v3, 0x3c000000, v3
	v_and_or_b32 v3, v6, s6, v3
	v_cmp_ne_u32_e32 vcc, 0, v1
	v_cndmask_b32_e32 v1, 0, v3, vcc
	s_brev_b32 s6, 1
	v_and_or_b32 v0, v0, s6, v1
.LBB195_869:
	s_mov_b64 s[6:7], 0
.LBB195_870:
	s_andn2_b64 vcc, exec, s[6:7]
	s_cbranch_vccnz .LBB195_872
; %bb.871:
	global_load_ubyte v0, v[4:5], off
	s_movk_i32 s6, 0x7f00
	s_brev_b32 s7, 16
	s_waitcnt vmcnt(0)
	v_lshlrev_b16_e32 v1, 8, v0
	v_lshlrev_b32_e32 v0, 25, v0
	v_lshrrev_b32_e32 v3, 4, v0
	v_and_or_b32 v6, v1, s6, 0.5
	v_or_b32_e32 v3, 0x70000000, v3
	v_add_f32_e32 v6, -0.5, v6
	v_mul_f32_e32 v3, 0x7800000, v3
	v_cmp_gt_u32_e32 vcc, s7, v0
	v_bfe_i32 v1, v1, 0, 16
	v_cndmask_b32_e32 v0, v3, v6, vcc
	s_brev_b32 s6, 1
	v_and_or_b32 v0, v1, s6, v0
.LBB195_872:
	s_mov_b64 s[8:9], 0
	s_mov_b64 s[6:7], -1
.LBB195_873:
	s_andn2_b64 vcc, exec, s[8:9]
	s_cbranch_vccnz .LBB195_886
; %bb.874:
	v_mov_b32_e32 v0, 14
	v_cmp_gt_i16_sdwa s[8:9], v35, v0 src0_sel:BYTE_0 src1_sel:DWORD
	s_and_b64 vcc, exec, s[8:9]
	s_cbranch_vccz .LBB195_877
; %bb.875:
	v_mov_b32_e32 v0, 15
	v_cmp_eq_u16_sdwa s[8:9], v35, v0 src0_sel:BYTE_0 src1_sel:DWORD
	s_and_b64 vcc, exec, s[8:9]
	s_cbranch_vccz .LBB195_880
; %bb.876:
	global_load_ushort v0, v[4:5], off
	s_mov_b64 s[6:7], -1
	s_mov_b64 s[74:75], 0
	s_waitcnt vmcnt(0)
	v_lshlrev_b32_e32 v0, 16, v0
	s_branch .LBB195_881
.LBB195_877:
	s_mov_b64 s[8:9], -1
                                        ; implicit-def: $vgpr0
	s_branch .LBB195_882
.LBB195_878:
	s_or_saveexec_b64 s[8:9], s[8:9]
	v_mov_b32_e32 v0, s12
	s_xor_b64 exec, exec, s[8:9]
	s_cbranch_execz .LBB195_859
.LBB195_879:
	v_cmp_ne_u16_e32 vcc, 0, v1
	s_andn2_b64 s[6:7], s[6:7], exec
	s_and_b64 s[10:11], vcc, exec
	v_mov_b32_e32 v0, 0
	s_or_b64 s[6:7], s[6:7], s[10:11]
	s_or_b64 exec, exec, s[8:9]
	s_and_saveexec_b64 s[8:9], s[6:7]
	s_cbranch_execnz .LBB195_860
	s_branch .LBB195_861
.LBB195_880:
	s_mov_b64 s[74:75], -1
                                        ; implicit-def: $vgpr0
.LBB195_881:
	s_mov_b64 s[8:9], 0
.LBB195_882:
	s_and_b64 vcc, exec, s[8:9]
	s_cbranch_vccz .LBB195_886
; %bb.883:
	v_mov_b32_e32 v0, 11
	v_cmp_eq_u16_sdwa s[8:9], v35, v0 src0_sel:BYTE_0 src1_sel:DWORD
	s_and_b64 vcc, exec, s[8:9]
	s_cbranch_vccz .LBB195_885
; %bb.884:
	global_load_ubyte v0, v[4:5], off
	s_mov_b64 s[6:7], -1
	s_mov_b64 s[74:75], 0
	s_waitcnt vmcnt(0)
	v_cmp_ne_u16_e32 vcc, 0, v0
	v_cndmask_b32_e64 v0, 0, 1.0, vcc
	s_branch .LBB195_886
.LBB195_885:
	s_mov_b64 s[74:75], -1
                                        ; implicit-def: $vgpr0
.LBB195_886:
	s_mov_b64 s[8:9], 0
.LBB195_887:
	s_and_b64 vcc, exec, s[8:9]
	s_cbranch_vccz .LBB195_936
; %bb.888:
	v_mov_b32_e32 v0, 5
	v_cmp_lt_i16_sdwa s[6:7], v35, v0 src0_sel:BYTE_0 src1_sel:DWORD
	s_and_b64 vcc, exec, s[6:7]
	s_cbranch_vccnz .LBB195_893
; %bb.889:
	v_mov_b32_e32 v0, 8
	v_cmp_lt_i16_sdwa s[6:7], v35, v0 src0_sel:BYTE_0 src1_sel:DWORD
	s_and_b64 vcc, exec, s[6:7]
	s_cbranch_vccnz .LBB195_894
	;; [unrolled: 5-line block ×3, first 2 shown]
; %bb.891:
	v_cmp_gt_i16_sdwa s[6:7], v35, v0 src0_sel:BYTE_0 src1_sel:DWORD
	s_and_b64 vcc, exec, s[6:7]
	s_cbranch_vccz .LBB195_896
; %bb.892:
	global_load_dwordx2 v[0:1], v[4:5], off
	s_mov_b64 s[6:7], 0
	s_waitcnt vmcnt(0)
	v_cvt_f32_f64_e32 v0, v[0:1]
	s_branch .LBB195_897
.LBB195_893:
	s_mov_b64 s[6:7], -1
                                        ; implicit-def: $vgpr0
	s_branch .LBB195_915
.LBB195_894:
	s_mov_b64 s[6:7], -1
                                        ; implicit-def: $vgpr0
	s_branch .LBB195_903
.LBB195_895:
	s_mov_b64 s[6:7], -1
                                        ; implicit-def: $vgpr0
	s_branch .LBB195_900
.LBB195_896:
	s_mov_b64 s[6:7], -1
                                        ; implicit-def: $vgpr0
.LBB195_897:
	s_andn2_b64 vcc, exec, s[6:7]
	s_cbranch_vccnz .LBB195_899
; %bb.898:
	global_load_dword v0, v[4:5], off
.LBB195_899:
	s_mov_b64 s[6:7], 0
.LBB195_900:
	s_andn2_b64 vcc, exec, s[6:7]
	s_cbranch_vccnz .LBB195_902
; %bb.901:
	global_load_dword v0, v[4:5], off
	s_waitcnt vmcnt(0)
	v_cvt_f32_f16_e32 v0, v0
.LBB195_902:
	s_mov_b64 s[6:7], 0
.LBB195_903:
	s_andn2_b64 vcc, exec, s[6:7]
	s_cbranch_vccnz .LBB195_914
; %bb.904:
	s_waitcnt vmcnt(0)
	v_mov_b32_e32 v0, 6
	v_cmp_lt_i16_sdwa s[6:7], v35, v0 src0_sel:BYTE_0 src1_sel:DWORD
	s_and_b64 vcc, exec, s[6:7]
	s_cbranch_vccnz .LBB195_907
; %bb.905:
	v_cmp_gt_i16_sdwa s[6:7], v35, v0 src0_sel:BYTE_0 src1_sel:DWORD
	s_and_b64 vcc, exec, s[6:7]
	s_cbranch_vccz .LBB195_908
; %bb.906:
	global_load_dwordx2 v[0:1], v[4:5], off
	s_mov_b64 s[6:7], 0
	s_waitcnt vmcnt(0)
	v_cvt_f32_f64_e32 v0, v[0:1]
	s_branch .LBB195_909
.LBB195_907:
	s_mov_b64 s[6:7], -1
                                        ; implicit-def: $vgpr0
	s_branch .LBB195_912
.LBB195_908:
	s_mov_b64 s[6:7], -1
                                        ; implicit-def: $vgpr0
.LBB195_909:
	s_andn2_b64 vcc, exec, s[6:7]
	s_cbranch_vccnz .LBB195_911
; %bb.910:
	global_load_dword v0, v[4:5], off
.LBB195_911:
	s_mov_b64 s[6:7], 0
.LBB195_912:
	s_andn2_b64 vcc, exec, s[6:7]
	s_cbranch_vccnz .LBB195_914
; %bb.913:
	global_load_ushort v0, v[4:5], off
	s_waitcnt vmcnt(0)
	v_cvt_f32_f16_e32 v0, v0
.LBB195_914:
	s_mov_b64 s[6:7], 0
.LBB195_915:
	s_andn2_b64 vcc, exec, s[6:7]
	s_cbranch_vccnz .LBB195_935
; %bb.916:
	s_waitcnt vmcnt(0)
	v_mov_b32_e32 v0, 2
	v_cmp_lt_i16_sdwa s[6:7], v35, v0 src0_sel:BYTE_0 src1_sel:DWORD
	s_and_b64 vcc, exec, s[6:7]
	s_cbranch_vccnz .LBB195_920
; %bb.917:
	v_mov_b32_e32 v0, 3
	v_cmp_lt_i16_sdwa s[6:7], v35, v0 src0_sel:BYTE_0 src1_sel:DWORD
	s_and_b64 vcc, exec, s[6:7]
	s_cbranch_vccnz .LBB195_921
; %bb.918:
	v_cmp_gt_i16_sdwa s[6:7], v35, v0 src0_sel:BYTE_0 src1_sel:DWORD
	s_and_b64 vcc, exec, s[6:7]
	s_cbranch_vccz .LBB195_922
; %bb.919:
	global_load_dwordx2 v[0:1], v[4:5], off
	s_mov_b64 s[6:7], 0
	s_waitcnt vmcnt(0)
	v_xor_b32_e32 v6, v0, v1
	v_ffbh_i32_e32 v3, v1
	v_ashrrev_i32_e32 v6, 31, v6
	v_add_u32_e32 v3, -1, v3
	v_add_u32_e32 v6, 32, v6
	v_min_u32_e32 v3, v3, v6
	v_lshlrev_b64 v[0:1], v3, v[0:1]
	v_min_u32_e32 v0, 1, v0
	v_or_b32_e32 v0, v1, v0
	v_cvt_f32_i32_e32 v0, v0
	v_sub_u32_e32 v1, 32, v3
	v_ldexp_f32 v0, v0, v1
	s_branch .LBB195_923
.LBB195_920:
	s_mov_b64 s[6:7], -1
                                        ; implicit-def: $vgpr0
	s_branch .LBB195_929
.LBB195_921:
	s_mov_b64 s[6:7], -1
                                        ; implicit-def: $vgpr0
	s_branch .LBB195_926
.LBB195_922:
	s_mov_b64 s[6:7], -1
                                        ; implicit-def: $vgpr0
.LBB195_923:
	s_andn2_b64 vcc, exec, s[6:7]
	s_cbranch_vccnz .LBB195_925
; %bb.924:
	global_load_dword v0, v[4:5], off
	s_waitcnt vmcnt(0)
	v_cvt_f32_i32_e32 v0, v0
.LBB195_925:
	s_mov_b64 s[6:7], 0
.LBB195_926:
	s_andn2_b64 vcc, exec, s[6:7]
	s_cbranch_vccnz .LBB195_928
; %bb.927:
	global_load_sshort v0, v[4:5], off
	s_waitcnt vmcnt(0)
	v_cvt_f32_i32_e32 v0, v0
.LBB195_928:
	s_mov_b64 s[6:7], 0
.LBB195_929:
	s_andn2_b64 vcc, exec, s[6:7]
	s_cbranch_vccnz .LBB195_935
; %bb.930:
	v_mov_b32_e32 v0, 0
	v_cmp_gt_i16_sdwa s[6:7], v35, v0 src0_sel:BYTE_0 src1_sel:DWORD
	s_and_b64 vcc, exec, s[6:7]
	s_cbranch_vccz .LBB195_932
; %bb.931:
	global_load_sbyte v0, v[4:5], off
	s_mov_b64 s[6:7], 0
	s_waitcnt vmcnt(0)
	v_cvt_f32_i32_e32 v0, v0
	s_branch .LBB195_933
.LBB195_932:
	s_mov_b64 s[6:7], -1
                                        ; implicit-def: $vgpr0
.LBB195_933:
	s_andn2_b64 vcc, exec, s[6:7]
	s_cbranch_vccnz .LBB195_935
; %bb.934:
	global_load_ubyte v0, v[4:5], off
	s_waitcnt vmcnt(0)
	v_cvt_f32_ubyte0_e32 v0, v0
.LBB195_935:
	s_mov_b64 s[6:7], -1
.LBB195_936:
	s_andn2_b64 vcc, exec, s[6:7]
	s_cbranch_vccnz .LBB195_944
; %bb.937:
	v_mov_b32_e32 v1, s47
	v_add_co_u32_e32 v2, vcc, s46, v2
	v_addc_co_u32_e32 v3, vcc, 0, v1, vcc
	v_mov_b32_e32 v1, 11
	v_cmp_lt_i16_sdwa s[6:7], v33, v1 src0_sel:BYTE_0 src1_sel:DWORD
	s_and_b64 vcc, exec, s[6:7]
	s_cbranch_vccnz .LBB195_946
; %bb.938:
	v_mov_b32_e32 v1, 25
	v_cmp_gt_i16_sdwa s[6:7], v33, v1 src0_sel:BYTE_0 src1_sel:DWORD
	s_and_b64 vcc, exec, s[6:7]
	s_cbranch_vccz .LBB195_947
; %bb.939:
	v_mov_b32_e32 v1, 28
	v_cmp_gt_i16_sdwa s[6:7], v33, v1 src0_sel:BYTE_0 src1_sel:DWORD
	s_and_b64 vcc, exec, s[6:7]
	s_cbranch_vccz .LBB195_948
	;; [unrolled: 5-line block ×4, first 2 shown]
; %bb.942:
	v_mov_b32_e32 v1, 46
	v_cmp_eq_u16_sdwa s[6:7], v33, v1 src0_sel:BYTE_0 src1_sel:DWORD
	s_mov_b64 s[8:9], 0
	s_and_b64 vcc, exec, s[6:7]
	s_cbranch_vccz .LBB195_953
; %bb.943:
	global_load_dword v1, v[2:3], off
	s_mov_b64 s[6:7], -1
	s_mov_b64 s[76:77], 0
	s_waitcnt vmcnt(0)
	v_lshlrev_b32_e32 v1, 16, v1
	s_branch .LBB195_954
.LBB195_944:
	s_mov_b64 s[12:13], 0
	s_mov_b64 s[6:7], s[68:69]
	;; [unrolled: 1-line block ×3, first 2 shown]
.LBB195_945:
                                        ; implicit-def: $vgpr34
	s_branch .LBB195_1192
.LBB195_946:
	s_mov_b64 s[8:9], -1
	s_mov_b64 s[6:7], 0
                                        ; implicit-def: $vgpr1
	s_mov_b64 s[76:77], s[66:67]
	s_branch .LBB195_1019
.LBB195_947:
	s_mov_b64 s[8:9], -1
	s_mov_b64 s[6:7], 0
	s_mov_b64 s[76:77], s[66:67]
                                        ; implicit-def: $vgpr1
	s_branch .LBB195_983
.LBB195_948:
	s_mov_b64 s[8:9], -1
	s_mov_b64 s[6:7], 0
	s_mov_b64 s[76:77], s[66:67]
                                        ; implicit-def: $vgpr1
	s_branch .LBB195_964
.LBB195_949:
	s_mov_b64 s[8:9], -1
	s_mov_b64 s[6:7], 0
	s_mov_b64 s[76:77], s[66:67]
                                        ; implicit-def: $vgpr1
	s_branch .LBB195_959
.LBB195_950:
	s_mov_b64 s[8:9], -1
	s_mov_b64 s[6:7], 0
	s_mov_b64 s[76:77], s[66:67]
                                        ; implicit-def: $vgpr1
	s_branch .LBB195_954
.LBB195_951:
	s_or_saveexec_b64 s[12:13], s[12:13]
                                        ; implicit-def: $sgpr14
	s_xor_b64 exec, exec, s[12:13]
	s_cbranch_execz .LBB195_716
.LBB195_952:
	s_mov_b32 s14, 0x42800000
	v_add_f32_e64 v1, |v0|, s14
	v_and_b32_e32 v1, 0xff, v1
	v_cmp_ne_u32_e32 vcc, 0, v1
	s_andn2_b64 s[10:11], s[10:11], exec
	s_and_b64 s[16:17], vcc, exec
	s_mov_b32 s14, 0
	s_or_b64 s[10:11], s[10:11], s[16:17]
	s_or_b64 exec, exec, s[12:13]
	v_mov_b32_e32 v4, s14
	s_and_saveexec_b64 s[12:13], s[10:11]
	s_cbranch_execnz .LBB195_717
	s_branch .LBB195_718
.LBB195_953:
	s_mov_b64 s[76:77], -1
                                        ; implicit-def: $vgpr1
	s_mov_b64 s[6:7], 0
.LBB195_954:
	s_and_b64 vcc, exec, s[8:9]
	s_cbranch_vccz .LBB195_958
; %bb.955:
	v_mov_b32_e32 v1, 44
	v_cmp_eq_u16_sdwa s[8:9], v33, v1 src0_sel:BYTE_0 src1_sel:DWORD
	s_and_b64 vcc, exec, s[8:9]
	s_cbranch_vccz .LBB195_957
; %bb.956:
	global_load_ubyte v1, v[2:3], off
	s_movk_i32 s8, 0xff
	v_mov_b32_e32 v4, 0x7f800001
	v_mov_b32_e32 v5, 0x400000
	s_mov_b64 s[6:7], -1
	s_mov_b64 s[76:77], 0
	s_waitcnt vmcnt(0)
	v_lshlrev_b32_e32 v6, 23, v1
	v_cmp_ne_u32_e32 vcc, s8, v1
	v_cndmask_b32_e32 v4, v4, v6, vcc
	v_cmp_ne_u32_e32 vcc, 0, v1
	v_cndmask_b32_e32 v1, v5, v4, vcc
	s_branch .LBB195_958
.LBB195_957:
	s_mov_b64 s[76:77], -1
                                        ; implicit-def: $vgpr1
.LBB195_958:
	s_mov_b64 s[8:9], 0
.LBB195_959:
	s_and_b64 vcc, exec, s[8:9]
	s_cbranch_vccz .LBB195_963
; %bb.960:
	v_mov_b32_e32 v1, 29
	v_cmp_eq_u16_sdwa s[8:9], v33, v1 src0_sel:BYTE_0 src1_sel:DWORD
	s_and_b64 vcc, exec, s[8:9]
	s_cbranch_vccz .LBB195_962
; %bb.961:
	global_load_dwordx2 v[4:5], v[2:3], off
	s_mov_b64 s[6:7], -1
	s_mov_b64 s[76:77], 0
	s_mov_b64 s[8:9], 0
	s_waitcnt vmcnt(0)
	v_ffbh_u32_e32 v1, v5
	v_min_u32_e32 v1, 32, v1
	v_lshlrev_b64 v[4:5], v1, v[4:5]
	v_min_u32_e32 v4, 1, v4
	v_or_b32_e32 v4, v5, v4
	v_cvt_f32_u32_e32 v4, v4
	v_sub_u32_e32 v1, 32, v1
	v_ldexp_f32 v1, v4, v1
	s_branch .LBB195_964
.LBB195_962:
	s_mov_b64 s[76:77], -1
                                        ; implicit-def: $vgpr1
.LBB195_963:
	s_mov_b64 s[8:9], 0
.LBB195_964:
	s_and_b64 vcc, exec, s[8:9]
	s_cbranch_vccz .LBB195_982
; %bb.965:
	v_mov_b32_e32 v1, 27
	v_cmp_lt_i16_sdwa s[6:7], v33, v1 src0_sel:BYTE_0 src1_sel:DWORD
	s_and_b64 vcc, exec, s[6:7]
	s_cbranch_vccnz .LBB195_968
; %bb.966:
	v_cmp_gt_i16_sdwa s[6:7], v33, v1 src0_sel:BYTE_0 src1_sel:DWORD
	s_and_b64 vcc, exec, s[6:7]
	s_cbranch_vccz .LBB195_969
; %bb.967:
	global_load_dword v1, v[2:3], off
	s_mov_b64 s[6:7], 0
	s_waitcnt vmcnt(0)
	v_cvt_f32_u32_e32 v1, v1
	s_branch .LBB195_970
.LBB195_968:
	s_mov_b64 s[6:7], -1
                                        ; implicit-def: $vgpr1
	s_branch .LBB195_973
.LBB195_969:
	s_mov_b64 s[6:7], -1
                                        ; implicit-def: $vgpr1
.LBB195_970:
	s_andn2_b64 vcc, exec, s[6:7]
	s_cbranch_vccnz .LBB195_972
; %bb.971:
	global_load_ushort v1, v[2:3], off
	s_waitcnt vmcnt(0)
	v_cvt_f32_u32_e32 v1, v1
.LBB195_972:
	s_mov_b64 s[6:7], 0
.LBB195_973:
	s_andn2_b64 vcc, exec, s[6:7]
	s_cbranch_vccnz .LBB195_981
; %bb.974:
	global_load_ubyte v4, v[2:3], off
	s_movk_i32 s6, 0x7f
                                        ; implicit-def: $sgpr12
	s_waitcnt vmcnt(0)
	v_cmp_lt_i16_e32 vcc, s6, v4
	s_mov_b64 s[6:7], 0
	s_and_saveexec_b64 s[8:9], vcc
	s_xor_b64 s[8:9], exec, s[8:9]
	s_cbranch_execz .LBB195_995
; %bb.975:
	s_movk_i32 s6, 0x80
	v_cmp_eq_u16_e32 vcc, s6, v4
	s_mov_b64 s[6:7], -1
                                        ; implicit-def: $sgpr12
	s_and_saveexec_b64 s[10:11], vcc
; %bb.976:
	s_mov_b32 s12, 0x7f800001
	s_xor_b64 s[6:7], exec, -1
; %bb.977:
	s_or_b64 exec, exec, s[10:11]
	s_and_b64 s[6:7], s[6:7], exec
	s_or_saveexec_b64 s[8:9], s[8:9]
	v_mov_b32_e32 v1, s12
	s_xor_b64 exec, exec, s[8:9]
	s_cbranch_execnz .LBB195_996
.LBB195_978:
	s_or_b64 exec, exec, s[8:9]
	s_and_saveexec_b64 s[8:9], s[6:7]
	s_cbranch_execz .LBB195_980
.LBB195_979:
	v_lshlrev_b32_e32 v1, 24, v4
	v_and_b32_e32 v4, 0xffff, v4
	v_and_b32_e32 v5, 7, v4
	v_ffbh_u32_e32 v7, v5
	v_min_u32_e32 v7, 32, v7
	v_subrev_u32_e32 v8, 28, v7
	v_bfe_u32 v6, v4, 3, 4
	v_lshlrev_b32_e32 v4, v8, v4
	v_sub_u32_e32 v7, 29, v7
	v_and_b32_e32 v4, 7, v4
	v_cmp_eq_u32_e32 vcc, 0, v6
	v_cndmask_b32_e32 v6, v6, v7, vcc
	v_cndmask_b32_e32 v4, v5, v4, vcc
	v_mov_b32_e32 v5, 0x3b800000
	v_lshlrev_b32_e32 v4, 20, v4
	v_and_b32_e32 v1, 0x80000000, v1
	v_lshl_add_u32 v5, v6, 23, v5
	v_or3_b32 v1, v1, v5, v4
.LBB195_980:
	s_or_b64 exec, exec, s[8:9]
.LBB195_981:
	s_mov_b64 s[6:7], -1
.LBB195_982:
	s_mov_b64 s[8:9], 0
.LBB195_983:
	s_and_b64 vcc, exec, s[8:9]
	s_cbranch_vccz .LBB195_1018
; %bb.984:
	v_mov_b32_e32 v1, 22
	v_cmp_gt_i16_sdwa s[8:9], v33, v1 src0_sel:BYTE_0 src1_sel:DWORD
	s_and_b64 vcc, exec, s[8:9]
	s_cbranch_vccz .LBB195_994
; %bb.985:
	v_mov_b32_e32 v1, 24
	v_cmp_lt_i16_sdwa s[6:7], v33, v1 src0_sel:BYTE_0 src1_sel:DWORD
	s_and_b64 vcc, exec, s[6:7]
	s_cbranch_vccnz .LBB195_997
; %bb.986:
	v_cmp_gt_i16_sdwa s[6:7], v33, v1 src0_sel:BYTE_0 src1_sel:DWORD
	s_and_b64 vcc, exec, s[6:7]
	s_cbranch_vccz .LBB195_998
; %bb.987:
	global_load_ubyte v4, v[2:3], off
	s_movk_i32 s6, 0x7f
                                        ; implicit-def: $sgpr12
	s_waitcnt vmcnt(0)
	v_cmp_lt_i16_e32 vcc, s6, v4
	s_mov_b64 s[6:7], 0
	s_and_saveexec_b64 s[8:9], vcc
	s_xor_b64 s[8:9], exec, s[8:9]
	s_cbranch_execz .LBB195_1010
; %bb.988:
	s_movk_i32 s6, 0x80
	v_cmp_eq_u16_e32 vcc, s6, v4
	s_mov_b64 s[6:7], -1
                                        ; implicit-def: $sgpr12
	s_and_saveexec_b64 s[10:11], vcc
; %bb.989:
	s_mov_b32 s12, 0x7f800001
	s_xor_b64 s[6:7], exec, -1
; %bb.990:
	s_or_b64 exec, exec, s[10:11]
	s_and_b64 s[6:7], s[6:7], exec
	s_or_saveexec_b64 s[8:9], s[8:9]
	v_mov_b32_e32 v1, s12
	s_xor_b64 exec, exec, s[8:9]
	s_cbranch_execnz .LBB195_1011
.LBB195_991:
	s_or_b64 exec, exec, s[8:9]
	s_and_saveexec_b64 s[8:9], s[6:7]
	s_cbranch_execz .LBB195_993
.LBB195_992:
	v_lshlrev_b32_e32 v1, 24, v4
	v_and_b32_e32 v4, 0xffff, v4
	v_and_b32_e32 v5, 3, v4
	v_ffbh_u32_e32 v7, v5
	v_min_u32_e32 v7, 32, v7
	v_subrev_u32_e32 v8, 29, v7
	v_bfe_u32 v6, v4, 2, 5
	v_lshlrev_b32_e32 v4, v8, v4
	v_sub_u32_e32 v7, 30, v7
	v_and_b32_e32 v4, 3, v4
	v_cmp_eq_u32_e32 vcc, 0, v6
	v_cndmask_b32_e32 v6, v6, v7, vcc
	v_cndmask_b32_e32 v4, v5, v4, vcc
	v_mov_b32_e32 v5, 0x37800000
	v_lshlrev_b32_e32 v4, 21, v4
	v_and_b32_e32 v1, 0x80000000, v1
	v_lshl_add_u32 v5, v6, 23, v5
	v_or3_b32 v1, v1, v5, v4
.LBB195_993:
	s_or_b64 exec, exec, s[8:9]
	s_mov_b64 s[6:7], 0
	s_branch .LBB195_999
.LBB195_994:
	s_mov_b64 s[8:9], -1
                                        ; implicit-def: $vgpr1
	s_branch .LBB195_1005
.LBB195_995:
	s_or_saveexec_b64 s[8:9], s[8:9]
	v_mov_b32_e32 v1, s12
	s_xor_b64 exec, exec, s[8:9]
	s_cbranch_execz .LBB195_978
.LBB195_996:
	v_cmp_ne_u16_e32 vcc, 0, v4
	s_andn2_b64 s[6:7], s[6:7], exec
	s_and_b64 s[10:11], vcc, exec
	v_mov_b32_e32 v1, 0
	s_or_b64 s[6:7], s[6:7], s[10:11]
	s_or_b64 exec, exec, s[8:9]
	s_and_saveexec_b64 s[8:9], s[6:7]
	s_cbranch_execnz .LBB195_979
	s_branch .LBB195_980
.LBB195_997:
	s_mov_b64 s[6:7], -1
                                        ; implicit-def: $vgpr1
	s_branch .LBB195_1002
.LBB195_998:
	s_mov_b64 s[6:7], -1
                                        ; implicit-def: $vgpr1
.LBB195_999:
	s_and_b64 vcc, exec, s[6:7]
	s_cbranch_vccz .LBB195_1001
; %bb.1000:
	global_load_ubyte v1, v[2:3], off
	s_mov_b32 s6, 0x7f800000
	s_waitcnt vmcnt(0)
	v_lshlrev_b32_e32 v1, 24, v1
	v_and_b32_e32 v4, 0x7f000000, v1
	v_ffbh_u32_e32 v5, v4
	v_min_u32_e32 v5, 32, v5
	v_sub_u32_e64 v5, v5, 4 clamp
	v_lshlrev_b32_e32 v7, v5, v4
	v_lshlrev_b32_e32 v5, 23, v5
	v_lshrrev_b32_e32 v7, 4, v7
	v_add_u32_e32 v6, 0x1000000, v4
	v_sub_u32_e32 v5, v7, v5
	v_ashrrev_i32_e32 v6, 8, v6
	v_add_u32_e32 v5, 0x3c000000, v5
	v_and_or_b32 v5, v6, s6, v5
	v_cmp_ne_u32_e32 vcc, 0, v4
	v_cndmask_b32_e32 v4, 0, v5, vcc
	s_brev_b32 s6, 1
	v_and_or_b32 v1, v1, s6, v4
.LBB195_1001:
	s_mov_b64 s[6:7], 0
.LBB195_1002:
	s_andn2_b64 vcc, exec, s[6:7]
	s_cbranch_vccnz .LBB195_1004
; %bb.1003:
	global_load_ubyte v1, v[2:3], off
	s_movk_i32 s6, 0x7f00
	s_brev_b32 s7, 16
	s_waitcnt vmcnt(0)
	v_lshlrev_b16_e32 v4, 8, v1
	v_lshlrev_b32_e32 v1, 25, v1
	v_lshrrev_b32_e32 v5, 4, v1
	v_and_or_b32 v6, v4, s6, 0.5
	v_or_b32_e32 v5, 0x70000000, v5
	v_add_f32_e32 v6, -0.5, v6
	v_mul_f32_e32 v5, 0x7800000, v5
	v_cmp_gt_u32_e32 vcc, s7, v1
	v_bfe_i32 v4, v4, 0, 16
	v_cndmask_b32_e32 v1, v5, v6, vcc
	s_brev_b32 s6, 1
	v_and_or_b32 v1, v4, s6, v1
.LBB195_1004:
	s_mov_b64 s[8:9], 0
	s_mov_b64 s[6:7], -1
.LBB195_1005:
	s_andn2_b64 vcc, exec, s[8:9]
	s_cbranch_vccnz .LBB195_1018
; %bb.1006:
	v_mov_b32_e32 v1, 14
	v_cmp_gt_i16_sdwa s[8:9], v33, v1 src0_sel:BYTE_0 src1_sel:DWORD
	s_and_b64 vcc, exec, s[8:9]
	s_cbranch_vccz .LBB195_1009
; %bb.1007:
	v_mov_b32_e32 v1, 15
	v_cmp_eq_u16_sdwa s[8:9], v33, v1 src0_sel:BYTE_0 src1_sel:DWORD
	s_and_b64 vcc, exec, s[8:9]
	s_cbranch_vccz .LBB195_1012
; %bb.1008:
	global_load_ushort v1, v[2:3], off
	s_mov_b64 s[6:7], -1
	s_mov_b64 s[76:77], 0
	s_waitcnt vmcnt(0)
	v_lshlrev_b32_e32 v1, 16, v1
	s_branch .LBB195_1013
.LBB195_1009:
	s_mov_b64 s[8:9], -1
                                        ; implicit-def: $vgpr1
	s_branch .LBB195_1014
.LBB195_1010:
	s_or_saveexec_b64 s[8:9], s[8:9]
	v_mov_b32_e32 v1, s12
	s_xor_b64 exec, exec, s[8:9]
	s_cbranch_execz .LBB195_991
.LBB195_1011:
	v_cmp_ne_u16_e32 vcc, 0, v4
	s_andn2_b64 s[6:7], s[6:7], exec
	s_and_b64 s[10:11], vcc, exec
	v_mov_b32_e32 v1, 0
	s_or_b64 s[6:7], s[6:7], s[10:11]
	s_or_b64 exec, exec, s[8:9]
	s_and_saveexec_b64 s[8:9], s[6:7]
	s_cbranch_execnz .LBB195_992
	s_branch .LBB195_993
.LBB195_1012:
	s_mov_b64 s[76:77], -1
                                        ; implicit-def: $vgpr1
.LBB195_1013:
	s_mov_b64 s[8:9], 0
.LBB195_1014:
	s_and_b64 vcc, exec, s[8:9]
	s_cbranch_vccz .LBB195_1018
; %bb.1015:
	v_mov_b32_e32 v1, 11
	v_cmp_eq_u16_sdwa s[8:9], v33, v1 src0_sel:BYTE_0 src1_sel:DWORD
	s_and_b64 vcc, exec, s[8:9]
	s_cbranch_vccz .LBB195_1017
; %bb.1016:
	global_load_ubyte v1, v[2:3], off
	s_mov_b64 s[6:7], -1
	s_mov_b64 s[76:77], 0
	s_waitcnt vmcnt(0)
	v_cmp_ne_u16_e32 vcc, 0, v1
	v_cndmask_b32_e64 v1, 0, 1.0, vcc
	s_branch .LBB195_1018
.LBB195_1017:
	s_mov_b64 s[76:77], -1
                                        ; implicit-def: $vgpr1
.LBB195_1018:
	s_mov_b64 s[8:9], 0
.LBB195_1019:
	s_and_b64 vcc, exec, s[8:9]
	s_cbranch_vccz .LBB195_1068
; %bb.1020:
	v_mov_b32_e32 v1, 5
	v_cmp_lt_i16_sdwa s[6:7], v33, v1 src0_sel:BYTE_0 src1_sel:DWORD
	s_and_b64 vcc, exec, s[6:7]
	s_cbranch_vccnz .LBB195_1025
; %bb.1021:
	v_mov_b32_e32 v1, 8
	v_cmp_lt_i16_sdwa s[6:7], v33, v1 src0_sel:BYTE_0 src1_sel:DWORD
	s_and_b64 vcc, exec, s[6:7]
	s_cbranch_vccnz .LBB195_1026
	;; [unrolled: 5-line block ×3, first 2 shown]
; %bb.1023:
	v_cmp_gt_i16_sdwa s[6:7], v33, v1 src0_sel:BYTE_0 src1_sel:DWORD
	s_and_b64 vcc, exec, s[6:7]
	s_cbranch_vccz .LBB195_1028
; %bb.1024:
	global_load_dwordx2 v[4:5], v[2:3], off
	s_mov_b64 s[6:7], 0
	s_waitcnt vmcnt(0)
	v_cvt_f32_f64_e32 v1, v[4:5]
	s_branch .LBB195_1029
.LBB195_1025:
	s_mov_b64 s[6:7], -1
                                        ; implicit-def: $vgpr1
	s_branch .LBB195_1047
.LBB195_1026:
	s_mov_b64 s[6:7], -1
                                        ; implicit-def: $vgpr1
	s_branch .LBB195_1035
.LBB195_1027:
	s_mov_b64 s[6:7], -1
                                        ; implicit-def: $vgpr1
	s_branch .LBB195_1032
.LBB195_1028:
	s_mov_b64 s[6:7], -1
                                        ; implicit-def: $vgpr1
.LBB195_1029:
	s_andn2_b64 vcc, exec, s[6:7]
	s_cbranch_vccnz .LBB195_1031
; %bb.1030:
	global_load_dword v1, v[2:3], off
.LBB195_1031:
	s_mov_b64 s[6:7], 0
.LBB195_1032:
	s_andn2_b64 vcc, exec, s[6:7]
	s_cbranch_vccnz .LBB195_1034
; %bb.1033:
	global_load_dword v1, v[2:3], off
	s_waitcnt vmcnt(0)
	v_cvt_f32_f16_e32 v1, v1
.LBB195_1034:
	s_mov_b64 s[6:7], 0
.LBB195_1035:
	s_andn2_b64 vcc, exec, s[6:7]
	s_cbranch_vccnz .LBB195_1046
; %bb.1036:
	s_waitcnt vmcnt(0)
	v_mov_b32_e32 v1, 6
	v_cmp_lt_i16_sdwa s[6:7], v33, v1 src0_sel:BYTE_0 src1_sel:DWORD
	s_and_b64 vcc, exec, s[6:7]
	s_cbranch_vccnz .LBB195_1039
; %bb.1037:
	v_cmp_gt_i16_sdwa s[6:7], v33, v1 src0_sel:BYTE_0 src1_sel:DWORD
	s_and_b64 vcc, exec, s[6:7]
	s_cbranch_vccz .LBB195_1040
; %bb.1038:
	global_load_dwordx2 v[4:5], v[2:3], off
	s_mov_b64 s[6:7], 0
	s_waitcnt vmcnt(0)
	v_cvt_f32_f64_e32 v1, v[4:5]
	s_branch .LBB195_1041
.LBB195_1039:
	s_mov_b64 s[6:7], -1
                                        ; implicit-def: $vgpr1
	s_branch .LBB195_1044
.LBB195_1040:
	s_mov_b64 s[6:7], -1
                                        ; implicit-def: $vgpr1
.LBB195_1041:
	s_andn2_b64 vcc, exec, s[6:7]
	s_cbranch_vccnz .LBB195_1043
; %bb.1042:
	global_load_dword v1, v[2:3], off
.LBB195_1043:
	s_mov_b64 s[6:7], 0
.LBB195_1044:
	s_andn2_b64 vcc, exec, s[6:7]
	s_cbranch_vccnz .LBB195_1046
; %bb.1045:
	global_load_ushort v1, v[2:3], off
	s_waitcnt vmcnt(0)
	v_cvt_f32_f16_e32 v1, v1
.LBB195_1046:
	s_mov_b64 s[6:7], 0
.LBB195_1047:
	s_andn2_b64 vcc, exec, s[6:7]
	s_cbranch_vccnz .LBB195_1067
; %bb.1048:
	s_waitcnt vmcnt(0)
	v_mov_b32_e32 v1, 2
	v_cmp_lt_i16_sdwa s[6:7], v33, v1 src0_sel:BYTE_0 src1_sel:DWORD
	s_and_b64 vcc, exec, s[6:7]
	s_cbranch_vccnz .LBB195_1052
; %bb.1049:
	v_mov_b32_e32 v1, 3
	v_cmp_lt_i16_sdwa s[6:7], v33, v1 src0_sel:BYTE_0 src1_sel:DWORD
	s_and_b64 vcc, exec, s[6:7]
	s_cbranch_vccnz .LBB195_1053
; %bb.1050:
	v_cmp_gt_i16_sdwa s[6:7], v33, v1 src0_sel:BYTE_0 src1_sel:DWORD
	s_and_b64 vcc, exec, s[6:7]
	s_cbranch_vccz .LBB195_1054
; %bb.1051:
	global_load_dwordx2 v[4:5], v[2:3], off
	s_mov_b64 s[6:7], 0
	s_waitcnt vmcnt(0)
	v_xor_b32_e32 v6, v4, v5
	v_ffbh_i32_e32 v1, v5
	v_ashrrev_i32_e32 v6, 31, v6
	v_add_u32_e32 v1, -1, v1
	v_add_u32_e32 v6, 32, v6
	v_min_u32_e32 v1, v1, v6
	v_lshlrev_b64 v[4:5], v1, v[4:5]
	v_min_u32_e32 v4, 1, v4
	v_or_b32_e32 v4, v5, v4
	v_cvt_f32_i32_e32 v4, v4
	v_sub_u32_e32 v1, 32, v1
	v_ldexp_f32 v1, v4, v1
	s_branch .LBB195_1055
.LBB195_1052:
	s_mov_b64 s[6:7], -1
                                        ; implicit-def: $vgpr1
	s_branch .LBB195_1061
.LBB195_1053:
	s_mov_b64 s[6:7], -1
                                        ; implicit-def: $vgpr1
	s_branch .LBB195_1058
.LBB195_1054:
	s_mov_b64 s[6:7], -1
                                        ; implicit-def: $vgpr1
.LBB195_1055:
	s_andn2_b64 vcc, exec, s[6:7]
	s_cbranch_vccnz .LBB195_1057
; %bb.1056:
	global_load_dword v1, v[2:3], off
	s_waitcnt vmcnt(0)
	v_cvt_f32_i32_e32 v1, v1
.LBB195_1057:
	s_mov_b64 s[6:7], 0
.LBB195_1058:
	s_andn2_b64 vcc, exec, s[6:7]
	s_cbranch_vccnz .LBB195_1060
; %bb.1059:
	global_load_sshort v1, v[2:3], off
	s_waitcnt vmcnt(0)
	v_cvt_f32_i32_e32 v1, v1
.LBB195_1060:
	s_mov_b64 s[6:7], 0
.LBB195_1061:
	s_andn2_b64 vcc, exec, s[6:7]
	s_cbranch_vccnz .LBB195_1067
; %bb.1062:
	v_mov_b32_e32 v1, 0
	v_cmp_gt_i16_sdwa s[6:7], v33, v1 src0_sel:BYTE_0 src1_sel:DWORD
	s_and_b64 vcc, exec, s[6:7]
	s_cbranch_vccz .LBB195_1064
; %bb.1063:
	global_load_sbyte v1, v[2:3], off
	s_mov_b64 s[6:7], 0
	s_waitcnt vmcnt(0)
	v_cvt_f32_i32_e32 v1, v1
	s_branch .LBB195_1065
.LBB195_1064:
	s_mov_b64 s[6:7], -1
                                        ; implicit-def: $vgpr1
.LBB195_1065:
	s_andn2_b64 vcc, exec, s[6:7]
	s_cbranch_vccnz .LBB195_1067
; %bb.1066:
	global_load_ubyte v1, v[2:3], off
	s_waitcnt vmcnt(0)
	v_cvt_f32_ubyte0_e32 v1, v1
.LBB195_1067:
	s_mov_b64 s[6:7], -1
.LBB195_1068:
	s_andn2_b64 vcc, exec, s[6:7]
	s_cbranch_vccnz .LBB195_1076
; %bb.1069:
	s_mov_b64 s[78:79], s[4:5]
	s_getpc_b64 s[4:5]
	s_add_u32 s4, s4, _ZZZZN2at6native33launch_standard_gamma_grad_kernelERNS_18TensorIteratorBaseEENKUlvE_clEvENKUlvE0_clEvENKUlffE_clEff@rel32@lo+4
	s_addc_u32 s5, s5, _ZZZZN2at6native33launch_standard_gamma_grad_kernelERNS_18TensorIteratorBaseEENKUlvE_clEvENKUlvE0_clEvENKUlffE_clEff@rel32@hi+12
	s_swappc_b64 s[30:31], s[4:5]
	v_mov_b32_e32 v1, s25
	v_add_co_u32_e32 v2, vcc, s24, v30
	v_addc_co_u32_e32 v3, vcc, 0, v1, vcc
	v_mov_b32_e32 v1, 11
	v_cmp_lt_i16_sdwa s[4:5], v32, v1 src0_sel:BYTE_0 src1_sel:DWORD
	s_and_b64 vcc, exec, s[4:5]
	s_cbranch_vccnz .LBB195_1077
; %bb.1070:
	v_mov_b32_e32 v1, 25
	v_cmp_gt_i16_sdwa s[4:5], v32, v1 src0_sel:BYTE_0 src1_sel:DWORD
	s_and_b64 vcc, exec, s[4:5]
	s_cbranch_vccz .LBB195_1078
; %bb.1071:
	v_mov_b32_e32 v1, 28
	v_cmp_gt_i16_sdwa s[4:5], v32, v1 src0_sel:BYTE_0 src1_sel:DWORD
	s_and_b64 vcc, exec, s[4:5]
	s_mov_b64 s[4:5], s[78:79]
	s_cbranch_vccz .LBB195_1079
; %bb.1072:
	v_mov_b32_e32 v1, 43
	v_cmp_gt_i16_sdwa s[6:7], v32, v1 src0_sel:BYTE_0 src1_sel:DWORD
	s_and_b64 vcc, exec, s[6:7]
	s_cbranch_vccz .LBB195_1080
; %bb.1073:
	v_mov_b32_e32 v1, 45
	v_cmp_gt_i16_sdwa s[6:7], v32, v1 src0_sel:BYTE_0 src1_sel:DWORD
	s_and_b64 vcc, exec, s[6:7]
	s_cbranch_vccz .LBB195_1081
; %bb.1074:
	v_mov_b32_e32 v1, 46
	v_cmp_eq_u16_sdwa s[8:9], v32, v1 src0_sel:BYTE_0 src1_sel:DWORD
	s_mov_b64 s[10:11], 0
	s_mov_b64 s[6:7], -1
	s_and_b64 vcc, exec, s[8:9]
	s_mov_b64 s[8:9], 0
	s_cbranch_vccz .LBB195_1082
; %bb.1075:
	v_bfe_u32 v1, v0, 16, 1
	s_movk_i32 s6, 0x7fff
	v_add3_u32 v1, v0, v1, s6
	v_lshrrev_b32_e32 v1, 16, v1
	v_mov_b32_e32 v4, 0x7fc0
	v_cmp_o_f32_e32 vcc, v0, v0
	v_cndmask_b32_e32 v1, v4, v1, vcc
	global_store_dword v[2:3], v1, off
	s_mov_b64 s[8:9], -1
	s_mov_b64 s[6:7], 0
	s_branch .LBB195_1082
.LBB195_1076:
	s_mov_b64 s[12:13], 0
                                        ; implicit-def: $vgpr34
	s_mov_b64 s[6:7], s[68:69]
	s_branch .LBB195_1192
.LBB195_1077:
	s_mov_b64 s[10:11], -1
	s_mov_b64 s[8:9], 0
	s_mov_b64 s[6:7], s[68:69]
	;; [unrolled: 1-line block ×3, first 2 shown]
	s_branch .LBB195_1151
.LBB195_1078:
	s_mov_b64 s[10:11], -1
	s_mov_b64 s[8:9], 0
	s_mov_b64 s[6:7], s[68:69]
	s_mov_b64 s[4:5], s[78:79]
	s_branch .LBB195_1109
.LBB195_1079:
	s_mov_b64 s[10:11], -1
	s_mov_b64 s[8:9], 0
	s_mov_b64 s[6:7], s[68:69]
	s_branch .LBB195_1092
.LBB195_1080:
	s_mov_b64 s[10:11], -1
	s_mov_b64 s[8:9], 0
	s_mov_b64 s[6:7], s[68:69]
	s_branch .LBB195_1088
.LBB195_1081:
	s_mov_b64 s[10:11], -1
	s_mov_b64 s[8:9], 0
	s_mov_b64 s[6:7], s[68:69]
.LBB195_1082:
	s_and_b64 vcc, exec, s[10:11]
	s_cbranch_vccz .LBB195_1087
; %bb.1083:
	v_mov_b32_e32 v1, 44
	v_cmp_eq_u16_sdwa s[10:11], v32, v1 src0_sel:BYTE_0 src1_sel:DWORD
	s_mov_b64 s[6:7], -1
	s_and_b64 vcc, exec, s[10:11]
	s_cbranch_vccz .LBB195_1087
; %bb.1084:
	v_bfe_u32 v1, v0, 23, 8
	s_movk_i32 s6, 0xff
	v_cmp_ne_u32_e32 vcc, s6, v1
	v_mov_b32_e32 v4, 0xff
	s_and_saveexec_b64 s[8:9], vcc
; %bb.1085:
	s_mov_b32 s6, 0x3fffff
	v_and_b32_e32 v5, 0x400000, v0
	v_and_or_b32 v1, v0, s6, v1
	v_cmp_ne_u32_e32 vcc, 0, v5
	v_cmp_ne_u32_e64 s[6:7], 0, v1
	s_and_b64 s[6:7], vcc, s[6:7]
	v_lshrrev_b32_e32 v4, 23, v0
	v_cndmask_b32_e64 v1, 0, 1, s[6:7]
	v_add_u32_e32 v4, v4, v1
; %bb.1086:
	s_or_b64 exec, exec, s[8:9]
	s_mov_b64 s[8:9], -1
	s_mov_b64 s[6:7], 0
	global_store_byte v[2:3], v4, off
.LBB195_1087:
	s_mov_b64 s[10:11], 0
.LBB195_1088:
	s_and_b64 vcc, exec, s[10:11]
	s_cbranch_vccz .LBB195_1091
; %bb.1089:
	v_mov_b32_e32 v1, 29
	v_cmp_eq_u16_sdwa s[10:11], v32, v1 src0_sel:BYTE_0 src1_sel:DWORD
	s_mov_b64 s[6:7], -1
	s_and_b64 vcc, exec, s[10:11]
	s_cbranch_vccz .LBB195_1091
; %bb.1090:
	v_trunc_f32_e32 v1, v0
	v_mul_f32_e32 v4, 0x2f800000, v1
	v_floor_f32_e32 v4, v4
	v_fmac_f32_e32 v1, 0xcf800000, v4
	v_cvt_u32_f32_e32 v5, v4
	v_cvt_u32_f32_e32 v4, v1
	s_mov_b64 s[8:9], -1
	s_mov_b64 s[6:7], 0
	s_mov_b64 s[10:11], 0
	global_store_dwordx2 v[2:3], v[4:5], off
	s_branch .LBB195_1092
.LBB195_1091:
	s_mov_b64 s[10:11], 0
.LBB195_1092:
	s_and_b64 vcc, exec, s[10:11]
	s_cbranch_vccz .LBB195_1108
; %bb.1093:
	v_mov_b32_e32 v1, 27
	v_cmp_lt_i16_sdwa s[10:11], v32, v1 src0_sel:BYTE_0 src1_sel:DWORD
	s_mov_b64 s[8:9], -1
	s_and_b64 vcc, exec, s[10:11]
	s_cbranch_vccnz .LBB195_1099
; %bb.1094:
	v_cmp_gt_i16_sdwa s[10:11], v32, v1 src0_sel:BYTE_0 src1_sel:DWORD
	s_and_b64 vcc, exec, s[10:11]
	s_cbranch_vccz .LBB195_1096
; %bb.1095:
	v_cvt_u32_f32_e32 v1, v0
	s_mov_b64 s[8:9], 0
	global_store_dword v[2:3], v1, off
.LBB195_1096:
	s_andn2_b64 vcc, exec, s[8:9]
	s_cbranch_vccnz .LBB195_1098
; %bb.1097:
	v_cvt_u32_f32_e32 v1, v0
	global_store_short v[2:3], v1, off
.LBB195_1098:
	s_mov_b64 s[8:9], 0
.LBB195_1099:
	s_andn2_b64 vcc, exec, s[8:9]
	s_cbranch_vccnz .LBB195_1107
; %bb.1100:
	v_and_b32_e32 v1, 0x7fffffff, v0
	s_mov_b32 s8, 0x43800000
	v_cmp_gt_u32_e32 vcc, s8, v1
	v_mov_b32_e32 v4, 0x80
	s_and_saveexec_b64 s[8:9], vcc
	s_cbranch_execz .LBB195_1106
; %bb.1101:
	s_mov_b32 s10, 0x3bffffff
	v_cmp_lt_u32_e32 vcc, s10, v1
	s_mov_b64 s[10:11], 0
                                        ; implicit-def: $vgpr1
	s_and_saveexec_b64 s[12:13], vcc
	s_xor_b64 s[12:13], exec, s[12:13]
	s_cbranch_execz .LBB195_1219
; %bb.1102:
	v_bfe_u32 v1, v0, 20, 1
	s_mov_b32 s14, 0x487ffff
	v_add3_u32 v1, v0, v1, s14
	s_mov_b64 s[10:11], exec
	v_lshrrev_b32_e32 v1, 20, v1
	s_or_saveexec_b64 s[12:13], s[12:13]
                                        ; implicit-def: $sgpr14
	s_xor_b64 exec, exec, s[12:13]
	s_cbranch_execnz .LBB195_1220
.LBB195_1103:
	s_or_b64 exec, exec, s[12:13]
	v_mov_b32_e32 v4, s14
	s_and_saveexec_b64 s[12:13], s[10:11]
.LBB195_1104:
	v_lshrrev_b32_e32 v4, 24, v0
	s_movk_i32 s10, 0x80
	v_and_or_b32 v4, v4, s10, v1
.LBB195_1105:
	s_or_b64 exec, exec, s[12:13]
.LBB195_1106:
	s_or_b64 exec, exec, s[8:9]
	global_store_byte v[2:3], v4, off
.LBB195_1107:
	s_mov_b64 s[8:9], -1
.LBB195_1108:
	s_mov_b64 s[10:11], 0
.LBB195_1109:
	s_and_b64 vcc, exec, s[10:11]
	s_cbranch_vccz .LBB195_1150
; %bb.1110:
	v_mov_b32_e32 v1, 22
	v_cmp_gt_i16_sdwa s[12:13], v32, v1 src0_sel:BYTE_0 src1_sel:DWORD
	s_mov_b64 s[10:11], -1
	s_and_b64 vcc, exec, s[12:13]
	s_cbranch_vccz .LBB195_1142
; %bb.1111:
	v_mov_b32_e32 v1, 24
	v_cmp_lt_i16_sdwa s[10:11], v32, v1 src0_sel:BYTE_0 src1_sel:DWORD
	s_mov_b64 s[8:9], -1
	s_and_b64 vcc, exec, s[10:11]
	s_cbranch_vccnz .LBB195_1131
; %bb.1112:
	v_cmp_gt_i16_sdwa s[10:11], v32, v1 src0_sel:BYTE_0 src1_sel:DWORD
	s_and_b64 vcc, exec, s[10:11]
	s_cbranch_vccz .LBB195_1120
; %bb.1113:
	v_and_b32_e32 v1, 0x7fffffff, v0
	s_mov_b32 s8, 0x47800000
	v_cmp_gt_u32_e32 vcc, s8, v1
	v_mov_b32_e32 v4, 0x80
	s_and_saveexec_b64 s[8:9], vcc
	s_cbranch_execz .LBB195_1119
; %bb.1114:
	s_mov_b32 s10, 0x37ffffff
	v_cmp_lt_u32_e32 vcc, s10, v1
	s_mov_b64 s[10:11], 0
                                        ; implicit-def: $vgpr1
	s_and_saveexec_b64 s[12:13], vcc
	s_xor_b64 s[12:13], exec, s[12:13]
	s_cbranch_execz .LBB195_2281
; %bb.1115:
	v_bfe_u32 v1, v0, 21, 1
	s_mov_b32 s14, 0x88fffff
	v_add3_u32 v1, v0, v1, s14
	s_mov_b64 s[10:11], exec
	v_lshrrev_b32_e32 v1, 21, v1
	s_or_saveexec_b64 s[12:13], s[12:13]
                                        ; implicit-def: $sgpr14
	s_xor_b64 exec, exec, s[12:13]
	s_cbranch_execnz .LBB195_2282
.LBB195_1116:
	s_or_b64 exec, exec, s[12:13]
	v_mov_b32_e32 v4, s14
	s_and_saveexec_b64 s[12:13], s[10:11]
.LBB195_1117:
	v_lshrrev_b32_e32 v4, 24, v0
	s_movk_i32 s10, 0x80
	v_and_or_b32 v4, v4, s10, v1
.LBB195_1118:
	s_or_b64 exec, exec, s[12:13]
.LBB195_1119:
	s_or_b64 exec, exec, s[8:9]
	s_mov_b64 s[8:9], 0
	global_store_byte v[2:3], v4, off
.LBB195_1120:
	s_and_b64 vcc, exec, s[8:9]
	s_cbranch_vccz .LBB195_1130
; %bb.1121:
	v_and_b32_e32 v4, 0x7fffffff, v0
	s_mov_b32 s8, 0x43f00000
	v_cmp_gt_u32_e32 vcc, s8, v4
                                        ; implicit-def: $vgpr1
	s_and_saveexec_b64 s[8:9], vcc
	s_xor_b64 s[8:9], exec, s[8:9]
	s_cbranch_execz .LBB195_1127
; %bb.1122:
	s_mov_b32 s10, 0x3c7fffff
	v_cmp_lt_u32_e32 vcc, s10, v4
                                        ; implicit-def: $vgpr1
	s_and_saveexec_b64 s[10:11], vcc
	s_xor_b64 s[10:11], exec, s[10:11]
; %bb.1123:
	v_bfe_u32 v1, v0, 20, 1
	s_mov_b32 s12, 0x407ffff
	v_add3_u32 v1, v0, v1, s12
	v_lshrrev_b32_e32 v4, 20, v1
	v_and_b32_e32 v1, 0xff00000, v1
	s_mov_b32 s12, 0x7f00000
	v_mov_b32_e32 v5, 0x7e
	v_cmp_ne_u32_e32 vcc, s12, v1
	v_cndmask_b32_e32 v1, v5, v4, vcc
; %bb.1124:
	s_andn2_saveexec_b64 s[10:11], s[10:11]
; %bb.1125:
	s_mov_b32 s12, 0x46800000
	v_add_f32_e64 v1, |v0|, s12
; %bb.1126:
	s_or_b64 exec, exec, s[10:11]
                                        ; implicit-def: $vgpr4
.LBB195_1127:
	s_andn2_saveexec_b64 s[8:9], s[8:9]
; %bb.1128:
	s_mov_b32 s10, 0x7f800000
	v_mov_b32_e32 v1, 0x7e
	v_mov_b32_e32 v5, 0x7f
	v_cmp_lt_u32_e32 vcc, s10, v4
	v_cndmask_b32_e32 v1, v1, v5, vcc
; %bb.1129:
	s_or_b64 exec, exec, s[8:9]
	v_lshrrev_b32_e32 v4, 24, v0
	s_movk_i32 s8, 0x80
	v_and_or_b32 v1, v4, s8, v1
	global_store_byte v[2:3], v1, off
.LBB195_1130:
	s_mov_b64 s[8:9], 0
.LBB195_1131:
	s_andn2_b64 vcc, exec, s[8:9]
	s_cbranch_vccnz .LBB195_1141
; %bb.1132:
	v_and_b32_e32 v4, 0x7fffffff, v0
	s_mov_b32 s8, 0x47800000
	v_cmp_gt_u32_e32 vcc, s8, v4
                                        ; implicit-def: $vgpr1
	s_and_saveexec_b64 s[8:9], vcc
	s_xor_b64 s[8:9], exec, s[8:9]
	s_cbranch_execz .LBB195_1138
; %bb.1133:
	s_mov_b32 s10, 0x387fffff
	v_cmp_lt_u32_e32 vcc, s10, v4
                                        ; implicit-def: $vgpr1
	s_and_saveexec_b64 s[10:11], vcc
	s_xor_b64 s[10:11], exec, s[10:11]
; %bb.1134:
	v_bfe_u32 v1, v0, 21, 1
	s_mov_b32 s12, 0x80fffff
	v_add3_u32 v1, v0, v1, s12
	v_lshrrev_b32_e32 v1, 21, v1
; %bb.1135:
	s_andn2_saveexec_b64 s[10:11], s[10:11]
; %bb.1136:
	s_mov_b32 s12, 0x43000000
	v_add_f32_e64 v1, |v0|, s12
; %bb.1137:
	s_or_b64 exec, exec, s[10:11]
                                        ; implicit-def: $vgpr4
.LBB195_1138:
	s_andn2_saveexec_b64 s[8:9], s[8:9]
; %bb.1139:
	s_mov_b32 s10, 0x7f800000
	v_mov_b32_e32 v1, 0x7c
	v_mov_b32_e32 v5, 0x7f
	v_cmp_lt_u32_e32 vcc, s10, v4
	v_cndmask_b32_e32 v1, v1, v5, vcc
; %bb.1140:
	s_or_b64 exec, exec, s[8:9]
	v_lshrrev_b32_e32 v4, 24, v0
	s_movk_i32 s8, 0x80
	v_and_or_b32 v1, v4, s8, v1
	global_store_byte v[2:3], v1, off
.LBB195_1141:
	s_mov_b64 s[10:11], 0
	s_mov_b64 s[8:9], -1
.LBB195_1142:
	s_andn2_b64 vcc, exec, s[10:11]
	s_cbranch_vccnz .LBB195_1150
; %bb.1143:
	v_mov_b32_e32 v1, 14
	v_cmp_gt_i16_sdwa s[12:13], v32, v1 src0_sel:BYTE_0 src1_sel:DWORD
	s_mov_b64 s[10:11], -1
	s_and_b64 vcc, exec, s[12:13]
	s_cbranch_vccz .LBB195_1147
; %bb.1144:
	v_mov_b32_e32 v1, 15
	v_cmp_eq_u16_sdwa s[10:11], v32, v1 src0_sel:BYTE_0 src1_sel:DWORD
	s_mov_b64 s[6:7], -1
	s_and_b64 vcc, exec, s[10:11]
	s_cbranch_vccz .LBB195_1146
; %bb.1145:
	v_bfe_u32 v1, v0, 16, 1
	s_movk_i32 s6, 0x7fff
	v_add3_u32 v1, v0, v1, s6
	v_lshrrev_b32_e32 v1, 16, v1
	v_mov_b32_e32 v4, 0x7fc0
	v_cmp_o_f32_e32 vcc, v0, v0
	v_cndmask_b32_e32 v1, v4, v1, vcc
	global_store_short v[2:3], v1, off
	s_mov_b64 s[8:9], -1
	s_mov_b64 s[6:7], 0
.LBB195_1146:
	s_mov_b64 s[10:11], 0
.LBB195_1147:
	s_and_b64 vcc, exec, s[10:11]
	s_cbranch_vccz .LBB195_1150
; %bb.1148:
	v_mov_b32_e32 v1, 11
	v_cmp_eq_u16_sdwa s[10:11], v32, v1 src0_sel:BYTE_0 src1_sel:DWORD
	s_mov_b64 s[6:7], -1
	s_and_b64 vcc, exec, s[10:11]
	s_cbranch_vccz .LBB195_1150
; %bb.1149:
	v_cmp_neq_f32_e32 vcc, 0, v0
	v_cndmask_b32_e64 v1, 0, 1, vcc
	s_mov_b64 s[8:9], -1
	s_mov_b64 s[6:7], 0
	global_store_byte v[2:3], v1, off
.LBB195_1150:
	s_mov_b64 s[10:11], 0
.LBB195_1151:
	s_and_b64 vcc, exec, s[10:11]
	s_cbranch_vccz .LBB195_1190
; %bb.1152:
	v_mov_b32_e32 v1, 5
	v_cmp_lt_i16_sdwa s[10:11], v32, v1 src0_sel:BYTE_0 src1_sel:DWORD
	s_mov_b64 s[8:9], -1
	s_and_b64 vcc, exec, s[10:11]
	s_cbranch_vccnz .LBB195_1173
; %bb.1153:
	v_mov_b32_e32 v1, 8
	v_cmp_lt_i16_sdwa s[10:11], v32, v1 src0_sel:BYTE_0 src1_sel:DWORD
	s_and_b64 vcc, exec, s[10:11]
	s_cbranch_vccnz .LBB195_1163
; %bb.1154:
	v_mov_b32_e32 v1, 9
	v_cmp_lt_i16_sdwa s[10:11], v32, v1 src0_sel:BYTE_0 src1_sel:DWORD
	s_and_b64 vcc, exec, s[10:11]
	s_cbranch_vccnz .LBB195_1160
; %bb.1155:
	v_cmp_gt_i16_sdwa s[10:11], v32, v1 src0_sel:BYTE_0 src1_sel:DWORD
	s_and_b64 vcc, exec, s[10:11]
	s_cbranch_vccz .LBB195_1157
; %bb.1156:
	v_mov_b32_e32 v6, 0
	v_cvt_f64_f32_e32 v[4:5], v0
	v_mov_b32_e32 v7, v6
	s_mov_b64 s[8:9], 0
	global_store_dwordx4 v[2:3], v[4:7], off
.LBB195_1157:
	s_andn2_b64 vcc, exec, s[8:9]
	s_cbranch_vccnz .LBB195_1159
; %bb.1158:
	v_mov_b32_e32 v1, 0
	global_store_dwordx2 v[2:3], v[0:1], off
.LBB195_1159:
	s_mov_b64 s[8:9], 0
.LBB195_1160:
	s_andn2_b64 vcc, exec, s[8:9]
	s_cbranch_vccnz .LBB195_1162
; %bb.1161:
	v_cvt_f16_f32_e32 v1, v0
	global_store_dword v[2:3], v1, off
.LBB195_1162:
	s_mov_b64 s[8:9], 0
.LBB195_1163:
	s_andn2_b64 vcc, exec, s[8:9]
	s_cbranch_vccnz .LBB195_1172
; %bb.1164:
	v_mov_b32_e32 v1, 6
	v_cmp_lt_i16_sdwa s[10:11], v32, v1 src0_sel:BYTE_0 src1_sel:DWORD
	s_mov_b64 s[8:9], -1
	s_and_b64 vcc, exec, s[10:11]
	s_cbranch_vccnz .LBB195_1170
; %bb.1165:
	v_cmp_gt_i16_sdwa s[10:11], v32, v1 src0_sel:BYTE_0 src1_sel:DWORD
	s_and_b64 vcc, exec, s[10:11]
	s_cbranch_vccz .LBB195_1167
; %bb.1166:
	v_cvt_f64_f32_e32 v[4:5], v0
	s_mov_b64 s[8:9], 0
	global_store_dwordx2 v[2:3], v[4:5], off
.LBB195_1167:
	s_andn2_b64 vcc, exec, s[8:9]
	s_cbranch_vccnz .LBB195_1169
; %bb.1168:
	global_store_dword v[2:3], v0, off
.LBB195_1169:
	s_mov_b64 s[8:9], 0
.LBB195_1170:
	s_andn2_b64 vcc, exec, s[8:9]
	s_cbranch_vccnz .LBB195_1172
; %bb.1171:
	v_cvt_f16_f32_e32 v1, v0
	global_store_short v[2:3], v1, off
.LBB195_1172:
	s_mov_b64 s[8:9], 0
.LBB195_1173:
	s_andn2_b64 vcc, exec, s[8:9]
	s_cbranch_vccnz .LBB195_1189
; %bb.1174:
	v_mov_b32_e32 v1, 2
	v_cmp_lt_i16_sdwa s[10:11], v32, v1 src0_sel:BYTE_0 src1_sel:DWORD
	s_mov_b64 s[8:9], -1
	s_and_b64 vcc, exec, s[10:11]
	s_cbranch_vccnz .LBB195_1184
; %bb.1175:
	v_mov_b32_e32 v1, 3
	v_cmp_lt_i16_sdwa s[10:11], v32, v1 src0_sel:BYTE_0 src1_sel:DWORD
	s_and_b64 vcc, exec, s[10:11]
	s_cbranch_vccnz .LBB195_1181
; %bb.1176:
	v_cmp_gt_i16_sdwa s[10:11], v32, v1 src0_sel:BYTE_0 src1_sel:DWORD
	s_and_b64 vcc, exec, s[10:11]
	s_cbranch_vccz .LBB195_1178
; %bb.1177:
	v_trunc_f32_e32 v1, v0
	s_mov_b32 s8, 0x2f800000
	v_mul_f32_e64 v4, |v1|, s8
	v_floor_f32_e32 v4, v4
	s_mov_b32 s8, 0xcf800000
	v_cvt_u32_f32_e32 v5, v4
	v_fma_f32 v4, v4, s8, |v1|
	v_cvt_u32_f32_e32 v4, v4
	v_ashrrev_i32_e32 v1, 31, v1
	v_xor_b32_e32 v5, v5, v1
	s_mov_b64 s[8:9], 0
	v_xor_b32_e32 v4, v4, v1
	v_sub_co_u32_e32 v4, vcc, v4, v1
	v_subb_co_u32_e32 v5, vcc, v5, v1, vcc
	global_store_dwordx2 v[2:3], v[4:5], off
.LBB195_1178:
	s_andn2_b64 vcc, exec, s[8:9]
	s_cbranch_vccnz .LBB195_1180
; %bb.1179:
	v_cvt_i32_f32_e32 v1, v0
	global_store_dword v[2:3], v1, off
.LBB195_1180:
	s_mov_b64 s[8:9], 0
.LBB195_1181:
	s_andn2_b64 vcc, exec, s[8:9]
	s_cbranch_vccnz .LBB195_1183
; %bb.1182:
	v_cvt_i32_f32_e32 v1, v0
	global_store_short v[2:3], v1, off
.LBB195_1183:
	s_mov_b64 s[8:9], 0
.LBB195_1184:
	s_andn2_b64 vcc, exec, s[8:9]
	s_cbranch_vccnz .LBB195_1189
; %bb.1185:
	v_mov_b32_e32 v1, 0
	v_cmp_gt_i16_sdwa s[10:11], v32, v1 src0_sel:BYTE_0 src1_sel:DWORD
	s_mov_b64 s[8:9], -1
	s_and_b64 vcc, exec, s[10:11]
	s_cbranch_vccz .LBB195_1187
; %bb.1186:
	v_cvt_i32_f32_e32 v1, v0
	s_mov_b64 s[8:9], 0
	global_store_byte v[2:3], v1, off
.LBB195_1187:
	s_andn2_b64 vcc, exec, s[8:9]
	s_cbranch_vccnz .LBB195_1189
; %bb.1188:
	v_trunc_f32_e32 v0, v0
	s_mov_b32 s8, 0x2f800000
	v_mul_f32_e64 v1, |v0|, s8
	v_floor_f32_e32 v1, v1
	s_mov_b32 s8, 0xcf800000
	v_fma_f32 v1, v1, s8, |v0|
	v_cvt_u32_f32_e32 v1, v1
	v_ashrrev_i32_e32 v0, 31, v0
	v_xor_b32_e32 v1, v1, v0
	v_sub_u32_e32 v0, v1, v0
	global_store_byte v[2:3], v0, off
.LBB195_1189:
	s_mov_b64 s[8:9], -1
.LBB195_1190:
	s_andn2_b64 vcc, exec, s[8:9]
	s_cbranch_vccnz .LBB195_1214
; %bb.1191:
	v_add_u32_e32 v34, 0x80, v34
	s_mov_b64 s[12:13], -1
.LBB195_1192:
	s_andn2_b64 s[8:9], s[68:69], exec
	s_and_b64 s[6:7], s[6:7], exec
	s_or_b64 s[10:11], s[8:9], s[6:7]
	s_andn2_b64 s[6:7], s[66:67], exec
	s_and_b64 s[8:9], s[76:77], exec
	s_or_b64 s[8:9], s[6:7], s[8:9]
	;; [unrolled: 3-line block ×3, first 2 shown]
	s_orn2_b64 s[20:21], s[12:13], exec
.LBB195_1193:
	s_or_b64 exec, exec, s[72:73]
	s_mov_b64 s[14:15], 0
	s_mov_b64 s[16:17], 0
	;; [unrolled: 1-line block ×3, first 2 shown]
                                        ; implicit-def: $vgpr1
                                        ; implicit-def: $vgpr4_vgpr5
                                        ; implicit-def: $vgpr0
                                        ; implicit-def: $vgpr30
                                        ; implicit-def: $vgpr2
	s_and_saveexec_b64 s[12:13], s[20:21]
	s_cbranch_execz .LBB195_1287
; %bb.1194:
	v_cmp_gt_i32_e32 vcc, s82, v34
	s_mov_b64 s[20:21], 0
	s_mov_b64 s[30:31], s[6:7]
	;; [unrolled: 1-line block ×4, first 2 shown]
                                        ; implicit-def: $vgpr1
                                        ; implicit-def: $vgpr4_vgpr5
                                        ; implicit-def: $vgpr0
                                        ; implicit-def: $vgpr30
                                        ; implicit-def: $vgpr2
	s_and_saveexec_b64 s[14:15], vcc
	s_cbranch_execz .LBB195_1286
; %bb.1195:
	s_andn2_b64 vcc, exec, s[34:35]
	s_cbranch_vccnz .LBB195_1202
; %bb.1196:
	s_andn2_b64 vcc, exec, s[54:55]
	s_waitcnt vmcnt(0)
	v_mov_b32_e32 v0, 0
	v_mov_b32_e32 v2, 0
	;; [unrolled: 1-line block ×3, first 2 shown]
	s_cbranch_vccnz .LBB195_1201
; %bb.1197:
	s_add_i32 s16, s81, 1
	s_and_b32 s18, s16, 30
	s_add_u32 s16, s22, 0xffffffec
	s_addc_u32 s17, s23, -1
	v_mov_b32_e32 v30, 0
	v_mov_b32_e32 v1, v34
	v_mov_b32_e32 v2, 0
	v_mov_b32_e32 v0, 0
.LBB195_1198:                           ; =>This Inner Loop Header: Depth=1
	s_mov_b64 s[20:21], s[16:17]
	s_load_dwordx4 s[72:75], s[20:21], 0x18
	s_load_dwordx2 s[30:31], s[20:21], 0x28
	s_load_dwordx2 s[54:55], s[20:21], 0xe8
	s_load_dwordx4 s[76:79], s[20:21], 0xd8
	s_add_u32 s16, s20, 24
	s_waitcnt lgkmcnt(0)
	v_mul_hi_u32 v3, s73, v1
	v_add_u32_e32 v3, v1, v3
	v_lshrrev_b32_e32 v3, s74, v3
	v_mul_lo_u32 v4, v3, s72
	v_mul_hi_u32 v5, s30, v3
	v_sub_u32_e32 v1, v1, v4
	v_add_u32_e32 v4, v3, v5
	v_mul_lo_u32 v5, v1, s76
	v_mul_lo_u32 v6, v1, s77
	;; [unrolled: 1-line block ×3, first 2 shown]
	v_lshrrev_b32_e32 v1, s31, v4
	v_mul_lo_u32 v4, v1, s75
	v_sub_u32_e32 v3, v3, v4
	s_addc_u32 s17, s21, 0
	s_add_i32 s18, s18, -2
	v_mul_lo_u32 v4, v3, s79
	v_mul_lo_u32 v8, v3, s54
	;; [unrolled: 1-line block ×3, first 2 shown]
	s_cmp_eq_u32 s18, 0
	v_add3_u32 v30, v5, v30, v4
	v_add3_u32 v0, v7, v0, v3
	;; [unrolled: 1-line block ×3, first 2 shown]
	s_cbranch_scc0 .LBB195_1198
; %bb.1199:
	s_bitcmp1_b32 s81, 0
	s_cselect_b64 s[18:19], -1, 0
	s_and_b64 vcc, exec, s[18:19]
	s_cbranch_vccnz .LBB195_1201
; %bb.1200:
	s_load_dwordx2 s[18:19], s[16:17], 0x18
	s_load_dword s20, s[16:17], 0x20
	s_load_dword s21, s[16:17], 0xe0
	s_nop 0
	s_load_dwordx2 s[16:17], s[16:17], 0xd8
	s_waitcnt lgkmcnt(0)
	v_mul_hi_u32 v3, s19, v1
	v_add_u32_e32 v3, v1, v3
	v_lshrrev_b32_e32 v3, s20, v3
	v_mul_lo_u32 v3, v3, s18
	v_sub_u32_e32 v1, v1, v3
	v_mad_u64_u32 v[30:31], s[18:19], v1, s16, v[30:31]
	v_mad_u64_u32 v[2:3], s[16:17], v1, s17, v[2:3]
	;; [unrolled: 1-line block ×3, first 2 shown]
.LBB195_1201:
	s_mov_b64 s[16:17], 0
	s_branch .LBB195_1203
.LBB195_1202:
	s_mov_b64 s[16:17], -1
                                        ; implicit-def: $vgpr0
                                        ; implicit-def: $vgpr2
                                        ; implicit-def: $vgpr30
.LBB195_1203:
	s_andn2_b64 vcc, exec, s[16:17]
	s_cbranch_vccnz .LBB195_1206
; %bb.1204:
	s_waitcnt vmcnt(0) lgkmcnt(0)
	v_mul_hi_u32 v0, s41, v34
	v_add_u32_e32 v0, v34, v0
	v_lshrrev_b32_e32 v1, s42, v0
	v_mul_lo_u32 v0, v1, s40
	v_sub_u32_e32 v2, v34, v0
	v_mul_lo_u32 v30, v2, s36
	v_mul_lo_u32 v0, v2, s38
	s_andn2_b64 vcc, exec, s[52:53]
	v_mul_lo_u32 v2, v2, s37
	s_cbranch_vccnz .LBB195_1206
; %bb.1205:
	v_mul_hi_u32 v3, s50, v1
	v_add_u32_e32 v3, v1, v3
	v_lshrrev_b32_e32 v3, s51, v3
	v_mul_lo_u32 v3, v3, s43
	v_sub_u32_e32 v1, v1, v3
	v_mad_u64_u32 v[30:31], s[16:17], v1, s39, v[30:31]
	v_mad_u64_u32 v[2:3], s[16:17], v1, s48, v[2:3]
	;; [unrolled: 1-line block ×3, first 2 shown]
.LBB195_1206:
	s_waitcnt vmcnt(0) lgkmcnt(0)
	v_mov_b32_e32 v1, s27
	v_add_co_u32_e32 v4, vcc, s26, v2
	v_addc_co_u32_e32 v5, vcc, 0, v1, vcc
	v_and_b32_e32 v1, 0xff, v35
	v_cmp_gt_i16_e32 vcc, 11, v1
	s_cbranch_vccnz .LBB195_1213
; %bb.1207:
	v_cmp_lt_i16_e32 vcc, 25, v1
	s_mov_b64 s[18:19], 0
	s_cbranch_vccz .LBB195_1215
; %bb.1208:
	v_cmp_lt_i16_e32 vcc, 28, v1
	s_cbranch_vccz .LBB195_1216
; %bb.1209:
	v_cmp_lt_i16_e32 vcc, 43, v1
	;; [unrolled: 3-line block ×3, first 2 shown]
	s_cbranch_vccz .LBB195_1218
; %bb.1211:
	v_cmp_eq_u16_e32 vcc, 46, v1
	s_mov_b64 s[26:27], 0
	s_cbranch_vccz .LBB195_1221
; %bb.1212:
	global_load_dword v2, v[4:5], off
	s_mov_b64 s[16:17], 0
	s_mov_b64 s[20:21], -1
	s_waitcnt vmcnt(0)
	v_lshlrev_b32_e32 v2, 16, v2
	s_branch .LBB195_1222
.LBB195_1213:
	s_mov_b64 s[26:27], -1
	s_mov_b64 s[20:21], 0
	s_mov_b64 s[18:19], 0
	;; [unrolled: 1-line block ×3, first 2 shown]
                                        ; implicit-def: $vgpr2
	s_branch .LBB195_1285
.LBB195_1214:
	s_mov_b64 s[12:13], 0
	s_branch .LBB195_945
.LBB195_1215:
	s_mov_b64 s[26:27], -1
	s_mov_b64 s[20:21], 0
	s_mov_b64 s[16:17], s[6:7]
                                        ; implicit-def: $vgpr2
	s_branch .LBB195_1251
.LBB195_1216:
	s_mov_b64 s[26:27], -1
	s_mov_b64 s[20:21], 0
	s_mov_b64 s[16:17], s[6:7]
                                        ; implicit-def: $vgpr2
	s_branch .LBB195_1232
.LBB195_1217:
	s_mov_b64 s[26:27], -1
	s_mov_b64 s[20:21], 0
	s_mov_b64 s[16:17], s[6:7]
                                        ; implicit-def: $vgpr2
	s_branch .LBB195_1227
.LBB195_1218:
	s_mov_b64 s[26:27], -1
	s_mov_b64 s[20:21], 0
	s_mov_b64 s[16:17], s[6:7]
                                        ; implicit-def: $vgpr2
	s_branch .LBB195_1222
.LBB195_1219:
	s_or_saveexec_b64 s[12:13], s[12:13]
                                        ; implicit-def: $sgpr14
	s_xor_b64 exec, exec, s[12:13]
	s_cbranch_execz .LBB195_1103
.LBB195_1220:
	s_mov_b32 s14, 0x46000000
	v_add_f32_e64 v1, |v0|, s14
	v_and_b32_e32 v1, 0xff, v1
	v_cmp_ne_u32_e32 vcc, 0, v1
	s_andn2_b64 s[10:11], s[10:11], exec
	s_and_b64 s[16:17], vcc, exec
	s_mov_b32 s14, 0
	s_or_b64 s[10:11], s[10:11], s[16:17]
	s_or_b64 exec, exec, s[12:13]
	v_mov_b32_e32 v4, s14
	s_and_saveexec_b64 s[12:13], s[10:11]
	s_cbranch_execnz .LBB195_1104
	s_branch .LBB195_1105
.LBB195_1221:
	s_mov_b64 s[16:17], -1
                                        ; implicit-def: $vgpr2
	s_mov_b64 s[20:21], 0
.LBB195_1222:
	s_and_b64 vcc, exec, s[26:27]
	s_cbranch_vccz .LBB195_1226
; %bb.1223:
	v_cmp_eq_u16_e32 vcc, 44, v1
	s_cbranch_vccz .LBB195_1225
; %bb.1224:
	global_load_ubyte v2, v[4:5], off
	s_movk_i32 s20, 0xff
	v_mov_b32_e32 v3, 0x7f800001
	v_mov_b32_e32 v6, 0x400000
	s_mov_b64 s[16:17], 0
	s_waitcnt vmcnt(0)
	v_lshlrev_b32_e32 v7, 23, v2
	v_cmp_ne_u32_e32 vcc, s20, v2
	v_cndmask_b32_e32 v3, v3, v7, vcc
	v_cmp_ne_u32_e32 vcc, 0, v2
	v_cndmask_b32_e32 v2, v6, v3, vcc
	s_mov_b64 s[20:21], -1
	s_branch .LBB195_1226
.LBB195_1225:
	s_mov_b64 s[16:17], -1
                                        ; implicit-def: $vgpr2
.LBB195_1226:
	s_mov_b64 s[26:27], 0
.LBB195_1227:
	s_and_b64 vcc, exec, s[26:27]
	s_cbranch_vccz .LBB195_1231
; %bb.1228:
	v_cmp_eq_u16_e32 vcc, 29, v1
	s_cbranch_vccz .LBB195_1230
; %bb.1229:
	global_load_dwordx2 v[2:3], v[4:5], off
	s_mov_b64 s[16:17], 0
	s_mov_b64 s[20:21], -1
	s_mov_b64 s[26:27], 0
	s_waitcnt vmcnt(0)
	v_ffbh_u32_e32 v6, v3
	v_min_u32_e32 v6, 32, v6
	v_lshlrev_b64 v[2:3], v6, v[2:3]
	v_min_u32_e32 v2, 1, v2
	v_or_b32_e32 v2, v3, v2
	v_cvt_f32_u32_e32 v2, v2
	v_sub_u32_e32 v3, 32, v6
	v_ldexp_f32 v2, v2, v3
	s_branch .LBB195_1232
.LBB195_1230:
	s_mov_b64 s[16:17], -1
                                        ; implicit-def: $vgpr2
.LBB195_1231:
	s_mov_b64 s[26:27], 0
.LBB195_1232:
	s_and_b64 vcc, exec, s[26:27]
	s_cbranch_vccz .LBB195_1250
; %bb.1233:
	v_cmp_gt_i16_e32 vcc, 27, v1
	s_cbranch_vccnz .LBB195_1236
; %bb.1234:
	v_cmp_lt_i16_e32 vcc, 27, v1
	s_cbranch_vccz .LBB195_1237
; %bb.1235:
	global_load_dword v2, v[4:5], off
	s_mov_b64 s[20:21], 0
	s_waitcnt vmcnt(0)
	v_cvt_f32_u32_e32 v2, v2
	s_branch .LBB195_1238
.LBB195_1236:
	s_mov_b64 s[20:21], -1
                                        ; implicit-def: $vgpr2
	s_branch .LBB195_1241
.LBB195_1237:
	s_mov_b64 s[20:21], -1
                                        ; implicit-def: $vgpr2
.LBB195_1238:
	s_andn2_b64 vcc, exec, s[20:21]
	s_cbranch_vccnz .LBB195_1240
; %bb.1239:
	global_load_ushort v2, v[4:5], off
	s_waitcnt vmcnt(0)
	v_cvt_f32_u32_e32 v2, v2
.LBB195_1240:
	s_mov_b64 s[20:21], 0
.LBB195_1241:
	s_andn2_b64 vcc, exec, s[20:21]
	s_cbranch_vccnz .LBB195_1249
; %bb.1242:
	global_load_ubyte v3, v[4:5], off
	s_movk_i32 s20, 0x7f
                                        ; implicit-def: $sgpr36
	s_waitcnt vmcnt(0)
	v_cmp_lt_i16_e32 vcc, s20, v3
	s_mov_b64 s[20:21], 0
	s_and_saveexec_b64 s[26:27], vcc
	s_xor_b64 s[26:27], exec, s[26:27]
	s_cbranch_execz .LBB195_1263
; %bb.1243:
	s_movk_i32 s20, 0x80
	v_cmp_eq_u16_e32 vcc, s20, v3
	s_mov_b64 s[20:21], -1
                                        ; implicit-def: $sgpr36
	s_and_saveexec_b64 s[30:31], vcc
; %bb.1244:
	s_mov_b32 s36, 0x7f800001
	s_xor_b64 s[20:21], exec, -1
; %bb.1245:
	s_or_b64 exec, exec, s[30:31]
	s_and_b64 s[20:21], s[20:21], exec
	s_or_saveexec_b64 s[26:27], s[26:27]
	v_mov_b32_e32 v2, s36
	s_xor_b64 exec, exec, s[26:27]
	s_cbranch_execnz .LBB195_1264
.LBB195_1246:
	s_or_b64 exec, exec, s[26:27]
	s_and_saveexec_b64 s[26:27], s[20:21]
	s_cbranch_execz .LBB195_1248
.LBB195_1247:
	v_lshlrev_b32_e32 v2, 24, v3
	v_and_b32_e32 v3, 0xffff, v3
	v_and_b32_e32 v6, 7, v3
	v_ffbh_u32_e32 v8, v6
	v_min_u32_e32 v8, 32, v8
	v_subrev_u32_e32 v9, 28, v8
	v_bfe_u32 v7, v3, 3, 4
	v_lshlrev_b32_e32 v3, v9, v3
	v_sub_u32_e32 v8, 29, v8
	v_and_b32_e32 v3, 7, v3
	v_cmp_eq_u32_e32 vcc, 0, v7
	v_cndmask_b32_e32 v7, v7, v8, vcc
	v_cndmask_b32_e32 v3, v6, v3, vcc
	v_mov_b32_e32 v6, 0x3b800000
	v_lshlrev_b32_e32 v3, 20, v3
	v_and_b32_e32 v2, 0x80000000, v2
	v_lshl_add_u32 v6, v7, 23, v6
	v_or3_b32 v2, v2, v6, v3
.LBB195_1248:
	s_or_b64 exec, exec, s[26:27]
.LBB195_1249:
	s_mov_b64 s[20:21], -1
.LBB195_1250:
	s_mov_b64 s[26:27], 0
.LBB195_1251:
	s_and_b64 vcc, exec, s[26:27]
	s_cbranch_vccz .LBB195_1284
; %bb.1252:
	v_cmp_lt_i16_e32 vcc, 22, v1
	s_cbranch_vccz .LBB195_1262
; %bb.1253:
	v_cmp_gt_i16_e32 vcc, 24, v1
	s_cbranch_vccnz .LBB195_1265
; %bb.1254:
	v_cmp_lt_i16_e32 vcc, 24, v1
	s_cbranch_vccz .LBB195_1266
; %bb.1255:
	global_load_ubyte v3, v[4:5], off
	s_movk_i32 s18, 0x7f
                                        ; implicit-def: $sgpr30
	s_waitcnt vmcnt(0)
	v_cmp_lt_i16_e32 vcc, s18, v3
	s_mov_b64 s[18:19], 0
	s_and_saveexec_b64 s[20:21], vcc
	s_xor_b64 s[20:21], exec, s[20:21]
	s_cbranch_execz .LBB195_1278
; %bb.1256:
	s_movk_i32 s18, 0x80
	v_cmp_eq_u16_e32 vcc, s18, v3
	s_mov_b64 s[18:19], -1
                                        ; implicit-def: $sgpr30
	s_and_saveexec_b64 s[26:27], vcc
; %bb.1257:
	s_mov_b32 s30, 0x7f800001
	s_xor_b64 s[18:19], exec, -1
; %bb.1258:
	s_or_b64 exec, exec, s[26:27]
	s_and_b64 s[18:19], s[18:19], exec
	s_or_saveexec_b64 s[20:21], s[20:21]
	v_mov_b32_e32 v2, s30
	s_xor_b64 exec, exec, s[20:21]
	s_cbranch_execnz .LBB195_1279
.LBB195_1259:
	s_or_b64 exec, exec, s[20:21]
	s_and_saveexec_b64 s[20:21], s[18:19]
	s_cbranch_execz .LBB195_1261
.LBB195_1260:
	v_lshlrev_b32_e32 v2, 24, v3
	v_and_b32_e32 v3, 0xffff, v3
	v_and_b32_e32 v6, 3, v3
	v_ffbh_u32_e32 v8, v6
	v_min_u32_e32 v8, 32, v8
	v_subrev_u32_e32 v9, 29, v8
	v_bfe_u32 v7, v3, 2, 5
	v_lshlrev_b32_e32 v3, v9, v3
	v_sub_u32_e32 v8, 30, v8
	v_and_b32_e32 v3, 3, v3
	v_cmp_eq_u32_e32 vcc, 0, v7
	v_cndmask_b32_e32 v7, v7, v8, vcc
	v_cndmask_b32_e32 v3, v6, v3, vcc
	v_mov_b32_e32 v6, 0x37800000
	v_lshlrev_b32_e32 v3, 21, v3
	v_and_b32_e32 v2, 0x80000000, v2
	v_lshl_add_u32 v6, v7, 23, v6
	v_or3_b32 v2, v2, v6, v3
.LBB195_1261:
	s_or_b64 exec, exec, s[20:21]
	s_mov_b64 s[18:19], 0
	s_branch .LBB195_1267
.LBB195_1262:
	s_mov_b64 s[18:19], -1
                                        ; implicit-def: $vgpr2
	s_branch .LBB195_1273
.LBB195_1263:
	s_or_saveexec_b64 s[26:27], s[26:27]
	v_mov_b32_e32 v2, s36
	s_xor_b64 exec, exec, s[26:27]
	s_cbranch_execz .LBB195_1246
.LBB195_1264:
	v_cmp_ne_u16_e32 vcc, 0, v3
	s_andn2_b64 s[20:21], s[20:21], exec
	s_and_b64 s[30:31], vcc, exec
	v_mov_b32_e32 v2, 0
	s_or_b64 s[20:21], s[20:21], s[30:31]
	s_or_b64 exec, exec, s[26:27]
	s_and_saveexec_b64 s[26:27], s[20:21]
	s_cbranch_execnz .LBB195_1247
	s_branch .LBB195_1248
.LBB195_1265:
	s_mov_b64 s[18:19], -1
                                        ; implicit-def: $vgpr2
	s_branch .LBB195_1270
.LBB195_1266:
	s_mov_b64 s[18:19], -1
                                        ; implicit-def: $vgpr2
.LBB195_1267:
	s_and_b64 vcc, exec, s[18:19]
	s_cbranch_vccz .LBB195_1269
; %bb.1268:
	global_load_ubyte v2, v[4:5], off
	s_mov_b32 s18, 0x7f800000
	s_waitcnt vmcnt(0)
	v_lshlrev_b32_e32 v2, 24, v2
	v_and_b32_e32 v3, 0x7f000000, v2
	v_ffbh_u32_e32 v6, v3
	v_min_u32_e32 v6, 32, v6
	v_sub_u32_e64 v6, v6, 4 clamp
	v_lshlrev_b32_e32 v8, v6, v3
	v_lshlrev_b32_e32 v6, 23, v6
	v_lshrrev_b32_e32 v8, 4, v8
	v_add_u32_e32 v7, 0x1000000, v3
	v_sub_u32_e32 v6, v8, v6
	v_ashrrev_i32_e32 v7, 8, v7
	v_add_u32_e32 v6, 0x3c000000, v6
	v_and_or_b32 v6, v7, s18, v6
	v_cmp_ne_u32_e32 vcc, 0, v3
	v_cndmask_b32_e32 v3, 0, v6, vcc
	s_brev_b32 s18, 1
	v_and_or_b32 v2, v2, s18, v3
.LBB195_1269:
	s_mov_b64 s[18:19], 0
.LBB195_1270:
	s_andn2_b64 vcc, exec, s[18:19]
	s_cbranch_vccnz .LBB195_1272
; %bb.1271:
	global_load_ubyte v2, v[4:5], off
	s_movk_i32 s18, 0x7f00
	s_brev_b32 s19, 16
	s_waitcnt vmcnt(0)
	v_lshlrev_b16_e32 v3, 8, v2
	v_lshlrev_b32_e32 v2, 25, v2
	v_lshrrev_b32_e32 v6, 4, v2
	v_and_or_b32 v7, v3, s18, 0.5
	v_or_b32_e32 v6, 0x70000000, v6
	v_add_f32_e32 v7, -0.5, v7
	v_mul_f32_e32 v6, 0x7800000, v6
	v_cmp_gt_u32_e32 vcc, s19, v2
	v_bfe_i32 v3, v3, 0, 16
	v_cndmask_b32_e32 v2, v6, v7, vcc
	s_brev_b32 s18, 1
	v_and_or_b32 v2, v3, s18, v2
.LBB195_1272:
	s_mov_b64 s[18:19], 0
	s_mov_b64 s[20:21], -1
.LBB195_1273:
	s_andn2_b64 vcc, exec, s[18:19]
	s_mov_b64 s[18:19], 0
	s_cbranch_vccnz .LBB195_1284
; %bb.1274:
	v_cmp_lt_i16_e32 vcc, 14, v1
	s_cbranch_vccz .LBB195_1277
; %bb.1275:
	v_cmp_eq_u16_e32 vcc, 15, v1
	s_cbranch_vccz .LBB195_1280
; %bb.1276:
	global_load_ushort v2, v[4:5], off
	s_mov_b64 s[16:17], 0
	s_mov_b64 s[20:21], -1
	s_waitcnt vmcnt(0)
	v_lshlrev_b32_e32 v2, 16, v2
	s_branch .LBB195_1281
.LBB195_1277:
	s_mov_b64 s[26:27], -1
                                        ; implicit-def: $vgpr2
	s_branch .LBB195_1282
.LBB195_1278:
	s_or_saveexec_b64 s[20:21], s[20:21]
	v_mov_b32_e32 v2, s30
	s_xor_b64 exec, exec, s[20:21]
	s_cbranch_execz .LBB195_1259
.LBB195_1279:
	v_cmp_ne_u16_e32 vcc, 0, v3
	s_andn2_b64 s[18:19], s[18:19], exec
	s_and_b64 s[26:27], vcc, exec
	v_mov_b32_e32 v2, 0
	s_or_b64 s[18:19], s[18:19], s[26:27]
	s_or_b64 exec, exec, s[20:21]
	s_and_saveexec_b64 s[20:21], s[18:19]
	s_cbranch_execnz .LBB195_1260
	s_branch .LBB195_1261
.LBB195_1280:
	s_mov_b64 s[16:17], -1
                                        ; implicit-def: $vgpr2
.LBB195_1281:
	s_mov_b64 s[26:27], 0
.LBB195_1282:
	s_and_b64 vcc, exec, s[26:27]
	s_cbranch_vccz .LBB195_1284
; %bb.1283:
	v_cmp_ne_u16_e32 vcc, 11, v1
	s_andn2_b64 s[16:17], s[16:17], exec
	s_and_b64 s[26:27], vcc, exec
	s_mov_b64 s[18:19], -1
	s_or_b64 s[16:17], s[16:17], s[26:27]
                                        ; implicit-def: $vgpr2
.LBB195_1284:
	s_mov_b64 s[26:27], 0
.LBB195_1285:
	s_and_b64 s[74:75], s[20:21], exec
	s_and_b64 s[20:21], s[18:19], exec
	s_andn2_b64 s[18:19], s[6:7], exec
	s_and_b64 s[16:17], s[16:17], exec
	s_and_b64 s[72:73], s[26:27], exec
	s_or_b64 s[30:31], s[18:19], s[16:17]
.LBB195_1286:
	s_or_b64 exec, exec, s[14:15]
	s_and_b64 s[14:15], s[20:21], exec
	s_andn2_b64 s[6:7], s[6:7], exec
	s_and_b64 s[20:21], s[30:31], exec
	s_and_b64 s[18:19], s[74:75], exec
	;; [unrolled: 1-line block ×3, first 2 shown]
	s_or_b64 s[6:7], s[6:7], s[20:21]
.LBB195_1287:
	s_or_b64 exec, exec, s[12:13]
	s_andn2_b64 s[12:13], s[68:69], exec
	s_and_b64 s[10:11], s[10:11], exec
	s_or_b64 s[68:69], s[12:13], s[10:11]
	s_andn2_b64 s[10:11], s[66:67], exec
	s_and_b64 s[8:9], s[8:9], exec
	s_and_b64 s[12:13], s[14:15], exec
	s_andn2_b64 s[14:15], s[64:65], exec
	s_and_b64 s[6:7], s[6:7], exec
	s_or_b64 s[66:67], s[10:11], s[8:9]
	s_and_b64 s[8:9], s[18:19], exec
	s_and_b64 s[10:11], s[16:17], exec
	s_or_b64 s[64:65], s[14:15], s[6:7]
.LBB195_1288:
	s_or_b64 exec, exec, s[70:71]
	s_andn2_b64 s[6:7], s[56:57], exec
	s_and_b64 s[14:15], s[68:69], exec
	s_or_b64 s[56:57], s[6:7], s[14:15]
	s_andn2_b64 s[6:7], s[58:59], exec
	s_and_b64 s[14:15], s[66:67], exec
	s_or_b64 s[58:59], s[6:7], s[14:15]
	s_and_b64 s[66:67], s[12:13], exec
	s_andn2_b64 s[6:7], s[60:61], exec
	s_and_b64 s[12:13], s[64:65], exec
	s_and_b64 s[8:9], s[8:9], exec
	;; [unrolled: 1-line block ×3, first 2 shown]
	s_or_b64 s[60:61], s[6:7], s[12:13]
	s_or_b64 exec, exec, s[62:63]
	s_waitcnt lgkmcnt(0)
	s_mov_b64 s[26:27], 0
	s_and_saveexec_b64 s[6:7], s[60:61]
	s_cbranch_execz .LBB195_403
.LBB195_1289:
	s_mov_b64 s[26:27], exec
	s_andn2_b64 s[66:67], s[66:67], exec
	s_trap 2
                                        ; implicit-def: $vgpr2
	s_or_b64 exec, exec, s[6:7]
	s_and_saveexec_b64 s[6:7], s[66:67]
	s_xor_b64 s[6:7], exec, s[6:7]
	s_cbranch_execnz .LBB195_404
.LBB195_1290:
	s_or_b64 exec, exec, s[6:7]
	s_and_saveexec_b64 s[6:7], s[10:11]
	s_cbranch_execz .LBB195_1336
.LBB195_1291:
	s_waitcnt vmcnt(0)
	v_cmp_gt_i16_e32 vcc, 5, v1
	s_cbranch_vccnz .LBB195_1296
; %bb.1292:
	v_cmp_gt_i16_e32 vcc, 8, v1
	s_cbranch_vccnz .LBB195_1297
; %bb.1293:
	;; [unrolled: 3-line block ×3, first 2 shown]
	v_cmp_lt_i16_e32 vcc, 9, v1
	s_cbranch_vccz .LBB195_1299
; %bb.1295:
	global_load_dwordx2 v[2:3], v[4:5], off
	s_mov_b64 s[10:11], 0
	s_waitcnt vmcnt(0)
	v_cvt_f32_f64_e32 v2, v[2:3]
	s_branch .LBB195_1300
.LBB195_1296:
                                        ; implicit-def: $vgpr2
	s_branch .LBB195_1317
.LBB195_1297:
                                        ; implicit-def: $vgpr2
	s_branch .LBB195_1306
.LBB195_1298:
	s_mov_b64 s[10:11], -1
                                        ; implicit-def: $vgpr2
	s_branch .LBB195_1303
.LBB195_1299:
	s_mov_b64 s[10:11], -1
                                        ; implicit-def: $vgpr2
.LBB195_1300:
	s_andn2_b64 vcc, exec, s[10:11]
	s_cbranch_vccnz .LBB195_1302
; %bb.1301:
	global_load_dword v2, v[4:5], off
.LBB195_1302:
	s_mov_b64 s[10:11], 0
.LBB195_1303:
	s_andn2_b64 vcc, exec, s[10:11]
	s_cbranch_vccnz .LBB195_1305
; %bb.1304:
	global_load_dword v2, v[4:5], off
	s_waitcnt vmcnt(0)
	v_cvt_f32_f16_e32 v2, v2
.LBB195_1305:
	s_cbranch_execnz .LBB195_1316
.LBB195_1306:
	v_cmp_gt_i16_e32 vcc, 6, v1
	s_cbranch_vccnz .LBB195_1309
; %bb.1307:
	v_cmp_lt_i16_e32 vcc, 6, v1
	s_cbranch_vccz .LBB195_1310
; %bb.1308:
	global_load_dwordx2 v[2:3], v[4:5], off
	s_mov_b64 s[10:11], 0
	s_waitcnt vmcnt(0)
	v_cvt_f32_f64_e32 v2, v[2:3]
	s_branch .LBB195_1311
.LBB195_1309:
	s_mov_b64 s[10:11], -1
                                        ; implicit-def: $vgpr2
	s_branch .LBB195_1314
.LBB195_1310:
	s_mov_b64 s[10:11], -1
                                        ; implicit-def: $vgpr2
.LBB195_1311:
	s_andn2_b64 vcc, exec, s[10:11]
	s_cbranch_vccnz .LBB195_1313
; %bb.1312:
	global_load_dword v2, v[4:5], off
.LBB195_1313:
	s_mov_b64 s[10:11], 0
.LBB195_1314:
	s_andn2_b64 vcc, exec, s[10:11]
	s_cbranch_vccnz .LBB195_1316
; %bb.1315:
	global_load_ushort v2, v[4:5], off
	s_waitcnt vmcnt(0)
	v_cvt_f32_f16_e32 v2, v2
.LBB195_1316:
	s_cbranch_execnz .LBB195_1335
.LBB195_1317:
	v_cmp_gt_i16_e32 vcc, 2, v1
	s_cbranch_vccnz .LBB195_1321
; %bb.1318:
	v_cmp_gt_i16_e32 vcc, 3, v1
	s_cbranch_vccnz .LBB195_1322
; %bb.1319:
	v_cmp_lt_i16_e32 vcc, 3, v1
	s_cbranch_vccz .LBB195_1323
; %bb.1320:
	global_load_dwordx2 v[2:3], v[4:5], off
	s_mov_b64 s[10:11], 0
	s_waitcnt vmcnt(0)
	v_xor_b32_e32 v7, v2, v3
	v_ffbh_i32_e32 v6, v3
	v_ashrrev_i32_e32 v7, 31, v7
	v_add_u32_e32 v6, -1, v6
	v_add_u32_e32 v7, 32, v7
	v_min_u32_e32 v6, v6, v7
	v_lshlrev_b64 v[2:3], v6, v[2:3]
	v_min_u32_e32 v2, 1, v2
	v_or_b32_e32 v2, v3, v2
	v_cvt_f32_i32_e32 v2, v2
	v_sub_u32_e32 v3, 32, v6
	v_ldexp_f32 v2, v2, v3
	s_branch .LBB195_1324
.LBB195_1321:
                                        ; implicit-def: $vgpr2
	s_branch .LBB195_1330
.LBB195_1322:
	s_mov_b64 s[10:11], -1
                                        ; implicit-def: $vgpr2
	s_branch .LBB195_1327
.LBB195_1323:
	s_mov_b64 s[10:11], -1
                                        ; implicit-def: $vgpr2
.LBB195_1324:
	s_andn2_b64 vcc, exec, s[10:11]
	s_cbranch_vccnz .LBB195_1326
; %bb.1325:
	global_load_dword v2, v[4:5], off
	s_waitcnt vmcnt(0)
	v_cvt_f32_i32_e32 v2, v2
.LBB195_1326:
	s_mov_b64 s[10:11], 0
.LBB195_1327:
	s_andn2_b64 vcc, exec, s[10:11]
	s_cbranch_vccnz .LBB195_1329
; %bb.1328:
	global_load_sshort v2, v[4:5], off
	s_waitcnt vmcnt(0)
	v_cvt_f32_i32_e32 v2, v2
.LBB195_1329:
	s_cbranch_execnz .LBB195_1335
.LBB195_1330:
	v_cmp_lt_i16_e32 vcc, 0, v1
	s_cbranch_vccz .LBB195_1332
; %bb.1331:
	global_load_sbyte v1, v[4:5], off
	s_mov_b64 s[10:11], 0
	s_waitcnt vmcnt(0)
	v_cvt_f32_i32_e32 v2, v1
	s_branch .LBB195_1333
.LBB195_1332:
	s_mov_b64 s[10:11], -1
                                        ; implicit-def: $vgpr2
.LBB195_1333:
	s_andn2_b64 vcc, exec, s[10:11]
	s_cbranch_vccnz .LBB195_1335
; %bb.1334:
	global_load_ubyte v1, v[4:5], off
	s_waitcnt vmcnt(0)
	v_cvt_f32_ubyte0_e32 v2, v1
.LBB195_1335:
	s_or_b64 s[8:9], s[8:9], exec
.LBB195_1336:
	s_or_b64 exec, exec, s[6:7]
	s_mov_b64 s[10:11], 0
	s_mov_b64 s[14:15], 0
	;; [unrolled: 1-line block ×3, first 2 shown]
                                        ; implicit-def: $vgpr3
                                        ; implicit-def: $vgpr4_vgpr5
                                        ; implicit-def: $vgpr1
	s_and_saveexec_b64 s[6:7], s[8:9]
	s_cbranch_execz .LBB195_1344
; %bb.1337:
	s_waitcnt vmcnt(0)
	v_mov_b32_e32 v1, s47
	v_add_co_u32_e32 v4, vcc, s46, v0
	v_addc_co_u32_e32 v5, vcc, 0, v1, vcc
	v_and_b32_e32 v3, 0xff, v33
	v_cmp_gt_i16_e32 vcc, 11, v3
	s_cbranch_vccnz .LBB195_1347
; %bb.1338:
	v_cmp_lt_i16_e32 vcc, 25, v3
	s_cbranch_vccz .LBB195_1348
; %bb.1339:
	v_cmp_lt_i16_e32 vcc, 28, v3
	s_cbranch_vccz .LBB195_1349
	;; [unrolled: 3-line block ×4, first 2 shown]
; %bb.1342:
	v_cmp_eq_u16_e32 vcc, 46, v3
	s_cbranch_vccz .LBB195_1352
; %bb.1343:
	global_load_dword v0, v[4:5], off
	s_mov_b64 s[8:9], 0
	s_mov_b64 s[12:13], -1
	s_waitcnt vmcnt(0)
	v_lshlrev_b32_e32 v1, 16, v0
	s_branch .LBB195_1354
.LBB195_1344:
	s_or_b64 exec, exec, s[6:7]
	s_and_saveexec_b64 s[6:7], s[58:59]
	s_cbranch_execnz .LBB195_1417
.LBB195_1345:
	s_or_b64 exec, exec, s[6:7]
	s_and_saveexec_b64 s[6:7], s[10:11]
	s_xor_b64 s[6:7], exec, s[6:7]
	s_cbranch_execz .LBB195_1418
.LBB195_1346:
	global_load_ubyte v0, v[4:5], off
	s_or_b64 s[12:13], s[12:13], exec
	s_waitcnt vmcnt(0)
	v_cmp_ne_u16_e32 vcc, 0, v0
	v_cndmask_b32_e64 v1, 0, 1.0, vcc
	s_or_b64 exec, exec, s[6:7]
	s_and_saveexec_b64 s[6:7], s[14:15]
	s_cbranch_execz .LBB195_1464
	s_branch .LBB195_1419
.LBB195_1347:
	s_mov_b64 s[14:15], -1
                                        ; implicit-def: $vgpr1
	s_mov_b64 s[8:9], s[58:59]
	s_branch .LBB195_1416
.LBB195_1348:
	s_mov_b64 s[8:9], s[58:59]
                                        ; implicit-def: $vgpr1
	s_cbranch_execnz .LBB195_1383
	s_branch .LBB195_1415
.LBB195_1349:
	s_mov_b64 s[14:15], -1
	s_mov_b64 s[8:9], s[58:59]
                                        ; implicit-def: $vgpr1
	s_branch .LBB195_1364
.LBB195_1350:
	s_mov_b64 s[14:15], -1
	s_mov_b64 s[8:9], s[58:59]
                                        ; implicit-def: $vgpr1
	s_branch .LBB195_1359
.LBB195_1351:
	s_mov_b64 s[14:15], -1
	s_mov_b64 s[8:9], s[58:59]
	s_branch .LBB195_1353
.LBB195_1352:
	s_mov_b64 s[8:9], -1
.LBB195_1353:
                                        ; implicit-def: $vgpr1
.LBB195_1354:
	s_and_b64 vcc, exec, s[14:15]
	s_cbranch_vccz .LBB195_1358
; %bb.1355:
	v_cmp_eq_u16_e32 vcc, 44, v3
	s_cbranch_vccz .LBB195_1357
; %bb.1356:
	global_load_ubyte v0, v[4:5], off
	s_movk_i32 s12, 0xff
	v_mov_b32_e32 v1, 0x7f800001
	v_mov_b32_e32 v6, 0x400000
	s_mov_b64 s[8:9], 0
	s_waitcnt vmcnt(0)
	v_lshlrev_b32_e32 v7, 23, v0
	v_cmp_ne_u32_e32 vcc, s12, v0
	v_cndmask_b32_e32 v1, v1, v7, vcc
	v_cmp_ne_u32_e32 vcc, 0, v0
	v_cndmask_b32_e32 v1, v6, v1, vcc
	s_mov_b64 s[12:13], -1
	s_branch .LBB195_1358
.LBB195_1357:
	s_mov_b64 s[8:9], -1
                                        ; implicit-def: $vgpr1
.LBB195_1358:
	s_mov_b64 s[14:15], 0
.LBB195_1359:
	s_and_b64 vcc, exec, s[14:15]
	s_cbranch_vccz .LBB195_1363
; %bb.1360:
	v_cmp_eq_u16_e32 vcc, 29, v3
	s_cbranch_vccz .LBB195_1362
; %bb.1361:
	global_load_dwordx2 v[0:1], v[4:5], off
	s_mov_b64 s[8:9], 0
	s_mov_b64 s[12:13], -1
	s_mov_b64 s[14:15], 0
	s_waitcnt vmcnt(0)
	v_ffbh_u32_e32 v6, v1
	v_min_u32_e32 v6, 32, v6
	v_lshlrev_b64 v[0:1], v6, v[0:1]
	v_min_u32_e32 v0, 1, v0
	v_or_b32_e32 v0, v1, v0
	v_cvt_f32_u32_e32 v0, v0
	v_sub_u32_e32 v1, 32, v6
	v_ldexp_f32 v1, v0, v1
	s_branch .LBB195_1364
.LBB195_1362:
	s_mov_b64 s[8:9], -1
                                        ; implicit-def: $vgpr1
.LBB195_1363:
	s_mov_b64 s[14:15], 0
.LBB195_1364:
	s_and_b64 vcc, exec, s[14:15]
	s_cbranch_vccz .LBB195_1382
; %bb.1365:
	v_cmp_gt_i16_e32 vcc, 27, v3
	s_cbranch_vccnz .LBB195_1368
; %bb.1366:
	v_cmp_lt_i16_e32 vcc, 27, v3
	s_cbranch_vccz .LBB195_1369
; %bb.1367:
	global_load_dword v0, v[4:5], off
	s_mov_b64 s[12:13], 0
	s_waitcnt vmcnt(0)
	v_cvt_f32_u32_e32 v1, v0
	s_branch .LBB195_1370
.LBB195_1368:
	s_mov_b64 s[12:13], -1
                                        ; implicit-def: $vgpr1
	s_branch .LBB195_1373
.LBB195_1369:
	s_mov_b64 s[12:13], -1
                                        ; implicit-def: $vgpr1
.LBB195_1370:
	s_andn2_b64 vcc, exec, s[12:13]
	s_cbranch_vccnz .LBB195_1372
; %bb.1371:
	global_load_ushort v0, v[4:5], off
	s_waitcnt vmcnt(0)
	v_cvt_f32_u32_e32 v1, v0
.LBB195_1372:
	s_mov_b64 s[12:13], 0
.LBB195_1373:
	s_andn2_b64 vcc, exec, s[12:13]
	s_cbranch_vccnz .LBB195_1381
; %bb.1374:
	global_load_ubyte v0, v[4:5], off
	s_movk_i32 s12, 0x7f
                                        ; implicit-def: $sgpr18
	s_waitcnt vmcnt(0)
	v_cmp_lt_i16_e32 vcc, s12, v0
	s_mov_b64 s[12:13], 0
	s_and_saveexec_b64 s[14:15], vcc
	s_xor_b64 s[14:15], exec, s[14:15]
	s_cbranch_execz .LBB195_1394
; %bb.1375:
	s_movk_i32 s12, 0x80
	v_cmp_eq_u16_e32 vcc, s12, v0
	s_mov_b64 s[12:13], -1
                                        ; implicit-def: $sgpr18
	s_and_saveexec_b64 s[16:17], vcc
; %bb.1376:
	s_mov_b32 s18, 0x7f800001
	s_xor_b64 s[12:13], exec, -1
; %bb.1377:
	s_or_b64 exec, exec, s[16:17]
	s_and_b64 s[12:13], s[12:13], exec
	s_or_saveexec_b64 s[14:15], s[14:15]
	v_mov_b32_e32 v1, s18
	s_xor_b64 exec, exec, s[14:15]
	s_cbranch_execnz .LBB195_1395
.LBB195_1378:
	s_or_b64 exec, exec, s[14:15]
	s_and_saveexec_b64 s[14:15], s[12:13]
	s_cbranch_execz .LBB195_1380
.LBB195_1379:
	v_lshlrev_b32_e32 v1, 24, v0
	v_and_b32_e32 v0, 0xffff, v0
	v_and_b32_e32 v6, 7, v0
	v_ffbh_u32_e32 v8, v6
	v_min_u32_e32 v8, 32, v8
	v_subrev_u32_e32 v9, 28, v8
	v_bfe_u32 v7, v0, 3, 4
	v_lshlrev_b32_e32 v0, v9, v0
	v_sub_u32_e32 v8, 29, v8
	v_and_b32_e32 v0, 7, v0
	v_cmp_eq_u32_e32 vcc, 0, v7
	v_cndmask_b32_e32 v7, v7, v8, vcc
	v_cndmask_b32_e32 v0, v6, v0, vcc
	v_mov_b32_e32 v6, 0x3b800000
	v_lshlrev_b32_e32 v0, 20, v0
	v_and_b32_e32 v1, 0x80000000, v1
	v_lshl_add_u32 v6, v7, 23, v6
	v_or3_b32 v1, v1, v6, v0
.LBB195_1380:
	s_or_b64 exec, exec, s[14:15]
.LBB195_1381:
	s_mov_b64 s[12:13], -1
.LBB195_1382:
	s_branch .LBB195_1415
.LBB195_1383:
	v_cmp_lt_i16_e32 vcc, 22, v3
	s_cbranch_vccz .LBB195_1393
; %bb.1384:
	v_cmp_gt_i16_e32 vcc, 24, v3
	s_cbranch_vccnz .LBB195_1396
; %bb.1385:
	v_cmp_lt_i16_e32 vcc, 24, v3
	s_cbranch_vccz .LBB195_1397
; %bb.1386:
	global_load_ubyte v0, v[4:5], off
	s_movk_i32 s10, 0x7f
                                        ; implicit-def: $sgpr16
	s_waitcnt vmcnt(0)
	v_cmp_lt_i16_e32 vcc, s10, v0
	s_mov_b64 s[10:11], 0
	s_and_saveexec_b64 s[12:13], vcc
	s_xor_b64 s[12:13], exec, s[12:13]
	s_cbranch_execz .LBB195_1409
; %bb.1387:
	s_movk_i32 s10, 0x80
	v_cmp_eq_u16_e32 vcc, s10, v0
	s_mov_b64 s[10:11], -1
                                        ; implicit-def: $sgpr16
	s_and_saveexec_b64 s[14:15], vcc
; %bb.1388:
	s_mov_b32 s16, 0x7f800001
	s_xor_b64 s[10:11], exec, -1
; %bb.1389:
	s_or_b64 exec, exec, s[14:15]
	s_and_b64 s[10:11], s[10:11], exec
	s_or_saveexec_b64 s[12:13], s[12:13]
	v_mov_b32_e32 v1, s16
	s_xor_b64 exec, exec, s[12:13]
	s_cbranch_execnz .LBB195_1410
.LBB195_1390:
	s_or_b64 exec, exec, s[12:13]
	s_and_saveexec_b64 s[12:13], s[10:11]
	s_cbranch_execz .LBB195_1392
.LBB195_1391:
	v_lshlrev_b32_e32 v1, 24, v0
	v_and_b32_e32 v0, 0xffff, v0
	v_and_b32_e32 v6, 3, v0
	v_ffbh_u32_e32 v8, v6
	v_min_u32_e32 v8, 32, v8
	v_subrev_u32_e32 v9, 29, v8
	v_bfe_u32 v7, v0, 2, 5
	v_lshlrev_b32_e32 v0, v9, v0
	v_sub_u32_e32 v8, 30, v8
	v_and_b32_e32 v0, 3, v0
	v_cmp_eq_u32_e32 vcc, 0, v7
	v_cndmask_b32_e32 v7, v7, v8, vcc
	v_cndmask_b32_e32 v0, v6, v0, vcc
	v_mov_b32_e32 v6, 0x37800000
	v_lshlrev_b32_e32 v0, 21, v0
	v_and_b32_e32 v1, 0x80000000, v1
	v_lshl_add_u32 v6, v7, 23, v6
	v_or3_b32 v1, v1, v6, v0
.LBB195_1392:
	s_or_b64 exec, exec, s[12:13]
	s_mov_b64 s[10:11], 0
	s_branch .LBB195_1398
.LBB195_1393:
	s_mov_b64 s[10:11], -1
                                        ; implicit-def: $vgpr1
	s_branch .LBB195_1404
.LBB195_1394:
	s_or_saveexec_b64 s[14:15], s[14:15]
	v_mov_b32_e32 v1, s18
	s_xor_b64 exec, exec, s[14:15]
	s_cbranch_execz .LBB195_1378
.LBB195_1395:
	v_cmp_ne_u16_e32 vcc, 0, v0
	s_andn2_b64 s[12:13], s[12:13], exec
	s_and_b64 s[16:17], vcc, exec
	v_mov_b32_e32 v1, 0
	s_or_b64 s[12:13], s[12:13], s[16:17]
	s_or_b64 exec, exec, s[14:15]
	s_and_saveexec_b64 s[14:15], s[12:13]
	s_cbranch_execnz .LBB195_1379
	s_branch .LBB195_1380
.LBB195_1396:
	s_mov_b64 s[10:11], -1
                                        ; implicit-def: $vgpr1
	s_branch .LBB195_1401
.LBB195_1397:
	s_mov_b64 s[10:11], -1
                                        ; implicit-def: $vgpr1
.LBB195_1398:
	s_and_b64 vcc, exec, s[10:11]
	s_cbranch_vccz .LBB195_1400
; %bb.1399:
	global_load_ubyte v0, v[4:5], off
	s_mov_b32 s10, 0x7f800000
	s_waitcnt vmcnt(0)
	v_lshlrev_b32_e32 v0, 24, v0
	v_and_b32_e32 v1, 0x7f000000, v0
	v_ffbh_u32_e32 v6, v1
	v_min_u32_e32 v6, 32, v6
	v_sub_u32_e64 v6, v6, 4 clamp
	v_lshlrev_b32_e32 v8, v6, v1
	v_lshlrev_b32_e32 v6, 23, v6
	v_lshrrev_b32_e32 v8, 4, v8
	v_add_u32_e32 v7, 0x1000000, v1
	v_sub_u32_e32 v6, v8, v6
	v_ashrrev_i32_e32 v7, 8, v7
	v_add_u32_e32 v6, 0x3c000000, v6
	v_and_or_b32 v6, v7, s10, v6
	v_cmp_ne_u32_e32 vcc, 0, v1
	v_cndmask_b32_e32 v1, 0, v6, vcc
	s_brev_b32 s10, 1
	v_and_or_b32 v1, v0, s10, v1
.LBB195_1400:
	s_mov_b64 s[10:11], 0
.LBB195_1401:
	s_andn2_b64 vcc, exec, s[10:11]
	s_cbranch_vccnz .LBB195_1403
; %bb.1402:
	global_load_ubyte v0, v[4:5], off
	s_movk_i32 s10, 0x7f00
	s_brev_b32 s11, 16
	s_waitcnt vmcnt(0)
	v_lshlrev_b16_e32 v1, 8, v0
	v_lshlrev_b32_e32 v0, 25, v0
	v_lshrrev_b32_e32 v6, 4, v0
	v_and_or_b32 v7, v1, s10, 0.5
	v_or_b32_e32 v6, 0x70000000, v6
	v_add_f32_e32 v7, -0.5, v7
	v_mul_f32_e32 v6, 0x7800000, v6
	v_cmp_gt_u32_e32 vcc, s11, v0
	v_bfe_i32 v1, v1, 0, 16
	v_cndmask_b32_e32 v0, v6, v7, vcc
	s_brev_b32 s10, 1
	v_and_or_b32 v1, v1, s10, v0
.LBB195_1403:
	s_mov_b64 s[10:11], 0
	s_mov_b64 s[12:13], -1
.LBB195_1404:
	s_andn2_b64 vcc, exec, s[10:11]
	s_mov_b64 s[10:11], 0
	s_cbranch_vccnz .LBB195_1415
; %bb.1405:
	v_cmp_lt_i16_e32 vcc, 14, v3
	s_cbranch_vccz .LBB195_1408
; %bb.1406:
	v_cmp_eq_u16_e32 vcc, 15, v3
	s_cbranch_vccz .LBB195_1411
; %bb.1407:
	global_load_ushort v0, v[4:5], off
	s_mov_b64 s[8:9], 0
	s_mov_b64 s[12:13], -1
	s_waitcnt vmcnt(0)
	v_lshlrev_b32_e32 v1, 16, v0
	s_branch .LBB195_1412
.LBB195_1408:
	s_mov_b64 s[14:15], -1
                                        ; implicit-def: $vgpr1
	s_branch .LBB195_1413
.LBB195_1409:
	s_or_saveexec_b64 s[12:13], s[12:13]
	v_mov_b32_e32 v1, s16
	s_xor_b64 exec, exec, s[12:13]
	s_cbranch_execz .LBB195_1390
.LBB195_1410:
	v_cmp_ne_u16_e32 vcc, 0, v0
	s_andn2_b64 s[10:11], s[10:11], exec
	s_and_b64 s[14:15], vcc, exec
	v_mov_b32_e32 v1, 0
	s_or_b64 s[10:11], s[10:11], s[14:15]
	s_or_b64 exec, exec, s[12:13]
	s_and_saveexec_b64 s[12:13], s[10:11]
	s_cbranch_execnz .LBB195_1391
	s_branch .LBB195_1392
.LBB195_1411:
	s_mov_b64 s[8:9], -1
                                        ; implicit-def: $vgpr1
.LBB195_1412:
	s_mov_b64 s[14:15], 0
.LBB195_1413:
	s_and_b64 vcc, exec, s[14:15]
	s_cbranch_vccz .LBB195_1415
; %bb.1414:
	v_cmp_ne_u16_e32 vcc, 11, v3
	s_andn2_b64 s[8:9], s[8:9], exec
	s_and_b64 s[14:15], vcc, exec
	s_mov_b64 s[10:11], -1
	s_or_b64 s[8:9], s[8:9], s[14:15]
                                        ; implicit-def: $vgpr1
.LBB195_1415:
	s_mov_b64 s[14:15], 0
.LBB195_1416:
	s_andn2_b64 s[16:17], s[58:59], exec
	s_and_b64 s[8:9], s[8:9], exec
	s_and_b64 s[12:13], s[12:13], exec
	;; [unrolled: 1-line block ×4, first 2 shown]
	s_or_b64 s[58:59], s[16:17], s[8:9]
	s_or_b64 exec, exec, s[6:7]
	s_and_saveexec_b64 s[6:7], s[58:59]
	s_cbranch_execz .LBB195_1345
.LBB195_1417:
	s_or_b64 s[26:27], s[26:27], exec
	s_andn2_b64 s[10:11], s[10:11], exec
	s_trap 2
                                        ; implicit-def: $vgpr1
	s_or_b64 exec, exec, s[6:7]
	s_and_saveexec_b64 s[6:7], s[10:11]
	s_xor_b64 s[6:7], exec, s[6:7]
	s_cbranch_execnz .LBB195_1346
.LBB195_1418:
	s_or_b64 exec, exec, s[6:7]
	s_and_saveexec_b64 s[6:7], s[14:15]
	s_cbranch_execz .LBB195_1464
.LBB195_1419:
	v_cmp_gt_i16_e32 vcc, 5, v3
	s_cbranch_vccnz .LBB195_1424
; %bb.1420:
	v_cmp_gt_i16_e32 vcc, 8, v3
	s_cbranch_vccnz .LBB195_1425
; %bb.1421:
	;; [unrolled: 3-line block ×3, first 2 shown]
	v_cmp_lt_i16_e32 vcc, 9, v3
	s_cbranch_vccz .LBB195_1427
; %bb.1423:
	global_load_dwordx2 v[0:1], v[4:5], off
	s_mov_b64 s[8:9], 0
	s_waitcnt vmcnt(0)
	v_cvt_f32_f64_e32 v1, v[0:1]
	s_branch .LBB195_1428
.LBB195_1424:
                                        ; implicit-def: $vgpr1
	s_branch .LBB195_1445
.LBB195_1425:
                                        ; implicit-def: $vgpr1
	s_branch .LBB195_1434
.LBB195_1426:
	s_mov_b64 s[8:9], -1
                                        ; implicit-def: $vgpr1
	s_branch .LBB195_1431
.LBB195_1427:
	s_mov_b64 s[8:9], -1
                                        ; implicit-def: $vgpr1
.LBB195_1428:
	s_andn2_b64 vcc, exec, s[8:9]
	s_cbranch_vccnz .LBB195_1430
; %bb.1429:
	global_load_dword v1, v[4:5], off
.LBB195_1430:
	s_mov_b64 s[8:9], 0
.LBB195_1431:
	s_andn2_b64 vcc, exec, s[8:9]
	s_cbranch_vccnz .LBB195_1433
; %bb.1432:
	global_load_dword v0, v[4:5], off
	s_waitcnt vmcnt(0)
	v_cvt_f32_f16_e32 v1, v0
.LBB195_1433:
	s_cbranch_execnz .LBB195_1444
.LBB195_1434:
	v_cmp_gt_i16_e32 vcc, 6, v3
	s_cbranch_vccnz .LBB195_1437
; %bb.1435:
	v_cmp_lt_i16_e32 vcc, 6, v3
	s_cbranch_vccz .LBB195_1438
; %bb.1436:
	global_load_dwordx2 v[0:1], v[4:5], off
	s_mov_b64 s[8:9], 0
	s_waitcnt vmcnt(0)
	v_cvt_f32_f64_e32 v1, v[0:1]
	s_branch .LBB195_1439
.LBB195_1437:
	s_mov_b64 s[8:9], -1
                                        ; implicit-def: $vgpr1
	s_branch .LBB195_1442
.LBB195_1438:
	s_mov_b64 s[8:9], -1
                                        ; implicit-def: $vgpr1
.LBB195_1439:
	s_andn2_b64 vcc, exec, s[8:9]
	s_cbranch_vccnz .LBB195_1441
; %bb.1440:
	global_load_dword v1, v[4:5], off
.LBB195_1441:
	s_mov_b64 s[8:9], 0
.LBB195_1442:
	s_andn2_b64 vcc, exec, s[8:9]
	s_cbranch_vccnz .LBB195_1444
; %bb.1443:
	global_load_ushort v0, v[4:5], off
	s_waitcnt vmcnt(0)
	v_cvt_f32_f16_e32 v1, v0
.LBB195_1444:
	s_cbranch_execnz .LBB195_1463
.LBB195_1445:
	v_cmp_gt_i16_e32 vcc, 2, v3
	s_cbranch_vccnz .LBB195_1449
; %bb.1446:
	v_cmp_gt_i16_e32 vcc, 3, v3
	s_cbranch_vccnz .LBB195_1450
; %bb.1447:
	v_cmp_lt_i16_e32 vcc, 3, v3
	s_cbranch_vccz .LBB195_1451
; %bb.1448:
	global_load_dwordx2 v[0:1], v[4:5], off
	s_mov_b64 s[8:9], 0
	s_waitcnt vmcnt(0)
	v_xor_b32_e32 v7, v0, v1
	v_ffbh_i32_e32 v6, v1
	v_ashrrev_i32_e32 v7, 31, v7
	v_add_u32_e32 v6, -1, v6
	v_add_u32_e32 v7, 32, v7
	v_min_u32_e32 v6, v6, v7
	v_lshlrev_b64 v[0:1], v6, v[0:1]
	v_min_u32_e32 v0, 1, v0
	v_or_b32_e32 v0, v1, v0
	v_cvt_f32_i32_e32 v0, v0
	v_sub_u32_e32 v1, 32, v6
	v_ldexp_f32 v1, v0, v1
	s_branch .LBB195_1452
.LBB195_1449:
                                        ; implicit-def: $vgpr1
	s_branch .LBB195_1458
.LBB195_1450:
	s_mov_b64 s[8:9], -1
                                        ; implicit-def: $vgpr1
	s_branch .LBB195_1455
.LBB195_1451:
	s_mov_b64 s[8:9], -1
                                        ; implicit-def: $vgpr1
.LBB195_1452:
	s_andn2_b64 vcc, exec, s[8:9]
	s_cbranch_vccnz .LBB195_1454
; %bb.1453:
	global_load_dword v0, v[4:5], off
	s_waitcnt vmcnt(0)
	v_cvt_f32_i32_e32 v1, v0
.LBB195_1454:
	s_mov_b64 s[8:9], 0
.LBB195_1455:
	s_andn2_b64 vcc, exec, s[8:9]
	s_cbranch_vccnz .LBB195_1457
; %bb.1456:
	global_load_sshort v0, v[4:5], off
	s_waitcnt vmcnt(0)
	v_cvt_f32_i32_e32 v1, v0
.LBB195_1457:
	s_cbranch_execnz .LBB195_1463
.LBB195_1458:
	v_cmp_lt_i16_e32 vcc, 0, v3
	s_cbranch_vccz .LBB195_1460
; %bb.1459:
	global_load_sbyte v0, v[4:5], off
	s_mov_b64 s[8:9], 0
	s_waitcnt vmcnt(0)
	v_cvt_f32_i32_e32 v1, v0
	s_branch .LBB195_1461
.LBB195_1460:
	s_mov_b64 s[8:9], -1
                                        ; implicit-def: $vgpr1
.LBB195_1461:
	s_andn2_b64 vcc, exec, s[8:9]
	s_cbranch_vccnz .LBB195_1463
; %bb.1462:
	global_load_ubyte v0, v[4:5], off
	s_waitcnt vmcnt(0)
	v_cvt_f32_ubyte0_e32 v1, v0
.LBB195_1463:
	s_or_b64 s[12:13], s[12:13], exec
.LBB195_1464:
	s_or_b64 exec, exec, s[6:7]
	s_mov_b64 s[10:11], 0
	s_mov_b64 s[8:9], 0
                                        ; implicit-def: $vgpr3
                                        ; implicit-def: $vgpr4_vgpr5
                                        ; implicit-def: $vgpr0
	s_and_saveexec_b64 s[36:37], s[12:13]
	s_cbranch_execz .LBB195_1482
; %bb.1465:
	s_waitcnt vmcnt(0)
	v_mov_b32_e32 v0, v2
	s_mov_b64 s[38:39], s[4:5]
	s_getpc_b64 s[4:5]
	s_add_u32 s4, s4, _ZZZZN2at6native33launch_standard_gamma_grad_kernelERNS_18TensorIteratorBaseEENKUlvE_clEvENKUlvE0_clEvENKUlffE_clEff@rel32@lo+4
	s_addc_u32 s5, s5, _ZZZZN2at6native33launch_standard_gamma_grad_kernelERNS_18TensorIteratorBaseEENKUlvE_clEvENKUlvE0_clEvENKUlffE_clEff@rel32@hi+12
	s_swappc_b64 s[30:31], s[4:5]
	v_mov_b32_e32 v1, s25
	v_add_co_u32_e32 v4, vcc, s24, v30
	v_addc_co_u32_e32 v5, vcc, 0, v1, vcc
	v_and_b32_e32 v3, 0xff, v32
	v_cmp_gt_i16_e32 vcc, 11, v3
	s_cbranch_vccnz .LBB195_1485
; %bb.1466:
	v_cmp_lt_i16_e32 vcc, 25, v3
	s_mov_b64 s[10:11], -1
	s_mov_b64 s[6:7], s[56:57]
	s_mov_b64 s[4:5], s[38:39]
	s_cbranch_vccz .LBB195_1503
; %bb.1467:
	v_cmp_lt_i16_e32 vcc, 28, v3
	s_mov_b64 s[8:9], -1
	s_mov_b64 s[6:7], s[56:57]
	s_cbranch_vccz .LBB195_1487
; %bb.1468:
	v_cmp_lt_i16_e32 vcc, 43, v3
	s_mov_b64 s[6:7], s[56:57]
	s_cbranch_vccz .LBB195_1479
; %bb.1469:
	v_cmp_lt_i16_e32 vcc, 45, v3
	s_mov_b64 s[6:7], s[56:57]
	s_cbranch_vccz .LBB195_1473
; %bb.1470:
	v_cmp_eq_u16_e32 vcc, 46, v3
	s_mov_b64 s[6:7], -1
	s_cbranch_vccz .LBB195_1472
; %bb.1471:
	v_bfe_u32 v1, v0, 16, 1
	s_movk_i32 s6, 0x7fff
	v_add3_u32 v1, v0, v1, s6
	v_lshrrev_b32_e32 v1, 16, v1
	v_mov_b32_e32 v2, 0x7fc0
	v_cmp_o_f32_e32 vcc, v0, v0
	v_cndmask_b32_e32 v1, v2, v1, vcc
	global_store_dword v[4:5], v1, off
	s_mov_b64 s[6:7], 0
.LBB195_1472:
	s_mov_b64 s[8:9], 0
.LBB195_1473:
	s_and_b64 vcc, exec, s[8:9]
	s_cbranch_vccz .LBB195_1478
; %bb.1474:
	v_cmp_eq_u16_e32 vcc, 44, v3
	s_mov_b64 s[6:7], -1
	s_cbranch_vccz .LBB195_1478
; %bb.1475:
	v_bfe_u32 v1, v0, 23, 8
	s_movk_i32 s6, 0xff
	v_cmp_ne_u32_e32 vcc, s6, v1
	v_mov_b32_e32 v2, 0xff
	s_and_saveexec_b64 s[8:9], vcc
; %bb.1476:
	s_mov_b32 s6, 0x3fffff
	v_and_b32_e32 v6, 0x400000, v0
	v_and_or_b32 v1, v0, s6, v1
	v_cmp_ne_u32_e32 vcc, 0, v6
	v_cmp_ne_u32_e64 s[6:7], 0, v1
	s_and_b64 s[6:7], vcc, s[6:7]
	v_lshrrev_b32_e32 v2, 23, v0
	v_cndmask_b32_e64 v1, 0, 1, s[6:7]
	v_add_u32_e32 v2, v2, v1
; %bb.1477:
	s_or_b64 exec, exec, s[8:9]
	s_mov_b64 s[6:7], 0
	global_store_byte v[4:5], v2, off
.LBB195_1478:
	s_mov_b64 s[8:9], 0
.LBB195_1479:
	s_and_b64 vcc, exec, s[8:9]
	s_cbranch_vccz .LBB195_1486
; %bb.1480:
	v_cmp_eq_u16_e32 vcc, 29, v3
	s_mov_b64 s[6:7], -1
	s_cbranch_vccz .LBB195_1486
; %bb.1481:
	v_trunc_f32_e32 v1, v0
	v_mul_f32_e32 v2, 0x2f800000, v1
	v_floor_f32_e32 v2, v2
	v_fmac_f32_e32 v1, 0xcf800000, v2
	v_cvt_u32_f32_e32 v7, v2
	v_cvt_u32_f32_e32 v6, v1
	s_mov_b64 s[6:7], 0
	s_mov_b64 s[8:9], 0
	global_store_dwordx2 v[4:5], v[6:7], off
	s_branch .LBB195_1487
.LBB195_1482:
	s_or_b64 exec, exec, s[36:37]
	s_and_saveexec_b64 s[6:7], s[56:57]
	s_cbranch_execnz .LBB195_1545
.LBB195_1483:
	s_or_b64 exec, exec, s[6:7]
	s_and_saveexec_b64 s[6:7], s[10:11]
	s_xor_b64 s[6:7], exec, s[6:7]
	s_cbranch_execz .LBB195_1546
.LBB195_1484:
	s_waitcnt vmcnt(0)
	v_cmp_neq_f32_e32 vcc, 0, v0
	v_cndmask_b32_e64 v1, 0, 1, vcc
	global_store_byte v[4:5], v1, off
	s_or_b64 exec, exec, s[6:7]
	s_and_saveexec_b64 s[6:7], s[8:9]
	s_xor_b64 s[6:7], exec, s[6:7]
	s_cbranch_execz .LBB195_1584
	s_branch .LBB195_1547
.LBB195_1485:
	s_mov_b64 s[10:11], 0
	s_mov_b64 s[8:9], -1
	s_mov_b64 s[6:7], s[56:57]
	s_mov_b64 s[4:5], s[38:39]
	s_branch .LBB195_1544
.LBB195_1486:
	s_mov_b64 s[8:9], 0
.LBB195_1487:
	s_and_b64 vcc, exec, s[8:9]
	s_cbranch_vccz .LBB195_1502
; %bb.1488:
	v_cmp_gt_i16_e32 vcc, 27, v3
	s_mov_b64 s[8:9], -1
	s_cbranch_vccnz .LBB195_1494
; %bb.1489:
	v_cmp_lt_i16_e32 vcc, 27, v3
	s_cbranch_vccz .LBB195_1491
; %bb.1490:
	v_cvt_u32_f32_e32 v1, v0
	s_mov_b64 s[8:9], 0
	global_store_dword v[4:5], v1, off
.LBB195_1491:
	s_andn2_b64 vcc, exec, s[8:9]
	s_cbranch_vccnz .LBB195_1493
; %bb.1492:
	v_cvt_u32_f32_e32 v1, v0
	global_store_short v[4:5], v1, off
.LBB195_1493:
	s_mov_b64 s[8:9], 0
.LBB195_1494:
	s_andn2_b64 vcc, exec, s[8:9]
	s_cbranch_vccnz .LBB195_1502
; %bb.1495:
	v_and_b32_e32 v1, 0x7fffffff, v0
	s_mov_b32 s8, 0x43800000
	v_cmp_gt_u32_e32 vcc, s8, v1
	v_mov_b32_e32 v2, 0x80
	s_and_saveexec_b64 s[8:9], vcc
	s_cbranch_execz .LBB195_1501
; %bb.1496:
	s_mov_b32 s10, 0x3bffffff
	v_cmp_lt_u32_e32 vcc, s10, v1
	s_mov_b64 s[10:11], 0
                                        ; implicit-def: $vgpr1
	s_and_saveexec_b64 s[12:13], vcc
	s_xor_b64 s[12:13], exec, s[12:13]
	s_cbranch_execz .LBB195_1639
; %bb.1497:
	v_bfe_u32 v1, v0, 20, 1
	s_mov_b32 s14, 0x487ffff
	v_add3_u32 v1, v0, v1, s14
	s_mov_b64 s[10:11], exec
	v_lshrrev_b32_e32 v1, 20, v1
	s_or_saveexec_b64 s[12:13], s[12:13]
                                        ; implicit-def: $sgpr14
	s_xor_b64 exec, exec, s[12:13]
	s_cbranch_execnz .LBB195_1640
.LBB195_1498:
	s_or_b64 exec, exec, s[12:13]
	v_mov_b32_e32 v2, s14
	s_and_saveexec_b64 s[12:13], s[10:11]
.LBB195_1499:
	v_lshrrev_b32_e32 v2, 24, v0
	s_movk_i32 s10, 0x80
	v_and_or_b32 v2, v2, s10, v1
.LBB195_1500:
	s_or_b64 exec, exec, s[12:13]
.LBB195_1501:
	s_or_b64 exec, exec, s[8:9]
	global_store_byte v[4:5], v2, off
.LBB195_1502:
	s_mov_b64 s[10:11], 0
.LBB195_1503:
	s_mov_b64 s[8:9], 0
	s_and_b64 vcc, exec, s[10:11]
	s_cbranch_vccz .LBB195_1543
; %bb.1504:
	v_cmp_lt_i16_e32 vcc, 22, v3
	s_mov_b64 s[10:11], -1
	s_cbranch_vccz .LBB195_1536
; %bb.1505:
	v_cmp_gt_i16_e32 vcc, 24, v3
	s_cbranch_vccnz .LBB195_1525
; %bb.1506:
	v_cmp_lt_i16_e32 vcc, 24, v3
	s_cbranch_vccz .LBB195_1514
; %bb.1507:
	v_and_b32_e32 v1, 0x7fffffff, v0
	s_mov_b32 s10, 0x47800000
	v_cmp_gt_u32_e32 vcc, s10, v1
	v_mov_b32_e32 v2, 0x80
	s_and_saveexec_b64 s[10:11], vcc
	s_cbranch_execz .LBB195_1513
; %bb.1508:
	s_mov_b32 s12, 0x37ffffff
	v_cmp_lt_u32_e32 vcc, s12, v1
	s_mov_b64 s[12:13], 0
                                        ; implicit-def: $vgpr1
	s_and_saveexec_b64 s[14:15], vcc
	s_xor_b64 s[14:15], exec, s[14:15]
	s_cbranch_execz .LBB195_1764
; %bb.1509:
	v_bfe_u32 v1, v0, 21, 1
	s_mov_b32 s16, 0x88fffff
	v_add3_u32 v1, v0, v1, s16
	s_mov_b64 s[12:13], exec
	v_lshrrev_b32_e32 v1, 21, v1
	s_or_saveexec_b64 s[14:15], s[14:15]
                                        ; implicit-def: $sgpr16
	s_xor_b64 exec, exec, s[14:15]
	s_cbranch_execnz .LBB195_1765
.LBB195_1510:
	s_or_b64 exec, exec, s[14:15]
	v_mov_b32_e32 v2, s16
	s_and_saveexec_b64 s[14:15], s[12:13]
.LBB195_1511:
	v_lshrrev_b32_e32 v2, 24, v0
	s_movk_i32 s12, 0x80
	v_and_or_b32 v2, v2, s12, v1
.LBB195_1512:
	s_or_b64 exec, exec, s[14:15]
.LBB195_1513:
	s_or_b64 exec, exec, s[10:11]
	s_mov_b64 s[10:11], 0
	global_store_byte v[4:5], v2, off
.LBB195_1514:
	s_and_b64 vcc, exec, s[10:11]
	s_cbranch_vccz .LBB195_1524
; %bb.1515:
	v_and_b32_e32 v2, 0x7fffffff, v0
	s_mov_b32 s10, 0x43f00000
	v_cmp_gt_u32_e32 vcc, s10, v2
                                        ; implicit-def: $vgpr1
	s_and_saveexec_b64 s[10:11], vcc
	s_xor_b64 s[10:11], exec, s[10:11]
	s_cbranch_execz .LBB195_1521
; %bb.1516:
	s_mov_b32 s12, 0x3c7fffff
	v_cmp_lt_u32_e32 vcc, s12, v2
                                        ; implicit-def: $vgpr1
	s_and_saveexec_b64 s[12:13], vcc
	s_xor_b64 s[12:13], exec, s[12:13]
; %bb.1517:
	v_bfe_u32 v1, v0, 20, 1
	s_mov_b32 s14, 0x407ffff
	v_add3_u32 v1, v0, v1, s14
	v_lshrrev_b32_e32 v2, 20, v1
	v_and_b32_e32 v1, 0xff00000, v1
	s_mov_b32 s14, 0x7f00000
	v_mov_b32_e32 v6, 0x7e
	v_cmp_ne_u32_e32 vcc, s14, v1
	v_cndmask_b32_e32 v1, v6, v2, vcc
; %bb.1518:
	s_andn2_saveexec_b64 s[12:13], s[12:13]
; %bb.1519:
	s_mov_b32 s14, 0x46800000
	v_add_f32_e64 v1, |v0|, s14
; %bb.1520:
	s_or_b64 exec, exec, s[12:13]
                                        ; implicit-def: $vgpr2
.LBB195_1521:
	s_andn2_saveexec_b64 s[10:11], s[10:11]
; %bb.1522:
	s_mov_b32 s12, 0x7f800000
	v_mov_b32_e32 v1, 0x7e
	v_mov_b32_e32 v6, 0x7f
	v_cmp_lt_u32_e32 vcc, s12, v2
	v_cndmask_b32_e32 v1, v1, v6, vcc
; %bb.1523:
	s_or_b64 exec, exec, s[10:11]
	v_lshrrev_b32_e32 v2, 24, v0
	s_movk_i32 s10, 0x80
	v_and_or_b32 v1, v2, s10, v1
	global_store_byte v[4:5], v1, off
.LBB195_1524:
	s_mov_b64 s[10:11], 0
.LBB195_1525:
	s_andn2_b64 vcc, exec, s[10:11]
	s_cbranch_vccnz .LBB195_1535
; %bb.1526:
	v_and_b32_e32 v2, 0x7fffffff, v0
	s_mov_b32 s10, 0x47800000
	v_cmp_gt_u32_e32 vcc, s10, v2
                                        ; implicit-def: $vgpr1
	s_and_saveexec_b64 s[10:11], vcc
	s_xor_b64 s[10:11], exec, s[10:11]
	s_cbranch_execz .LBB195_1532
; %bb.1527:
	s_mov_b32 s12, 0x387fffff
	v_cmp_lt_u32_e32 vcc, s12, v2
                                        ; implicit-def: $vgpr1
	s_and_saveexec_b64 s[12:13], vcc
	s_xor_b64 s[12:13], exec, s[12:13]
; %bb.1528:
	v_bfe_u32 v1, v0, 21, 1
	s_mov_b32 s14, 0x80fffff
	v_add3_u32 v1, v0, v1, s14
	v_lshrrev_b32_e32 v1, 21, v1
; %bb.1529:
	s_andn2_saveexec_b64 s[12:13], s[12:13]
; %bb.1530:
	s_mov_b32 s14, 0x43000000
	v_add_f32_e64 v1, |v0|, s14
; %bb.1531:
	s_or_b64 exec, exec, s[12:13]
                                        ; implicit-def: $vgpr2
.LBB195_1532:
	s_andn2_saveexec_b64 s[10:11], s[10:11]
; %bb.1533:
	s_mov_b32 s12, 0x7f800000
	v_mov_b32_e32 v1, 0x7c
	v_mov_b32_e32 v6, 0x7f
	v_cmp_lt_u32_e32 vcc, s12, v2
	v_cndmask_b32_e32 v1, v1, v6, vcc
; %bb.1534:
	s_or_b64 exec, exec, s[10:11]
	v_lshrrev_b32_e32 v2, 24, v0
	s_movk_i32 s10, 0x80
	v_and_or_b32 v1, v2, s10, v1
	global_store_byte v[4:5], v1, off
.LBB195_1535:
	s_mov_b64 s[10:11], 0
.LBB195_1536:
	s_andn2_b64 vcc, exec, s[10:11]
	s_mov_b64 s[10:11], 0
	s_cbranch_vccnz .LBB195_1544
; %bb.1537:
	v_cmp_lt_i16_e32 vcc, 14, v3
	s_mov_b64 s[12:13], -1
	s_cbranch_vccz .LBB195_1541
; %bb.1538:
	v_cmp_eq_u16_e32 vcc, 15, v3
	s_mov_b64 s[6:7], -1
	s_cbranch_vccz .LBB195_1540
; %bb.1539:
	v_bfe_u32 v1, v0, 16, 1
	s_movk_i32 s6, 0x7fff
	v_add3_u32 v1, v0, v1, s6
	v_lshrrev_b32_e32 v1, 16, v1
	v_mov_b32_e32 v2, 0x7fc0
	v_cmp_o_f32_e32 vcc, v0, v0
	v_cndmask_b32_e32 v1, v2, v1, vcc
	global_store_short v[4:5], v1, off
	s_mov_b64 s[6:7], 0
.LBB195_1540:
	s_mov_b64 s[12:13], 0
.LBB195_1541:
	s_and_b64 vcc, exec, s[12:13]
	s_cbranch_vccz .LBB195_1544
; %bb.1542:
	v_cmp_ne_u16_e32 vcc, 11, v3
	s_andn2_b64 s[6:7], s[6:7], exec
	s_and_b64 s[12:13], vcc, exec
	s_mov_b64 s[10:11], -1
	s_or_b64 s[6:7], s[6:7], s[12:13]
	s_branch .LBB195_1544
.LBB195_1543:
	s_mov_b64 s[10:11], 0
.LBB195_1544:
	s_andn2_b64 s[12:13], s[56:57], exec
	s_and_b64 s[6:7], s[6:7], exec
	s_and_b64 s[8:9], s[8:9], exec
	;; [unrolled: 1-line block ×3, first 2 shown]
	s_or_b64 s[56:57], s[12:13], s[6:7]
	s_or_b64 exec, exec, s[36:37]
	s_and_saveexec_b64 s[6:7], s[56:57]
	s_cbranch_execz .LBB195_1483
.LBB195_1545:
	s_or_b64 s[26:27], s[26:27], exec
	s_andn2_b64 s[10:11], s[10:11], exec
	s_trap 2
	s_or_b64 exec, exec, s[6:7]
	s_and_saveexec_b64 s[6:7], s[10:11]
	s_xor_b64 s[6:7], exec, s[6:7]
	s_cbranch_execnz .LBB195_1484
.LBB195_1546:
	s_or_b64 exec, exec, s[6:7]
	s_and_saveexec_b64 s[6:7], s[8:9]
	s_xor_b64 s[6:7], exec, s[6:7]
	s_cbranch_execz .LBB195_1584
.LBB195_1547:
	v_cmp_gt_i16_e32 vcc, 5, v3
	s_mov_b64 s[8:9], -1
	s_cbranch_vccnz .LBB195_1568
; %bb.1548:
	v_cmp_gt_i16_e32 vcc, 8, v3
	s_cbranch_vccnz .LBB195_1558
; %bb.1549:
	v_cmp_gt_i16_e32 vcc, 9, v3
	s_cbranch_vccnz .LBB195_1555
; %bb.1550:
	v_cmp_lt_i16_e32 vcc, 9, v3
	s_cbranch_vccz .LBB195_1552
; %bb.1551:
	v_mov_b32_e32 v8, 0
	s_waitcnt vmcnt(0)
	v_cvt_f64_f32_e32 v[6:7], v0
	v_mov_b32_e32 v9, v8
	s_mov_b64 s[8:9], 0
	global_store_dwordx4 v[4:5], v[6:9], off
.LBB195_1552:
	s_andn2_b64 vcc, exec, s[8:9]
	s_cbranch_vccnz .LBB195_1554
; %bb.1553:
	s_waitcnt vmcnt(0)
	v_mov_b32_e32 v1, 0
	global_store_dwordx2 v[4:5], v[0:1], off
.LBB195_1554:
	s_mov_b64 s[8:9], 0
.LBB195_1555:
	s_andn2_b64 vcc, exec, s[8:9]
	s_cbranch_vccnz .LBB195_1557
; %bb.1556:
	s_waitcnt vmcnt(0)
	v_cvt_f16_f32_e32 v1, v0
	global_store_dword v[4:5], v1, off
.LBB195_1557:
	s_mov_b64 s[8:9], 0
.LBB195_1558:
	s_andn2_b64 vcc, exec, s[8:9]
	s_cbranch_vccnz .LBB195_1567
; %bb.1559:
	v_cmp_gt_i16_e32 vcc, 6, v3
	s_mov_b64 s[8:9], -1
	s_cbranch_vccnz .LBB195_1565
; %bb.1560:
	v_cmp_lt_i16_e32 vcc, 6, v3
	s_cbranch_vccz .LBB195_1562
; %bb.1561:
	s_waitcnt vmcnt(0)
	v_cvt_f64_f32_e32 v[6:7], v0
	s_mov_b64 s[8:9], 0
	global_store_dwordx2 v[4:5], v[6:7], off
.LBB195_1562:
	s_andn2_b64 vcc, exec, s[8:9]
	s_cbranch_vccnz .LBB195_1564
; %bb.1563:
	s_waitcnt vmcnt(0)
	global_store_dword v[4:5], v0, off
.LBB195_1564:
	s_mov_b64 s[8:9], 0
.LBB195_1565:
	s_andn2_b64 vcc, exec, s[8:9]
	s_cbranch_vccnz .LBB195_1567
; %bb.1566:
	s_waitcnt vmcnt(0)
	v_cvt_f16_f32_e32 v1, v0
	global_store_short v[4:5], v1, off
.LBB195_1567:
	s_mov_b64 s[8:9], 0
.LBB195_1568:
	s_andn2_b64 vcc, exec, s[8:9]
	s_cbranch_vccnz .LBB195_1584
; %bb.1569:
	v_cmp_gt_i16_e32 vcc, 2, v3
	s_mov_b64 s[8:9], -1
	s_cbranch_vccnz .LBB195_1579
; %bb.1570:
	v_cmp_gt_i16_e32 vcc, 3, v3
	s_cbranch_vccnz .LBB195_1576
; %bb.1571:
	v_cmp_lt_i16_e32 vcc, 3, v3
	s_cbranch_vccz .LBB195_1573
; %bb.1572:
	s_waitcnt vmcnt(0)
	v_trunc_f32_e32 v1, v0
	s_mov_b32 s8, 0x2f800000
	v_mul_f32_e64 v2, |v1|, s8
	v_floor_f32_e32 v2, v2
	s_mov_b32 s8, 0xcf800000
	v_cvt_u32_f32_e32 v6, v2
	v_fma_f32 v2, v2, s8, |v1|
	v_cvt_u32_f32_e32 v2, v2
	v_ashrrev_i32_e32 v1, 31, v1
	v_xor_b32_e32 v7, v6, v1
	s_mov_b64 s[8:9], 0
	v_xor_b32_e32 v2, v2, v1
	v_sub_co_u32_e32 v6, vcc, v2, v1
	v_subb_co_u32_e32 v7, vcc, v7, v1, vcc
	global_store_dwordx2 v[4:5], v[6:7], off
.LBB195_1573:
	s_andn2_b64 vcc, exec, s[8:9]
	s_cbranch_vccnz .LBB195_1575
; %bb.1574:
	s_waitcnt vmcnt(0)
	v_cvt_i32_f32_e32 v1, v0
	global_store_dword v[4:5], v1, off
.LBB195_1575:
	s_mov_b64 s[8:9], 0
.LBB195_1576:
	s_andn2_b64 vcc, exec, s[8:9]
	s_cbranch_vccnz .LBB195_1578
; %bb.1577:
	s_waitcnt vmcnt(0)
	v_cvt_i32_f32_e32 v1, v0
	global_store_short v[4:5], v1, off
.LBB195_1578:
	s_mov_b64 s[8:9], 0
.LBB195_1579:
	s_andn2_b64 vcc, exec, s[8:9]
	s_cbranch_vccnz .LBB195_1584
; %bb.1580:
	v_cmp_lt_i16_e32 vcc, 0, v3
	s_mov_b64 s[8:9], -1
	s_cbranch_vccz .LBB195_1582
; %bb.1581:
	s_waitcnt vmcnt(0)
	v_cvt_i32_f32_e32 v1, v0
	s_mov_b64 s[8:9], 0
	global_store_byte v[4:5], v1, off
.LBB195_1582:
	s_andn2_b64 vcc, exec, s[8:9]
	s_cbranch_vccnz .LBB195_1584
; %bb.1583:
	s_waitcnt vmcnt(0)
	v_trunc_f32_e32 v0, v0
	s_mov_b32 s8, 0x2f800000
	v_mul_f32_e64 v1, |v0|, s8
	v_floor_f32_e32 v1, v1
	s_mov_b32 s8, 0xcf800000
	v_fma_f32 v1, v1, s8, |v0|
	v_cvt_u32_f32_e32 v1, v1
	v_ashrrev_i32_e32 v0, 31, v0
	v_xor_b32_e32 v1, v1, v0
	v_sub_u32_e32 v0, v1, v0
	global_store_byte v[4:5], v0, off
.LBB195_1584:
	s_or_b64 exec, exec, s[6:7]
	s_and_b64 s[36:37], s[26:27], exec
                                        ; implicit-def: $vgpr16
                                        ; implicit-def: $vgpr34
.LBB195_1585:
	s_or_saveexec_b64 s[38:39], s[44:45]
	s_mov_b64 s[8:9], 0
                                        ; implicit-def: $vgpr2_vgpr3
                                        ; implicit-def: $vgpr4
                                        ; implicit-def: $vgpr0
	s_xor_b64 exec, exec, s[38:39]
	s_cbranch_execz .LBB195_3115
; %bb.1586:
	s_waitcnt vmcnt(0)
	v_cndmask_b32_e64 v0, 0, 1, s[34:35]
	v_cmp_ne_u32_e64 s[6:7], 1, v0
	s_andn2_b64 vcc, exec, s[34:35]
	s_cbranch_vccnz .LBB195_1592
; %bb.1587:
	s_cmp_lg_u32 s33, 0
	v_mov_b32_e32 v14, 0
	v_mov_b32_e32 v0, 0
	;; [unrolled: 1-line block ×3, first 2 shown]
	s_cbranch_scc0 .LBB195_1593
; %bb.1588:
	s_min_u32 s10, s80, 15
	s_add_i32 s8, s10, 1
	s_and_b32 s11, s8, 30
	s_add_u32 s8, s22, 0xffffffec
	s_addc_u32 s9, s23, -1
	v_mov_b32_e32 v42, 0
	v_mov_b32_e32 v1, v34
	;; [unrolled: 1-line block ×4, first 2 shown]
.LBB195_1589:                           ; =>This Inner Loop Header: Depth=1
	s_mov_b64 s[20:21], s[8:9]
	s_load_dwordx4 s[12:15], s[20:21], 0x18
	s_load_dwordx2 s[24:25], s[20:21], 0x28
	s_load_dwordx2 s[26:27], s[20:21], 0xe8
	s_load_dwordx4 s[16:19], s[20:21], 0xd8
	s_add_u32 s8, s20, 24
	s_waitcnt lgkmcnt(0)
	v_mul_hi_u32 v2, s13, v1
	v_add_u32_e32 v2, v1, v2
	v_lshrrev_b32_e32 v2, s14, v2
	v_mul_lo_u32 v3, v2, s12
	v_mul_hi_u32 v4, s24, v2
	v_sub_u32_e32 v1, v1, v3
	v_add_u32_e32 v3, v2, v4
	v_mul_lo_u32 v4, v1, s16
	v_mul_lo_u32 v5, v1, s17
	;; [unrolled: 1-line block ×3, first 2 shown]
	v_lshrrev_b32_e32 v1, s25, v3
	v_mul_lo_u32 v3, v1, s15
	v_sub_u32_e32 v2, v2, v3
	s_addc_u32 s9, s21, 0
	s_add_i32 s11, s11, -2
	v_mul_lo_u32 v3, v2, s19
	v_mul_lo_u32 v7, v2, s26
	;; [unrolled: 1-line block ×3, first 2 shown]
	s_cmp_lg_u32 s11, 0
	v_add3_u32 v42, v4, v42, v3
	v_add3_u32 v14, v6, v14, v2
	;; [unrolled: 1-line block ×3, first 2 shown]
	s_cbranch_scc1 .LBB195_1589
; %bb.1590:
	s_bitcmp1_b32 s10, 0
	s_cselect_b64 s[10:11], -1, 0
	s_and_b64 vcc, exec, s[10:11]
	s_cbranch_vccnz .LBB195_1593
; %bb.1591:
	s_load_dwordx2 s[10:11], s[8:9], 0x18
	s_load_dword s14, s[8:9], 0x20
	s_load_dword s15, s[8:9], 0xe0
	s_load_dwordx2 s[12:13], s[8:9], 0xd8
	s_waitcnt lgkmcnt(0)
	v_mul_hi_u32 v2, s11, v1
	v_add_u32_e32 v2, v1, v2
	v_lshrrev_b32_e32 v2, s14, v2
	v_mul_lo_u32 v2, v2, s10
	v_sub_u32_e32 v2, v1, v2
	v_mad_u64_u32 v[42:43], s[8:9], v2, s12, v[42:43]
	v_mad_u64_u32 v[0:1], s[8:9], v2, s13, v[0:1]
	v_mad_u64_u32 v[14:15], s[8:9], v2, s15, v[14:15]
	s_cbranch_execz .LBB195_1594
	s_branch .LBB195_1596
.LBB195_1592:
                                        ; implicit-def: $vgpr14
                                        ; implicit-def: $vgpr0
                                        ; implicit-def: $vgpr42
	s_branch .LBB195_1594
.LBB195_1593:
	s_cbranch_execnz .LBB195_1596
.LBB195_1594:
	s_load_dwordx4 s[8:11], s[22:23], 0x4
	s_load_dwordx4 s[12:15], s[22:23], 0xc4
	s_cmp_lt_u32 s33, 2
	s_waitcnt lgkmcnt(0)
	v_mul_hi_u32 v0, s9, v34
	v_add_u32_e32 v0, v34, v0
	v_lshrrev_b32_e32 v1, s10, v0
	v_mul_lo_u32 v0, v1, s8
	v_sub_u32_e32 v0, v34, v0
	v_mul_lo_u32 v42, v0, s12
	v_mul_lo_u32 v14, v0, s14
	;; [unrolled: 1-line block ×3, first 2 shown]
	s_cbranch_scc1 .LBB195_1596
; %bb.1595:
	s_load_dwordx4 s[8:11], s[22:23], 0x10
	s_load_dwordx4 s[12:15], s[22:23], 0xd0
	s_waitcnt lgkmcnt(0)
	v_mul_hi_u32 v2, s9, v1
	v_add_u32_e32 v2, v1, v2
	v_lshrrev_b32_e32 v2, s10, v2
	v_mul_lo_u32 v2, v2, s8
	v_sub_u32_e32 v2, v1, v2
	v_mad_u64_u32 v[42:43], s[8:9], v2, s12, v[42:43]
	v_mad_u64_u32 v[0:1], s[8:9], v2, s13, v[0:1]
	;; [unrolled: 1-line block ×3, first 2 shown]
.LBB195_1596:
	s_and_b64 vcc, exec, s[6:7]
	v_add_u32_e32 v1, 0x80, v34
	s_cbranch_vccnz .LBB195_1602
; %bb.1597:
	s_cmp_lg_u32 s33, 0
	v_mov_b32_e32 v10, 0
	v_mov_b32_e32 v12, 0
	;; [unrolled: 1-line block ×3, first 2 shown]
	s_cbranch_scc0 .LBB195_1603
; %bb.1598:
	s_min_u32 s10, s80, 15
	s_add_i32 s8, s10, 1
	s_and_b32 s11, s8, 30
	s_add_u32 s8, s22, 0xffffffec
	s_addc_u32 s9, s23, -1
	v_mov_b32_e32 v40, 0
	v_mov_b32_e32 v2, v1
	;; [unrolled: 1-line block ×4, first 2 shown]
.LBB195_1599:                           ; =>This Inner Loop Header: Depth=1
	s_mov_b64 s[20:21], s[8:9]
	s_load_dwordx4 s[12:15], s[20:21], 0x18
	s_load_dwordx2 s[24:25], s[20:21], 0x28
	s_load_dwordx2 s[26:27], s[20:21], 0xe8
	s_load_dwordx4 s[16:19], s[20:21], 0xd8
	s_add_u32 s8, s20, 24
	s_waitcnt lgkmcnt(0)
	v_mul_hi_u32 v3, s13, v2
	v_add_u32_e32 v3, v2, v3
	v_lshrrev_b32_e32 v3, s14, v3
	v_mul_lo_u32 v4, v3, s12
	v_mul_hi_u32 v5, s24, v3
	v_sub_u32_e32 v2, v2, v4
	v_add_u32_e32 v4, v3, v5
	v_mul_lo_u32 v5, v2, s16
	v_mul_lo_u32 v6, v2, s17
	;; [unrolled: 1-line block ×3, first 2 shown]
	v_lshrrev_b32_e32 v2, s25, v4
	v_mul_lo_u32 v4, v2, s15
	v_sub_u32_e32 v3, v3, v4
	s_addc_u32 s9, s21, 0
	s_add_i32 s11, s11, -2
	v_mul_lo_u32 v4, v3, s19
	v_mul_lo_u32 v8, v3, s26
	;; [unrolled: 1-line block ×3, first 2 shown]
	s_cmp_lg_u32 s11, 0
	v_add3_u32 v40, v5, v40, v4
	v_add3_u32 v10, v7, v10, v3
	;; [unrolled: 1-line block ×3, first 2 shown]
	s_cbranch_scc1 .LBB195_1599
; %bb.1600:
	s_bitcmp1_b32 s10, 0
	s_cselect_b64 s[10:11], -1, 0
	s_and_b64 vcc, exec, s[10:11]
	s_cbranch_vccnz .LBB195_1603
; %bb.1601:
	s_load_dwordx2 s[10:11], s[8:9], 0x18
	s_load_dword s14, s[8:9], 0x20
	s_load_dword s15, s[8:9], 0xe0
	s_load_dwordx2 s[12:13], s[8:9], 0xd8
	s_waitcnt lgkmcnt(0)
	v_mul_hi_u32 v3, s11, v2
	v_add_u32_e32 v3, v2, v3
	v_lshrrev_b32_e32 v3, s14, v3
	v_mul_lo_u32 v3, v3, s10
	v_sub_u32_e32 v2, v2, v3
	v_mad_u64_u32 v[40:41], s[8:9], v2, s12, v[40:41]
	v_mad_u64_u32 v[12:13], s[8:9], v2, s13, v[12:13]
	;; [unrolled: 1-line block ×3, first 2 shown]
	s_cbranch_execz .LBB195_1604
	s_branch .LBB195_1606
.LBB195_1602:
                                        ; implicit-def: $vgpr10
                                        ; implicit-def: $vgpr12
                                        ; implicit-def: $vgpr40
	s_branch .LBB195_1604
.LBB195_1603:
	s_cbranch_execnz .LBB195_1606
.LBB195_1604:
	s_load_dwordx4 s[8:11], s[22:23], 0x4
	s_load_dwordx4 s[12:15], s[22:23], 0xc4
	s_cmp_lt_u32 s33, 2
	s_waitcnt lgkmcnt(0)
	v_mul_hi_u32 v2, s9, v1
	v_add_u32_e32 v2, v1, v2
	v_lshrrev_b32_e32 v2, s10, v2
	v_mul_lo_u32 v3, v2, s8
	v_sub_u32_e32 v1, v1, v3
	v_mul_lo_u32 v40, v1, s12
	v_mul_lo_u32 v10, v1, s14
	;; [unrolled: 1-line block ×3, first 2 shown]
	s_cbranch_scc1 .LBB195_1606
; %bb.1605:
	s_load_dwordx4 s[8:11], s[22:23], 0x10
	s_load_dwordx4 s[12:15], s[22:23], 0xd0
	s_waitcnt lgkmcnt(0)
	v_mul_hi_u32 v1, s9, v2
	v_add_u32_e32 v1, v2, v1
	v_lshrrev_b32_e32 v1, s10, v1
	v_mul_lo_u32 v1, v1, s8
	v_sub_u32_e32 v1, v2, v1
	v_mad_u64_u32 v[40:41], s[8:9], v1, s12, v[40:41]
	v_mad_u64_u32 v[12:13], s[8:9], v1, s13, v[12:13]
	;; [unrolled: 1-line block ×3, first 2 shown]
.LBB195_1606:
	s_and_b64 vcc, exec, s[6:7]
	v_add_u32_e32 v1, 0x100, v34
	s_cbranch_vccnz .LBB195_1612
; %bb.1607:
	s_cmp_lg_u32 s33, 0
	v_mov_b32_e32 v6, 0
	v_mov_b32_e32 v8, 0
	;; [unrolled: 1-line block ×3, first 2 shown]
	s_cbranch_scc0 .LBB195_1613
; %bb.1608:
	s_min_u32 s10, s80, 15
	s_add_i32 s8, s10, 1
	s_and_b32 s11, s8, 30
	s_add_u32 s8, s22, 0xffffffec
	s_addc_u32 s9, s23, -1
	v_mov_b32_e32 v38, 0
	v_mov_b32_e32 v2, v1
	;; [unrolled: 1-line block ×4, first 2 shown]
.LBB195_1609:                           ; =>This Inner Loop Header: Depth=1
	s_mov_b64 s[20:21], s[8:9]
	s_load_dwordx4 s[12:15], s[20:21], 0x18
	s_load_dwordx2 s[24:25], s[20:21], 0x28
	s_load_dwordx2 s[26:27], s[20:21], 0xe8
	s_load_dwordx4 s[16:19], s[20:21], 0xd8
	s_add_u32 s8, s20, 24
	s_waitcnt lgkmcnt(0)
	v_mul_hi_u32 v3, s13, v2
	v_add_u32_e32 v3, v2, v3
	v_lshrrev_b32_e32 v3, s14, v3
	v_mul_lo_u32 v4, v3, s12
	v_mul_hi_u32 v5, s24, v3
	v_sub_u32_e32 v2, v2, v4
	v_add_u32_e32 v4, v3, v5
	v_mul_lo_u32 v5, v2, s16
	v_mul_lo_u32 v7, v2, s17
	;; [unrolled: 1-line block ×3, first 2 shown]
	v_lshrrev_b32_e32 v2, s25, v4
	v_mul_lo_u32 v4, v2, s15
	v_sub_u32_e32 v3, v3, v4
	s_addc_u32 s9, s21, 0
	s_add_i32 s11, s11, -2
	v_mul_lo_u32 v4, v3, s19
	v_mul_lo_u32 v11, v3, s26
	;; [unrolled: 1-line block ×3, first 2 shown]
	s_cmp_lg_u32 s11, 0
	v_add3_u32 v38, v5, v38, v4
	v_add3_u32 v6, v9, v6, v3
	;; [unrolled: 1-line block ×3, first 2 shown]
	s_cbranch_scc1 .LBB195_1609
; %bb.1610:
	s_bitcmp1_b32 s10, 0
	s_cselect_b64 s[10:11], -1, 0
	s_and_b64 vcc, exec, s[10:11]
	s_cbranch_vccnz .LBB195_1613
; %bb.1611:
	s_load_dwordx2 s[10:11], s[8:9], 0x18
	s_load_dword s14, s[8:9], 0x20
	s_load_dword s15, s[8:9], 0xe0
	s_load_dwordx2 s[12:13], s[8:9], 0xd8
	s_waitcnt lgkmcnt(0)
	v_mul_hi_u32 v3, s11, v2
	v_add_u32_e32 v3, v2, v3
	v_lshrrev_b32_e32 v3, s14, v3
	v_mul_lo_u32 v3, v3, s10
	v_sub_u32_e32 v2, v2, v3
	v_mad_u64_u32 v[38:39], s[8:9], v2, s12, v[38:39]
	v_mad_u64_u32 v[8:9], s[8:9], v2, s13, v[8:9]
	;; [unrolled: 1-line block ×3, first 2 shown]
	s_cbranch_execz .LBB195_1614
	s_branch .LBB195_1616
.LBB195_1612:
                                        ; implicit-def: $vgpr6
                                        ; implicit-def: $vgpr8
                                        ; implicit-def: $vgpr38
	s_branch .LBB195_1614
.LBB195_1613:
	s_cbranch_execnz .LBB195_1616
.LBB195_1614:
	s_load_dwordx4 s[8:11], s[22:23], 0x4
	s_load_dwordx4 s[12:15], s[22:23], 0xc4
	s_cmp_lt_u32 s33, 2
	s_waitcnt lgkmcnt(0)
	v_mul_hi_u32 v2, s9, v1
	v_add_u32_e32 v2, v1, v2
	v_lshrrev_b32_e32 v2, s10, v2
	v_mul_lo_u32 v3, v2, s8
	v_sub_u32_e32 v1, v1, v3
	v_mul_lo_u32 v38, v1, s12
	v_mul_lo_u32 v6, v1, s14
	;; [unrolled: 1-line block ×3, first 2 shown]
	s_cbranch_scc1 .LBB195_1616
; %bb.1615:
	s_load_dwordx4 s[8:11], s[22:23], 0x10
	s_load_dwordx4 s[12:15], s[22:23], 0xd0
	s_waitcnt lgkmcnt(0)
	v_mul_hi_u32 v1, s9, v2
	v_add_u32_e32 v1, v2, v1
	v_lshrrev_b32_e32 v1, s10, v1
	v_mul_lo_u32 v1, v1, s8
	v_sub_u32_e32 v1, v2, v1
	v_mad_u64_u32 v[38:39], s[8:9], v1, s12, v[38:39]
	v_mad_u64_u32 v[8:9], s[8:9], v1, s13, v[8:9]
	;; [unrolled: 1-line block ×3, first 2 shown]
.LBB195_1616:
	s_and_b64 vcc, exec, s[6:7]
	s_cbranch_vccnz .LBB195_1622
; %bb.1617:
	s_cmp_lg_u32 s33, 0
	v_mov_b32_e32 v2, 0
	v_mov_b32_e32 v4, 0
	;; [unrolled: 1-line block ×3, first 2 shown]
	s_cbranch_scc0 .LBB195_1623
; %bb.1618:
	s_min_u32 s8, s80, 15
	s_add_i32 s6, s8, 1
	s_and_b32 s9, s6, 30
	s_add_u32 s6, s22, 0xffffffec
	s_addc_u32 s7, s23, -1
	v_mov_b32_e32 v36, 0
	v_mov_b32_e32 v1, v16
	;; [unrolled: 1-line block ×4, first 2 shown]
.LBB195_1619:                           ; =>This Inner Loop Header: Depth=1
	s_mov_b64 s[10:11], s[6:7]
	s_load_dwordx4 s[12:15], s[10:11], 0x18
	s_load_dwordx2 s[20:21], s[10:11], 0x28
	s_load_dwordx2 s[24:25], s[10:11], 0xe8
	s_load_dwordx4 s[16:19], s[10:11], 0xd8
	s_add_u32 s6, s10, 24
	s_waitcnt lgkmcnt(0)
	v_mul_hi_u32 v3, s13, v1
	v_add_u32_e32 v3, v1, v3
	v_lshrrev_b32_e32 v3, s14, v3
	v_mul_lo_u32 v5, v3, s12
	v_mul_hi_u32 v7, s20, v3
	v_sub_u32_e32 v1, v1, v5
	v_add_u32_e32 v5, v3, v7
	v_mul_lo_u32 v7, v1, s16
	v_mul_lo_u32 v9, v1, s17
	;; [unrolled: 1-line block ×3, first 2 shown]
	v_lshrrev_b32_e32 v1, s21, v5
	v_mul_lo_u32 v5, v1, s15
	v_sub_u32_e32 v3, v3, v5
	s_addc_u32 s7, s11, 0
	s_add_i32 s9, s9, -2
	v_mul_lo_u32 v5, v3, s19
	v_mul_lo_u32 v13, v3, s24
	;; [unrolled: 1-line block ×3, first 2 shown]
	s_cmp_lg_u32 s9, 0
	v_add3_u32 v36, v7, v36, v5
	v_add3_u32 v2, v11, v2, v3
	;; [unrolled: 1-line block ×3, first 2 shown]
	s_cbranch_scc1 .LBB195_1619
; %bb.1620:
	s_bitcmp1_b32 s8, 0
	s_cselect_b64 s[8:9], -1, 0
	s_and_b64 vcc, exec, s[8:9]
	s_cbranch_vccnz .LBB195_1623
; %bb.1621:
	s_load_dwordx2 s[8:9], s[6:7], 0x18
	s_load_dword s12, s[6:7], 0x20
	s_load_dword s13, s[6:7], 0xe0
	s_load_dwordx2 s[10:11], s[6:7], 0xd8
	s_waitcnt lgkmcnt(0)
	v_mul_hi_u32 v3, s9, v1
	v_add_u32_e32 v3, v1, v3
	v_lshrrev_b32_e32 v3, s12, v3
	v_mul_lo_u32 v3, v3, s8
	v_sub_u32_e32 v1, v1, v3
	v_mad_u64_u32 v[36:37], s[6:7], v1, s10, v[36:37]
	v_mad_u64_u32 v[4:5], s[6:7], v1, s11, v[4:5]
	;; [unrolled: 1-line block ×3, first 2 shown]
	s_cbranch_execz .LBB195_1624
	s_branch .LBB195_1626
.LBB195_1622:
                                        ; implicit-def: $vgpr2
                                        ; implicit-def: $vgpr4
                                        ; implicit-def: $vgpr36
	s_branch .LBB195_1624
.LBB195_1623:
	s_cbranch_execnz .LBB195_1626
.LBB195_1624:
	s_load_dwordx4 s[8:11], s[22:23], 0x4
	s_load_dwordx4 s[12:15], s[22:23], 0xc4
	s_cmp_lt_u32 s33, 2
	s_waitcnt lgkmcnt(0)
	v_mul_hi_u32 v1, s9, v16
	v_add_u32_e32 v1, v16, v1
	v_lshrrev_b32_e32 v1, s10, v1
	v_mul_lo_u32 v2, v1, s8
	v_sub_u32_e32 v3, v16, v2
	v_mul_lo_u32 v36, v3, s12
	v_mul_lo_u32 v2, v3, s14
	;; [unrolled: 1-line block ×3, first 2 shown]
	s_cbranch_scc1 .LBB195_1626
; %bb.1625:
	s_load_dwordx4 s[8:11], s[22:23], 0x10
	s_load_dwordx4 s[12:15], s[22:23], 0xd0
	s_waitcnt lgkmcnt(0)
	v_mul_hi_u32 v3, s9, v1
	v_add_u32_e32 v3, v1, v3
	v_lshrrev_b32_e32 v3, s10, v3
	v_mul_lo_u32 v3, v3, s8
	v_sub_u32_e32 v1, v1, v3
	v_mad_u64_u32 v[36:37], s[6:7], v1, s12, v[36:37]
	v_mad_u64_u32 v[4:5], s[6:7], v1, s13, v[4:5]
	;; [unrolled: 1-line block ×3, first 2 shown]
.LBB195_1626:
	s_load_dword s18, s[4:5], 0x1a8
	s_load_dwordx4 s[24:27], s[22:23], 0x188
	s_waitcnt lgkmcnt(0)
	s_lshr_b32 s19, s18, 16
	v_mov_b32_e32 v1, s27
	v_add_co_u32_e32 v16, vcc, s26, v0
	v_mov_b32_e32 v0, 11
	v_addc_co_u32_e32 v17, vcc, 0, v1, vcc
	v_cmp_lt_i16_sdwa s[4:5], s19, v0 src0_sel:BYTE_0 src1_sel:DWORD
	s_and_b64 vcc, exec, s[4:5]
	s_cbranch_vccnz .LBB195_1633
; %bb.1627:
	v_mov_b32_e32 v0, 25
	v_cmp_gt_i16_sdwa s[4:5], s19, v0 src0_sel:BYTE_0 src1_sel:DWORD
	s_mov_b64 s[6:7], 0
	s_and_b64 vcc, exec, s[4:5]
	s_cbranch_vccz .LBB195_1635
; %bb.1628:
	v_mov_b32_e32 v0, 28
	v_cmp_gt_i16_sdwa s[4:5], s19, v0 src0_sel:BYTE_0 src1_sel:DWORD
	s_and_b64 vcc, exec, s[4:5]
	s_cbranch_vccz .LBB195_1636
; %bb.1629:
	v_mov_b32_e32 v0, 43
	v_cmp_gt_i16_sdwa s[4:5], s19, v0 src0_sel:BYTE_0 src1_sel:DWORD
	;; [unrolled: 5-line block ×3, first 2 shown]
	s_and_b64 vcc, exec, s[4:5]
	s_cbranch_vccz .LBB195_1638
; %bb.1631:
	v_mov_b32_e32 v0, 46
	v_cmp_eq_u16_sdwa s[4:5], s19, v0 src0_sel:BYTE_0 src1_sel:DWORD
	s_mov_b64 s[10:11], 0
	s_and_b64 vcc, exec, s[4:5]
	s_cbranch_vccz .LBB195_1641
; %bb.1632:
	global_load_dword v0, v[16:17], off
	s_mov_b64 s[4:5], 0
	s_mov_b64 s[8:9], -1
	s_waitcnt vmcnt(0)
	v_lshlrev_b32_e32 v0, 16, v0
	s_branch .LBB195_1642
.LBB195_1633:
	s_mov_b64 s[8:9], 0
                                        ; implicit-def: $vgpr0
	s_mov_b64 s[34:35], s[36:37]
	s_cbranch_execnz .LBB195_1705
.LBB195_1634:
	s_andn2_b64 vcc, exec, s[8:9]
	s_cbranch_vccz .LBB195_1750
	s_branch .LBB195_3113
.LBB195_1635:
	s_mov_b64 s[8:9], 0
	s_mov_b64 s[4:5], 0
                                        ; implicit-def: $vgpr0
	s_cbranch_execnz .LBB195_1670
	s_branch .LBB195_1701
.LBB195_1636:
	s_mov_b64 s[10:11], -1
	s_mov_b64 s[8:9], 0
	s_mov_b64 s[4:5], 0
                                        ; implicit-def: $vgpr0
	s_branch .LBB195_1651
.LBB195_1637:
	s_mov_b64 s[8:9], 0
	s_mov_b64 s[4:5], 0
                                        ; implicit-def: $vgpr0
	s_cbranch_execnz .LBB195_1647
	s_branch .LBB195_1650
.LBB195_1638:
	s_mov_b64 s[10:11], -1
	s_mov_b64 s[8:9], 0
	s_mov_b64 s[4:5], 0
                                        ; implicit-def: $vgpr0
	s_branch .LBB195_1642
.LBB195_1639:
	s_or_saveexec_b64 s[12:13], s[12:13]
                                        ; implicit-def: $sgpr14
	s_xor_b64 exec, exec, s[12:13]
	s_cbranch_execz .LBB195_1498
.LBB195_1640:
	s_mov_b32 s14, 0x46000000
	v_add_f32_e64 v1, |v0|, s14
	v_and_b32_e32 v1, 0xff, v1
	v_cmp_ne_u32_e32 vcc, 0, v1
	s_andn2_b64 s[10:11], s[10:11], exec
	s_and_b64 s[16:17], vcc, exec
	s_mov_b32 s14, 0
	s_or_b64 s[10:11], s[10:11], s[16:17]
	s_or_b64 exec, exec, s[12:13]
	v_mov_b32_e32 v2, s14
	s_and_saveexec_b64 s[12:13], s[10:11]
	s_cbranch_execnz .LBB195_1499
	s_branch .LBB195_1500
.LBB195_1641:
	s_mov_b64 s[4:5], -1
                                        ; implicit-def: $vgpr0
	s_mov_b64 s[8:9], 0
.LBB195_1642:
	s_and_b64 vcc, exec, s[10:11]
	s_cbranch_vccz .LBB195_1645
; %bb.1643:
	v_mov_b32_e32 v0, 44
	v_cmp_eq_u16_sdwa s[4:5], s19, v0 src0_sel:BYTE_0 src1_sel:DWORD
	s_and_b64 vcc, exec, s[4:5]
	s_cbranch_vccz .LBB195_1646
; %bb.1644:
	global_load_ubyte v0, v[16:17], off
	s_movk_i32 s8, 0xff
	v_mov_b32_e32 v1, 0x7f800001
	v_mov_b32_e32 v3, 0x400000
	s_mov_b64 s[4:5], 0
	s_waitcnt vmcnt(0)
	v_lshlrev_b32_e32 v5, 23, v0
	v_cmp_ne_u32_e32 vcc, s8, v0
	v_cndmask_b32_e32 v1, v1, v5, vcc
	v_cmp_ne_u32_e32 vcc, 0, v0
	v_cndmask_b32_e32 v0, v3, v1, vcc
	s_mov_b64 s[8:9], -1
.LBB195_1645:
	s_branch .LBB195_1650
.LBB195_1646:
	s_mov_b64 s[4:5], -1
                                        ; implicit-def: $vgpr0
	s_branch .LBB195_1650
.LBB195_1647:
	v_mov_b32_e32 v0, 29
	v_cmp_eq_u16_sdwa s[4:5], s19, v0 src0_sel:BYTE_0 src1_sel:DWORD
	s_and_b64 vcc, exec, s[4:5]
	s_cbranch_vccz .LBB195_1649
; %bb.1648:
	global_load_dwordx2 v[0:1], v[16:17], off
	s_mov_b64 s[4:5], 0
	s_mov_b64 s[8:9], -1
	s_mov_b64 s[10:11], 0
	s_waitcnt vmcnt(0)
	v_ffbh_u32_e32 v3, v1
	v_min_u32_e32 v3, 32, v3
	v_lshlrev_b64 v[0:1], v3, v[0:1]
	v_min_u32_e32 v0, 1, v0
	v_or_b32_e32 v0, v1, v0
	v_cvt_f32_u32_e32 v0, v0
	v_sub_u32_e32 v1, 32, v3
	v_ldexp_f32 v0, v0, v1
	s_branch .LBB195_1651
.LBB195_1649:
	s_mov_b64 s[4:5], -1
                                        ; implicit-def: $vgpr0
.LBB195_1650:
	s_mov_b64 s[10:11], 0
.LBB195_1651:
	s_and_b64 vcc, exec, s[10:11]
	s_cbranch_vccz .LBB195_1669
; %bb.1652:
	v_mov_b32_e32 v0, 27
	v_cmp_lt_i16_sdwa s[8:9], s19, v0 src0_sel:BYTE_0 src1_sel:DWORD
	s_and_b64 vcc, exec, s[8:9]
	s_cbranch_vccnz .LBB195_1655
; %bb.1653:
	v_cmp_gt_i16_sdwa s[8:9], s19, v0 src0_sel:BYTE_0 src1_sel:DWORD
	s_and_b64 vcc, exec, s[8:9]
	s_cbranch_vccz .LBB195_1656
; %bb.1654:
	global_load_dword v0, v[16:17], off
	s_mov_b64 s[8:9], 0
	s_waitcnt vmcnt(0)
	v_cvt_f32_u32_e32 v0, v0
	s_branch .LBB195_1657
.LBB195_1655:
	s_mov_b64 s[8:9], -1
                                        ; implicit-def: $vgpr0
	s_branch .LBB195_1660
.LBB195_1656:
	s_mov_b64 s[8:9], -1
                                        ; implicit-def: $vgpr0
.LBB195_1657:
	s_andn2_b64 vcc, exec, s[8:9]
	s_cbranch_vccnz .LBB195_1659
; %bb.1658:
	global_load_ushort v0, v[16:17], off
	s_waitcnt vmcnt(0)
	v_cvt_f32_u32_e32 v0, v0
.LBB195_1659:
	s_mov_b64 s[8:9], 0
.LBB195_1660:
	s_andn2_b64 vcc, exec, s[8:9]
	s_cbranch_vccnz .LBB195_1668
; %bb.1661:
	global_load_ubyte v1, v[16:17], off
	s_movk_i32 s8, 0x7f
                                        ; implicit-def: $sgpr14
	s_waitcnt vmcnt(0)
	v_cmp_lt_i16_e32 vcc, s8, v1
	s_mov_b64 s[8:9], 0
	s_and_saveexec_b64 s[10:11], vcc
	s_xor_b64 s[10:11], exec, s[10:11]
	s_cbranch_execz .LBB195_1681
; %bb.1662:
	s_movk_i32 s8, 0x80
	v_cmp_eq_u16_e32 vcc, s8, v1
	s_mov_b64 s[8:9], -1
                                        ; implicit-def: $sgpr14
	s_and_saveexec_b64 s[12:13], vcc
; %bb.1663:
	s_mov_b32 s14, 0x7f800001
	s_xor_b64 s[8:9], exec, -1
; %bb.1664:
	s_or_b64 exec, exec, s[12:13]
	s_and_b64 s[8:9], s[8:9], exec
	s_or_saveexec_b64 s[10:11], s[10:11]
	v_mov_b32_e32 v0, s14
	s_xor_b64 exec, exec, s[10:11]
	s_cbranch_execnz .LBB195_1682
.LBB195_1665:
	s_or_b64 exec, exec, s[10:11]
	s_and_saveexec_b64 s[10:11], s[8:9]
	s_cbranch_execz .LBB195_1667
.LBB195_1666:
	v_lshlrev_b32_e32 v0, 24, v1
	v_and_b32_e32 v1, 0xffff, v1
	v_and_b32_e32 v3, 7, v1
	v_ffbh_u32_e32 v7, v3
	v_min_u32_e32 v7, 32, v7
	v_subrev_u32_e32 v9, 28, v7
	v_bfe_u32 v5, v1, 3, 4
	v_lshlrev_b32_e32 v1, v9, v1
	v_sub_u32_e32 v7, 29, v7
	v_and_b32_e32 v1, 7, v1
	v_cmp_eq_u32_e32 vcc, 0, v5
	v_cndmask_b32_e32 v5, v5, v7, vcc
	v_cndmask_b32_e32 v1, v3, v1, vcc
	v_mov_b32_e32 v3, 0x3b800000
	v_lshlrev_b32_e32 v1, 20, v1
	v_and_b32_e32 v0, 0x80000000, v0
	v_lshl_add_u32 v3, v5, 23, v3
	v_or3_b32 v0, v0, v3, v1
.LBB195_1667:
	s_or_b64 exec, exec, s[10:11]
.LBB195_1668:
	s_mov_b64 s[8:9], -1
.LBB195_1669:
	s_branch .LBB195_1701
.LBB195_1670:
	v_mov_b32_e32 v0, 22
	v_cmp_gt_i16_sdwa s[6:7], s19, v0 src0_sel:BYTE_0 src1_sel:DWORD
	s_and_b64 vcc, exec, s[6:7]
	s_cbranch_vccz .LBB195_1680
; %bb.1671:
	v_mov_b32_e32 v0, 24
	v_cmp_lt_i16_sdwa s[6:7], s19, v0 src0_sel:BYTE_0 src1_sel:DWORD
	s_and_b64 vcc, exec, s[6:7]
	s_cbranch_vccnz .LBB195_1683
; %bb.1672:
	v_cmp_gt_i16_sdwa s[6:7], s19, v0 src0_sel:BYTE_0 src1_sel:DWORD
	s_and_b64 vcc, exec, s[6:7]
	s_cbranch_vccz .LBB195_1684
; %bb.1673:
	global_load_ubyte v1, v[16:17], off
	s_movk_i32 s6, 0x7f
                                        ; implicit-def: $sgpr12
	s_waitcnt vmcnt(0)
	v_cmp_lt_i16_e32 vcc, s6, v1
	s_mov_b64 s[6:7], 0
	s_and_saveexec_b64 s[8:9], vcc
	s_xor_b64 s[8:9], exec, s[8:9]
	s_cbranch_execz .LBB195_1695
; %bb.1674:
	s_movk_i32 s6, 0x80
	v_cmp_eq_u16_e32 vcc, s6, v1
	s_mov_b64 s[6:7], -1
                                        ; implicit-def: $sgpr12
	s_and_saveexec_b64 s[10:11], vcc
; %bb.1675:
	s_mov_b32 s12, 0x7f800001
	s_xor_b64 s[6:7], exec, -1
; %bb.1676:
	s_or_b64 exec, exec, s[10:11]
	s_and_b64 s[6:7], s[6:7], exec
	s_or_saveexec_b64 s[8:9], s[8:9]
	v_mov_b32_e32 v0, s12
	s_xor_b64 exec, exec, s[8:9]
	s_cbranch_execnz .LBB195_1696
.LBB195_1677:
	s_or_b64 exec, exec, s[8:9]
	s_and_saveexec_b64 s[8:9], s[6:7]
	s_cbranch_execz .LBB195_1679
.LBB195_1678:
	v_lshlrev_b32_e32 v0, 24, v1
	v_and_b32_e32 v1, 0xffff, v1
	v_and_b32_e32 v3, 3, v1
	v_ffbh_u32_e32 v7, v3
	v_min_u32_e32 v7, 32, v7
	v_subrev_u32_e32 v9, 29, v7
	v_bfe_u32 v5, v1, 2, 5
	v_lshlrev_b32_e32 v1, v9, v1
	v_sub_u32_e32 v7, 30, v7
	v_and_b32_e32 v1, 3, v1
	v_cmp_eq_u32_e32 vcc, 0, v5
	v_cndmask_b32_e32 v5, v5, v7, vcc
	v_cndmask_b32_e32 v1, v3, v1, vcc
	v_mov_b32_e32 v3, 0x37800000
	v_lshlrev_b32_e32 v1, 21, v1
	v_and_b32_e32 v0, 0x80000000, v0
	v_lshl_add_u32 v3, v5, 23, v3
	v_or3_b32 v0, v0, v3, v1
.LBB195_1679:
	s_or_b64 exec, exec, s[8:9]
	s_mov_b64 s[6:7], 0
	s_branch .LBB195_1685
.LBB195_1680:
                                        ; implicit-def: $vgpr0
	s_mov_b64 s[6:7], 0
	s_branch .LBB195_1691
.LBB195_1681:
	s_or_saveexec_b64 s[10:11], s[10:11]
	v_mov_b32_e32 v0, s14
	s_xor_b64 exec, exec, s[10:11]
	s_cbranch_execz .LBB195_1665
.LBB195_1682:
	v_cmp_ne_u16_e32 vcc, 0, v1
	s_andn2_b64 s[8:9], s[8:9], exec
	s_and_b64 s[12:13], vcc, exec
	v_mov_b32_e32 v0, 0
	s_or_b64 s[8:9], s[8:9], s[12:13]
	s_or_b64 exec, exec, s[10:11]
	s_and_saveexec_b64 s[10:11], s[8:9]
	s_cbranch_execnz .LBB195_1666
	s_branch .LBB195_1667
.LBB195_1683:
	s_mov_b64 s[6:7], -1
                                        ; implicit-def: $vgpr0
	s_branch .LBB195_1688
.LBB195_1684:
	s_mov_b64 s[6:7], -1
                                        ; implicit-def: $vgpr0
.LBB195_1685:
	s_and_b64 vcc, exec, s[6:7]
	s_cbranch_vccz .LBB195_1687
; %bb.1686:
	global_load_ubyte v0, v[16:17], off
	s_mov_b32 s6, 0x7f800000
	s_waitcnt vmcnt(0)
	v_lshlrev_b32_e32 v0, 24, v0
	v_and_b32_e32 v1, 0x7f000000, v0
	v_ffbh_u32_e32 v3, v1
	v_min_u32_e32 v3, 32, v3
	v_sub_u32_e64 v3, v3, 4 clamp
	v_lshlrev_b32_e32 v7, v3, v1
	v_lshlrev_b32_e32 v3, 23, v3
	v_lshrrev_b32_e32 v7, 4, v7
	v_add_u32_e32 v5, 0x1000000, v1
	v_sub_u32_e32 v3, v7, v3
	v_ashrrev_i32_e32 v5, 8, v5
	v_add_u32_e32 v3, 0x3c000000, v3
	v_and_or_b32 v3, v5, s6, v3
	v_cmp_ne_u32_e32 vcc, 0, v1
	v_cndmask_b32_e32 v1, 0, v3, vcc
	s_brev_b32 s6, 1
	v_and_or_b32 v0, v0, s6, v1
.LBB195_1687:
	s_mov_b64 s[6:7], 0
.LBB195_1688:
	s_andn2_b64 vcc, exec, s[6:7]
	s_cbranch_vccnz .LBB195_1690
; %bb.1689:
	global_load_ubyte v0, v[16:17], off
	s_movk_i32 s6, 0x7f00
	s_brev_b32 s7, 16
	s_waitcnt vmcnt(0)
	v_lshlrev_b16_e32 v1, 8, v0
	v_lshlrev_b32_e32 v0, 25, v0
	v_lshrrev_b32_e32 v3, 4, v0
	v_and_or_b32 v5, v1, s6, 0.5
	v_or_b32_e32 v3, 0x70000000, v3
	v_add_f32_e32 v5, -0.5, v5
	v_mul_f32_e32 v3, 0x7800000, v3
	v_cmp_gt_u32_e32 vcc, s7, v0
	v_bfe_i32 v1, v1, 0, 16
	v_cndmask_b32_e32 v0, v3, v5, vcc
	s_brev_b32 s6, 1
	v_and_or_b32 v0, v1, s6, v0
.LBB195_1690:
	s_mov_b64 s[8:9], -1
	s_mov_b64 s[6:7], 0
	s_cbranch_execnz .LBB195_1701
.LBB195_1691:
	v_mov_b32_e32 v0, 14
	v_cmp_gt_i16_sdwa s[6:7], s19, v0 src0_sel:BYTE_0 src1_sel:DWORD
	s_and_b64 vcc, exec, s[6:7]
	s_cbranch_vccz .LBB195_1694
; %bb.1692:
	v_mov_b32_e32 v0, 15
	v_cmp_eq_u16_sdwa s[4:5], s19, v0 src0_sel:BYTE_0 src1_sel:DWORD
	s_and_b64 vcc, exec, s[4:5]
	s_cbranch_vccz .LBB195_1697
; %bb.1693:
	global_load_ushort v0, v[16:17], off
	s_mov_b64 s[4:5], 0
	s_mov_b64 s[8:9], -1
	s_waitcnt vmcnt(0)
	v_lshlrev_b32_e32 v0, 16, v0
	s_branch .LBB195_1698
.LBB195_1694:
	s_mov_b64 s[10:11], -1
                                        ; implicit-def: $vgpr0
	s_branch .LBB195_1699
.LBB195_1695:
	s_or_saveexec_b64 s[8:9], s[8:9]
	v_mov_b32_e32 v0, s12
	s_xor_b64 exec, exec, s[8:9]
	s_cbranch_execz .LBB195_1677
.LBB195_1696:
	v_cmp_ne_u16_e32 vcc, 0, v1
	s_andn2_b64 s[6:7], s[6:7], exec
	s_and_b64 s[10:11], vcc, exec
	v_mov_b32_e32 v0, 0
	s_or_b64 s[6:7], s[6:7], s[10:11]
	s_or_b64 exec, exec, s[8:9]
	s_and_saveexec_b64 s[8:9], s[6:7]
	s_cbranch_execnz .LBB195_1678
	s_branch .LBB195_1679
.LBB195_1697:
	s_mov_b64 s[4:5], -1
                                        ; implicit-def: $vgpr0
.LBB195_1698:
	s_mov_b64 s[10:11], 0
.LBB195_1699:
	s_mov_b64 s[6:7], 0
	s_and_b64 vcc, exec, s[10:11]
	s_cbranch_vccz .LBB195_1701
; %bb.1700:
	v_mov_b32_e32 v0, 11
	v_cmp_ne_u16_sdwa s[4:5], s19, v0 src0_sel:BYTE_0 src1_sel:DWORD
	s_mov_b64 s[6:7], -1
                                        ; implicit-def: $vgpr0
.LBB195_1701:
	s_and_b64 vcc, exec, s[4:5]
	s_mov_b64 s[34:35], s[36:37]
	s_cbranch_vccnz .LBB195_1762
; %bb.1702:
	s_andn2_b64 vcc, exec, s[6:7]
	s_cbranch_vccnz .LBB195_1704
.LBB195_1703:
	global_load_ubyte v0, v[16:17], off
	s_mov_b64 s[8:9], -1
	s_waitcnt vmcnt(0)
	v_cmp_ne_u16_e32 vcc, 0, v0
	v_cndmask_b32_e64 v0, 0, 1.0, vcc
.LBB195_1704:
	s_branch .LBB195_1634
.LBB195_1705:
	v_mov_b32_e32 v0, 5
	v_cmp_lt_i16_sdwa s[4:5], s19, v0 src0_sel:BYTE_0 src1_sel:DWORD
	s_and_b64 vcc, exec, s[4:5]
	s_cbranch_vccnz .LBB195_1710
; %bb.1706:
	v_mov_b32_e32 v0, 8
	v_cmp_lt_i16_sdwa s[4:5], s19, v0 src0_sel:BYTE_0 src1_sel:DWORD
	s_and_b64 vcc, exec, s[4:5]
	s_cbranch_vccnz .LBB195_1711
; %bb.1707:
	;; [unrolled: 5-line block ×3, first 2 shown]
	v_cmp_gt_i16_sdwa s[4:5], s19, v0 src0_sel:BYTE_0 src1_sel:DWORD
	s_and_b64 vcc, exec, s[4:5]
	s_cbranch_vccz .LBB195_1713
; %bb.1709:
	global_load_dwordx2 v[0:1], v[16:17], off
	s_mov_b64 s[4:5], 0
	s_waitcnt vmcnt(0)
	v_cvt_f32_f64_e32 v0, v[0:1]
	s_branch .LBB195_1714
.LBB195_1710:
                                        ; implicit-def: $vgpr0
	s_branch .LBB195_1731
.LBB195_1711:
                                        ; implicit-def: $vgpr0
	s_branch .LBB195_1720
.LBB195_1712:
	s_mov_b64 s[4:5], -1
                                        ; implicit-def: $vgpr0
	s_branch .LBB195_1717
.LBB195_1713:
	s_mov_b64 s[4:5], -1
                                        ; implicit-def: $vgpr0
.LBB195_1714:
	s_andn2_b64 vcc, exec, s[4:5]
	s_cbranch_vccnz .LBB195_1716
; %bb.1715:
	global_load_dword v0, v[16:17], off
.LBB195_1716:
	s_mov_b64 s[4:5], 0
.LBB195_1717:
	s_andn2_b64 vcc, exec, s[4:5]
	s_cbranch_vccnz .LBB195_1719
; %bb.1718:
	global_load_dword v0, v[16:17], off
	s_waitcnt vmcnt(0)
	v_cvt_f32_f16_e32 v0, v0
.LBB195_1719:
	s_cbranch_execnz .LBB195_1730
.LBB195_1720:
	s_waitcnt vmcnt(0)
	v_mov_b32_e32 v0, 6
	v_cmp_lt_i16_sdwa s[4:5], s19, v0 src0_sel:BYTE_0 src1_sel:DWORD
	s_and_b64 vcc, exec, s[4:5]
	s_cbranch_vccnz .LBB195_1723
; %bb.1721:
	v_cmp_gt_i16_sdwa s[4:5], s19, v0 src0_sel:BYTE_0 src1_sel:DWORD
	s_and_b64 vcc, exec, s[4:5]
	s_cbranch_vccz .LBB195_1724
; %bb.1722:
	global_load_dwordx2 v[0:1], v[16:17], off
	s_mov_b64 s[4:5], 0
	s_waitcnt vmcnt(0)
	v_cvt_f32_f64_e32 v0, v[0:1]
	s_branch .LBB195_1725
.LBB195_1723:
	s_mov_b64 s[4:5], -1
                                        ; implicit-def: $vgpr0
	s_branch .LBB195_1728
.LBB195_1724:
	s_mov_b64 s[4:5], -1
                                        ; implicit-def: $vgpr0
.LBB195_1725:
	s_andn2_b64 vcc, exec, s[4:5]
	s_cbranch_vccnz .LBB195_1727
; %bb.1726:
	global_load_dword v0, v[16:17], off
.LBB195_1727:
	s_mov_b64 s[4:5], 0
.LBB195_1728:
	s_andn2_b64 vcc, exec, s[4:5]
	s_cbranch_vccnz .LBB195_1730
; %bb.1729:
	global_load_ushort v0, v[16:17], off
	s_waitcnt vmcnt(0)
	v_cvt_f32_f16_e32 v0, v0
.LBB195_1730:
	s_cbranch_execnz .LBB195_1749
.LBB195_1731:
	s_waitcnt vmcnt(0)
	v_mov_b32_e32 v0, 2
	v_cmp_lt_i16_sdwa s[4:5], s19, v0 src0_sel:BYTE_0 src1_sel:DWORD
	s_and_b64 vcc, exec, s[4:5]
	s_cbranch_vccnz .LBB195_1735
; %bb.1732:
	v_mov_b32_e32 v0, 3
	v_cmp_lt_i16_sdwa s[4:5], s19, v0 src0_sel:BYTE_0 src1_sel:DWORD
	s_and_b64 vcc, exec, s[4:5]
	s_cbranch_vccnz .LBB195_1736
; %bb.1733:
	v_cmp_gt_i16_sdwa s[4:5], s19, v0 src0_sel:BYTE_0 src1_sel:DWORD
	s_and_b64 vcc, exec, s[4:5]
	s_cbranch_vccz .LBB195_1737
; %bb.1734:
	global_load_dwordx2 v[0:1], v[16:17], off
	s_mov_b64 s[4:5], 0
	s_waitcnt vmcnt(0)
	v_xor_b32_e32 v5, v0, v1
	v_ffbh_i32_e32 v3, v1
	v_ashrrev_i32_e32 v5, 31, v5
	v_add_u32_e32 v3, -1, v3
	v_add_u32_e32 v5, 32, v5
	v_min_u32_e32 v3, v3, v5
	v_lshlrev_b64 v[0:1], v3, v[0:1]
	v_min_u32_e32 v0, 1, v0
	v_or_b32_e32 v0, v1, v0
	v_cvt_f32_i32_e32 v0, v0
	v_sub_u32_e32 v1, 32, v3
	v_ldexp_f32 v0, v0, v1
	s_branch .LBB195_1738
.LBB195_1735:
                                        ; implicit-def: $vgpr0
	s_branch .LBB195_1744
.LBB195_1736:
	s_mov_b64 s[4:5], -1
                                        ; implicit-def: $vgpr0
	s_branch .LBB195_1741
.LBB195_1737:
	s_mov_b64 s[4:5], -1
                                        ; implicit-def: $vgpr0
.LBB195_1738:
	s_andn2_b64 vcc, exec, s[4:5]
	s_cbranch_vccnz .LBB195_1740
; %bb.1739:
	global_load_dword v0, v[16:17], off
	s_waitcnt vmcnt(0)
	v_cvt_f32_i32_e32 v0, v0
.LBB195_1740:
	s_mov_b64 s[4:5], 0
.LBB195_1741:
	s_andn2_b64 vcc, exec, s[4:5]
	s_cbranch_vccnz .LBB195_1743
; %bb.1742:
	global_load_sshort v0, v[16:17], off
	s_waitcnt vmcnt(0)
	v_cvt_f32_i32_e32 v0, v0
.LBB195_1743:
	s_cbranch_execnz .LBB195_1749
.LBB195_1744:
	v_mov_b32_e32 v0, 0
	v_cmp_gt_i16_sdwa s[4:5], s19, v0 src0_sel:BYTE_0 src1_sel:DWORD
	s_and_b64 vcc, exec, s[4:5]
	s_cbranch_vccz .LBB195_1746
; %bb.1745:
	global_load_sbyte v0, v[16:17], off
	s_mov_b64 s[4:5], 0
	s_waitcnt vmcnt(0)
	v_cvt_f32_i32_e32 v0, v0
	s_branch .LBB195_1747
.LBB195_1746:
	s_mov_b64 s[4:5], -1
                                        ; implicit-def: $vgpr0
.LBB195_1747:
	s_andn2_b64 vcc, exec, s[4:5]
	s_cbranch_vccnz .LBB195_1749
; %bb.1748:
	global_load_ubyte v0, v[16:17], off
	s_waitcnt vmcnt(0)
	v_cvt_f32_ubyte0_e32 v0, v0
.LBB195_1749:
.LBB195_1750:
	s_load_dwordx2 s[4:5], s[22:23], 0x198
	s_lshr_b32 s20, s18, 24
	v_cmp_lt_i16_e64 s[6:7], s20, 11
	s_waitcnt lgkmcnt(0)
	v_mov_b32_e32 v1, s5
	v_add_co_u32_e32 v14, vcc, s4, v14
	v_addc_co_u32_e32 v15, vcc, 0, v1, vcc
	s_and_b64 vcc, exec, s[6:7]
	s_cbranch_vccnz .LBB195_1757
; %bb.1751:
	v_cmp_gt_i16_e64 s[8:9], s20, 25
	s_mov_b64 s[10:11], 0
	s_and_b64 vcc, exec, s[8:9]
	s_cbranch_vccz .LBB195_1759
; %bb.1752:
	v_cmp_gt_i16_e64 s[8:9], s20, 28
	s_and_b64 vcc, exec, s[8:9]
	s_cbranch_vccz .LBB195_1760
; %bb.1753:
	v_cmp_gt_i16_e64 s[8:9], s20, 43
	;; [unrolled: 4-line block ×3, first 2 shown]
	s_and_b64 vcc, exec, s[8:9]
	s_cbranch_vccz .LBB195_1763
; %bb.1755:
	v_cmp_eq_u16_e64 s[8:9], s20, 46
	s_mov_b64 s[14:15], 0
	s_and_b64 vcc, exec, s[8:9]
	s_cbranch_vccz .LBB195_1766
; %bb.1756:
	global_load_dword v1, v[14:15], off
	s_mov_b64 s[8:9], 0
	s_mov_b64 s[12:13], -1
	s_waitcnt vmcnt(0)
	v_lshlrev_b32_e32 v1, 16, v1
	s_branch .LBB195_1767
.LBB195_1757:
	s_mov_b64 s[12:13], 0
                                        ; implicit-def: $vgpr1
	s_cbranch_execnz .LBB195_1832
.LBB195_1758:
	s_andn2_b64 vcc, exec, s[12:13]
	s_cbranch_vccnz .LBB195_3113
	s_branch .LBB195_1879
.LBB195_1759:
	s_mov_b64 s[12:13], 0
	s_mov_b64 s[8:9], 0
                                        ; implicit-def: $vgpr1
	s_cbranch_execnz .LBB195_1796
	s_branch .LBB195_1828
.LBB195_1760:
	s_mov_b64 s[14:15], -1
	s_mov_b64 s[12:13], 0
	s_mov_b64 s[8:9], 0
                                        ; implicit-def: $vgpr1
	s_branch .LBB195_1777
.LBB195_1761:
	s_mov_b64 s[14:15], -1
	s_mov_b64 s[12:13], 0
	s_mov_b64 s[8:9], 0
                                        ; implicit-def: $vgpr1
	s_branch .LBB195_1772
.LBB195_1762:
	s_or_b64 s[34:35], s[36:37], exec
	s_trap 2
                                        ; implicit-def: $vgpr0
	s_cbranch_execz .LBB195_1703
	s_branch .LBB195_1704
.LBB195_1763:
	s_mov_b64 s[14:15], -1
	s_mov_b64 s[12:13], 0
	s_mov_b64 s[8:9], 0
                                        ; implicit-def: $vgpr1
	s_branch .LBB195_1767
.LBB195_1764:
	s_or_saveexec_b64 s[14:15], s[14:15]
                                        ; implicit-def: $sgpr16
	s_xor_b64 exec, exec, s[14:15]
	s_cbranch_execz .LBB195_1510
.LBB195_1765:
	s_mov_b32 s16, 0x42800000
	v_add_f32_e64 v1, |v0|, s16
	v_and_b32_e32 v1, 0xff, v1
	v_cmp_ne_u32_e32 vcc, 0, v1
	s_andn2_b64 s[12:13], s[12:13], exec
	s_and_b64 s[18:19], vcc, exec
	s_mov_b32 s16, 0
	s_or_b64 s[12:13], s[12:13], s[18:19]
	s_or_b64 exec, exec, s[14:15]
	v_mov_b32_e32 v2, s16
	s_and_saveexec_b64 s[14:15], s[12:13]
	s_cbranch_execnz .LBB195_1511
	s_branch .LBB195_1512
.LBB195_1766:
	s_mov_b64 s[8:9], -1
                                        ; implicit-def: $vgpr1
	s_mov_b64 s[12:13], 0
.LBB195_1767:
	s_and_b64 vcc, exec, s[14:15]
	s_cbranch_vccz .LBB195_1771
; %bb.1768:
	v_cmp_eq_u16_e64 s[8:9], s20, 44
	s_and_b64 vcc, exec, s[8:9]
	s_cbranch_vccz .LBB195_1770
; %bb.1769:
	global_load_ubyte v1, v[14:15], off
	s_movk_i32 s12, 0xff
	v_mov_b32_e32 v3, 0x7f800001
	v_mov_b32_e32 v5, 0x400000
	s_mov_b64 s[8:9], 0
	s_waitcnt vmcnt(0)
	v_lshlrev_b32_e32 v7, 23, v1
	v_cmp_ne_u32_e32 vcc, s12, v1
	v_cndmask_b32_e32 v3, v3, v7, vcc
	v_cmp_ne_u32_e32 vcc, 0, v1
	v_cndmask_b32_e32 v1, v5, v3, vcc
	s_mov_b64 s[12:13], -1
	s_branch .LBB195_1771
.LBB195_1770:
	s_mov_b64 s[8:9], -1
                                        ; implicit-def: $vgpr1
.LBB195_1771:
	s_mov_b64 s[14:15], 0
.LBB195_1772:
	s_and_b64 vcc, exec, s[14:15]
	s_cbranch_vccz .LBB195_1776
; %bb.1773:
	v_cmp_eq_u16_e64 s[8:9], s20, 29
	s_and_b64 vcc, exec, s[8:9]
	s_cbranch_vccz .LBB195_1775
; %bb.1774:
	global_load_dwordx2 v[16:17], v[14:15], off
	s_mov_b64 s[8:9], 0
	s_mov_b64 s[12:13], -1
	s_mov_b64 s[14:15], 0
	s_waitcnt vmcnt(0)
	v_ffbh_u32_e32 v1, v17
	v_min_u32_e32 v1, 32, v1
	v_lshlrev_b64 v[16:17], v1, v[16:17]
	v_min_u32_e32 v3, 1, v16
	v_or_b32_e32 v3, v17, v3
	v_cvt_f32_u32_e32 v3, v3
	v_sub_u32_e32 v1, 32, v1
	v_ldexp_f32 v1, v3, v1
	s_branch .LBB195_1777
.LBB195_1775:
	s_mov_b64 s[8:9], -1
                                        ; implicit-def: $vgpr1
.LBB195_1776:
	s_mov_b64 s[14:15], 0
.LBB195_1777:
	s_and_b64 vcc, exec, s[14:15]
	s_cbranch_vccz .LBB195_1795
; %bb.1778:
	v_cmp_lt_i16_e64 s[12:13], s20, 27
	s_and_b64 vcc, exec, s[12:13]
	s_cbranch_vccnz .LBB195_1781
; %bb.1779:
	v_cmp_gt_i16_e64 s[12:13], s20, 27
	s_and_b64 vcc, exec, s[12:13]
	s_cbranch_vccz .LBB195_1782
; %bb.1780:
	global_load_dword v1, v[14:15], off
	s_mov_b64 s[12:13], 0
	s_waitcnt vmcnt(0)
	v_cvt_f32_u32_e32 v1, v1
	s_branch .LBB195_1783
.LBB195_1781:
	s_mov_b64 s[12:13], -1
                                        ; implicit-def: $vgpr1
	s_branch .LBB195_1786
.LBB195_1782:
	s_mov_b64 s[12:13], -1
                                        ; implicit-def: $vgpr1
.LBB195_1783:
	s_andn2_b64 vcc, exec, s[12:13]
	s_cbranch_vccnz .LBB195_1785
; %bb.1784:
	global_load_ushort v1, v[14:15], off
	s_waitcnt vmcnt(0)
	v_cvt_f32_u32_e32 v1, v1
.LBB195_1785:
	s_mov_b64 s[12:13], 0
.LBB195_1786:
	s_andn2_b64 vcc, exec, s[12:13]
	s_cbranch_vccnz .LBB195_1794
; %bb.1787:
	global_load_ubyte v3, v[14:15], off
	s_movk_i32 s12, 0x7f
                                        ; implicit-def: $sgpr21
	s_waitcnt vmcnt(0)
	v_cmp_lt_i16_e32 vcc, s12, v3
	s_mov_b64 s[12:13], 0
	s_and_saveexec_b64 s[14:15], vcc
	s_xor_b64 s[14:15], exec, s[14:15]
	s_cbranch_execz .LBB195_1807
; %bb.1788:
	s_movk_i32 s12, 0x80
	v_cmp_eq_u16_e32 vcc, s12, v3
	s_mov_b64 s[12:13], -1
                                        ; implicit-def: $sgpr21
	s_and_saveexec_b64 s[16:17], vcc
; %bb.1789:
	s_mov_b32 s21, 0x7f800001
	s_xor_b64 s[12:13], exec, -1
; %bb.1790:
	s_or_b64 exec, exec, s[16:17]
	s_and_b64 s[12:13], s[12:13], exec
	s_or_saveexec_b64 s[14:15], s[14:15]
	v_mov_b32_e32 v1, s21
	s_xor_b64 exec, exec, s[14:15]
	s_cbranch_execnz .LBB195_1808
.LBB195_1791:
	s_or_b64 exec, exec, s[14:15]
	s_and_saveexec_b64 s[14:15], s[12:13]
	s_cbranch_execz .LBB195_1793
.LBB195_1792:
	v_lshlrev_b32_e32 v1, 24, v3
	v_and_b32_e32 v3, 0xffff, v3
	v_and_b32_e32 v5, 7, v3
	v_ffbh_u32_e32 v9, v5
	v_min_u32_e32 v9, 32, v9
	v_subrev_u32_e32 v11, 28, v9
	v_bfe_u32 v7, v3, 3, 4
	v_lshlrev_b32_e32 v3, v11, v3
	v_sub_u32_e32 v9, 29, v9
	v_and_b32_e32 v3, 7, v3
	v_cmp_eq_u32_e32 vcc, 0, v7
	v_cndmask_b32_e32 v7, v7, v9, vcc
	v_cndmask_b32_e32 v3, v5, v3, vcc
	v_mov_b32_e32 v5, 0x3b800000
	v_lshlrev_b32_e32 v3, 20, v3
	v_and_b32_e32 v1, 0x80000000, v1
	v_lshl_add_u32 v5, v7, 23, v5
	v_or3_b32 v1, v1, v5, v3
.LBB195_1793:
	s_or_b64 exec, exec, s[14:15]
.LBB195_1794:
	s_mov_b64 s[12:13], -1
.LBB195_1795:
	s_branch .LBB195_1828
.LBB195_1796:
	v_cmp_gt_i16_e64 s[10:11], s20, 22
	s_and_b64 vcc, exec, s[10:11]
	s_cbranch_vccz .LBB195_1806
; %bb.1797:
	v_cmp_lt_i16_e64 s[10:11], s20, 24
	s_and_b64 vcc, exec, s[10:11]
	s_cbranch_vccnz .LBB195_1809
; %bb.1798:
	v_cmp_gt_i16_e64 s[10:11], s20, 24
	s_and_b64 vcc, exec, s[10:11]
	s_cbranch_vccz .LBB195_1810
; %bb.1799:
	global_load_ubyte v3, v[14:15], off
	s_movk_i32 s10, 0x7f
                                        ; implicit-def: $sgpr16
	s_waitcnt vmcnt(0)
	v_cmp_lt_i16_e32 vcc, s10, v3
	s_mov_b64 s[10:11], 0
	s_and_saveexec_b64 s[12:13], vcc
	s_xor_b64 s[12:13], exec, s[12:13]
	s_cbranch_execz .LBB195_1822
; %bb.1800:
	s_movk_i32 s10, 0x80
	v_cmp_eq_u16_e32 vcc, s10, v3
	s_mov_b64 s[10:11], -1
                                        ; implicit-def: $sgpr16
	s_and_saveexec_b64 s[14:15], vcc
; %bb.1801:
	s_mov_b32 s16, 0x7f800001
	s_xor_b64 s[10:11], exec, -1
; %bb.1802:
	s_or_b64 exec, exec, s[14:15]
	s_and_b64 s[10:11], s[10:11], exec
	s_or_saveexec_b64 s[12:13], s[12:13]
	v_mov_b32_e32 v1, s16
	s_xor_b64 exec, exec, s[12:13]
	s_cbranch_execnz .LBB195_1823
.LBB195_1803:
	s_or_b64 exec, exec, s[12:13]
	s_and_saveexec_b64 s[12:13], s[10:11]
	s_cbranch_execz .LBB195_1805
.LBB195_1804:
	v_lshlrev_b32_e32 v1, 24, v3
	v_and_b32_e32 v3, 0xffff, v3
	v_and_b32_e32 v5, 3, v3
	v_ffbh_u32_e32 v9, v5
	v_min_u32_e32 v9, 32, v9
	v_subrev_u32_e32 v11, 29, v9
	v_bfe_u32 v7, v3, 2, 5
	v_lshlrev_b32_e32 v3, v11, v3
	v_sub_u32_e32 v9, 30, v9
	v_and_b32_e32 v3, 3, v3
	v_cmp_eq_u32_e32 vcc, 0, v7
	v_cndmask_b32_e32 v7, v7, v9, vcc
	v_cndmask_b32_e32 v3, v5, v3, vcc
	v_mov_b32_e32 v5, 0x37800000
	v_lshlrev_b32_e32 v3, 21, v3
	v_and_b32_e32 v1, 0x80000000, v1
	v_lshl_add_u32 v5, v7, 23, v5
	v_or3_b32 v1, v1, v5, v3
.LBB195_1805:
	s_or_b64 exec, exec, s[12:13]
	s_mov_b64 s[10:11], 0
	s_branch .LBB195_1811
.LBB195_1806:
	s_mov_b64 s[10:11], -1
                                        ; implicit-def: $vgpr1
	s_branch .LBB195_1817
.LBB195_1807:
	s_or_saveexec_b64 s[14:15], s[14:15]
	v_mov_b32_e32 v1, s21
	s_xor_b64 exec, exec, s[14:15]
	s_cbranch_execz .LBB195_1791
.LBB195_1808:
	v_cmp_ne_u16_e32 vcc, 0, v3
	s_andn2_b64 s[12:13], s[12:13], exec
	s_and_b64 s[16:17], vcc, exec
	v_mov_b32_e32 v1, 0
	s_or_b64 s[12:13], s[12:13], s[16:17]
	s_or_b64 exec, exec, s[14:15]
	s_and_saveexec_b64 s[14:15], s[12:13]
	s_cbranch_execnz .LBB195_1792
	s_branch .LBB195_1793
.LBB195_1809:
	s_mov_b64 s[10:11], -1
                                        ; implicit-def: $vgpr1
	s_branch .LBB195_1814
.LBB195_1810:
	s_mov_b64 s[10:11], -1
                                        ; implicit-def: $vgpr1
.LBB195_1811:
	s_and_b64 vcc, exec, s[10:11]
	s_cbranch_vccz .LBB195_1813
; %bb.1812:
	global_load_ubyte v1, v[14:15], off
	s_mov_b32 s10, 0x7f800000
	s_waitcnt vmcnt(0)
	v_lshlrev_b32_e32 v1, 24, v1
	v_and_b32_e32 v3, 0x7f000000, v1
	v_ffbh_u32_e32 v5, v3
	v_min_u32_e32 v5, 32, v5
	v_sub_u32_e64 v5, v5, 4 clamp
	v_lshlrev_b32_e32 v9, v5, v3
	v_lshlrev_b32_e32 v5, 23, v5
	v_lshrrev_b32_e32 v9, 4, v9
	v_add_u32_e32 v7, 0x1000000, v3
	v_sub_u32_e32 v5, v9, v5
	v_ashrrev_i32_e32 v7, 8, v7
	v_add_u32_e32 v5, 0x3c000000, v5
	v_and_or_b32 v5, v7, s10, v5
	v_cmp_ne_u32_e32 vcc, 0, v3
	v_cndmask_b32_e32 v3, 0, v5, vcc
	s_brev_b32 s10, 1
	v_and_or_b32 v1, v1, s10, v3
.LBB195_1813:
	s_mov_b64 s[10:11], 0
.LBB195_1814:
	s_andn2_b64 vcc, exec, s[10:11]
	s_cbranch_vccnz .LBB195_1816
; %bb.1815:
	global_load_ubyte v1, v[14:15], off
	s_movk_i32 s10, 0x7f00
	s_brev_b32 s11, 16
	s_waitcnt vmcnt(0)
	v_lshlrev_b16_e32 v3, 8, v1
	v_lshlrev_b32_e32 v1, 25, v1
	v_lshrrev_b32_e32 v5, 4, v1
	v_and_or_b32 v7, v3, s10, 0.5
	v_or_b32_e32 v5, 0x70000000, v5
	v_add_f32_e32 v7, -0.5, v7
	v_mul_f32_e32 v5, 0x7800000, v5
	v_cmp_gt_u32_e32 vcc, s11, v1
	v_bfe_i32 v3, v3, 0, 16
	v_cndmask_b32_e32 v1, v5, v7, vcc
	s_brev_b32 s10, 1
	v_and_or_b32 v1, v3, s10, v1
.LBB195_1816:
	s_mov_b64 s[10:11], 0
	s_mov_b64 s[12:13], -1
.LBB195_1817:
	s_andn2_b64 vcc, exec, s[10:11]
	s_mov_b64 s[10:11], 0
	s_cbranch_vccnz .LBB195_1828
; %bb.1818:
	v_cmp_gt_i16_e64 s[10:11], s20, 14
	s_and_b64 vcc, exec, s[10:11]
	s_cbranch_vccz .LBB195_1821
; %bb.1819:
	v_cmp_eq_u16_e64 s[8:9], s20, 15
	s_and_b64 vcc, exec, s[8:9]
	s_cbranch_vccz .LBB195_1824
; %bb.1820:
	global_load_ushort v1, v[14:15], off
	s_mov_b64 s[8:9], 0
	s_mov_b64 s[12:13], -1
	s_waitcnt vmcnt(0)
	v_lshlrev_b32_e32 v1, 16, v1
	s_branch .LBB195_1825
.LBB195_1821:
	s_mov_b64 s[14:15], -1
                                        ; implicit-def: $vgpr1
	s_branch .LBB195_1826
.LBB195_1822:
	s_or_saveexec_b64 s[12:13], s[12:13]
	v_mov_b32_e32 v1, s16
	s_xor_b64 exec, exec, s[12:13]
	s_cbranch_execz .LBB195_1803
.LBB195_1823:
	v_cmp_ne_u16_e32 vcc, 0, v3
	s_andn2_b64 s[10:11], s[10:11], exec
	s_and_b64 s[14:15], vcc, exec
	v_mov_b32_e32 v1, 0
	s_or_b64 s[10:11], s[10:11], s[14:15]
	s_or_b64 exec, exec, s[12:13]
	s_and_saveexec_b64 s[12:13], s[10:11]
	s_cbranch_execnz .LBB195_1804
	s_branch .LBB195_1805
.LBB195_1824:
	s_mov_b64 s[8:9], -1
                                        ; implicit-def: $vgpr1
.LBB195_1825:
	s_mov_b64 s[14:15], 0
.LBB195_1826:
	s_mov_b64 s[10:11], 0
	s_and_b64 vcc, exec, s[14:15]
	s_cbranch_vccz .LBB195_1828
; %bb.1827:
	v_cmp_ne_u16_e64 s[8:9], s20, 11
	s_mov_b64 s[10:11], -1
                                        ; implicit-def: $vgpr1
.LBB195_1828:
	s_and_b64 vcc, exec, s[8:9]
	s_cbranch_vccnz .LBB195_1891
; %bb.1829:
	s_andn2_b64 vcc, exec, s[10:11]
	s_cbranch_vccnz .LBB195_1831
.LBB195_1830:
	global_load_ubyte v1, v[14:15], off
	s_mov_b64 s[12:13], -1
	s_waitcnt vmcnt(0)
	v_cmp_ne_u16_e32 vcc, 0, v1
	v_cndmask_b32_e64 v1, 0, 1.0, vcc
.LBB195_1831:
	s_branch .LBB195_1758
.LBB195_1832:
	v_cmp_lt_i16_e64 s[8:9], s20, 5
	s_and_b64 vcc, exec, s[8:9]
	s_cbranch_vccnz .LBB195_1837
; %bb.1833:
	v_cmp_lt_i16_e64 s[8:9], s20, 8
	s_and_b64 vcc, exec, s[8:9]
	s_cbranch_vccnz .LBB195_1838
; %bb.1834:
	;; [unrolled: 4-line block ×3, first 2 shown]
	v_cmp_gt_i16_e64 s[8:9], s20, 9
	s_and_b64 vcc, exec, s[8:9]
	s_cbranch_vccz .LBB195_1840
; %bb.1836:
	global_load_dwordx2 v[16:17], v[14:15], off
	s_mov_b64 s[8:9], 0
	s_waitcnt vmcnt(0)
	v_cvt_f32_f64_e32 v1, v[16:17]
	s_branch .LBB195_1841
.LBB195_1837:
                                        ; implicit-def: $vgpr1
	s_branch .LBB195_1859
.LBB195_1838:
	s_mov_b64 s[8:9], -1
                                        ; implicit-def: $vgpr1
	s_branch .LBB195_1847
.LBB195_1839:
	s_mov_b64 s[8:9], -1
                                        ; implicit-def: $vgpr1
	s_branch .LBB195_1844
.LBB195_1840:
	s_mov_b64 s[8:9], -1
                                        ; implicit-def: $vgpr1
.LBB195_1841:
	s_andn2_b64 vcc, exec, s[8:9]
	s_cbranch_vccnz .LBB195_1843
; %bb.1842:
	global_load_dword v1, v[14:15], off
.LBB195_1843:
	s_mov_b64 s[8:9], 0
.LBB195_1844:
	s_andn2_b64 vcc, exec, s[8:9]
	s_cbranch_vccnz .LBB195_1846
; %bb.1845:
	global_load_dword v1, v[14:15], off
	s_waitcnt vmcnt(0)
	v_cvt_f32_f16_e32 v1, v1
.LBB195_1846:
	s_mov_b64 s[8:9], 0
.LBB195_1847:
	s_andn2_b64 vcc, exec, s[8:9]
	s_cbranch_vccnz .LBB195_1858
; %bb.1848:
	v_cmp_lt_i16_e64 s[8:9], s20, 6
	s_and_b64 vcc, exec, s[8:9]
	s_cbranch_vccnz .LBB195_1851
; %bb.1849:
	v_cmp_gt_i16_e64 s[8:9], s20, 6
	s_and_b64 vcc, exec, s[8:9]
	s_cbranch_vccz .LBB195_1852
; %bb.1850:
	global_load_dwordx2 v[16:17], v[14:15], off
	s_mov_b64 s[8:9], 0
	s_waitcnt vmcnt(0)
	v_cvt_f32_f64_e32 v1, v[16:17]
	s_branch .LBB195_1853
.LBB195_1851:
	s_mov_b64 s[8:9], -1
                                        ; implicit-def: $vgpr1
	s_branch .LBB195_1856
.LBB195_1852:
	s_mov_b64 s[8:9], -1
                                        ; implicit-def: $vgpr1
.LBB195_1853:
	s_andn2_b64 vcc, exec, s[8:9]
	s_cbranch_vccnz .LBB195_1855
; %bb.1854:
	global_load_dword v1, v[14:15], off
.LBB195_1855:
	s_mov_b64 s[8:9], 0
.LBB195_1856:
	s_andn2_b64 vcc, exec, s[8:9]
	s_cbranch_vccnz .LBB195_1858
; %bb.1857:
	global_load_ushort v1, v[14:15], off
	s_waitcnt vmcnt(0)
	v_cvt_f32_f16_e32 v1, v1
.LBB195_1858:
	s_cbranch_execnz .LBB195_1878
.LBB195_1859:
	v_cmp_lt_i16_e64 s[8:9], s20, 2
	s_and_b64 vcc, exec, s[8:9]
	s_cbranch_vccnz .LBB195_1863
; %bb.1860:
	v_cmp_lt_i16_e64 s[8:9], s20, 3
	s_and_b64 vcc, exec, s[8:9]
	s_cbranch_vccnz .LBB195_1864
; %bb.1861:
	v_cmp_gt_i16_e64 s[8:9], s20, 3
	s_and_b64 vcc, exec, s[8:9]
	s_cbranch_vccz .LBB195_1865
; %bb.1862:
	global_load_dwordx2 v[16:17], v[14:15], off
	s_mov_b64 s[8:9], 0
	s_waitcnt vmcnt(0)
	v_xor_b32_e32 v3, v16, v17
	v_ffbh_i32_e32 v1, v17
	v_ashrrev_i32_e32 v3, 31, v3
	v_add_u32_e32 v1, -1, v1
	v_add_u32_e32 v3, 32, v3
	v_min_u32_e32 v1, v1, v3
	v_lshlrev_b64 v[16:17], v1, v[16:17]
	v_min_u32_e32 v3, 1, v16
	v_or_b32_e32 v3, v17, v3
	v_cvt_f32_i32_e32 v3, v3
	v_sub_u32_e32 v1, 32, v1
	v_ldexp_f32 v1, v3, v1
	s_branch .LBB195_1866
.LBB195_1863:
	s_mov_b64 s[8:9], -1
                                        ; implicit-def: $vgpr1
	s_branch .LBB195_1872
.LBB195_1864:
	s_mov_b64 s[8:9], -1
                                        ; implicit-def: $vgpr1
	s_branch .LBB195_1869
.LBB195_1865:
	s_mov_b64 s[8:9], -1
                                        ; implicit-def: $vgpr1
.LBB195_1866:
	s_andn2_b64 vcc, exec, s[8:9]
	s_cbranch_vccnz .LBB195_1868
; %bb.1867:
	global_load_dword v1, v[14:15], off
	s_waitcnt vmcnt(0)
	v_cvt_f32_i32_e32 v1, v1
.LBB195_1868:
	s_mov_b64 s[8:9], 0
.LBB195_1869:
	s_andn2_b64 vcc, exec, s[8:9]
	s_cbranch_vccnz .LBB195_1871
; %bb.1870:
	global_load_sshort v1, v[14:15], off
	s_waitcnt vmcnt(0)
	v_cvt_f32_i32_e32 v1, v1
.LBB195_1871:
	s_mov_b64 s[8:9], 0
.LBB195_1872:
	s_andn2_b64 vcc, exec, s[8:9]
	s_cbranch_vccnz .LBB195_1878
; %bb.1873:
	v_cmp_gt_i16_e64 s[8:9], s20, 0
	s_and_b64 vcc, exec, s[8:9]
	s_cbranch_vccz .LBB195_1875
; %bb.1874:
	global_load_sbyte v1, v[14:15], off
	s_mov_b64 s[8:9], 0
	s_waitcnt vmcnt(0)
	v_cvt_f32_i32_e32 v1, v1
	s_branch .LBB195_1876
.LBB195_1875:
	s_mov_b64 s[8:9], -1
                                        ; implicit-def: $vgpr1
.LBB195_1876:
	s_andn2_b64 vcc, exec, s[8:9]
	s_cbranch_vccnz .LBB195_1878
; %bb.1877:
	global_load_ubyte v1, v[14:15], off
	s_waitcnt vmcnt(0)
	v_cvt_f32_ubyte0_e32 v1, v1
.LBB195_1878:
.LBB195_1879:
	v_mov_b32_e32 v3, s27
	v_add_co_u32_e32 v12, vcc, s26, v12
	v_addc_co_u32_e32 v13, vcc, 0, v3, vcc
	v_mov_b32_e32 v3, 11
	v_cmp_lt_i16_sdwa s[8:9], s19, v3 src0_sel:BYTE_0 src1_sel:DWORD
	s_and_b64 vcc, exec, s[8:9]
	s_cbranch_vccnz .LBB195_1886
; %bb.1880:
	v_mov_b32_e32 v3, 25
	v_cmp_gt_i16_sdwa s[8:9], s19, v3 src0_sel:BYTE_0 src1_sel:DWORD
	s_mov_b64 s[10:11], 0
	s_and_b64 vcc, exec, s[8:9]
	s_cbranch_vccz .LBB195_1888
; %bb.1881:
	v_mov_b32_e32 v3, 28
	v_cmp_gt_i16_sdwa s[8:9], s19, v3 src0_sel:BYTE_0 src1_sel:DWORD
	s_and_b64 vcc, exec, s[8:9]
	s_cbranch_vccz .LBB195_1889
; %bb.1882:
	v_mov_b32_e32 v3, 43
	v_cmp_gt_i16_sdwa s[8:9], s19, v3 src0_sel:BYTE_0 src1_sel:DWORD
	;; [unrolled: 5-line block ×3, first 2 shown]
	s_and_b64 vcc, exec, s[8:9]
	s_cbranch_vccz .LBB195_1892
; %bb.1884:
	v_mov_b32_e32 v3, 46
	v_cmp_eq_u16_sdwa s[8:9], s19, v3 src0_sel:BYTE_0 src1_sel:DWORD
	s_mov_b64 s[14:15], 0
	s_and_b64 vcc, exec, s[8:9]
	s_cbranch_vccz .LBB195_1893
; %bb.1885:
	global_load_dword v3, v[12:13], off
	s_mov_b64 s[8:9], 0
	s_mov_b64 s[12:13], -1
	s_waitcnt vmcnt(0)
	v_lshlrev_b32_e32 v30, 16, v3
	s_branch .LBB195_1894
.LBB195_1886:
	s_mov_b64 s[12:13], 0
                                        ; implicit-def: $vgpr30
	s_cbranch_execnz .LBB195_1960
.LBB195_1887:
	s_andn2_b64 vcc, exec, s[12:13]
	s_cbranch_vccnz .LBB195_3113
	s_branch .LBB195_2008
.LBB195_1888:
	s_mov_b64 s[14:15], -1
	s_mov_b64 s[12:13], 0
	s_mov_b64 s[8:9], 0
                                        ; implicit-def: $vgpr30
	s_branch .LBB195_1923
.LBB195_1889:
	s_mov_b64 s[14:15], -1
	s_mov_b64 s[12:13], 0
	s_mov_b64 s[8:9], 0
                                        ; implicit-def: $vgpr30
	s_branch .LBB195_1904
.LBB195_1890:
	s_mov_b64 s[14:15], -1
	s_mov_b64 s[12:13], 0
	s_mov_b64 s[8:9], 0
                                        ; implicit-def: $vgpr30
	s_branch .LBB195_1899
.LBB195_1891:
	s_trap 2
	s_or_b64 s[34:35], s[34:35], exec
                                        ; implicit-def: $vgpr1
	s_cbranch_execz .LBB195_1830
	s_branch .LBB195_1831
.LBB195_1892:
	s_mov_b64 s[14:15], -1
	s_mov_b64 s[12:13], 0
	s_mov_b64 s[8:9], 0
                                        ; implicit-def: $vgpr30
	s_branch .LBB195_1894
.LBB195_1893:
	s_mov_b64 s[8:9], -1
                                        ; implicit-def: $vgpr30
	s_mov_b64 s[12:13], 0
.LBB195_1894:
	s_and_b64 vcc, exec, s[14:15]
	s_cbranch_vccz .LBB195_1898
; %bb.1895:
	v_mov_b32_e32 v3, 44
	v_cmp_eq_u16_sdwa s[8:9], s19, v3 src0_sel:BYTE_0 src1_sel:DWORD
	s_and_b64 vcc, exec, s[8:9]
	s_cbranch_vccz .LBB195_1897
; %bb.1896:
	global_load_ubyte v3, v[12:13], off
	s_movk_i32 s12, 0xff
	v_mov_b32_e32 v5, 0x7f800001
	v_mov_b32_e32 v7, 0x400000
	s_mov_b64 s[8:9], 0
	s_waitcnt vmcnt(0)
	v_lshlrev_b32_e32 v9, 23, v3
	v_cmp_ne_u32_e32 vcc, s12, v3
	v_cndmask_b32_e32 v5, v5, v9, vcc
	v_cmp_ne_u32_e32 vcc, 0, v3
	v_cndmask_b32_e32 v30, v7, v5, vcc
	s_mov_b64 s[12:13], -1
	s_branch .LBB195_1898
.LBB195_1897:
	s_mov_b64 s[8:9], -1
                                        ; implicit-def: $vgpr30
.LBB195_1898:
	s_mov_b64 s[14:15], 0
.LBB195_1899:
	s_and_b64 vcc, exec, s[14:15]
	s_cbranch_vccz .LBB195_1903
; %bb.1900:
	v_mov_b32_e32 v3, 29
	v_cmp_eq_u16_sdwa s[8:9], s19, v3 src0_sel:BYTE_0 src1_sel:DWORD
	s_and_b64 vcc, exec, s[8:9]
	s_cbranch_vccz .LBB195_1902
; %bb.1901:
	global_load_dwordx2 v[14:15], v[12:13], off
	s_mov_b64 s[8:9], 0
	s_mov_b64 s[12:13], -1
	s_mov_b64 s[14:15], 0
	s_waitcnt vmcnt(0)
	v_ffbh_u32_e32 v3, v15
	v_min_u32_e32 v3, 32, v3
	v_lshlrev_b64 v[14:15], v3, v[14:15]
	v_min_u32_e32 v5, 1, v14
	v_or_b32_e32 v5, v15, v5
	v_cvt_f32_u32_e32 v5, v5
	v_sub_u32_e32 v3, 32, v3
	v_ldexp_f32 v30, v5, v3
	s_branch .LBB195_1904
.LBB195_1902:
	s_mov_b64 s[8:9], -1
                                        ; implicit-def: $vgpr30
.LBB195_1903:
	s_mov_b64 s[14:15], 0
.LBB195_1904:
	s_and_b64 vcc, exec, s[14:15]
	s_cbranch_vccz .LBB195_1922
; %bb.1905:
	v_mov_b32_e32 v3, 27
	v_cmp_lt_i16_sdwa s[12:13], s19, v3 src0_sel:BYTE_0 src1_sel:DWORD
	s_and_b64 vcc, exec, s[12:13]
	s_cbranch_vccnz .LBB195_1908
; %bb.1906:
	v_cmp_gt_i16_sdwa s[12:13], s19, v3 src0_sel:BYTE_0 src1_sel:DWORD
	s_and_b64 vcc, exec, s[12:13]
	s_cbranch_vccz .LBB195_1909
; %bb.1907:
	global_load_dword v3, v[12:13], off
	s_mov_b64 s[12:13], 0
	s_waitcnt vmcnt(0)
	v_cvt_f32_u32_e32 v30, v3
	s_branch .LBB195_1910
.LBB195_1908:
	s_mov_b64 s[12:13], -1
                                        ; implicit-def: $vgpr30
	s_branch .LBB195_1913
.LBB195_1909:
	s_mov_b64 s[12:13], -1
                                        ; implicit-def: $vgpr30
.LBB195_1910:
	s_andn2_b64 vcc, exec, s[12:13]
	s_cbranch_vccnz .LBB195_1912
; %bb.1911:
	global_load_ushort v3, v[12:13], off
	s_waitcnt vmcnt(0)
	v_cvt_f32_u32_e32 v30, v3
.LBB195_1912:
	s_mov_b64 s[12:13], 0
.LBB195_1913:
	s_andn2_b64 vcc, exec, s[12:13]
	s_cbranch_vccnz .LBB195_1921
; %bb.1914:
	global_load_ubyte v3, v[12:13], off
	s_movk_i32 s12, 0x7f
                                        ; implicit-def: $sgpr21
	s_waitcnt vmcnt(0)
	v_cmp_lt_i16_e32 vcc, s12, v3
	s_mov_b64 s[12:13], 0
	s_and_saveexec_b64 s[14:15], vcc
	s_xor_b64 s[14:15], exec, s[14:15]
	s_cbranch_execz .LBB195_1935
; %bb.1915:
	s_movk_i32 s12, 0x80
	v_cmp_eq_u16_e32 vcc, s12, v3
	s_mov_b64 s[12:13], -1
                                        ; implicit-def: $sgpr21
	s_and_saveexec_b64 s[16:17], vcc
; %bb.1916:
	s_mov_b32 s21, 0x7f800001
	s_xor_b64 s[12:13], exec, -1
; %bb.1917:
	s_or_b64 exec, exec, s[16:17]
	s_and_b64 s[12:13], s[12:13], exec
	s_or_saveexec_b64 s[14:15], s[14:15]
	v_mov_b32_e32 v30, s21
	s_xor_b64 exec, exec, s[14:15]
	s_cbranch_execnz .LBB195_1936
.LBB195_1918:
	s_or_b64 exec, exec, s[14:15]
	s_and_saveexec_b64 s[14:15], s[12:13]
	s_cbranch_execz .LBB195_1920
.LBB195_1919:
	v_lshlrev_b32_e32 v5, 24, v3
	v_and_b32_e32 v3, 0xffff, v3
	v_and_b32_e32 v7, 7, v3
	v_ffbh_u32_e32 v11, v7
	v_min_u32_e32 v11, 32, v11
	v_subrev_u32_e32 v14, 28, v11
	v_bfe_u32 v9, v3, 3, 4
	v_lshlrev_b32_e32 v3, v14, v3
	v_sub_u32_e32 v11, 29, v11
	v_and_b32_e32 v3, 7, v3
	v_cmp_eq_u32_e32 vcc, 0, v9
	v_cndmask_b32_e32 v9, v9, v11, vcc
	v_cndmask_b32_e32 v3, v7, v3, vcc
	v_mov_b32_e32 v7, 0x3b800000
	v_lshlrev_b32_e32 v3, 20, v3
	v_and_b32_e32 v5, 0x80000000, v5
	v_lshl_add_u32 v7, v9, 23, v7
	v_or3_b32 v30, v5, v7, v3
.LBB195_1920:
	s_or_b64 exec, exec, s[14:15]
.LBB195_1921:
	s_mov_b64 s[12:13], -1
.LBB195_1922:
	s_mov_b64 s[14:15], 0
.LBB195_1923:
	s_and_b64 vcc, exec, s[14:15]
	s_cbranch_vccz .LBB195_1956
; %bb.1924:
	v_mov_b32_e32 v3, 22
	v_cmp_gt_i16_sdwa s[10:11], s19, v3 src0_sel:BYTE_0 src1_sel:DWORD
	s_and_b64 vcc, exec, s[10:11]
	s_cbranch_vccz .LBB195_1934
; %bb.1925:
	v_mov_b32_e32 v3, 24
	v_cmp_lt_i16_sdwa s[10:11], s19, v3 src0_sel:BYTE_0 src1_sel:DWORD
	s_and_b64 vcc, exec, s[10:11]
	s_cbranch_vccnz .LBB195_1937
; %bb.1926:
	v_cmp_gt_i16_sdwa s[10:11], s19, v3 src0_sel:BYTE_0 src1_sel:DWORD
	s_and_b64 vcc, exec, s[10:11]
	s_cbranch_vccz .LBB195_1938
; %bb.1927:
	global_load_ubyte v3, v[12:13], off
	s_movk_i32 s10, 0x7f
                                        ; implicit-def: $sgpr16
	s_waitcnt vmcnt(0)
	v_cmp_lt_i16_e32 vcc, s10, v3
	s_mov_b64 s[10:11], 0
	s_and_saveexec_b64 s[12:13], vcc
	s_xor_b64 s[12:13], exec, s[12:13]
	s_cbranch_execz .LBB195_1950
; %bb.1928:
	s_movk_i32 s10, 0x80
	v_cmp_eq_u16_e32 vcc, s10, v3
	s_mov_b64 s[10:11], -1
                                        ; implicit-def: $sgpr16
	s_and_saveexec_b64 s[14:15], vcc
; %bb.1929:
	s_mov_b32 s16, 0x7f800001
	s_xor_b64 s[10:11], exec, -1
; %bb.1930:
	s_or_b64 exec, exec, s[14:15]
	s_and_b64 s[10:11], s[10:11], exec
	s_or_saveexec_b64 s[12:13], s[12:13]
	v_mov_b32_e32 v30, s16
	s_xor_b64 exec, exec, s[12:13]
	s_cbranch_execnz .LBB195_1951
.LBB195_1931:
	s_or_b64 exec, exec, s[12:13]
	s_and_saveexec_b64 s[12:13], s[10:11]
	s_cbranch_execz .LBB195_1933
.LBB195_1932:
	v_lshlrev_b32_e32 v5, 24, v3
	v_and_b32_e32 v3, 0xffff, v3
	v_and_b32_e32 v7, 3, v3
	v_ffbh_u32_e32 v11, v7
	v_min_u32_e32 v11, 32, v11
	v_subrev_u32_e32 v14, 29, v11
	v_bfe_u32 v9, v3, 2, 5
	v_lshlrev_b32_e32 v3, v14, v3
	v_sub_u32_e32 v11, 30, v11
	v_and_b32_e32 v3, 3, v3
	v_cmp_eq_u32_e32 vcc, 0, v9
	v_cndmask_b32_e32 v9, v9, v11, vcc
	v_cndmask_b32_e32 v3, v7, v3, vcc
	v_mov_b32_e32 v7, 0x37800000
	v_lshlrev_b32_e32 v3, 21, v3
	v_and_b32_e32 v5, 0x80000000, v5
	v_lshl_add_u32 v7, v9, 23, v7
	v_or3_b32 v30, v5, v7, v3
.LBB195_1933:
	s_or_b64 exec, exec, s[12:13]
	s_mov_b64 s[10:11], 0
	s_branch .LBB195_1939
.LBB195_1934:
	s_mov_b64 s[10:11], -1
                                        ; implicit-def: $vgpr30
	s_branch .LBB195_1945
.LBB195_1935:
	s_or_saveexec_b64 s[14:15], s[14:15]
	v_mov_b32_e32 v30, s21
	s_xor_b64 exec, exec, s[14:15]
	s_cbranch_execz .LBB195_1918
.LBB195_1936:
	v_cmp_ne_u16_e32 vcc, 0, v3
	s_andn2_b64 s[12:13], s[12:13], exec
	s_and_b64 s[16:17], vcc, exec
	v_mov_b32_e32 v30, 0
	s_or_b64 s[12:13], s[12:13], s[16:17]
	s_or_b64 exec, exec, s[14:15]
	s_and_saveexec_b64 s[14:15], s[12:13]
	s_cbranch_execnz .LBB195_1919
	s_branch .LBB195_1920
.LBB195_1937:
	s_mov_b64 s[10:11], -1
                                        ; implicit-def: $vgpr30
	s_branch .LBB195_1942
.LBB195_1938:
	s_mov_b64 s[10:11], -1
                                        ; implicit-def: $vgpr30
.LBB195_1939:
	s_and_b64 vcc, exec, s[10:11]
	s_cbranch_vccz .LBB195_1941
; %bb.1940:
	global_load_ubyte v3, v[12:13], off
	s_mov_b32 s10, 0x7f800000
	s_waitcnt vmcnt(0)
	v_lshlrev_b32_e32 v3, 24, v3
	v_and_b32_e32 v5, 0x7f000000, v3
	v_ffbh_u32_e32 v7, v5
	v_min_u32_e32 v7, 32, v7
	v_sub_u32_e64 v7, v7, 4 clamp
	v_lshlrev_b32_e32 v11, v7, v5
	v_lshlrev_b32_e32 v7, 23, v7
	v_lshrrev_b32_e32 v11, 4, v11
	v_add_u32_e32 v9, 0x1000000, v5
	v_sub_u32_e32 v7, v11, v7
	v_ashrrev_i32_e32 v9, 8, v9
	v_add_u32_e32 v7, 0x3c000000, v7
	v_and_or_b32 v7, v9, s10, v7
	v_cmp_ne_u32_e32 vcc, 0, v5
	v_cndmask_b32_e32 v5, 0, v7, vcc
	s_brev_b32 s10, 1
	v_and_or_b32 v30, v3, s10, v5
.LBB195_1941:
	s_mov_b64 s[10:11], 0
.LBB195_1942:
	s_andn2_b64 vcc, exec, s[10:11]
	s_cbranch_vccnz .LBB195_1944
; %bb.1943:
	global_load_ubyte v3, v[12:13], off
	s_movk_i32 s10, 0x7f00
	s_brev_b32 s11, 16
	s_waitcnt vmcnt(0)
	v_lshlrev_b16_e32 v5, 8, v3
	v_lshlrev_b32_e32 v3, 25, v3
	v_lshrrev_b32_e32 v7, 4, v3
	v_and_or_b32 v9, v5, s10, 0.5
	v_or_b32_e32 v7, 0x70000000, v7
	v_add_f32_e32 v9, -0.5, v9
	v_mul_f32_e32 v7, 0x7800000, v7
	v_cmp_gt_u32_e32 vcc, s11, v3
	v_bfe_i32 v5, v5, 0, 16
	v_cndmask_b32_e32 v3, v7, v9, vcc
	s_brev_b32 s10, 1
	v_and_or_b32 v30, v5, s10, v3
.LBB195_1944:
	s_mov_b64 s[10:11], 0
	s_mov_b64 s[12:13], -1
.LBB195_1945:
	s_andn2_b64 vcc, exec, s[10:11]
	s_mov_b64 s[10:11], 0
	s_cbranch_vccnz .LBB195_1956
; %bb.1946:
	v_mov_b32_e32 v3, 14
	v_cmp_gt_i16_sdwa s[10:11], s19, v3 src0_sel:BYTE_0 src1_sel:DWORD
	s_and_b64 vcc, exec, s[10:11]
	s_cbranch_vccz .LBB195_1949
; %bb.1947:
	v_mov_b32_e32 v3, 15
	v_cmp_eq_u16_sdwa s[8:9], s19, v3 src0_sel:BYTE_0 src1_sel:DWORD
	s_and_b64 vcc, exec, s[8:9]
	s_cbranch_vccz .LBB195_1952
; %bb.1948:
	global_load_ushort v3, v[12:13], off
	s_mov_b64 s[8:9], 0
	s_mov_b64 s[12:13], -1
	s_waitcnt vmcnt(0)
	v_lshlrev_b32_e32 v30, 16, v3
	s_branch .LBB195_1953
.LBB195_1949:
	s_mov_b64 s[14:15], -1
                                        ; implicit-def: $vgpr30
	s_branch .LBB195_1954
.LBB195_1950:
	s_or_saveexec_b64 s[12:13], s[12:13]
	v_mov_b32_e32 v30, s16
	s_xor_b64 exec, exec, s[12:13]
	s_cbranch_execz .LBB195_1931
.LBB195_1951:
	v_cmp_ne_u16_e32 vcc, 0, v3
	s_andn2_b64 s[10:11], s[10:11], exec
	s_and_b64 s[14:15], vcc, exec
	v_mov_b32_e32 v30, 0
	s_or_b64 s[10:11], s[10:11], s[14:15]
	s_or_b64 exec, exec, s[12:13]
	s_and_saveexec_b64 s[12:13], s[10:11]
	s_cbranch_execnz .LBB195_1932
	s_branch .LBB195_1933
.LBB195_1952:
	s_mov_b64 s[8:9], -1
                                        ; implicit-def: $vgpr30
.LBB195_1953:
	s_mov_b64 s[14:15], 0
.LBB195_1954:
	s_mov_b64 s[10:11], 0
	s_and_b64 vcc, exec, s[14:15]
	s_cbranch_vccz .LBB195_1956
; %bb.1955:
	v_mov_b32_e32 v3, 11
	v_cmp_ne_u16_sdwa s[8:9], s19, v3 src0_sel:BYTE_0 src1_sel:DWORD
	s_mov_b64 s[10:11], -1
                                        ; implicit-def: $vgpr30
.LBB195_1956:
	s_and_b64 vcc, exec, s[8:9]
	s_cbranch_vccnz .LBB195_2019
; %bb.1957:
	s_andn2_b64 vcc, exec, s[10:11]
	s_cbranch_vccnz .LBB195_1959
.LBB195_1958:
	global_load_ubyte v3, v[12:13], off
	s_mov_b64 s[12:13], -1
	s_waitcnt vmcnt(0)
	v_cmp_ne_u16_e32 vcc, 0, v3
	v_cndmask_b32_e64 v30, 0, 1.0, vcc
.LBB195_1959:
	s_branch .LBB195_1887
.LBB195_1960:
	v_mov_b32_e32 v3, 5
	v_cmp_lt_i16_sdwa s[8:9], s19, v3 src0_sel:BYTE_0 src1_sel:DWORD
	s_and_b64 vcc, exec, s[8:9]
	s_cbranch_vccnz .LBB195_1965
; %bb.1961:
	v_mov_b32_e32 v3, 8
	v_cmp_lt_i16_sdwa s[8:9], s19, v3 src0_sel:BYTE_0 src1_sel:DWORD
	s_and_b64 vcc, exec, s[8:9]
	s_cbranch_vccnz .LBB195_1966
; %bb.1962:
	;; [unrolled: 5-line block ×3, first 2 shown]
	v_cmp_gt_i16_sdwa s[8:9], s19, v3 src0_sel:BYTE_0 src1_sel:DWORD
	s_and_b64 vcc, exec, s[8:9]
	s_cbranch_vccz .LBB195_1968
; %bb.1964:
	global_load_dwordx2 v[14:15], v[12:13], off
	s_mov_b64 s[8:9], 0
	s_waitcnt vmcnt(0)
	v_cvt_f32_f64_e32 v30, v[14:15]
	s_branch .LBB195_1969
.LBB195_1965:
	s_mov_b64 s[8:9], -1
                                        ; implicit-def: $vgpr30
	s_branch .LBB195_1987
.LBB195_1966:
	s_mov_b64 s[8:9], -1
                                        ; implicit-def: $vgpr30
	s_branch .LBB195_1975
.LBB195_1967:
	s_mov_b64 s[8:9], -1
                                        ; implicit-def: $vgpr30
	s_branch .LBB195_1972
.LBB195_1968:
	s_mov_b64 s[8:9], -1
                                        ; implicit-def: $vgpr30
.LBB195_1969:
	s_andn2_b64 vcc, exec, s[8:9]
	s_cbranch_vccnz .LBB195_1971
; %bb.1970:
	global_load_dword v30, v[12:13], off
.LBB195_1971:
	s_mov_b64 s[8:9], 0
.LBB195_1972:
	s_andn2_b64 vcc, exec, s[8:9]
	s_cbranch_vccnz .LBB195_1974
; %bb.1973:
	global_load_dword v3, v[12:13], off
	s_waitcnt vmcnt(0)
	v_cvt_f32_f16_e32 v30, v3
.LBB195_1974:
	s_mov_b64 s[8:9], 0
.LBB195_1975:
	s_andn2_b64 vcc, exec, s[8:9]
	s_cbranch_vccnz .LBB195_1986
; %bb.1976:
	v_mov_b32_e32 v3, 6
	v_cmp_lt_i16_sdwa s[8:9], s19, v3 src0_sel:BYTE_0 src1_sel:DWORD
	s_and_b64 vcc, exec, s[8:9]
	s_cbranch_vccnz .LBB195_1979
; %bb.1977:
	v_cmp_gt_i16_sdwa s[8:9], s19, v3 src0_sel:BYTE_0 src1_sel:DWORD
	s_and_b64 vcc, exec, s[8:9]
	s_cbranch_vccz .LBB195_1980
; %bb.1978:
	global_load_dwordx2 v[14:15], v[12:13], off
	s_mov_b64 s[8:9], 0
	s_waitcnt vmcnt(0)
	v_cvt_f32_f64_e32 v30, v[14:15]
	s_branch .LBB195_1981
.LBB195_1979:
	s_mov_b64 s[8:9], -1
                                        ; implicit-def: $vgpr30
	s_branch .LBB195_1984
.LBB195_1980:
	s_mov_b64 s[8:9], -1
                                        ; implicit-def: $vgpr30
.LBB195_1981:
	s_andn2_b64 vcc, exec, s[8:9]
	s_cbranch_vccnz .LBB195_1983
; %bb.1982:
	global_load_dword v30, v[12:13], off
.LBB195_1983:
	s_mov_b64 s[8:9], 0
.LBB195_1984:
	s_andn2_b64 vcc, exec, s[8:9]
	s_cbranch_vccnz .LBB195_1986
; %bb.1985:
	global_load_ushort v3, v[12:13], off
	s_waitcnt vmcnt(0)
	v_cvt_f32_f16_e32 v30, v3
.LBB195_1986:
	s_mov_b64 s[8:9], 0
.LBB195_1987:
	s_andn2_b64 vcc, exec, s[8:9]
	s_cbranch_vccnz .LBB195_2007
; %bb.1988:
	v_mov_b32_e32 v3, 2
	v_cmp_lt_i16_sdwa s[8:9], s19, v3 src0_sel:BYTE_0 src1_sel:DWORD
	s_and_b64 vcc, exec, s[8:9]
	s_cbranch_vccnz .LBB195_1992
; %bb.1989:
	v_mov_b32_e32 v3, 3
	v_cmp_lt_i16_sdwa s[8:9], s19, v3 src0_sel:BYTE_0 src1_sel:DWORD
	s_and_b64 vcc, exec, s[8:9]
	s_cbranch_vccnz .LBB195_1993
; %bb.1990:
	v_cmp_gt_i16_sdwa s[8:9], s19, v3 src0_sel:BYTE_0 src1_sel:DWORD
	s_and_b64 vcc, exec, s[8:9]
	s_cbranch_vccz .LBB195_1994
; %bb.1991:
	global_load_dwordx2 v[14:15], v[12:13], off
	s_mov_b64 s[8:9], 0
	s_waitcnt vmcnt(0)
	v_xor_b32_e32 v5, v14, v15
	v_ffbh_i32_e32 v3, v15
	v_ashrrev_i32_e32 v5, 31, v5
	v_add_u32_e32 v3, -1, v3
	v_add_u32_e32 v5, 32, v5
	v_min_u32_e32 v3, v3, v5
	v_lshlrev_b64 v[14:15], v3, v[14:15]
	v_min_u32_e32 v5, 1, v14
	v_or_b32_e32 v5, v15, v5
	v_cvt_f32_i32_e32 v5, v5
	v_sub_u32_e32 v3, 32, v3
	v_ldexp_f32 v30, v5, v3
	s_branch .LBB195_1995
.LBB195_1992:
	s_mov_b64 s[8:9], -1
                                        ; implicit-def: $vgpr30
	s_branch .LBB195_2001
.LBB195_1993:
	s_mov_b64 s[8:9], -1
                                        ; implicit-def: $vgpr30
	s_branch .LBB195_1998
.LBB195_1994:
	s_mov_b64 s[8:9], -1
                                        ; implicit-def: $vgpr30
.LBB195_1995:
	s_andn2_b64 vcc, exec, s[8:9]
	s_cbranch_vccnz .LBB195_1997
; %bb.1996:
	global_load_dword v3, v[12:13], off
	s_waitcnt vmcnt(0)
	v_cvt_f32_i32_e32 v30, v3
.LBB195_1997:
	s_mov_b64 s[8:9], 0
.LBB195_1998:
	s_andn2_b64 vcc, exec, s[8:9]
	s_cbranch_vccnz .LBB195_2000
; %bb.1999:
	global_load_sshort v3, v[12:13], off
	s_waitcnt vmcnt(0)
	v_cvt_f32_i32_e32 v30, v3
.LBB195_2000:
	s_mov_b64 s[8:9], 0
.LBB195_2001:
	s_andn2_b64 vcc, exec, s[8:9]
	s_cbranch_vccnz .LBB195_2007
; %bb.2002:
	v_mov_b32_e32 v3, 0
	v_cmp_gt_i16_sdwa s[8:9], s19, v3 src0_sel:BYTE_0 src1_sel:DWORD
	s_and_b64 vcc, exec, s[8:9]
	s_cbranch_vccz .LBB195_2004
; %bb.2003:
	global_load_sbyte v3, v[12:13], off
	s_mov_b64 s[8:9], 0
	s_waitcnt vmcnt(0)
	v_cvt_f32_i32_e32 v30, v3
	s_branch .LBB195_2005
.LBB195_2004:
	s_mov_b64 s[8:9], -1
                                        ; implicit-def: $vgpr30
.LBB195_2005:
	s_andn2_b64 vcc, exec, s[8:9]
	s_cbranch_vccnz .LBB195_2007
; %bb.2006:
	global_load_ubyte v3, v[12:13], off
	s_waitcnt vmcnt(0)
	v_cvt_f32_ubyte0_e32 v30, v3
.LBB195_2007:
.LBB195_2008:
	v_mov_b32_e32 v3, s5
	v_add_co_u32_e32 v10, vcc, s4, v10
	v_addc_co_u32_e32 v11, vcc, 0, v3, vcc
	s_and_b64 vcc, exec, s[6:7]
	s_cbranch_vccnz .LBB195_2015
; %bb.2009:
	v_cmp_gt_i16_e64 s[8:9], s20, 25
	s_mov_b64 s[10:11], 0
	s_and_b64 vcc, exec, s[8:9]
	s_cbranch_vccz .LBB195_2016
; %bb.2010:
	v_cmp_gt_i16_e64 s[8:9], s20, 28
	s_and_b64 vcc, exec, s[8:9]
	s_cbranch_vccz .LBB195_2017
; %bb.2011:
	v_cmp_gt_i16_e64 s[8:9], s20, 43
	;; [unrolled: 4-line block ×3, first 2 shown]
	s_and_b64 vcc, exec, s[8:9]
	s_cbranch_vccz .LBB195_2020
; %bb.2013:
	v_cmp_eq_u16_e64 s[8:9], s20, 46
	s_mov_b64 s[14:15], 0
	s_and_b64 vcc, exec, s[8:9]
	s_cbranch_vccz .LBB195_2021
; %bb.2014:
	global_load_dword v3, v[10:11], off
	s_mov_b64 s[8:9], 0
	s_mov_b64 s[12:13], -1
	s_waitcnt vmcnt(0)
	v_lshlrev_b32_e32 v31, 16, v3
	s_branch .LBB195_2022
.LBB195_2015:
	s_mov_b64 s[8:9], -1
	s_mov_b64 s[12:13], 0
                                        ; implicit-def: $vgpr31
	s_branch .LBB195_2088
.LBB195_2016:
	s_mov_b64 s[14:15], -1
	s_mov_b64 s[12:13], 0
	s_mov_b64 s[8:9], 0
                                        ; implicit-def: $vgpr31
	s_branch .LBB195_2051
.LBB195_2017:
	s_mov_b64 s[14:15], -1
	s_mov_b64 s[12:13], 0
	s_mov_b64 s[8:9], 0
                                        ; implicit-def: $vgpr31
	s_branch .LBB195_2032
.LBB195_2018:
	s_mov_b64 s[14:15], -1
	s_mov_b64 s[12:13], 0
	s_mov_b64 s[8:9], 0
                                        ; implicit-def: $vgpr31
	s_branch .LBB195_2027
.LBB195_2019:
	s_trap 2
	s_or_b64 s[34:35], s[34:35], exec
                                        ; implicit-def: $vgpr30
	s_cbranch_execz .LBB195_1958
	s_branch .LBB195_1959
.LBB195_2020:
	s_mov_b64 s[14:15], -1
	s_mov_b64 s[12:13], 0
	s_mov_b64 s[8:9], 0
                                        ; implicit-def: $vgpr31
	s_branch .LBB195_2022
.LBB195_2021:
	s_mov_b64 s[8:9], -1
                                        ; implicit-def: $vgpr31
	s_mov_b64 s[12:13], 0
.LBB195_2022:
	s_and_b64 vcc, exec, s[14:15]
	s_cbranch_vccz .LBB195_2026
; %bb.2023:
	v_cmp_eq_u16_e64 s[8:9], s20, 44
	s_and_b64 vcc, exec, s[8:9]
	s_cbranch_vccz .LBB195_2025
; %bb.2024:
	global_load_ubyte v3, v[10:11], off
	s_movk_i32 s12, 0xff
	v_mov_b32_e32 v5, 0x7f800001
	v_mov_b32_e32 v7, 0x400000
	s_mov_b64 s[8:9], 0
	s_waitcnt vmcnt(0)
	v_lshlrev_b32_e32 v9, 23, v3
	v_cmp_ne_u32_e32 vcc, s12, v3
	v_cndmask_b32_e32 v5, v5, v9, vcc
	v_cmp_ne_u32_e32 vcc, 0, v3
	v_cndmask_b32_e32 v31, v7, v5, vcc
	s_mov_b64 s[12:13], -1
	s_branch .LBB195_2026
.LBB195_2025:
	s_mov_b64 s[8:9], -1
                                        ; implicit-def: $vgpr31
.LBB195_2026:
	s_mov_b64 s[14:15], 0
.LBB195_2027:
	s_and_b64 vcc, exec, s[14:15]
	s_cbranch_vccz .LBB195_2031
; %bb.2028:
	v_cmp_eq_u16_e64 s[8:9], s20, 29
	s_and_b64 vcc, exec, s[8:9]
	s_cbranch_vccz .LBB195_2030
; %bb.2029:
	global_load_dwordx2 v[12:13], v[10:11], off
	s_mov_b64 s[8:9], 0
	s_mov_b64 s[12:13], -1
	s_mov_b64 s[14:15], 0
	s_waitcnt vmcnt(0)
	v_ffbh_u32_e32 v3, v13
	v_min_u32_e32 v3, 32, v3
	v_lshlrev_b64 v[12:13], v3, v[12:13]
	v_min_u32_e32 v5, 1, v12
	v_or_b32_e32 v5, v13, v5
	v_cvt_f32_u32_e32 v5, v5
	v_sub_u32_e32 v3, 32, v3
	v_ldexp_f32 v31, v5, v3
	s_branch .LBB195_2032
.LBB195_2030:
	s_mov_b64 s[8:9], -1
                                        ; implicit-def: $vgpr31
.LBB195_2031:
	s_mov_b64 s[14:15], 0
.LBB195_2032:
	s_and_b64 vcc, exec, s[14:15]
	s_cbranch_vccz .LBB195_2050
; %bb.2033:
	v_cmp_lt_i16_e64 s[12:13], s20, 27
	s_and_b64 vcc, exec, s[12:13]
	s_cbranch_vccnz .LBB195_2036
; %bb.2034:
	v_cmp_gt_i16_e64 s[12:13], s20, 27
	s_and_b64 vcc, exec, s[12:13]
	s_cbranch_vccz .LBB195_2037
; %bb.2035:
	global_load_dword v3, v[10:11], off
	s_mov_b64 s[12:13], 0
	s_waitcnt vmcnt(0)
	v_cvt_f32_u32_e32 v31, v3
	s_branch .LBB195_2038
.LBB195_2036:
	s_mov_b64 s[12:13], -1
                                        ; implicit-def: $vgpr31
	s_branch .LBB195_2041
.LBB195_2037:
	s_mov_b64 s[12:13], -1
                                        ; implicit-def: $vgpr31
.LBB195_2038:
	s_andn2_b64 vcc, exec, s[12:13]
	s_cbranch_vccnz .LBB195_2040
; %bb.2039:
	global_load_ushort v3, v[10:11], off
	s_waitcnt vmcnt(0)
	v_cvt_f32_u32_e32 v31, v3
.LBB195_2040:
	s_mov_b64 s[12:13], 0
.LBB195_2041:
	s_andn2_b64 vcc, exec, s[12:13]
	s_cbranch_vccnz .LBB195_2049
; %bb.2042:
	global_load_ubyte v3, v[10:11], off
	s_movk_i32 s12, 0x7f
                                        ; implicit-def: $sgpr21
	s_waitcnt vmcnt(0)
	v_cmp_lt_i16_e32 vcc, s12, v3
	s_mov_b64 s[12:13], 0
	s_and_saveexec_b64 s[14:15], vcc
	s_xor_b64 s[14:15], exec, s[14:15]
	s_cbranch_execz .LBB195_2063
; %bb.2043:
	s_movk_i32 s12, 0x80
	v_cmp_eq_u16_e32 vcc, s12, v3
	s_mov_b64 s[12:13], -1
                                        ; implicit-def: $sgpr21
	s_and_saveexec_b64 s[16:17], vcc
; %bb.2044:
	s_mov_b32 s21, 0x7f800001
	s_xor_b64 s[12:13], exec, -1
; %bb.2045:
	s_or_b64 exec, exec, s[16:17]
	s_and_b64 s[12:13], s[12:13], exec
	s_or_saveexec_b64 s[14:15], s[14:15]
	v_mov_b32_e32 v31, s21
	s_xor_b64 exec, exec, s[14:15]
	s_cbranch_execnz .LBB195_2064
.LBB195_2046:
	s_or_b64 exec, exec, s[14:15]
	s_and_saveexec_b64 s[14:15], s[12:13]
	s_cbranch_execz .LBB195_2048
.LBB195_2047:
	v_lshlrev_b32_e32 v5, 24, v3
	v_and_b32_e32 v3, 0xffff, v3
	v_and_b32_e32 v7, 7, v3
	v_ffbh_u32_e32 v12, v7
	v_min_u32_e32 v12, 32, v12
	v_subrev_u32_e32 v13, 28, v12
	v_bfe_u32 v9, v3, 3, 4
	v_lshlrev_b32_e32 v3, v13, v3
	v_sub_u32_e32 v12, 29, v12
	v_and_b32_e32 v3, 7, v3
	v_cmp_eq_u32_e32 vcc, 0, v9
	v_cndmask_b32_e32 v9, v9, v12, vcc
	v_cndmask_b32_e32 v3, v7, v3, vcc
	v_mov_b32_e32 v7, 0x3b800000
	v_lshlrev_b32_e32 v3, 20, v3
	v_and_b32_e32 v5, 0x80000000, v5
	v_lshl_add_u32 v7, v9, 23, v7
	v_or3_b32 v31, v5, v7, v3
.LBB195_2048:
	s_or_b64 exec, exec, s[14:15]
.LBB195_2049:
	s_mov_b64 s[12:13], -1
.LBB195_2050:
	s_mov_b64 s[14:15], 0
.LBB195_2051:
	s_and_b64 vcc, exec, s[14:15]
	s_cbranch_vccz .LBB195_2084
; %bb.2052:
	v_cmp_gt_i16_e64 s[10:11], s20, 22
	s_and_b64 vcc, exec, s[10:11]
	s_cbranch_vccz .LBB195_2062
; %bb.2053:
	v_cmp_lt_i16_e64 s[10:11], s20, 24
	s_and_b64 vcc, exec, s[10:11]
	s_cbranch_vccnz .LBB195_2065
; %bb.2054:
	v_cmp_gt_i16_e64 s[10:11], s20, 24
	s_and_b64 vcc, exec, s[10:11]
	s_cbranch_vccz .LBB195_2066
; %bb.2055:
	global_load_ubyte v3, v[10:11], off
	s_movk_i32 s10, 0x7f
                                        ; implicit-def: $sgpr16
	s_waitcnt vmcnt(0)
	v_cmp_lt_i16_e32 vcc, s10, v3
	s_mov_b64 s[10:11], 0
	s_and_saveexec_b64 s[12:13], vcc
	s_xor_b64 s[12:13], exec, s[12:13]
	s_cbranch_execz .LBB195_2078
; %bb.2056:
	s_movk_i32 s10, 0x80
	v_cmp_eq_u16_e32 vcc, s10, v3
	s_mov_b64 s[10:11], -1
                                        ; implicit-def: $sgpr16
	s_and_saveexec_b64 s[14:15], vcc
; %bb.2057:
	s_mov_b32 s16, 0x7f800001
	s_xor_b64 s[10:11], exec, -1
; %bb.2058:
	s_or_b64 exec, exec, s[14:15]
	s_and_b64 s[10:11], s[10:11], exec
	s_or_saveexec_b64 s[12:13], s[12:13]
	v_mov_b32_e32 v31, s16
	s_xor_b64 exec, exec, s[12:13]
	s_cbranch_execnz .LBB195_2079
.LBB195_2059:
	s_or_b64 exec, exec, s[12:13]
	s_and_saveexec_b64 s[12:13], s[10:11]
	s_cbranch_execz .LBB195_2061
.LBB195_2060:
	v_lshlrev_b32_e32 v5, 24, v3
	v_and_b32_e32 v3, 0xffff, v3
	v_and_b32_e32 v7, 3, v3
	v_ffbh_u32_e32 v12, v7
	v_min_u32_e32 v12, 32, v12
	v_subrev_u32_e32 v13, 29, v12
	v_bfe_u32 v9, v3, 2, 5
	v_lshlrev_b32_e32 v3, v13, v3
	v_sub_u32_e32 v12, 30, v12
	v_and_b32_e32 v3, 3, v3
	v_cmp_eq_u32_e32 vcc, 0, v9
	v_cndmask_b32_e32 v9, v9, v12, vcc
	v_cndmask_b32_e32 v3, v7, v3, vcc
	v_mov_b32_e32 v7, 0x37800000
	v_lshlrev_b32_e32 v3, 21, v3
	v_and_b32_e32 v5, 0x80000000, v5
	v_lshl_add_u32 v7, v9, 23, v7
	v_or3_b32 v31, v5, v7, v3
.LBB195_2061:
	s_or_b64 exec, exec, s[12:13]
	s_mov_b64 s[10:11], 0
	s_branch .LBB195_2067
.LBB195_2062:
	s_mov_b64 s[10:11], -1
                                        ; implicit-def: $vgpr31
	s_branch .LBB195_2073
.LBB195_2063:
	s_or_saveexec_b64 s[14:15], s[14:15]
	v_mov_b32_e32 v31, s21
	s_xor_b64 exec, exec, s[14:15]
	s_cbranch_execz .LBB195_2046
.LBB195_2064:
	v_cmp_ne_u16_e32 vcc, 0, v3
	s_andn2_b64 s[12:13], s[12:13], exec
	s_and_b64 s[16:17], vcc, exec
	v_mov_b32_e32 v31, 0
	s_or_b64 s[12:13], s[12:13], s[16:17]
	s_or_b64 exec, exec, s[14:15]
	s_and_saveexec_b64 s[14:15], s[12:13]
	s_cbranch_execnz .LBB195_2047
	s_branch .LBB195_2048
.LBB195_2065:
	s_mov_b64 s[10:11], -1
                                        ; implicit-def: $vgpr31
	s_branch .LBB195_2070
.LBB195_2066:
	s_mov_b64 s[10:11], -1
                                        ; implicit-def: $vgpr31
.LBB195_2067:
	s_and_b64 vcc, exec, s[10:11]
	s_cbranch_vccz .LBB195_2069
; %bb.2068:
	global_load_ubyte v3, v[10:11], off
	s_mov_b32 s10, 0x7f800000
	s_waitcnt vmcnt(0)
	v_lshlrev_b32_e32 v3, 24, v3
	v_and_b32_e32 v5, 0x7f000000, v3
	v_ffbh_u32_e32 v7, v5
	v_min_u32_e32 v7, 32, v7
	v_sub_u32_e64 v7, v7, 4 clamp
	v_lshlrev_b32_e32 v12, v7, v5
	v_lshlrev_b32_e32 v7, 23, v7
	v_lshrrev_b32_e32 v12, 4, v12
	v_add_u32_e32 v9, 0x1000000, v5
	v_sub_u32_e32 v7, v12, v7
	v_ashrrev_i32_e32 v9, 8, v9
	v_add_u32_e32 v7, 0x3c000000, v7
	v_and_or_b32 v7, v9, s10, v7
	v_cmp_ne_u32_e32 vcc, 0, v5
	v_cndmask_b32_e32 v5, 0, v7, vcc
	s_brev_b32 s10, 1
	v_and_or_b32 v31, v3, s10, v5
.LBB195_2069:
	s_mov_b64 s[10:11], 0
.LBB195_2070:
	s_andn2_b64 vcc, exec, s[10:11]
	s_cbranch_vccnz .LBB195_2072
; %bb.2071:
	global_load_ubyte v3, v[10:11], off
	s_movk_i32 s10, 0x7f00
	s_brev_b32 s11, 16
	s_waitcnt vmcnt(0)
	v_lshlrev_b16_e32 v5, 8, v3
	v_lshlrev_b32_e32 v3, 25, v3
	v_lshrrev_b32_e32 v7, 4, v3
	v_and_or_b32 v9, v5, s10, 0.5
	v_or_b32_e32 v7, 0x70000000, v7
	v_add_f32_e32 v9, -0.5, v9
	v_mul_f32_e32 v7, 0x7800000, v7
	v_cmp_gt_u32_e32 vcc, s11, v3
	v_bfe_i32 v5, v5, 0, 16
	v_cndmask_b32_e32 v3, v7, v9, vcc
	s_brev_b32 s10, 1
	v_and_or_b32 v31, v5, s10, v3
.LBB195_2072:
	s_mov_b64 s[10:11], 0
	s_mov_b64 s[12:13], -1
.LBB195_2073:
	s_andn2_b64 vcc, exec, s[10:11]
	s_mov_b64 s[10:11], 0
	s_cbranch_vccnz .LBB195_2084
; %bb.2074:
	v_cmp_gt_i16_e64 s[10:11], s20, 14
	s_and_b64 vcc, exec, s[10:11]
	s_cbranch_vccz .LBB195_2077
; %bb.2075:
	v_cmp_eq_u16_e64 s[8:9], s20, 15
	s_and_b64 vcc, exec, s[8:9]
	s_cbranch_vccz .LBB195_2080
; %bb.2076:
	global_load_ushort v3, v[10:11], off
	s_mov_b64 s[8:9], 0
	s_mov_b64 s[12:13], -1
	s_waitcnt vmcnt(0)
	v_lshlrev_b32_e32 v31, 16, v3
	s_branch .LBB195_2081
.LBB195_2077:
	s_mov_b64 s[14:15], -1
                                        ; implicit-def: $vgpr31
	s_branch .LBB195_2082
.LBB195_2078:
	s_or_saveexec_b64 s[12:13], s[12:13]
	v_mov_b32_e32 v31, s16
	s_xor_b64 exec, exec, s[12:13]
	s_cbranch_execz .LBB195_2059
.LBB195_2079:
	v_cmp_ne_u16_e32 vcc, 0, v3
	s_andn2_b64 s[10:11], s[10:11], exec
	s_and_b64 s[14:15], vcc, exec
	v_mov_b32_e32 v31, 0
	s_or_b64 s[10:11], s[10:11], s[14:15]
	s_or_b64 exec, exec, s[12:13]
	s_and_saveexec_b64 s[12:13], s[10:11]
	s_cbranch_execnz .LBB195_2060
	s_branch .LBB195_2061
.LBB195_2080:
	s_mov_b64 s[8:9], -1
                                        ; implicit-def: $vgpr31
.LBB195_2081:
	s_mov_b64 s[14:15], 0
.LBB195_2082:
	s_mov_b64 s[10:11], 0
	s_and_b64 vcc, exec, s[14:15]
	s_cbranch_vccz .LBB195_2084
; %bb.2083:
	v_cmp_ne_u16_e64 s[8:9], s20, 11
	s_mov_b64 s[10:11], -1
                                        ; implicit-def: $vgpr31
.LBB195_2084:
	s_and_b64 vcc, exec, s[8:9]
	s_cbranch_vccnz .LBB195_2149
; %bb.2085:
	s_andn2_b64 vcc, exec, s[10:11]
	s_cbranch_vccnz .LBB195_2087
.LBB195_2086:
	global_load_ubyte v3, v[10:11], off
	s_mov_b64 s[12:13], -1
	s_waitcnt vmcnt(0)
	v_cmp_ne_u16_e32 vcc, 0, v3
	v_cndmask_b32_e64 v31, 0, 1.0, vcc
.LBB195_2087:
	s_mov_b64 s[8:9], 0
.LBB195_2088:
	s_and_b64 vcc, exec, s[8:9]
	s_cbranch_vccz .LBB195_2137
; %bb.2089:
	v_cmp_lt_i16_e64 s[8:9], s20, 5
	s_and_b64 vcc, exec, s[8:9]
	s_cbranch_vccnz .LBB195_2094
; %bb.2090:
	v_cmp_lt_i16_e64 s[8:9], s20, 8
	s_and_b64 vcc, exec, s[8:9]
	s_cbranch_vccnz .LBB195_2095
	;; [unrolled: 4-line block ×3, first 2 shown]
; %bb.2092:
	v_cmp_gt_i16_e64 s[8:9], s20, 9
	s_and_b64 vcc, exec, s[8:9]
	s_cbranch_vccz .LBB195_2097
; %bb.2093:
	global_load_dwordx2 v[12:13], v[10:11], off
	s_mov_b64 s[8:9], 0
	s_waitcnt vmcnt(0)
	v_cvt_f32_f64_e32 v31, v[12:13]
	s_branch .LBB195_2098
.LBB195_2094:
	s_mov_b64 s[8:9], -1
                                        ; implicit-def: $vgpr31
	s_branch .LBB195_2116
.LBB195_2095:
	s_mov_b64 s[8:9], -1
                                        ; implicit-def: $vgpr31
	s_branch .LBB195_2104
.LBB195_2096:
	s_mov_b64 s[8:9], -1
                                        ; implicit-def: $vgpr31
	s_branch .LBB195_2101
.LBB195_2097:
	s_mov_b64 s[8:9], -1
                                        ; implicit-def: $vgpr31
.LBB195_2098:
	s_andn2_b64 vcc, exec, s[8:9]
	s_cbranch_vccnz .LBB195_2100
; %bb.2099:
	global_load_dword v31, v[10:11], off
.LBB195_2100:
	s_mov_b64 s[8:9], 0
.LBB195_2101:
	s_andn2_b64 vcc, exec, s[8:9]
	s_cbranch_vccnz .LBB195_2103
; %bb.2102:
	global_load_dword v3, v[10:11], off
	s_waitcnt vmcnt(0)
	v_cvt_f32_f16_e32 v31, v3
.LBB195_2103:
	s_mov_b64 s[8:9], 0
.LBB195_2104:
	s_andn2_b64 vcc, exec, s[8:9]
	s_cbranch_vccnz .LBB195_2115
; %bb.2105:
	v_cmp_lt_i16_e64 s[8:9], s20, 6
	s_and_b64 vcc, exec, s[8:9]
	s_cbranch_vccnz .LBB195_2108
; %bb.2106:
	v_cmp_gt_i16_e64 s[8:9], s20, 6
	s_and_b64 vcc, exec, s[8:9]
	s_cbranch_vccz .LBB195_2109
; %bb.2107:
	global_load_dwordx2 v[12:13], v[10:11], off
	s_mov_b64 s[8:9], 0
	s_waitcnt vmcnt(0)
	v_cvt_f32_f64_e32 v31, v[12:13]
	s_branch .LBB195_2110
.LBB195_2108:
	s_mov_b64 s[8:9], -1
                                        ; implicit-def: $vgpr31
	s_branch .LBB195_2113
.LBB195_2109:
	s_mov_b64 s[8:9], -1
                                        ; implicit-def: $vgpr31
.LBB195_2110:
	s_andn2_b64 vcc, exec, s[8:9]
	s_cbranch_vccnz .LBB195_2112
; %bb.2111:
	global_load_dword v31, v[10:11], off
.LBB195_2112:
	s_mov_b64 s[8:9], 0
.LBB195_2113:
	s_andn2_b64 vcc, exec, s[8:9]
	s_cbranch_vccnz .LBB195_2115
; %bb.2114:
	global_load_ushort v3, v[10:11], off
	s_waitcnt vmcnt(0)
	v_cvt_f32_f16_e32 v31, v3
.LBB195_2115:
	s_mov_b64 s[8:9], 0
.LBB195_2116:
	s_andn2_b64 vcc, exec, s[8:9]
	s_cbranch_vccnz .LBB195_2136
; %bb.2117:
	v_cmp_lt_i16_e64 s[8:9], s20, 2
	s_and_b64 vcc, exec, s[8:9]
	s_cbranch_vccnz .LBB195_2121
; %bb.2118:
	v_cmp_lt_i16_e64 s[8:9], s20, 3
	s_and_b64 vcc, exec, s[8:9]
	s_cbranch_vccnz .LBB195_2122
; %bb.2119:
	v_cmp_gt_i16_e64 s[8:9], s20, 3
	s_and_b64 vcc, exec, s[8:9]
	s_cbranch_vccz .LBB195_2123
; %bb.2120:
	global_load_dwordx2 v[12:13], v[10:11], off
	s_mov_b64 s[8:9], 0
	s_waitcnt vmcnt(0)
	v_xor_b32_e32 v5, v12, v13
	v_ffbh_i32_e32 v3, v13
	v_ashrrev_i32_e32 v5, 31, v5
	v_add_u32_e32 v3, -1, v3
	v_add_u32_e32 v5, 32, v5
	v_min_u32_e32 v3, v3, v5
	v_lshlrev_b64 v[12:13], v3, v[12:13]
	v_min_u32_e32 v5, 1, v12
	v_or_b32_e32 v5, v13, v5
	v_cvt_f32_i32_e32 v5, v5
	v_sub_u32_e32 v3, 32, v3
	v_ldexp_f32 v31, v5, v3
	s_branch .LBB195_2124
.LBB195_2121:
	s_mov_b64 s[8:9], -1
                                        ; implicit-def: $vgpr31
	s_branch .LBB195_2130
.LBB195_2122:
	s_mov_b64 s[8:9], -1
                                        ; implicit-def: $vgpr31
	s_branch .LBB195_2127
.LBB195_2123:
	s_mov_b64 s[8:9], -1
                                        ; implicit-def: $vgpr31
.LBB195_2124:
	s_andn2_b64 vcc, exec, s[8:9]
	s_cbranch_vccnz .LBB195_2126
; %bb.2125:
	global_load_dword v3, v[10:11], off
	s_waitcnt vmcnt(0)
	v_cvt_f32_i32_e32 v31, v3
.LBB195_2126:
	s_mov_b64 s[8:9], 0
.LBB195_2127:
	s_andn2_b64 vcc, exec, s[8:9]
	s_cbranch_vccnz .LBB195_2129
; %bb.2128:
	global_load_sshort v3, v[10:11], off
	s_waitcnt vmcnt(0)
	v_cvt_f32_i32_e32 v31, v3
.LBB195_2129:
	s_mov_b64 s[8:9], 0
.LBB195_2130:
	s_andn2_b64 vcc, exec, s[8:9]
	s_cbranch_vccnz .LBB195_2136
; %bb.2131:
	v_cmp_gt_i16_e64 s[8:9], s20, 0
	s_and_b64 vcc, exec, s[8:9]
	s_cbranch_vccz .LBB195_2133
; %bb.2132:
	global_load_sbyte v3, v[10:11], off
	s_mov_b64 s[8:9], 0
	s_waitcnt vmcnt(0)
	v_cvt_f32_i32_e32 v31, v3
	s_branch .LBB195_2134
.LBB195_2133:
	s_mov_b64 s[8:9], -1
                                        ; implicit-def: $vgpr31
.LBB195_2134:
	s_andn2_b64 vcc, exec, s[8:9]
	s_cbranch_vccnz .LBB195_2136
; %bb.2135:
	global_load_ubyte v3, v[10:11], off
	s_waitcnt vmcnt(0)
	v_cvt_f32_ubyte0_e32 v31, v3
.LBB195_2136:
	s_mov_b64 s[12:13], -1
.LBB195_2137:
	s_andn2_b64 vcc, exec, s[12:13]
	s_cbranch_vccnz .LBB195_3113
; %bb.2138:
	v_mov_b32_e32 v3, s27
	v_add_co_u32_e32 v8, vcc, s26, v8
	v_addc_co_u32_e32 v9, vcc, 0, v3, vcc
	v_mov_b32_e32 v3, 11
	v_cmp_lt_i16_sdwa s[8:9], s19, v3 src0_sel:BYTE_0 src1_sel:DWORD
	s_and_b64 vcc, exec, s[8:9]
	s_cbranch_vccnz .LBB195_2145
; %bb.2139:
	v_mov_b32_e32 v3, 25
	v_cmp_gt_i16_sdwa s[8:9], s19, v3 src0_sel:BYTE_0 src1_sel:DWORD
	s_mov_b64 s[10:11], 0
	s_and_b64 vcc, exec, s[8:9]
	s_cbranch_vccz .LBB195_2146
; %bb.2140:
	v_mov_b32_e32 v3, 28
	v_cmp_gt_i16_sdwa s[8:9], s19, v3 src0_sel:BYTE_0 src1_sel:DWORD
	s_and_b64 vcc, exec, s[8:9]
	s_cbranch_vccz .LBB195_2147
; %bb.2141:
	v_mov_b32_e32 v3, 43
	v_cmp_gt_i16_sdwa s[8:9], s19, v3 src0_sel:BYTE_0 src1_sel:DWORD
	;; [unrolled: 5-line block ×3, first 2 shown]
	s_and_b64 vcc, exec, s[8:9]
	s_cbranch_vccz .LBB195_2150
; %bb.2143:
	v_mov_b32_e32 v3, 46
	v_cmp_eq_u16_sdwa s[8:9], s19, v3 src0_sel:BYTE_0 src1_sel:DWORD
	s_mov_b64 s[14:15], 0
	s_and_b64 vcc, exec, s[8:9]
	s_cbranch_vccz .LBB195_2151
; %bb.2144:
	global_load_dword v3, v[8:9], off
	s_mov_b64 s[8:9], 0
	s_mov_b64 s[12:13], -1
	s_waitcnt vmcnt(0)
	v_lshlrev_b32_e32 v32, 16, v3
	s_branch .LBB195_2152
.LBB195_2145:
	s_mov_b64 s[8:9], -1
	s_mov_b64 s[12:13], 0
                                        ; implicit-def: $vgpr32
	s_branch .LBB195_2218
.LBB195_2146:
	s_mov_b64 s[14:15], -1
	s_mov_b64 s[12:13], 0
	s_mov_b64 s[8:9], 0
                                        ; implicit-def: $vgpr32
	s_branch .LBB195_2181
.LBB195_2147:
	s_mov_b64 s[14:15], -1
	s_mov_b64 s[12:13], 0
	s_mov_b64 s[8:9], 0
                                        ; implicit-def: $vgpr32
	s_branch .LBB195_2162
.LBB195_2148:
	s_mov_b64 s[14:15], -1
	s_mov_b64 s[12:13], 0
	s_mov_b64 s[8:9], 0
                                        ; implicit-def: $vgpr32
	s_branch .LBB195_2157
.LBB195_2149:
	s_trap 2
	s_or_b64 s[34:35], s[34:35], exec
                                        ; implicit-def: $vgpr31
	s_cbranch_execz .LBB195_2086
	s_branch .LBB195_2087
.LBB195_2150:
	s_mov_b64 s[14:15], -1
	s_mov_b64 s[12:13], 0
	s_mov_b64 s[8:9], 0
                                        ; implicit-def: $vgpr32
	s_branch .LBB195_2152
.LBB195_2151:
	s_mov_b64 s[8:9], -1
                                        ; implicit-def: $vgpr32
	s_mov_b64 s[12:13], 0
.LBB195_2152:
	s_and_b64 vcc, exec, s[14:15]
	s_cbranch_vccz .LBB195_2156
; %bb.2153:
	v_mov_b32_e32 v3, 44
	v_cmp_eq_u16_sdwa s[8:9], s19, v3 src0_sel:BYTE_0 src1_sel:DWORD
	s_and_b64 vcc, exec, s[8:9]
	s_cbranch_vccz .LBB195_2155
; %bb.2154:
	global_load_ubyte v3, v[8:9], off
	s_movk_i32 s12, 0xff
	v_mov_b32_e32 v5, 0x7f800001
	v_mov_b32_e32 v7, 0x400000
	s_mov_b64 s[8:9], 0
	s_waitcnt vmcnt(0)
	v_lshlrev_b32_e32 v10, 23, v3
	v_cmp_ne_u32_e32 vcc, s12, v3
	v_cndmask_b32_e32 v5, v5, v10, vcc
	v_cmp_ne_u32_e32 vcc, 0, v3
	v_cndmask_b32_e32 v32, v7, v5, vcc
	s_mov_b64 s[12:13], -1
	s_branch .LBB195_2156
.LBB195_2155:
	s_mov_b64 s[8:9], -1
                                        ; implicit-def: $vgpr32
.LBB195_2156:
	s_mov_b64 s[14:15], 0
.LBB195_2157:
	s_and_b64 vcc, exec, s[14:15]
	s_cbranch_vccz .LBB195_2161
; %bb.2158:
	v_mov_b32_e32 v3, 29
	v_cmp_eq_u16_sdwa s[8:9], s19, v3 src0_sel:BYTE_0 src1_sel:DWORD
	s_and_b64 vcc, exec, s[8:9]
	s_cbranch_vccz .LBB195_2160
; %bb.2159:
	global_load_dwordx2 v[10:11], v[8:9], off
	s_mov_b64 s[8:9], 0
	s_mov_b64 s[12:13], -1
	s_mov_b64 s[14:15], 0
	s_waitcnt vmcnt(0)
	v_ffbh_u32_e32 v3, v11
	v_min_u32_e32 v3, 32, v3
	v_lshlrev_b64 v[10:11], v3, v[10:11]
	v_min_u32_e32 v5, 1, v10
	v_or_b32_e32 v5, v11, v5
	v_cvt_f32_u32_e32 v5, v5
	v_sub_u32_e32 v3, 32, v3
	v_ldexp_f32 v32, v5, v3
	s_branch .LBB195_2162
.LBB195_2160:
	s_mov_b64 s[8:9], -1
                                        ; implicit-def: $vgpr32
.LBB195_2161:
	s_mov_b64 s[14:15], 0
.LBB195_2162:
	s_and_b64 vcc, exec, s[14:15]
	s_cbranch_vccz .LBB195_2180
; %bb.2163:
	v_mov_b32_e32 v3, 27
	v_cmp_lt_i16_sdwa s[12:13], s19, v3 src0_sel:BYTE_0 src1_sel:DWORD
	s_and_b64 vcc, exec, s[12:13]
	s_cbranch_vccnz .LBB195_2166
; %bb.2164:
	v_cmp_gt_i16_sdwa s[12:13], s19, v3 src0_sel:BYTE_0 src1_sel:DWORD
	s_and_b64 vcc, exec, s[12:13]
	s_cbranch_vccz .LBB195_2167
; %bb.2165:
	global_load_dword v3, v[8:9], off
	s_mov_b64 s[12:13], 0
	s_waitcnt vmcnt(0)
	v_cvt_f32_u32_e32 v32, v3
	s_branch .LBB195_2168
.LBB195_2166:
	s_mov_b64 s[12:13], -1
                                        ; implicit-def: $vgpr32
	s_branch .LBB195_2171
.LBB195_2167:
	s_mov_b64 s[12:13], -1
                                        ; implicit-def: $vgpr32
.LBB195_2168:
	s_andn2_b64 vcc, exec, s[12:13]
	s_cbranch_vccnz .LBB195_2170
; %bb.2169:
	global_load_ushort v3, v[8:9], off
	s_waitcnt vmcnt(0)
	v_cvt_f32_u32_e32 v32, v3
.LBB195_2170:
	s_mov_b64 s[12:13], 0
.LBB195_2171:
	s_andn2_b64 vcc, exec, s[12:13]
	s_cbranch_vccnz .LBB195_2179
; %bb.2172:
	global_load_ubyte v3, v[8:9], off
	s_movk_i32 s12, 0x7f
                                        ; implicit-def: $sgpr21
	s_waitcnt vmcnt(0)
	v_cmp_lt_i16_e32 vcc, s12, v3
	s_mov_b64 s[12:13], 0
	s_and_saveexec_b64 s[14:15], vcc
	s_xor_b64 s[14:15], exec, s[14:15]
	s_cbranch_execz .LBB195_2193
; %bb.2173:
	s_movk_i32 s12, 0x80
	v_cmp_eq_u16_e32 vcc, s12, v3
	s_mov_b64 s[12:13], -1
                                        ; implicit-def: $sgpr21
	s_and_saveexec_b64 s[16:17], vcc
; %bb.2174:
	s_mov_b32 s21, 0x7f800001
	s_xor_b64 s[12:13], exec, -1
; %bb.2175:
	s_or_b64 exec, exec, s[16:17]
	s_and_b64 s[12:13], s[12:13], exec
	s_or_saveexec_b64 s[14:15], s[14:15]
	v_mov_b32_e32 v32, s21
	s_xor_b64 exec, exec, s[14:15]
	s_cbranch_execnz .LBB195_2194
.LBB195_2176:
	s_or_b64 exec, exec, s[14:15]
	s_and_saveexec_b64 s[14:15], s[12:13]
	s_cbranch_execz .LBB195_2178
.LBB195_2177:
	v_lshlrev_b32_e32 v5, 24, v3
	v_and_b32_e32 v3, 0xffff, v3
	v_and_b32_e32 v7, 7, v3
	v_ffbh_u32_e32 v11, v7
	v_min_u32_e32 v11, 32, v11
	v_subrev_u32_e32 v12, 28, v11
	v_bfe_u32 v10, v3, 3, 4
	v_lshlrev_b32_e32 v3, v12, v3
	v_sub_u32_e32 v11, 29, v11
	v_and_b32_e32 v3, 7, v3
	v_cmp_eq_u32_e32 vcc, 0, v10
	v_cndmask_b32_e32 v10, v10, v11, vcc
	v_cndmask_b32_e32 v3, v7, v3, vcc
	v_mov_b32_e32 v7, 0x3b800000
	v_lshlrev_b32_e32 v3, 20, v3
	v_and_b32_e32 v5, 0x80000000, v5
	v_lshl_add_u32 v7, v10, 23, v7
	v_or3_b32 v32, v5, v7, v3
.LBB195_2178:
	s_or_b64 exec, exec, s[14:15]
.LBB195_2179:
	s_mov_b64 s[12:13], -1
.LBB195_2180:
	s_mov_b64 s[14:15], 0
.LBB195_2181:
	s_and_b64 vcc, exec, s[14:15]
	s_cbranch_vccz .LBB195_2214
; %bb.2182:
	v_mov_b32_e32 v3, 22
	v_cmp_gt_i16_sdwa s[10:11], s19, v3 src0_sel:BYTE_0 src1_sel:DWORD
	s_and_b64 vcc, exec, s[10:11]
	s_cbranch_vccz .LBB195_2192
; %bb.2183:
	v_mov_b32_e32 v3, 24
	v_cmp_lt_i16_sdwa s[10:11], s19, v3 src0_sel:BYTE_0 src1_sel:DWORD
	s_and_b64 vcc, exec, s[10:11]
	s_cbranch_vccnz .LBB195_2195
; %bb.2184:
	v_cmp_gt_i16_sdwa s[10:11], s19, v3 src0_sel:BYTE_0 src1_sel:DWORD
	s_and_b64 vcc, exec, s[10:11]
	s_cbranch_vccz .LBB195_2196
; %bb.2185:
	global_load_ubyte v3, v[8:9], off
	s_movk_i32 s10, 0x7f
                                        ; implicit-def: $sgpr16
	s_waitcnt vmcnt(0)
	v_cmp_lt_i16_e32 vcc, s10, v3
	s_mov_b64 s[10:11], 0
	s_and_saveexec_b64 s[12:13], vcc
	s_xor_b64 s[12:13], exec, s[12:13]
	s_cbranch_execz .LBB195_2208
; %bb.2186:
	s_movk_i32 s10, 0x80
	v_cmp_eq_u16_e32 vcc, s10, v3
	s_mov_b64 s[10:11], -1
                                        ; implicit-def: $sgpr16
	s_and_saveexec_b64 s[14:15], vcc
; %bb.2187:
	s_mov_b32 s16, 0x7f800001
	s_xor_b64 s[10:11], exec, -1
; %bb.2188:
	s_or_b64 exec, exec, s[14:15]
	s_and_b64 s[10:11], s[10:11], exec
	s_or_saveexec_b64 s[12:13], s[12:13]
	v_mov_b32_e32 v32, s16
	s_xor_b64 exec, exec, s[12:13]
	s_cbranch_execnz .LBB195_2209
.LBB195_2189:
	s_or_b64 exec, exec, s[12:13]
	s_and_saveexec_b64 s[12:13], s[10:11]
	s_cbranch_execz .LBB195_2191
.LBB195_2190:
	v_lshlrev_b32_e32 v5, 24, v3
	v_and_b32_e32 v3, 0xffff, v3
	v_and_b32_e32 v7, 3, v3
	v_ffbh_u32_e32 v11, v7
	v_min_u32_e32 v11, 32, v11
	v_subrev_u32_e32 v12, 29, v11
	v_bfe_u32 v10, v3, 2, 5
	v_lshlrev_b32_e32 v3, v12, v3
	v_sub_u32_e32 v11, 30, v11
	v_and_b32_e32 v3, 3, v3
	v_cmp_eq_u32_e32 vcc, 0, v10
	v_cndmask_b32_e32 v10, v10, v11, vcc
	v_cndmask_b32_e32 v3, v7, v3, vcc
	v_mov_b32_e32 v7, 0x37800000
	v_lshlrev_b32_e32 v3, 21, v3
	v_and_b32_e32 v5, 0x80000000, v5
	v_lshl_add_u32 v7, v10, 23, v7
	v_or3_b32 v32, v5, v7, v3
.LBB195_2191:
	s_or_b64 exec, exec, s[12:13]
	s_mov_b64 s[10:11], 0
	s_branch .LBB195_2197
.LBB195_2192:
	s_mov_b64 s[10:11], -1
                                        ; implicit-def: $vgpr32
	s_branch .LBB195_2203
.LBB195_2193:
	s_or_saveexec_b64 s[14:15], s[14:15]
	v_mov_b32_e32 v32, s21
	s_xor_b64 exec, exec, s[14:15]
	s_cbranch_execz .LBB195_2176
.LBB195_2194:
	v_cmp_ne_u16_e32 vcc, 0, v3
	s_andn2_b64 s[12:13], s[12:13], exec
	s_and_b64 s[16:17], vcc, exec
	v_mov_b32_e32 v32, 0
	s_or_b64 s[12:13], s[12:13], s[16:17]
	s_or_b64 exec, exec, s[14:15]
	s_and_saveexec_b64 s[14:15], s[12:13]
	s_cbranch_execnz .LBB195_2177
	s_branch .LBB195_2178
.LBB195_2195:
	s_mov_b64 s[10:11], -1
                                        ; implicit-def: $vgpr32
	s_branch .LBB195_2200
.LBB195_2196:
	s_mov_b64 s[10:11], -1
                                        ; implicit-def: $vgpr32
.LBB195_2197:
	s_and_b64 vcc, exec, s[10:11]
	s_cbranch_vccz .LBB195_2199
; %bb.2198:
	global_load_ubyte v3, v[8:9], off
	s_mov_b32 s10, 0x7f800000
	s_waitcnt vmcnt(0)
	v_lshlrev_b32_e32 v3, 24, v3
	v_and_b32_e32 v5, 0x7f000000, v3
	v_ffbh_u32_e32 v7, v5
	v_min_u32_e32 v7, 32, v7
	v_sub_u32_e64 v7, v7, 4 clamp
	v_lshlrev_b32_e32 v11, v7, v5
	v_lshlrev_b32_e32 v7, 23, v7
	v_lshrrev_b32_e32 v11, 4, v11
	v_add_u32_e32 v10, 0x1000000, v5
	v_sub_u32_e32 v7, v11, v7
	v_ashrrev_i32_e32 v10, 8, v10
	v_add_u32_e32 v7, 0x3c000000, v7
	v_and_or_b32 v7, v10, s10, v7
	v_cmp_ne_u32_e32 vcc, 0, v5
	v_cndmask_b32_e32 v5, 0, v7, vcc
	s_brev_b32 s10, 1
	v_and_or_b32 v32, v3, s10, v5
.LBB195_2199:
	s_mov_b64 s[10:11], 0
.LBB195_2200:
	s_andn2_b64 vcc, exec, s[10:11]
	s_cbranch_vccnz .LBB195_2202
; %bb.2201:
	global_load_ubyte v3, v[8:9], off
	s_movk_i32 s10, 0x7f00
	s_brev_b32 s11, 16
	s_waitcnt vmcnt(0)
	v_lshlrev_b16_e32 v5, 8, v3
	v_lshlrev_b32_e32 v3, 25, v3
	v_lshrrev_b32_e32 v7, 4, v3
	v_and_or_b32 v10, v5, s10, 0.5
	v_or_b32_e32 v7, 0x70000000, v7
	v_add_f32_e32 v10, -0.5, v10
	v_mul_f32_e32 v7, 0x7800000, v7
	v_cmp_gt_u32_e32 vcc, s11, v3
	v_bfe_i32 v5, v5, 0, 16
	v_cndmask_b32_e32 v3, v7, v10, vcc
	s_brev_b32 s10, 1
	v_and_or_b32 v32, v5, s10, v3
.LBB195_2202:
	s_mov_b64 s[10:11], 0
	s_mov_b64 s[12:13], -1
.LBB195_2203:
	s_andn2_b64 vcc, exec, s[10:11]
	s_mov_b64 s[10:11], 0
	s_cbranch_vccnz .LBB195_2214
; %bb.2204:
	v_mov_b32_e32 v3, 14
	v_cmp_gt_i16_sdwa s[10:11], s19, v3 src0_sel:BYTE_0 src1_sel:DWORD
	s_and_b64 vcc, exec, s[10:11]
	s_cbranch_vccz .LBB195_2207
; %bb.2205:
	v_mov_b32_e32 v3, 15
	v_cmp_eq_u16_sdwa s[8:9], s19, v3 src0_sel:BYTE_0 src1_sel:DWORD
	s_and_b64 vcc, exec, s[8:9]
	s_cbranch_vccz .LBB195_2210
; %bb.2206:
	global_load_ushort v3, v[8:9], off
	s_mov_b64 s[8:9], 0
	s_mov_b64 s[12:13], -1
	s_waitcnt vmcnt(0)
	v_lshlrev_b32_e32 v32, 16, v3
	s_branch .LBB195_2211
.LBB195_2207:
	s_mov_b64 s[14:15], -1
                                        ; implicit-def: $vgpr32
	s_branch .LBB195_2212
.LBB195_2208:
	s_or_saveexec_b64 s[12:13], s[12:13]
	v_mov_b32_e32 v32, s16
	s_xor_b64 exec, exec, s[12:13]
	s_cbranch_execz .LBB195_2189
.LBB195_2209:
	v_cmp_ne_u16_e32 vcc, 0, v3
	s_andn2_b64 s[10:11], s[10:11], exec
	s_and_b64 s[14:15], vcc, exec
	v_mov_b32_e32 v32, 0
	s_or_b64 s[10:11], s[10:11], s[14:15]
	s_or_b64 exec, exec, s[12:13]
	s_and_saveexec_b64 s[12:13], s[10:11]
	s_cbranch_execnz .LBB195_2190
	s_branch .LBB195_2191
.LBB195_2210:
	s_mov_b64 s[8:9], -1
                                        ; implicit-def: $vgpr32
.LBB195_2211:
	s_mov_b64 s[14:15], 0
.LBB195_2212:
	s_mov_b64 s[10:11], 0
	s_and_b64 vcc, exec, s[14:15]
	s_cbranch_vccz .LBB195_2214
; %bb.2213:
	v_mov_b32_e32 v3, 11
	v_cmp_ne_u16_sdwa s[8:9], s19, v3 src0_sel:BYTE_0 src1_sel:DWORD
	s_mov_b64 s[10:11], -1
                                        ; implicit-def: $vgpr32
.LBB195_2214:
	s_and_b64 vcc, exec, s[8:9]
	s_cbranch_vccnz .LBB195_2279
; %bb.2215:
	s_andn2_b64 vcc, exec, s[10:11]
	s_cbranch_vccnz .LBB195_2217
.LBB195_2216:
	global_load_ubyte v3, v[8:9], off
	s_mov_b64 s[12:13], -1
	s_waitcnt vmcnt(0)
	v_cmp_ne_u16_e32 vcc, 0, v3
	v_cndmask_b32_e64 v32, 0, 1.0, vcc
.LBB195_2217:
	s_mov_b64 s[8:9], 0
.LBB195_2218:
	s_and_b64 vcc, exec, s[8:9]
	s_cbranch_vccz .LBB195_2267
; %bb.2219:
	v_mov_b32_e32 v3, 5
	v_cmp_lt_i16_sdwa s[8:9], s19, v3 src0_sel:BYTE_0 src1_sel:DWORD
	s_and_b64 vcc, exec, s[8:9]
	s_cbranch_vccnz .LBB195_2224
; %bb.2220:
	v_mov_b32_e32 v3, 8
	v_cmp_lt_i16_sdwa s[8:9], s19, v3 src0_sel:BYTE_0 src1_sel:DWORD
	s_and_b64 vcc, exec, s[8:9]
	s_cbranch_vccnz .LBB195_2225
	;; [unrolled: 5-line block ×3, first 2 shown]
; %bb.2222:
	v_cmp_gt_i16_sdwa s[8:9], s19, v3 src0_sel:BYTE_0 src1_sel:DWORD
	s_and_b64 vcc, exec, s[8:9]
	s_cbranch_vccz .LBB195_2227
; %bb.2223:
	global_load_dwordx2 v[10:11], v[8:9], off
	s_mov_b64 s[8:9], 0
	s_waitcnt vmcnt(0)
	v_cvt_f32_f64_e32 v32, v[10:11]
	s_branch .LBB195_2228
.LBB195_2224:
	s_mov_b64 s[8:9], -1
                                        ; implicit-def: $vgpr32
	s_branch .LBB195_2246
.LBB195_2225:
	s_mov_b64 s[8:9], -1
                                        ; implicit-def: $vgpr32
	s_branch .LBB195_2234
.LBB195_2226:
	s_mov_b64 s[8:9], -1
                                        ; implicit-def: $vgpr32
	s_branch .LBB195_2231
.LBB195_2227:
	s_mov_b64 s[8:9], -1
                                        ; implicit-def: $vgpr32
.LBB195_2228:
	s_andn2_b64 vcc, exec, s[8:9]
	s_cbranch_vccnz .LBB195_2230
; %bb.2229:
	global_load_dword v32, v[8:9], off
.LBB195_2230:
	s_mov_b64 s[8:9], 0
.LBB195_2231:
	s_andn2_b64 vcc, exec, s[8:9]
	s_cbranch_vccnz .LBB195_2233
; %bb.2232:
	global_load_dword v3, v[8:9], off
	s_waitcnt vmcnt(0)
	v_cvt_f32_f16_e32 v32, v3
.LBB195_2233:
	s_mov_b64 s[8:9], 0
.LBB195_2234:
	s_andn2_b64 vcc, exec, s[8:9]
	s_cbranch_vccnz .LBB195_2245
; %bb.2235:
	v_mov_b32_e32 v3, 6
	v_cmp_lt_i16_sdwa s[8:9], s19, v3 src0_sel:BYTE_0 src1_sel:DWORD
	s_and_b64 vcc, exec, s[8:9]
	s_cbranch_vccnz .LBB195_2238
; %bb.2236:
	v_cmp_gt_i16_sdwa s[8:9], s19, v3 src0_sel:BYTE_0 src1_sel:DWORD
	s_and_b64 vcc, exec, s[8:9]
	s_cbranch_vccz .LBB195_2239
; %bb.2237:
	global_load_dwordx2 v[10:11], v[8:9], off
	s_mov_b64 s[8:9], 0
	s_waitcnt vmcnt(0)
	v_cvt_f32_f64_e32 v32, v[10:11]
	s_branch .LBB195_2240
.LBB195_2238:
	s_mov_b64 s[8:9], -1
                                        ; implicit-def: $vgpr32
	s_branch .LBB195_2243
.LBB195_2239:
	s_mov_b64 s[8:9], -1
                                        ; implicit-def: $vgpr32
.LBB195_2240:
	s_andn2_b64 vcc, exec, s[8:9]
	s_cbranch_vccnz .LBB195_2242
; %bb.2241:
	global_load_dword v32, v[8:9], off
.LBB195_2242:
	s_mov_b64 s[8:9], 0
.LBB195_2243:
	s_andn2_b64 vcc, exec, s[8:9]
	s_cbranch_vccnz .LBB195_2245
; %bb.2244:
	global_load_ushort v3, v[8:9], off
	s_waitcnt vmcnt(0)
	v_cvt_f32_f16_e32 v32, v3
.LBB195_2245:
	s_mov_b64 s[8:9], 0
.LBB195_2246:
	s_andn2_b64 vcc, exec, s[8:9]
	s_cbranch_vccnz .LBB195_2266
; %bb.2247:
	v_mov_b32_e32 v3, 2
	v_cmp_lt_i16_sdwa s[8:9], s19, v3 src0_sel:BYTE_0 src1_sel:DWORD
	s_and_b64 vcc, exec, s[8:9]
	s_cbranch_vccnz .LBB195_2251
; %bb.2248:
	v_mov_b32_e32 v3, 3
	v_cmp_lt_i16_sdwa s[8:9], s19, v3 src0_sel:BYTE_0 src1_sel:DWORD
	s_and_b64 vcc, exec, s[8:9]
	s_cbranch_vccnz .LBB195_2252
; %bb.2249:
	v_cmp_gt_i16_sdwa s[8:9], s19, v3 src0_sel:BYTE_0 src1_sel:DWORD
	s_and_b64 vcc, exec, s[8:9]
	s_cbranch_vccz .LBB195_2253
; %bb.2250:
	global_load_dwordx2 v[10:11], v[8:9], off
	s_mov_b64 s[8:9], 0
	s_waitcnt vmcnt(0)
	v_xor_b32_e32 v5, v10, v11
	v_ffbh_i32_e32 v3, v11
	v_ashrrev_i32_e32 v5, 31, v5
	v_add_u32_e32 v3, -1, v3
	v_add_u32_e32 v5, 32, v5
	v_min_u32_e32 v3, v3, v5
	v_lshlrev_b64 v[10:11], v3, v[10:11]
	v_min_u32_e32 v5, 1, v10
	v_or_b32_e32 v5, v11, v5
	v_cvt_f32_i32_e32 v5, v5
	v_sub_u32_e32 v3, 32, v3
	v_ldexp_f32 v32, v5, v3
	s_branch .LBB195_2254
.LBB195_2251:
	s_mov_b64 s[8:9], -1
                                        ; implicit-def: $vgpr32
	s_branch .LBB195_2260
.LBB195_2252:
	s_mov_b64 s[8:9], -1
                                        ; implicit-def: $vgpr32
	s_branch .LBB195_2257
.LBB195_2253:
	s_mov_b64 s[8:9], -1
                                        ; implicit-def: $vgpr32
.LBB195_2254:
	s_andn2_b64 vcc, exec, s[8:9]
	s_cbranch_vccnz .LBB195_2256
; %bb.2255:
	global_load_dword v3, v[8:9], off
	s_waitcnt vmcnt(0)
	v_cvt_f32_i32_e32 v32, v3
.LBB195_2256:
	s_mov_b64 s[8:9], 0
.LBB195_2257:
	s_andn2_b64 vcc, exec, s[8:9]
	s_cbranch_vccnz .LBB195_2259
; %bb.2258:
	global_load_sshort v3, v[8:9], off
	s_waitcnt vmcnt(0)
	v_cvt_f32_i32_e32 v32, v3
.LBB195_2259:
	s_mov_b64 s[8:9], 0
.LBB195_2260:
	s_andn2_b64 vcc, exec, s[8:9]
	s_cbranch_vccnz .LBB195_2266
; %bb.2261:
	v_mov_b32_e32 v3, 0
	v_cmp_gt_i16_sdwa s[8:9], s19, v3 src0_sel:BYTE_0 src1_sel:DWORD
	s_and_b64 vcc, exec, s[8:9]
	s_cbranch_vccz .LBB195_2263
; %bb.2262:
	global_load_sbyte v3, v[8:9], off
	s_mov_b64 s[8:9], 0
	s_waitcnt vmcnt(0)
	v_cvt_f32_i32_e32 v32, v3
	s_branch .LBB195_2264
.LBB195_2263:
	s_mov_b64 s[8:9], -1
                                        ; implicit-def: $vgpr32
.LBB195_2264:
	s_andn2_b64 vcc, exec, s[8:9]
	s_cbranch_vccnz .LBB195_2266
; %bb.2265:
	global_load_ubyte v3, v[8:9], off
	s_waitcnt vmcnt(0)
	v_cvt_f32_ubyte0_e32 v32, v3
.LBB195_2266:
	s_mov_b64 s[12:13], -1
.LBB195_2267:
	s_andn2_b64 vcc, exec, s[12:13]
	s_cbranch_vccnz .LBB195_3113
; %bb.2268:
	v_mov_b32_e32 v3, s5
	v_add_co_u32_e32 v6, vcc, s4, v6
	v_addc_co_u32_e32 v7, vcc, 0, v3, vcc
	s_and_b64 vcc, exec, s[6:7]
	s_cbranch_vccnz .LBB195_2275
; %bb.2269:
	v_cmp_gt_i16_e64 s[8:9], s20, 25
	s_mov_b64 s[10:11], 0
	s_and_b64 vcc, exec, s[8:9]
	s_cbranch_vccz .LBB195_2276
; %bb.2270:
	v_cmp_gt_i16_e64 s[8:9], s20, 28
	s_and_b64 vcc, exec, s[8:9]
	s_cbranch_vccz .LBB195_2277
; %bb.2271:
	v_cmp_gt_i16_e64 s[8:9], s20, 43
	s_and_b64 vcc, exec, s[8:9]
	s_cbranch_vccz .LBB195_2278
; %bb.2272:
	v_cmp_gt_i16_e64 s[8:9], s20, 45
	s_and_b64 vcc, exec, s[8:9]
	s_cbranch_vccz .LBB195_2280
; %bb.2273:
	v_cmp_eq_u16_e64 s[8:9], s20, 46
	s_mov_b64 s[14:15], 0
	s_and_b64 vcc, exec, s[8:9]
	s_cbranch_vccz .LBB195_2283
; %bb.2274:
	global_load_dword v3, v[6:7], off
	s_mov_b64 s[8:9], 0
	s_mov_b64 s[12:13], -1
	s_waitcnt vmcnt(0)
	v_lshlrev_b32_e32 v33, 16, v3
	s_branch .LBB195_2284
.LBB195_2275:
	s_mov_b64 s[8:9], -1
	s_mov_b64 s[12:13], 0
                                        ; implicit-def: $vgpr33
	s_branch .LBB195_2350
.LBB195_2276:
	s_mov_b64 s[14:15], -1
	s_mov_b64 s[12:13], 0
	s_mov_b64 s[8:9], 0
                                        ; implicit-def: $vgpr33
	s_branch .LBB195_2313
.LBB195_2277:
	s_mov_b64 s[14:15], -1
	s_mov_b64 s[12:13], 0
	s_mov_b64 s[8:9], 0
                                        ; implicit-def: $vgpr33
	s_branch .LBB195_2294
.LBB195_2278:
	s_mov_b64 s[14:15], -1
	s_mov_b64 s[12:13], 0
	s_mov_b64 s[8:9], 0
                                        ; implicit-def: $vgpr33
	s_branch .LBB195_2289
.LBB195_2279:
	s_trap 2
	s_or_b64 s[34:35], s[34:35], exec
                                        ; implicit-def: $vgpr32
	s_cbranch_execz .LBB195_2216
	s_branch .LBB195_2217
.LBB195_2280:
	s_mov_b64 s[14:15], -1
	s_mov_b64 s[12:13], 0
	s_mov_b64 s[8:9], 0
                                        ; implicit-def: $vgpr33
	s_branch .LBB195_2284
.LBB195_2281:
	s_or_saveexec_b64 s[12:13], s[12:13]
                                        ; implicit-def: $sgpr14
	s_xor_b64 exec, exec, s[12:13]
	s_cbranch_execz .LBB195_1116
.LBB195_2282:
	s_mov_b32 s14, 0x42800000
	v_add_f32_e64 v1, |v0|, s14
	v_and_b32_e32 v1, 0xff, v1
	v_cmp_ne_u32_e32 vcc, 0, v1
	s_andn2_b64 s[10:11], s[10:11], exec
	s_and_b64 s[16:17], vcc, exec
	s_mov_b32 s14, 0
	s_or_b64 s[10:11], s[10:11], s[16:17]
	s_or_b64 exec, exec, s[12:13]
	v_mov_b32_e32 v4, s14
	s_and_saveexec_b64 s[12:13], s[10:11]
	s_cbranch_execnz .LBB195_1117
	s_branch .LBB195_1118
.LBB195_2283:
	s_mov_b64 s[8:9], -1
                                        ; implicit-def: $vgpr33
	s_mov_b64 s[12:13], 0
.LBB195_2284:
	s_and_b64 vcc, exec, s[14:15]
	s_cbranch_vccz .LBB195_2288
; %bb.2285:
	v_cmp_eq_u16_e64 s[8:9], s20, 44
	s_and_b64 vcc, exec, s[8:9]
	s_cbranch_vccz .LBB195_2287
; %bb.2286:
	global_load_ubyte v3, v[6:7], off
	s_movk_i32 s12, 0xff
	v_mov_b32_e32 v5, 0x7f800001
	v_mov_b32_e32 v8, 0x400000
	s_mov_b64 s[8:9], 0
	s_waitcnt vmcnt(0)
	v_lshlrev_b32_e32 v9, 23, v3
	v_cmp_ne_u32_e32 vcc, s12, v3
	v_cndmask_b32_e32 v5, v5, v9, vcc
	v_cmp_ne_u32_e32 vcc, 0, v3
	v_cndmask_b32_e32 v33, v8, v5, vcc
	s_mov_b64 s[12:13], -1
	s_branch .LBB195_2288
.LBB195_2287:
	s_mov_b64 s[8:9], -1
                                        ; implicit-def: $vgpr33
.LBB195_2288:
	s_mov_b64 s[14:15], 0
.LBB195_2289:
	s_and_b64 vcc, exec, s[14:15]
	s_cbranch_vccz .LBB195_2293
; %bb.2290:
	v_cmp_eq_u16_e64 s[8:9], s20, 29
	s_and_b64 vcc, exec, s[8:9]
	s_cbranch_vccz .LBB195_2292
; %bb.2291:
	global_load_dwordx2 v[8:9], v[6:7], off
	s_mov_b64 s[8:9], 0
	s_mov_b64 s[12:13], -1
	s_mov_b64 s[14:15], 0
	s_waitcnt vmcnt(0)
	v_ffbh_u32_e32 v3, v9
	v_min_u32_e32 v3, 32, v3
	v_lshlrev_b64 v[8:9], v3, v[8:9]
	v_min_u32_e32 v5, 1, v8
	v_or_b32_e32 v5, v9, v5
	v_cvt_f32_u32_e32 v5, v5
	v_sub_u32_e32 v3, 32, v3
	v_ldexp_f32 v33, v5, v3
	s_branch .LBB195_2294
.LBB195_2292:
	s_mov_b64 s[8:9], -1
                                        ; implicit-def: $vgpr33
.LBB195_2293:
	s_mov_b64 s[14:15], 0
.LBB195_2294:
	s_and_b64 vcc, exec, s[14:15]
	s_cbranch_vccz .LBB195_2312
; %bb.2295:
	v_cmp_lt_i16_e64 s[12:13], s20, 27
	s_and_b64 vcc, exec, s[12:13]
	s_cbranch_vccnz .LBB195_2298
; %bb.2296:
	v_cmp_gt_i16_e64 s[12:13], s20, 27
	s_and_b64 vcc, exec, s[12:13]
	s_cbranch_vccz .LBB195_2299
; %bb.2297:
	global_load_dword v3, v[6:7], off
	s_mov_b64 s[12:13], 0
	s_waitcnt vmcnt(0)
	v_cvt_f32_u32_e32 v33, v3
	s_branch .LBB195_2300
.LBB195_2298:
	s_mov_b64 s[12:13], -1
                                        ; implicit-def: $vgpr33
	s_branch .LBB195_2303
.LBB195_2299:
	s_mov_b64 s[12:13], -1
                                        ; implicit-def: $vgpr33
.LBB195_2300:
	s_andn2_b64 vcc, exec, s[12:13]
	s_cbranch_vccnz .LBB195_2302
; %bb.2301:
	global_load_ushort v3, v[6:7], off
	s_waitcnt vmcnt(0)
	v_cvt_f32_u32_e32 v33, v3
.LBB195_2302:
	s_mov_b64 s[12:13], 0
.LBB195_2303:
	s_andn2_b64 vcc, exec, s[12:13]
	s_cbranch_vccnz .LBB195_2311
; %bb.2304:
	global_load_ubyte v3, v[6:7], off
	s_movk_i32 s12, 0x7f
                                        ; implicit-def: $sgpr21
	s_waitcnt vmcnt(0)
	v_cmp_lt_i16_e32 vcc, s12, v3
	s_mov_b64 s[12:13], 0
	s_and_saveexec_b64 s[14:15], vcc
	s_xor_b64 s[14:15], exec, s[14:15]
	s_cbranch_execz .LBB195_2325
; %bb.2305:
	s_movk_i32 s12, 0x80
	v_cmp_eq_u16_e32 vcc, s12, v3
	s_mov_b64 s[12:13], -1
                                        ; implicit-def: $sgpr21
	s_and_saveexec_b64 s[16:17], vcc
; %bb.2306:
	s_mov_b32 s21, 0x7f800001
	s_xor_b64 s[12:13], exec, -1
; %bb.2307:
	s_or_b64 exec, exec, s[16:17]
	s_and_b64 s[12:13], s[12:13], exec
	s_or_saveexec_b64 s[14:15], s[14:15]
	v_mov_b32_e32 v33, s21
	s_xor_b64 exec, exec, s[14:15]
	s_cbranch_execnz .LBB195_2326
.LBB195_2308:
	s_or_b64 exec, exec, s[14:15]
	s_and_saveexec_b64 s[14:15], s[12:13]
	s_cbranch_execz .LBB195_2310
.LBB195_2309:
	v_lshlrev_b32_e32 v5, 24, v3
	v_and_b32_e32 v3, 0xffff, v3
	v_and_b32_e32 v8, 7, v3
	v_ffbh_u32_e32 v10, v8
	v_min_u32_e32 v10, 32, v10
	v_subrev_u32_e32 v11, 28, v10
	v_bfe_u32 v9, v3, 3, 4
	v_lshlrev_b32_e32 v3, v11, v3
	v_sub_u32_e32 v10, 29, v10
	v_and_b32_e32 v3, 7, v3
	v_cmp_eq_u32_e32 vcc, 0, v9
	v_cndmask_b32_e32 v9, v9, v10, vcc
	v_cndmask_b32_e32 v3, v8, v3, vcc
	v_mov_b32_e32 v8, 0x3b800000
	v_lshlrev_b32_e32 v3, 20, v3
	v_and_b32_e32 v5, 0x80000000, v5
	v_lshl_add_u32 v8, v9, 23, v8
	v_or3_b32 v33, v5, v8, v3
.LBB195_2310:
	s_or_b64 exec, exec, s[14:15]
.LBB195_2311:
	s_mov_b64 s[12:13], -1
.LBB195_2312:
	s_mov_b64 s[14:15], 0
.LBB195_2313:
	s_and_b64 vcc, exec, s[14:15]
	s_cbranch_vccz .LBB195_2346
; %bb.2314:
	v_cmp_gt_i16_e64 s[10:11], s20, 22
	s_and_b64 vcc, exec, s[10:11]
	s_cbranch_vccz .LBB195_2324
; %bb.2315:
	v_cmp_lt_i16_e64 s[10:11], s20, 24
	s_and_b64 vcc, exec, s[10:11]
	s_cbranch_vccnz .LBB195_2327
; %bb.2316:
	v_cmp_gt_i16_e64 s[10:11], s20, 24
	s_and_b64 vcc, exec, s[10:11]
	s_cbranch_vccz .LBB195_2328
; %bb.2317:
	global_load_ubyte v3, v[6:7], off
	s_movk_i32 s10, 0x7f
                                        ; implicit-def: $sgpr16
	s_waitcnt vmcnt(0)
	v_cmp_lt_i16_e32 vcc, s10, v3
	s_mov_b64 s[10:11], 0
	s_and_saveexec_b64 s[12:13], vcc
	s_xor_b64 s[12:13], exec, s[12:13]
	s_cbranch_execz .LBB195_2340
; %bb.2318:
	s_movk_i32 s10, 0x80
	v_cmp_eq_u16_e32 vcc, s10, v3
	s_mov_b64 s[10:11], -1
                                        ; implicit-def: $sgpr16
	s_and_saveexec_b64 s[14:15], vcc
; %bb.2319:
	s_mov_b32 s16, 0x7f800001
	s_xor_b64 s[10:11], exec, -1
; %bb.2320:
	s_or_b64 exec, exec, s[14:15]
	s_and_b64 s[10:11], s[10:11], exec
	s_or_saveexec_b64 s[12:13], s[12:13]
	v_mov_b32_e32 v33, s16
	s_xor_b64 exec, exec, s[12:13]
	s_cbranch_execnz .LBB195_2341
.LBB195_2321:
	s_or_b64 exec, exec, s[12:13]
	s_and_saveexec_b64 s[12:13], s[10:11]
	s_cbranch_execz .LBB195_2323
.LBB195_2322:
	v_lshlrev_b32_e32 v5, 24, v3
	v_and_b32_e32 v3, 0xffff, v3
	v_and_b32_e32 v8, 3, v3
	v_ffbh_u32_e32 v10, v8
	v_min_u32_e32 v10, 32, v10
	v_subrev_u32_e32 v11, 29, v10
	v_bfe_u32 v9, v3, 2, 5
	v_lshlrev_b32_e32 v3, v11, v3
	v_sub_u32_e32 v10, 30, v10
	v_and_b32_e32 v3, 3, v3
	v_cmp_eq_u32_e32 vcc, 0, v9
	v_cndmask_b32_e32 v9, v9, v10, vcc
	v_cndmask_b32_e32 v3, v8, v3, vcc
	v_mov_b32_e32 v8, 0x37800000
	v_lshlrev_b32_e32 v3, 21, v3
	v_and_b32_e32 v5, 0x80000000, v5
	v_lshl_add_u32 v8, v9, 23, v8
	v_or3_b32 v33, v5, v8, v3
.LBB195_2323:
	s_or_b64 exec, exec, s[12:13]
	s_mov_b64 s[10:11], 0
	s_branch .LBB195_2329
.LBB195_2324:
	s_mov_b64 s[10:11], -1
                                        ; implicit-def: $vgpr33
	s_branch .LBB195_2335
.LBB195_2325:
	s_or_saveexec_b64 s[14:15], s[14:15]
	v_mov_b32_e32 v33, s21
	s_xor_b64 exec, exec, s[14:15]
	s_cbranch_execz .LBB195_2308
.LBB195_2326:
	v_cmp_ne_u16_e32 vcc, 0, v3
	s_andn2_b64 s[12:13], s[12:13], exec
	s_and_b64 s[16:17], vcc, exec
	v_mov_b32_e32 v33, 0
	s_or_b64 s[12:13], s[12:13], s[16:17]
	s_or_b64 exec, exec, s[14:15]
	s_and_saveexec_b64 s[14:15], s[12:13]
	s_cbranch_execnz .LBB195_2309
	s_branch .LBB195_2310
.LBB195_2327:
	s_mov_b64 s[10:11], -1
                                        ; implicit-def: $vgpr33
	s_branch .LBB195_2332
.LBB195_2328:
	s_mov_b64 s[10:11], -1
                                        ; implicit-def: $vgpr33
.LBB195_2329:
	s_and_b64 vcc, exec, s[10:11]
	s_cbranch_vccz .LBB195_2331
; %bb.2330:
	global_load_ubyte v3, v[6:7], off
	s_mov_b32 s10, 0x7f800000
	s_waitcnt vmcnt(0)
	v_lshlrev_b32_e32 v3, 24, v3
	v_and_b32_e32 v5, 0x7f000000, v3
	v_ffbh_u32_e32 v8, v5
	v_min_u32_e32 v8, 32, v8
	v_sub_u32_e64 v8, v8, 4 clamp
	v_lshlrev_b32_e32 v10, v8, v5
	v_lshlrev_b32_e32 v8, 23, v8
	v_lshrrev_b32_e32 v10, 4, v10
	v_add_u32_e32 v9, 0x1000000, v5
	v_sub_u32_e32 v8, v10, v8
	v_ashrrev_i32_e32 v9, 8, v9
	v_add_u32_e32 v8, 0x3c000000, v8
	v_and_or_b32 v8, v9, s10, v8
	v_cmp_ne_u32_e32 vcc, 0, v5
	v_cndmask_b32_e32 v5, 0, v8, vcc
	s_brev_b32 s10, 1
	v_and_or_b32 v33, v3, s10, v5
.LBB195_2331:
	s_mov_b64 s[10:11], 0
.LBB195_2332:
	s_andn2_b64 vcc, exec, s[10:11]
	s_cbranch_vccnz .LBB195_2334
; %bb.2333:
	global_load_ubyte v3, v[6:7], off
	s_movk_i32 s10, 0x7f00
	s_brev_b32 s11, 16
	s_waitcnt vmcnt(0)
	v_lshlrev_b16_e32 v5, 8, v3
	v_lshlrev_b32_e32 v3, 25, v3
	v_lshrrev_b32_e32 v8, 4, v3
	v_and_or_b32 v9, v5, s10, 0.5
	v_or_b32_e32 v8, 0x70000000, v8
	v_add_f32_e32 v9, -0.5, v9
	v_mul_f32_e32 v8, 0x7800000, v8
	v_cmp_gt_u32_e32 vcc, s11, v3
	v_bfe_i32 v5, v5, 0, 16
	v_cndmask_b32_e32 v3, v8, v9, vcc
	s_brev_b32 s10, 1
	v_and_or_b32 v33, v5, s10, v3
.LBB195_2334:
	s_mov_b64 s[10:11], 0
	s_mov_b64 s[12:13], -1
.LBB195_2335:
	s_andn2_b64 vcc, exec, s[10:11]
	s_mov_b64 s[10:11], 0
	s_cbranch_vccnz .LBB195_2346
; %bb.2336:
	v_cmp_gt_i16_e64 s[10:11], s20, 14
	s_and_b64 vcc, exec, s[10:11]
	s_cbranch_vccz .LBB195_2339
; %bb.2337:
	v_cmp_eq_u16_e64 s[8:9], s20, 15
	s_and_b64 vcc, exec, s[8:9]
	s_cbranch_vccz .LBB195_2342
; %bb.2338:
	global_load_ushort v3, v[6:7], off
	s_mov_b64 s[8:9], 0
	s_mov_b64 s[12:13], -1
	s_waitcnt vmcnt(0)
	v_lshlrev_b32_e32 v33, 16, v3
	s_branch .LBB195_2343
.LBB195_2339:
	s_mov_b64 s[14:15], -1
                                        ; implicit-def: $vgpr33
	s_branch .LBB195_2344
.LBB195_2340:
	s_or_saveexec_b64 s[12:13], s[12:13]
	v_mov_b32_e32 v33, s16
	s_xor_b64 exec, exec, s[12:13]
	s_cbranch_execz .LBB195_2321
.LBB195_2341:
	v_cmp_ne_u16_e32 vcc, 0, v3
	s_andn2_b64 s[10:11], s[10:11], exec
	s_and_b64 s[14:15], vcc, exec
	v_mov_b32_e32 v33, 0
	s_or_b64 s[10:11], s[10:11], s[14:15]
	s_or_b64 exec, exec, s[12:13]
	s_and_saveexec_b64 s[12:13], s[10:11]
	s_cbranch_execnz .LBB195_2322
	s_branch .LBB195_2323
.LBB195_2342:
	s_mov_b64 s[8:9], -1
                                        ; implicit-def: $vgpr33
.LBB195_2343:
	s_mov_b64 s[14:15], 0
.LBB195_2344:
	s_mov_b64 s[10:11], 0
	s_and_b64 vcc, exec, s[14:15]
	s_cbranch_vccz .LBB195_2346
; %bb.2345:
	v_cmp_ne_u16_e64 s[8:9], s20, 11
	s_mov_b64 s[10:11], -1
                                        ; implicit-def: $vgpr33
.LBB195_2346:
	s_and_b64 vcc, exec, s[8:9]
	s_cbranch_vccnz .LBB195_2411
; %bb.2347:
	s_andn2_b64 vcc, exec, s[10:11]
	s_cbranch_vccnz .LBB195_2349
.LBB195_2348:
	global_load_ubyte v3, v[6:7], off
	s_mov_b64 s[12:13], -1
	s_waitcnt vmcnt(0)
	v_cmp_ne_u16_e32 vcc, 0, v3
	v_cndmask_b32_e64 v33, 0, 1.0, vcc
.LBB195_2349:
	s_mov_b64 s[8:9], 0
.LBB195_2350:
	s_and_b64 vcc, exec, s[8:9]
	s_cbranch_vccz .LBB195_2399
; %bb.2351:
	v_cmp_lt_i16_e64 s[8:9], s20, 5
	s_and_b64 vcc, exec, s[8:9]
	s_cbranch_vccnz .LBB195_2356
; %bb.2352:
	v_cmp_lt_i16_e64 s[8:9], s20, 8
	s_and_b64 vcc, exec, s[8:9]
	s_cbranch_vccnz .LBB195_2357
	;; [unrolled: 4-line block ×3, first 2 shown]
; %bb.2354:
	v_cmp_gt_i16_e64 s[8:9], s20, 9
	s_and_b64 vcc, exec, s[8:9]
	s_cbranch_vccz .LBB195_2359
; %bb.2355:
	global_load_dwordx2 v[8:9], v[6:7], off
	s_mov_b64 s[8:9], 0
	s_waitcnt vmcnt(0)
	v_cvt_f32_f64_e32 v33, v[8:9]
	s_branch .LBB195_2360
.LBB195_2356:
	s_mov_b64 s[8:9], -1
                                        ; implicit-def: $vgpr33
	s_branch .LBB195_2378
.LBB195_2357:
	s_mov_b64 s[8:9], -1
                                        ; implicit-def: $vgpr33
	s_branch .LBB195_2366
.LBB195_2358:
	s_mov_b64 s[8:9], -1
                                        ; implicit-def: $vgpr33
	s_branch .LBB195_2363
.LBB195_2359:
	s_mov_b64 s[8:9], -1
                                        ; implicit-def: $vgpr33
.LBB195_2360:
	s_andn2_b64 vcc, exec, s[8:9]
	s_cbranch_vccnz .LBB195_2362
; %bb.2361:
	global_load_dword v33, v[6:7], off
.LBB195_2362:
	s_mov_b64 s[8:9], 0
.LBB195_2363:
	s_andn2_b64 vcc, exec, s[8:9]
	s_cbranch_vccnz .LBB195_2365
; %bb.2364:
	global_load_dword v3, v[6:7], off
	s_waitcnt vmcnt(0)
	v_cvt_f32_f16_e32 v33, v3
.LBB195_2365:
	s_mov_b64 s[8:9], 0
.LBB195_2366:
	s_andn2_b64 vcc, exec, s[8:9]
	s_cbranch_vccnz .LBB195_2377
; %bb.2367:
	v_cmp_lt_i16_e64 s[8:9], s20, 6
	s_and_b64 vcc, exec, s[8:9]
	s_cbranch_vccnz .LBB195_2370
; %bb.2368:
	v_cmp_gt_i16_e64 s[8:9], s20, 6
	s_and_b64 vcc, exec, s[8:9]
	s_cbranch_vccz .LBB195_2371
; %bb.2369:
	global_load_dwordx2 v[8:9], v[6:7], off
	s_mov_b64 s[8:9], 0
	s_waitcnt vmcnt(0)
	v_cvt_f32_f64_e32 v33, v[8:9]
	s_branch .LBB195_2372
.LBB195_2370:
	s_mov_b64 s[8:9], -1
                                        ; implicit-def: $vgpr33
	s_branch .LBB195_2375
.LBB195_2371:
	s_mov_b64 s[8:9], -1
                                        ; implicit-def: $vgpr33
.LBB195_2372:
	s_andn2_b64 vcc, exec, s[8:9]
	s_cbranch_vccnz .LBB195_2374
; %bb.2373:
	global_load_dword v33, v[6:7], off
.LBB195_2374:
	s_mov_b64 s[8:9], 0
.LBB195_2375:
	s_andn2_b64 vcc, exec, s[8:9]
	s_cbranch_vccnz .LBB195_2377
; %bb.2376:
	global_load_ushort v3, v[6:7], off
	s_waitcnt vmcnt(0)
	v_cvt_f32_f16_e32 v33, v3
.LBB195_2377:
	s_mov_b64 s[8:9], 0
.LBB195_2378:
	s_andn2_b64 vcc, exec, s[8:9]
	s_cbranch_vccnz .LBB195_2398
; %bb.2379:
	v_cmp_lt_i16_e64 s[8:9], s20, 2
	s_and_b64 vcc, exec, s[8:9]
	s_cbranch_vccnz .LBB195_2383
; %bb.2380:
	v_cmp_lt_i16_e64 s[8:9], s20, 3
	s_and_b64 vcc, exec, s[8:9]
	s_cbranch_vccnz .LBB195_2384
; %bb.2381:
	v_cmp_gt_i16_e64 s[8:9], s20, 3
	s_and_b64 vcc, exec, s[8:9]
	s_cbranch_vccz .LBB195_2385
; %bb.2382:
	global_load_dwordx2 v[8:9], v[6:7], off
	s_mov_b64 s[8:9], 0
	s_waitcnt vmcnt(0)
	v_xor_b32_e32 v5, v8, v9
	v_ffbh_i32_e32 v3, v9
	v_ashrrev_i32_e32 v5, 31, v5
	v_add_u32_e32 v3, -1, v3
	v_add_u32_e32 v5, 32, v5
	v_min_u32_e32 v3, v3, v5
	v_lshlrev_b64 v[8:9], v3, v[8:9]
	v_min_u32_e32 v5, 1, v8
	v_or_b32_e32 v5, v9, v5
	v_cvt_f32_i32_e32 v5, v5
	v_sub_u32_e32 v3, 32, v3
	v_ldexp_f32 v33, v5, v3
	s_branch .LBB195_2386
.LBB195_2383:
	s_mov_b64 s[8:9], -1
                                        ; implicit-def: $vgpr33
	s_branch .LBB195_2392
.LBB195_2384:
	s_mov_b64 s[8:9], -1
                                        ; implicit-def: $vgpr33
	s_branch .LBB195_2389
.LBB195_2385:
	s_mov_b64 s[8:9], -1
                                        ; implicit-def: $vgpr33
.LBB195_2386:
	s_andn2_b64 vcc, exec, s[8:9]
	s_cbranch_vccnz .LBB195_2388
; %bb.2387:
	global_load_dword v3, v[6:7], off
	s_waitcnt vmcnt(0)
	v_cvt_f32_i32_e32 v33, v3
.LBB195_2388:
	s_mov_b64 s[8:9], 0
.LBB195_2389:
	s_andn2_b64 vcc, exec, s[8:9]
	s_cbranch_vccnz .LBB195_2391
; %bb.2390:
	global_load_sshort v3, v[6:7], off
	s_waitcnt vmcnt(0)
	v_cvt_f32_i32_e32 v33, v3
.LBB195_2391:
	s_mov_b64 s[8:9], 0
.LBB195_2392:
	s_andn2_b64 vcc, exec, s[8:9]
	s_cbranch_vccnz .LBB195_2398
; %bb.2393:
	v_cmp_gt_i16_e64 s[8:9], s20, 0
	s_and_b64 vcc, exec, s[8:9]
	s_cbranch_vccz .LBB195_2395
; %bb.2394:
	global_load_sbyte v3, v[6:7], off
	s_mov_b64 s[8:9], 0
	s_waitcnt vmcnt(0)
	v_cvt_f32_i32_e32 v33, v3
	s_branch .LBB195_2396
.LBB195_2395:
	s_mov_b64 s[8:9], -1
                                        ; implicit-def: $vgpr33
.LBB195_2396:
	s_andn2_b64 vcc, exec, s[8:9]
	s_cbranch_vccnz .LBB195_2398
; %bb.2397:
	global_load_ubyte v3, v[6:7], off
	s_waitcnt vmcnt(0)
	v_cvt_f32_ubyte0_e32 v33, v3
.LBB195_2398:
	s_mov_b64 s[12:13], -1
.LBB195_2399:
	s_andn2_b64 vcc, exec, s[12:13]
	s_cbranch_vccnz .LBB195_3113
; %bb.2400:
	v_mov_b32_e32 v3, s27
	v_add_co_u32_e32 v4, vcc, s26, v4
	v_addc_co_u32_e32 v5, vcc, 0, v3, vcc
	v_mov_b32_e32 v3, 11
	v_cmp_lt_i16_sdwa s[8:9], s19, v3 src0_sel:BYTE_0 src1_sel:DWORD
	s_and_b64 vcc, exec, s[8:9]
	s_cbranch_vccnz .LBB195_2407
; %bb.2401:
	v_mov_b32_e32 v3, 25
	v_cmp_gt_i16_sdwa s[8:9], s19, v3 src0_sel:BYTE_0 src1_sel:DWORD
	s_mov_b64 s[10:11], 0
	s_and_b64 vcc, exec, s[8:9]
	s_cbranch_vccz .LBB195_2408
; %bb.2402:
	v_mov_b32_e32 v3, 28
	v_cmp_gt_i16_sdwa s[8:9], s19, v3 src0_sel:BYTE_0 src1_sel:DWORD
	s_and_b64 vcc, exec, s[8:9]
	s_cbranch_vccz .LBB195_2409
; %bb.2403:
	v_mov_b32_e32 v3, 43
	v_cmp_gt_i16_sdwa s[8:9], s19, v3 src0_sel:BYTE_0 src1_sel:DWORD
	;; [unrolled: 5-line block ×3, first 2 shown]
	s_and_b64 vcc, exec, s[8:9]
	s_cbranch_vccz .LBB195_2412
; %bb.2405:
	v_mov_b32_e32 v3, 46
	v_cmp_eq_u16_sdwa s[8:9], s19, v3 src0_sel:BYTE_0 src1_sel:DWORD
	s_mov_b64 s[14:15], 0
	s_and_b64 vcc, exec, s[8:9]
	s_cbranch_vccz .LBB195_2413
; %bb.2406:
	global_load_dword v3, v[4:5], off
	s_mov_b64 s[8:9], 0
	s_mov_b64 s[12:13], -1
	s_waitcnt vmcnt(0)
	v_lshlrev_b32_e32 v34, 16, v3
	s_branch .LBB195_2414
.LBB195_2407:
	s_mov_b64 s[8:9], -1
	s_mov_b64 s[12:13], 0
                                        ; implicit-def: $vgpr34
	s_branch .LBB195_2480
.LBB195_2408:
	s_mov_b64 s[14:15], -1
	s_mov_b64 s[12:13], 0
	s_mov_b64 s[8:9], 0
                                        ; implicit-def: $vgpr34
	s_branch .LBB195_2443
.LBB195_2409:
	s_mov_b64 s[14:15], -1
	s_mov_b64 s[12:13], 0
	s_mov_b64 s[8:9], 0
                                        ; implicit-def: $vgpr34
	s_branch .LBB195_2424
.LBB195_2410:
	s_mov_b64 s[14:15], -1
	s_mov_b64 s[12:13], 0
	s_mov_b64 s[8:9], 0
                                        ; implicit-def: $vgpr34
	s_branch .LBB195_2419
.LBB195_2411:
	s_trap 2
	s_or_b64 s[34:35], s[34:35], exec
                                        ; implicit-def: $vgpr33
	s_cbranch_execz .LBB195_2348
	s_branch .LBB195_2349
.LBB195_2412:
	s_mov_b64 s[14:15], -1
	s_mov_b64 s[12:13], 0
	s_mov_b64 s[8:9], 0
                                        ; implicit-def: $vgpr34
	s_branch .LBB195_2414
.LBB195_2413:
	s_mov_b64 s[8:9], -1
                                        ; implicit-def: $vgpr34
	s_mov_b64 s[12:13], 0
.LBB195_2414:
	s_and_b64 vcc, exec, s[14:15]
	s_cbranch_vccz .LBB195_2418
; %bb.2415:
	v_mov_b32_e32 v3, 44
	v_cmp_eq_u16_sdwa s[8:9], s19, v3 src0_sel:BYTE_0 src1_sel:DWORD
	s_and_b64 vcc, exec, s[8:9]
	s_cbranch_vccz .LBB195_2417
; %bb.2416:
	global_load_ubyte v3, v[4:5], off
	s_movk_i32 s12, 0xff
	v_mov_b32_e32 v6, 0x7f800001
	v_mov_b32_e32 v7, 0x400000
	s_mov_b64 s[8:9], 0
	s_waitcnt vmcnt(0)
	v_lshlrev_b32_e32 v8, 23, v3
	v_cmp_ne_u32_e32 vcc, s12, v3
	v_cndmask_b32_e32 v6, v6, v8, vcc
	v_cmp_ne_u32_e32 vcc, 0, v3
	v_cndmask_b32_e32 v34, v7, v6, vcc
	s_mov_b64 s[12:13], -1
	s_branch .LBB195_2418
.LBB195_2417:
	s_mov_b64 s[8:9], -1
                                        ; implicit-def: $vgpr34
.LBB195_2418:
	s_mov_b64 s[14:15], 0
.LBB195_2419:
	s_and_b64 vcc, exec, s[14:15]
	s_cbranch_vccz .LBB195_2423
; %bb.2420:
	v_mov_b32_e32 v3, 29
	v_cmp_eq_u16_sdwa s[8:9], s19, v3 src0_sel:BYTE_0 src1_sel:DWORD
	s_and_b64 vcc, exec, s[8:9]
	s_cbranch_vccz .LBB195_2422
; %bb.2421:
	global_load_dwordx2 v[6:7], v[4:5], off
	s_mov_b64 s[8:9], 0
	s_mov_b64 s[12:13], -1
	s_mov_b64 s[14:15], 0
	s_waitcnt vmcnt(0)
	v_ffbh_u32_e32 v3, v7
	v_min_u32_e32 v3, 32, v3
	v_lshlrev_b64 v[6:7], v3, v[6:7]
	v_min_u32_e32 v6, 1, v6
	v_or_b32_e32 v6, v7, v6
	v_cvt_f32_u32_e32 v6, v6
	v_sub_u32_e32 v3, 32, v3
	v_ldexp_f32 v34, v6, v3
	s_branch .LBB195_2424
.LBB195_2422:
	s_mov_b64 s[8:9], -1
                                        ; implicit-def: $vgpr34
.LBB195_2423:
	s_mov_b64 s[14:15], 0
.LBB195_2424:
	s_and_b64 vcc, exec, s[14:15]
	s_cbranch_vccz .LBB195_2442
; %bb.2425:
	v_mov_b32_e32 v3, 27
	v_cmp_lt_i16_sdwa s[12:13], s19, v3 src0_sel:BYTE_0 src1_sel:DWORD
	s_and_b64 vcc, exec, s[12:13]
	s_cbranch_vccnz .LBB195_2428
; %bb.2426:
	v_cmp_gt_i16_sdwa s[12:13], s19, v3 src0_sel:BYTE_0 src1_sel:DWORD
	s_and_b64 vcc, exec, s[12:13]
	s_cbranch_vccz .LBB195_2429
; %bb.2427:
	global_load_dword v3, v[4:5], off
	s_mov_b64 s[12:13], 0
	s_waitcnt vmcnt(0)
	v_cvt_f32_u32_e32 v34, v3
	s_branch .LBB195_2430
.LBB195_2428:
	s_mov_b64 s[12:13], -1
                                        ; implicit-def: $vgpr34
	s_branch .LBB195_2433
.LBB195_2429:
	s_mov_b64 s[12:13], -1
                                        ; implicit-def: $vgpr34
.LBB195_2430:
	s_andn2_b64 vcc, exec, s[12:13]
	s_cbranch_vccnz .LBB195_2432
; %bb.2431:
	global_load_ushort v3, v[4:5], off
	s_waitcnt vmcnt(0)
	v_cvt_f32_u32_e32 v34, v3
.LBB195_2432:
	s_mov_b64 s[12:13], 0
.LBB195_2433:
	s_andn2_b64 vcc, exec, s[12:13]
	s_cbranch_vccnz .LBB195_2441
; %bb.2434:
	global_load_ubyte v3, v[4:5], off
	s_movk_i32 s12, 0x7f
                                        ; implicit-def: $sgpr21
	s_waitcnt vmcnt(0)
	v_cmp_lt_i16_e32 vcc, s12, v3
	s_mov_b64 s[12:13], 0
	s_and_saveexec_b64 s[14:15], vcc
	s_xor_b64 s[14:15], exec, s[14:15]
	s_cbranch_execz .LBB195_2455
; %bb.2435:
	s_movk_i32 s12, 0x80
	v_cmp_eq_u16_e32 vcc, s12, v3
	s_mov_b64 s[12:13], -1
                                        ; implicit-def: $sgpr21
	s_and_saveexec_b64 s[16:17], vcc
; %bb.2436:
	s_mov_b32 s21, 0x7f800001
	s_xor_b64 s[12:13], exec, -1
; %bb.2437:
	s_or_b64 exec, exec, s[16:17]
	s_and_b64 s[12:13], s[12:13], exec
	s_or_saveexec_b64 s[14:15], s[14:15]
	v_mov_b32_e32 v34, s21
	s_xor_b64 exec, exec, s[14:15]
	s_cbranch_execnz .LBB195_2456
.LBB195_2438:
	s_or_b64 exec, exec, s[14:15]
	s_and_saveexec_b64 s[14:15], s[12:13]
	s_cbranch_execz .LBB195_2440
.LBB195_2439:
	v_lshlrev_b32_e32 v6, 24, v3
	v_and_b32_e32 v3, 0xffff, v3
	v_and_b32_e32 v7, 7, v3
	v_ffbh_u32_e32 v9, v7
	v_min_u32_e32 v9, 32, v9
	v_subrev_u32_e32 v10, 28, v9
	v_bfe_u32 v8, v3, 3, 4
	v_lshlrev_b32_e32 v3, v10, v3
	v_sub_u32_e32 v9, 29, v9
	v_and_b32_e32 v3, 7, v3
	v_cmp_eq_u32_e32 vcc, 0, v8
	v_cndmask_b32_e32 v8, v8, v9, vcc
	v_cndmask_b32_e32 v3, v7, v3, vcc
	v_mov_b32_e32 v7, 0x3b800000
	v_lshlrev_b32_e32 v3, 20, v3
	v_and_b32_e32 v6, 0x80000000, v6
	v_lshl_add_u32 v7, v8, 23, v7
	v_or3_b32 v34, v6, v7, v3
.LBB195_2440:
	s_or_b64 exec, exec, s[14:15]
.LBB195_2441:
	s_mov_b64 s[12:13], -1
.LBB195_2442:
	s_mov_b64 s[14:15], 0
.LBB195_2443:
	s_and_b64 vcc, exec, s[14:15]
	s_cbranch_vccz .LBB195_2476
; %bb.2444:
	v_mov_b32_e32 v3, 22
	v_cmp_gt_i16_sdwa s[10:11], s19, v3 src0_sel:BYTE_0 src1_sel:DWORD
	s_and_b64 vcc, exec, s[10:11]
	s_cbranch_vccz .LBB195_2454
; %bb.2445:
	v_mov_b32_e32 v3, 24
	v_cmp_lt_i16_sdwa s[10:11], s19, v3 src0_sel:BYTE_0 src1_sel:DWORD
	s_and_b64 vcc, exec, s[10:11]
	s_cbranch_vccnz .LBB195_2457
; %bb.2446:
	v_cmp_gt_i16_sdwa s[10:11], s19, v3 src0_sel:BYTE_0 src1_sel:DWORD
	s_and_b64 vcc, exec, s[10:11]
	s_cbranch_vccz .LBB195_2458
; %bb.2447:
	global_load_ubyte v3, v[4:5], off
	s_movk_i32 s10, 0x7f
                                        ; implicit-def: $sgpr16
	s_waitcnt vmcnt(0)
	v_cmp_lt_i16_e32 vcc, s10, v3
	s_mov_b64 s[10:11], 0
	s_and_saveexec_b64 s[12:13], vcc
	s_xor_b64 s[12:13], exec, s[12:13]
	s_cbranch_execz .LBB195_2470
; %bb.2448:
	s_movk_i32 s10, 0x80
	v_cmp_eq_u16_e32 vcc, s10, v3
	s_mov_b64 s[10:11], -1
                                        ; implicit-def: $sgpr16
	s_and_saveexec_b64 s[14:15], vcc
; %bb.2449:
	s_mov_b32 s16, 0x7f800001
	s_xor_b64 s[10:11], exec, -1
; %bb.2450:
	s_or_b64 exec, exec, s[14:15]
	s_and_b64 s[10:11], s[10:11], exec
	s_or_saveexec_b64 s[12:13], s[12:13]
	v_mov_b32_e32 v34, s16
	s_xor_b64 exec, exec, s[12:13]
	s_cbranch_execnz .LBB195_2471
.LBB195_2451:
	s_or_b64 exec, exec, s[12:13]
	s_and_saveexec_b64 s[12:13], s[10:11]
	s_cbranch_execz .LBB195_2453
.LBB195_2452:
	v_lshlrev_b32_e32 v6, 24, v3
	v_and_b32_e32 v3, 0xffff, v3
	v_and_b32_e32 v7, 3, v3
	v_ffbh_u32_e32 v9, v7
	v_min_u32_e32 v9, 32, v9
	v_subrev_u32_e32 v10, 29, v9
	v_bfe_u32 v8, v3, 2, 5
	v_lshlrev_b32_e32 v3, v10, v3
	v_sub_u32_e32 v9, 30, v9
	v_and_b32_e32 v3, 3, v3
	v_cmp_eq_u32_e32 vcc, 0, v8
	v_cndmask_b32_e32 v8, v8, v9, vcc
	v_cndmask_b32_e32 v3, v7, v3, vcc
	v_mov_b32_e32 v7, 0x37800000
	v_lshlrev_b32_e32 v3, 21, v3
	v_and_b32_e32 v6, 0x80000000, v6
	v_lshl_add_u32 v7, v8, 23, v7
	v_or3_b32 v34, v6, v7, v3
.LBB195_2453:
	s_or_b64 exec, exec, s[12:13]
	s_mov_b64 s[10:11], 0
	s_branch .LBB195_2459
.LBB195_2454:
	s_mov_b64 s[10:11], -1
                                        ; implicit-def: $vgpr34
	s_branch .LBB195_2465
.LBB195_2455:
	s_or_saveexec_b64 s[14:15], s[14:15]
	v_mov_b32_e32 v34, s21
	s_xor_b64 exec, exec, s[14:15]
	s_cbranch_execz .LBB195_2438
.LBB195_2456:
	v_cmp_ne_u16_e32 vcc, 0, v3
	s_andn2_b64 s[12:13], s[12:13], exec
	s_and_b64 s[16:17], vcc, exec
	v_mov_b32_e32 v34, 0
	s_or_b64 s[12:13], s[12:13], s[16:17]
	s_or_b64 exec, exec, s[14:15]
	s_and_saveexec_b64 s[14:15], s[12:13]
	s_cbranch_execnz .LBB195_2439
	s_branch .LBB195_2440
.LBB195_2457:
	s_mov_b64 s[10:11], -1
                                        ; implicit-def: $vgpr34
	s_branch .LBB195_2462
.LBB195_2458:
	s_mov_b64 s[10:11], -1
                                        ; implicit-def: $vgpr34
.LBB195_2459:
	s_and_b64 vcc, exec, s[10:11]
	s_cbranch_vccz .LBB195_2461
; %bb.2460:
	global_load_ubyte v3, v[4:5], off
	s_mov_b32 s10, 0x7f800000
	s_waitcnt vmcnt(0)
	v_lshlrev_b32_e32 v3, 24, v3
	v_and_b32_e32 v6, 0x7f000000, v3
	v_ffbh_u32_e32 v7, v6
	v_min_u32_e32 v7, 32, v7
	v_sub_u32_e64 v7, v7, 4 clamp
	v_lshlrev_b32_e32 v9, v7, v6
	v_lshlrev_b32_e32 v7, 23, v7
	v_lshrrev_b32_e32 v9, 4, v9
	v_add_u32_e32 v8, 0x1000000, v6
	v_sub_u32_e32 v7, v9, v7
	v_ashrrev_i32_e32 v8, 8, v8
	v_add_u32_e32 v7, 0x3c000000, v7
	v_and_or_b32 v7, v8, s10, v7
	v_cmp_ne_u32_e32 vcc, 0, v6
	v_cndmask_b32_e32 v6, 0, v7, vcc
	s_brev_b32 s10, 1
	v_and_or_b32 v34, v3, s10, v6
.LBB195_2461:
	s_mov_b64 s[10:11], 0
.LBB195_2462:
	s_andn2_b64 vcc, exec, s[10:11]
	s_cbranch_vccnz .LBB195_2464
; %bb.2463:
	global_load_ubyte v3, v[4:5], off
	s_movk_i32 s10, 0x7f00
	s_brev_b32 s11, 16
	s_waitcnt vmcnt(0)
	v_lshlrev_b16_e32 v6, 8, v3
	v_lshlrev_b32_e32 v3, 25, v3
	v_lshrrev_b32_e32 v7, 4, v3
	v_and_or_b32 v8, v6, s10, 0.5
	v_or_b32_e32 v7, 0x70000000, v7
	v_add_f32_e32 v8, -0.5, v8
	v_mul_f32_e32 v7, 0x7800000, v7
	v_cmp_gt_u32_e32 vcc, s11, v3
	v_bfe_i32 v6, v6, 0, 16
	v_cndmask_b32_e32 v3, v7, v8, vcc
	s_brev_b32 s10, 1
	v_and_or_b32 v34, v6, s10, v3
.LBB195_2464:
	s_mov_b64 s[10:11], 0
	s_mov_b64 s[12:13], -1
.LBB195_2465:
	s_andn2_b64 vcc, exec, s[10:11]
	s_mov_b64 s[10:11], 0
	s_cbranch_vccnz .LBB195_2476
; %bb.2466:
	v_mov_b32_e32 v3, 14
	v_cmp_gt_i16_sdwa s[10:11], s19, v3 src0_sel:BYTE_0 src1_sel:DWORD
	s_and_b64 vcc, exec, s[10:11]
	s_cbranch_vccz .LBB195_2469
; %bb.2467:
	v_mov_b32_e32 v3, 15
	v_cmp_eq_u16_sdwa s[8:9], s19, v3 src0_sel:BYTE_0 src1_sel:DWORD
	s_and_b64 vcc, exec, s[8:9]
	s_cbranch_vccz .LBB195_2472
; %bb.2468:
	global_load_ushort v3, v[4:5], off
	s_mov_b64 s[8:9], 0
	s_mov_b64 s[12:13], -1
	s_waitcnt vmcnt(0)
	v_lshlrev_b32_e32 v34, 16, v3
	s_branch .LBB195_2473
.LBB195_2469:
	s_mov_b64 s[14:15], -1
                                        ; implicit-def: $vgpr34
	s_branch .LBB195_2474
.LBB195_2470:
	s_or_saveexec_b64 s[12:13], s[12:13]
	v_mov_b32_e32 v34, s16
	s_xor_b64 exec, exec, s[12:13]
	s_cbranch_execz .LBB195_2451
.LBB195_2471:
	v_cmp_ne_u16_e32 vcc, 0, v3
	s_andn2_b64 s[10:11], s[10:11], exec
	s_and_b64 s[14:15], vcc, exec
	v_mov_b32_e32 v34, 0
	s_or_b64 s[10:11], s[10:11], s[14:15]
	s_or_b64 exec, exec, s[12:13]
	s_and_saveexec_b64 s[12:13], s[10:11]
	s_cbranch_execnz .LBB195_2452
	s_branch .LBB195_2453
.LBB195_2472:
	s_mov_b64 s[8:9], -1
                                        ; implicit-def: $vgpr34
.LBB195_2473:
	s_mov_b64 s[14:15], 0
.LBB195_2474:
	s_mov_b64 s[10:11], 0
	s_and_b64 vcc, exec, s[14:15]
	s_cbranch_vccz .LBB195_2476
; %bb.2475:
	v_mov_b32_e32 v3, 11
	v_cmp_ne_u16_sdwa s[8:9], s19, v3 src0_sel:BYTE_0 src1_sel:DWORD
	s_mov_b64 s[10:11], -1
                                        ; implicit-def: $vgpr34
.LBB195_2476:
	s_and_b64 vcc, exec, s[8:9]
	s_cbranch_vccnz .LBB195_2541
; %bb.2477:
	s_andn2_b64 vcc, exec, s[10:11]
	s_cbranch_vccnz .LBB195_2479
.LBB195_2478:
	global_load_ubyte v3, v[4:5], off
	s_mov_b64 s[12:13], -1
	s_waitcnt vmcnt(0)
	v_cmp_ne_u16_e32 vcc, 0, v3
	v_cndmask_b32_e64 v34, 0, 1.0, vcc
.LBB195_2479:
	s_mov_b64 s[8:9], 0
.LBB195_2480:
	s_and_b64 vcc, exec, s[8:9]
	s_cbranch_vccz .LBB195_2529
; %bb.2481:
	v_mov_b32_e32 v3, 5
	v_cmp_lt_i16_sdwa s[8:9], s19, v3 src0_sel:BYTE_0 src1_sel:DWORD
	s_and_b64 vcc, exec, s[8:9]
	s_cbranch_vccnz .LBB195_2486
; %bb.2482:
	v_mov_b32_e32 v3, 8
	v_cmp_lt_i16_sdwa s[8:9], s19, v3 src0_sel:BYTE_0 src1_sel:DWORD
	s_and_b64 vcc, exec, s[8:9]
	s_cbranch_vccnz .LBB195_2487
	;; [unrolled: 5-line block ×3, first 2 shown]
; %bb.2484:
	v_cmp_gt_i16_sdwa s[8:9], s19, v3 src0_sel:BYTE_0 src1_sel:DWORD
	s_and_b64 vcc, exec, s[8:9]
	s_cbranch_vccz .LBB195_2489
; %bb.2485:
	global_load_dwordx2 v[6:7], v[4:5], off
	s_mov_b64 s[8:9], 0
	s_waitcnt vmcnt(0)
	v_cvt_f32_f64_e32 v34, v[6:7]
	s_branch .LBB195_2490
.LBB195_2486:
	s_mov_b64 s[8:9], -1
                                        ; implicit-def: $vgpr34
	s_branch .LBB195_2508
.LBB195_2487:
	s_mov_b64 s[8:9], -1
                                        ; implicit-def: $vgpr34
	s_branch .LBB195_2496
.LBB195_2488:
	s_mov_b64 s[8:9], -1
                                        ; implicit-def: $vgpr34
	s_branch .LBB195_2493
.LBB195_2489:
	s_mov_b64 s[8:9], -1
                                        ; implicit-def: $vgpr34
.LBB195_2490:
	s_andn2_b64 vcc, exec, s[8:9]
	s_cbranch_vccnz .LBB195_2492
; %bb.2491:
	global_load_dword v34, v[4:5], off
.LBB195_2492:
	s_mov_b64 s[8:9], 0
.LBB195_2493:
	s_andn2_b64 vcc, exec, s[8:9]
	s_cbranch_vccnz .LBB195_2495
; %bb.2494:
	global_load_dword v3, v[4:5], off
	s_waitcnt vmcnt(0)
	v_cvt_f32_f16_e32 v34, v3
.LBB195_2495:
	s_mov_b64 s[8:9], 0
.LBB195_2496:
	s_andn2_b64 vcc, exec, s[8:9]
	s_cbranch_vccnz .LBB195_2507
; %bb.2497:
	v_mov_b32_e32 v3, 6
	v_cmp_lt_i16_sdwa s[8:9], s19, v3 src0_sel:BYTE_0 src1_sel:DWORD
	s_and_b64 vcc, exec, s[8:9]
	s_cbranch_vccnz .LBB195_2500
; %bb.2498:
	v_cmp_gt_i16_sdwa s[8:9], s19, v3 src0_sel:BYTE_0 src1_sel:DWORD
	s_and_b64 vcc, exec, s[8:9]
	s_cbranch_vccz .LBB195_2501
; %bb.2499:
	global_load_dwordx2 v[6:7], v[4:5], off
	s_mov_b64 s[8:9], 0
	s_waitcnt vmcnt(0)
	v_cvt_f32_f64_e32 v34, v[6:7]
	s_branch .LBB195_2502
.LBB195_2500:
	s_mov_b64 s[8:9], -1
                                        ; implicit-def: $vgpr34
	s_branch .LBB195_2505
.LBB195_2501:
	s_mov_b64 s[8:9], -1
                                        ; implicit-def: $vgpr34
.LBB195_2502:
	s_andn2_b64 vcc, exec, s[8:9]
	s_cbranch_vccnz .LBB195_2504
; %bb.2503:
	global_load_dword v34, v[4:5], off
.LBB195_2504:
	s_mov_b64 s[8:9], 0
.LBB195_2505:
	s_andn2_b64 vcc, exec, s[8:9]
	s_cbranch_vccnz .LBB195_2507
; %bb.2506:
	global_load_ushort v3, v[4:5], off
	s_waitcnt vmcnt(0)
	v_cvt_f32_f16_e32 v34, v3
.LBB195_2507:
	s_mov_b64 s[8:9], 0
.LBB195_2508:
	s_andn2_b64 vcc, exec, s[8:9]
	s_cbranch_vccnz .LBB195_2528
; %bb.2509:
	v_mov_b32_e32 v3, 2
	v_cmp_lt_i16_sdwa s[8:9], s19, v3 src0_sel:BYTE_0 src1_sel:DWORD
	s_and_b64 vcc, exec, s[8:9]
	s_cbranch_vccnz .LBB195_2513
; %bb.2510:
	v_mov_b32_e32 v3, 3
	v_cmp_lt_i16_sdwa s[8:9], s19, v3 src0_sel:BYTE_0 src1_sel:DWORD
	s_and_b64 vcc, exec, s[8:9]
	s_cbranch_vccnz .LBB195_2514
; %bb.2511:
	v_cmp_gt_i16_sdwa s[8:9], s19, v3 src0_sel:BYTE_0 src1_sel:DWORD
	s_and_b64 vcc, exec, s[8:9]
	s_cbranch_vccz .LBB195_2515
; %bb.2512:
	global_load_dwordx2 v[6:7], v[4:5], off
	s_mov_b64 s[8:9], 0
	s_waitcnt vmcnt(0)
	v_xor_b32_e32 v8, v6, v7
	v_ffbh_i32_e32 v3, v7
	v_ashrrev_i32_e32 v8, 31, v8
	v_add_u32_e32 v3, -1, v3
	v_add_u32_e32 v8, 32, v8
	v_min_u32_e32 v3, v3, v8
	v_lshlrev_b64 v[6:7], v3, v[6:7]
	v_min_u32_e32 v6, 1, v6
	v_or_b32_e32 v6, v7, v6
	v_cvt_f32_i32_e32 v6, v6
	v_sub_u32_e32 v3, 32, v3
	v_ldexp_f32 v34, v6, v3
	s_branch .LBB195_2516
.LBB195_2513:
	s_mov_b64 s[8:9], -1
                                        ; implicit-def: $vgpr34
	s_branch .LBB195_2522
.LBB195_2514:
	s_mov_b64 s[8:9], -1
                                        ; implicit-def: $vgpr34
	s_branch .LBB195_2519
.LBB195_2515:
	s_mov_b64 s[8:9], -1
                                        ; implicit-def: $vgpr34
.LBB195_2516:
	s_andn2_b64 vcc, exec, s[8:9]
	s_cbranch_vccnz .LBB195_2518
; %bb.2517:
	global_load_dword v3, v[4:5], off
	s_waitcnt vmcnt(0)
	v_cvt_f32_i32_e32 v34, v3
.LBB195_2518:
	s_mov_b64 s[8:9], 0
.LBB195_2519:
	s_andn2_b64 vcc, exec, s[8:9]
	s_cbranch_vccnz .LBB195_2521
; %bb.2520:
	global_load_sshort v3, v[4:5], off
	s_waitcnt vmcnt(0)
	v_cvt_f32_i32_e32 v34, v3
.LBB195_2521:
	s_mov_b64 s[8:9], 0
.LBB195_2522:
	s_andn2_b64 vcc, exec, s[8:9]
	s_cbranch_vccnz .LBB195_2528
; %bb.2523:
	v_mov_b32_e32 v3, 0
	v_cmp_gt_i16_sdwa s[8:9], s19, v3 src0_sel:BYTE_0 src1_sel:DWORD
	s_and_b64 vcc, exec, s[8:9]
	s_cbranch_vccz .LBB195_2525
; %bb.2524:
	global_load_sbyte v3, v[4:5], off
	s_mov_b64 s[8:9], 0
	s_waitcnt vmcnt(0)
	v_cvt_f32_i32_e32 v34, v3
	s_branch .LBB195_2526
.LBB195_2525:
	s_mov_b64 s[8:9], -1
                                        ; implicit-def: $vgpr34
.LBB195_2526:
	s_andn2_b64 vcc, exec, s[8:9]
	s_cbranch_vccnz .LBB195_2528
; %bb.2527:
	global_load_ubyte v3, v[4:5], off
	s_waitcnt vmcnt(0)
	v_cvt_f32_ubyte0_e32 v34, v3
.LBB195_2528:
	s_mov_b64 s[12:13], -1
.LBB195_2529:
	s_andn2_b64 vcc, exec, s[12:13]
	s_cbranch_vccnz .LBB195_3113
; %bb.2530:
	v_mov_b32_e32 v3, s5
	v_add_co_u32_e32 v2, vcc, s4, v2
	v_addc_co_u32_e32 v3, vcc, 0, v3, vcc
	s_and_b64 vcc, exec, s[6:7]
	s_cbranch_vccnz .LBB195_2537
; %bb.2531:
	v_cmp_gt_i16_e64 s[4:5], s20, 25
	s_mov_b64 s[6:7], 0
	s_and_b64 vcc, exec, s[4:5]
	s_cbranch_vccz .LBB195_2538
; %bb.2532:
	v_cmp_gt_i16_e64 s[4:5], s20, 28
	s_and_b64 vcc, exec, s[4:5]
	s_cbranch_vccz .LBB195_2539
; %bb.2533:
	v_cmp_gt_i16_e64 s[4:5], s20, 43
	;; [unrolled: 4-line block ×3, first 2 shown]
	s_and_b64 vcc, exec, s[4:5]
	s_cbranch_vccz .LBB195_2542
; %bb.2535:
	v_cmp_eq_u16_e64 s[4:5], s20, 46
	s_mov_b64 s[10:11], 0
	s_and_b64 vcc, exec, s[4:5]
	s_cbranch_vccz .LBB195_2543
; %bb.2536:
	global_load_dword v4, v[2:3], off
	s_mov_b64 s[4:5], 0
	s_mov_b64 s[8:9], -1
	s_waitcnt vmcnt(0)
	v_lshlrev_b32_e32 v35, 16, v4
	s_branch .LBB195_2544
.LBB195_2537:
	s_mov_b64 s[4:5], -1
	s_mov_b64 s[8:9], 0
                                        ; implicit-def: $vgpr35
	s_branch .LBB195_2610
.LBB195_2538:
	s_mov_b64 s[10:11], -1
	s_mov_b64 s[8:9], 0
	s_mov_b64 s[4:5], 0
                                        ; implicit-def: $vgpr35
	s_branch .LBB195_2573
.LBB195_2539:
	s_mov_b64 s[10:11], -1
	s_mov_b64 s[8:9], 0
	s_mov_b64 s[4:5], 0
                                        ; implicit-def: $vgpr35
	s_branch .LBB195_2554
.LBB195_2540:
	s_mov_b64 s[10:11], -1
	s_mov_b64 s[8:9], 0
	s_mov_b64 s[4:5], 0
                                        ; implicit-def: $vgpr35
	s_branch .LBB195_2549
.LBB195_2541:
	s_trap 2
	s_or_b64 s[34:35], s[34:35], exec
                                        ; implicit-def: $vgpr34
	s_cbranch_execz .LBB195_2478
	s_branch .LBB195_2479
.LBB195_2542:
	s_mov_b64 s[10:11], -1
	s_mov_b64 s[8:9], 0
	s_mov_b64 s[4:5], 0
                                        ; implicit-def: $vgpr35
	s_branch .LBB195_2544
.LBB195_2543:
	s_mov_b64 s[4:5], -1
                                        ; implicit-def: $vgpr35
	s_mov_b64 s[8:9], 0
.LBB195_2544:
	s_and_b64 vcc, exec, s[10:11]
	s_cbranch_vccz .LBB195_2548
; %bb.2545:
	v_cmp_eq_u16_e64 s[4:5], s20, 44
	s_and_b64 vcc, exec, s[4:5]
	s_cbranch_vccz .LBB195_2547
; %bb.2546:
	global_load_ubyte v4, v[2:3], off
	s_movk_i32 s8, 0xff
	v_mov_b32_e32 v5, 0x7f800001
	v_mov_b32_e32 v6, 0x400000
	s_mov_b64 s[4:5], 0
	s_waitcnt vmcnt(0)
	v_lshlrev_b32_e32 v7, 23, v4
	v_cmp_ne_u32_e32 vcc, s8, v4
	v_cndmask_b32_e32 v5, v5, v7, vcc
	v_cmp_ne_u32_e32 vcc, 0, v4
	v_cndmask_b32_e32 v35, v6, v5, vcc
	s_mov_b64 s[8:9], -1
	s_branch .LBB195_2548
.LBB195_2547:
	s_mov_b64 s[4:5], -1
                                        ; implicit-def: $vgpr35
.LBB195_2548:
	s_mov_b64 s[10:11], 0
.LBB195_2549:
	s_and_b64 vcc, exec, s[10:11]
	s_cbranch_vccz .LBB195_2553
; %bb.2550:
	v_cmp_eq_u16_e64 s[4:5], s20, 29
	s_and_b64 vcc, exec, s[4:5]
	s_cbranch_vccz .LBB195_2552
; %bb.2551:
	global_load_dwordx2 v[4:5], v[2:3], off
	s_mov_b64 s[4:5], 0
	s_mov_b64 s[8:9], -1
	s_mov_b64 s[10:11], 0
	s_waitcnt vmcnt(0)
	v_ffbh_u32_e32 v6, v5
	v_min_u32_e32 v6, 32, v6
	v_lshlrev_b64 v[4:5], v6, v[4:5]
	v_min_u32_e32 v4, 1, v4
	v_or_b32_e32 v4, v5, v4
	v_cvt_f32_u32_e32 v4, v4
	v_sub_u32_e32 v5, 32, v6
	v_ldexp_f32 v35, v4, v5
	s_branch .LBB195_2554
.LBB195_2552:
	s_mov_b64 s[4:5], -1
                                        ; implicit-def: $vgpr35
.LBB195_2553:
	s_mov_b64 s[10:11], 0
.LBB195_2554:
	s_and_b64 vcc, exec, s[10:11]
	s_cbranch_vccz .LBB195_2572
; %bb.2555:
	v_cmp_lt_i16_e64 s[8:9], s20, 27
	s_and_b64 vcc, exec, s[8:9]
	s_cbranch_vccnz .LBB195_2558
; %bb.2556:
	v_cmp_gt_i16_e64 s[8:9], s20, 27
	s_and_b64 vcc, exec, s[8:9]
	s_cbranch_vccz .LBB195_2559
; %bb.2557:
	global_load_dword v4, v[2:3], off
	s_mov_b64 s[8:9], 0
	s_waitcnt vmcnt(0)
	v_cvt_f32_u32_e32 v35, v4
	s_branch .LBB195_2560
.LBB195_2558:
	s_mov_b64 s[8:9], -1
                                        ; implicit-def: $vgpr35
	s_branch .LBB195_2563
.LBB195_2559:
	s_mov_b64 s[8:9], -1
                                        ; implicit-def: $vgpr35
.LBB195_2560:
	s_andn2_b64 vcc, exec, s[8:9]
	s_cbranch_vccnz .LBB195_2562
; %bb.2561:
	global_load_ushort v4, v[2:3], off
	s_waitcnt vmcnt(0)
	v_cvt_f32_u32_e32 v35, v4
.LBB195_2562:
	s_mov_b64 s[8:9], 0
.LBB195_2563:
	s_andn2_b64 vcc, exec, s[8:9]
	s_cbranch_vccnz .LBB195_2571
; %bb.2564:
	global_load_ubyte v4, v[2:3], off
	s_movk_i32 s8, 0x7f
                                        ; implicit-def: $sgpr14
	s_waitcnt vmcnt(0)
	v_cmp_lt_i16_e32 vcc, s8, v4
	s_mov_b64 s[8:9], 0
	s_and_saveexec_b64 s[10:11], vcc
	s_xor_b64 s[10:11], exec, s[10:11]
	s_cbranch_execz .LBB195_2585
; %bb.2565:
	s_movk_i32 s8, 0x80
	v_cmp_eq_u16_e32 vcc, s8, v4
	s_mov_b64 s[8:9], -1
                                        ; implicit-def: $sgpr14
	s_and_saveexec_b64 s[12:13], vcc
; %bb.2566:
	s_mov_b32 s14, 0x7f800001
	s_xor_b64 s[8:9], exec, -1
; %bb.2567:
	s_or_b64 exec, exec, s[12:13]
	s_and_b64 s[8:9], s[8:9], exec
	s_or_saveexec_b64 s[10:11], s[10:11]
	v_mov_b32_e32 v35, s14
	s_xor_b64 exec, exec, s[10:11]
	s_cbranch_execnz .LBB195_2586
.LBB195_2568:
	s_or_b64 exec, exec, s[10:11]
	s_and_saveexec_b64 s[10:11], s[8:9]
	s_cbranch_execz .LBB195_2570
.LBB195_2569:
	v_lshlrev_b32_e32 v5, 24, v4
	v_and_b32_e32 v4, 0xffff, v4
	v_and_b32_e32 v6, 7, v4
	v_ffbh_u32_e32 v8, v6
	v_min_u32_e32 v8, 32, v8
	v_subrev_u32_e32 v9, 28, v8
	v_bfe_u32 v7, v4, 3, 4
	v_lshlrev_b32_e32 v4, v9, v4
	v_sub_u32_e32 v8, 29, v8
	v_and_b32_e32 v4, 7, v4
	v_cmp_eq_u32_e32 vcc, 0, v7
	v_cndmask_b32_e32 v7, v7, v8, vcc
	v_cndmask_b32_e32 v4, v6, v4, vcc
	v_mov_b32_e32 v6, 0x3b800000
	v_lshlrev_b32_e32 v4, 20, v4
	v_and_b32_e32 v5, 0x80000000, v5
	v_lshl_add_u32 v6, v7, 23, v6
	v_or3_b32 v35, v5, v6, v4
.LBB195_2570:
	s_or_b64 exec, exec, s[10:11]
.LBB195_2571:
	s_mov_b64 s[8:9], -1
.LBB195_2572:
	s_mov_b64 s[10:11], 0
.LBB195_2573:
	s_and_b64 vcc, exec, s[10:11]
	s_cbranch_vccz .LBB195_2606
; %bb.2574:
	v_cmp_gt_i16_e64 s[6:7], s20, 22
	s_and_b64 vcc, exec, s[6:7]
	s_cbranch_vccz .LBB195_2584
; %bb.2575:
	v_cmp_lt_i16_e64 s[6:7], s20, 24
	s_and_b64 vcc, exec, s[6:7]
	s_cbranch_vccnz .LBB195_2587
; %bb.2576:
	v_cmp_gt_i16_e64 s[6:7], s20, 24
	s_and_b64 vcc, exec, s[6:7]
	s_cbranch_vccz .LBB195_2588
; %bb.2577:
	global_load_ubyte v4, v[2:3], off
	s_movk_i32 s6, 0x7f
                                        ; implicit-def: $sgpr12
	s_waitcnt vmcnt(0)
	v_cmp_lt_i16_e32 vcc, s6, v4
	s_mov_b64 s[6:7], 0
	s_and_saveexec_b64 s[8:9], vcc
	s_xor_b64 s[8:9], exec, s[8:9]
	s_cbranch_execz .LBB195_2600
; %bb.2578:
	s_movk_i32 s6, 0x80
	v_cmp_eq_u16_e32 vcc, s6, v4
	s_mov_b64 s[6:7], -1
                                        ; implicit-def: $sgpr12
	s_and_saveexec_b64 s[10:11], vcc
; %bb.2579:
	s_mov_b32 s12, 0x7f800001
	s_xor_b64 s[6:7], exec, -1
; %bb.2580:
	s_or_b64 exec, exec, s[10:11]
	s_and_b64 s[6:7], s[6:7], exec
	s_or_saveexec_b64 s[8:9], s[8:9]
	v_mov_b32_e32 v35, s12
	s_xor_b64 exec, exec, s[8:9]
	s_cbranch_execnz .LBB195_2601
.LBB195_2581:
	s_or_b64 exec, exec, s[8:9]
	s_and_saveexec_b64 s[8:9], s[6:7]
	s_cbranch_execz .LBB195_2583
.LBB195_2582:
	v_lshlrev_b32_e32 v5, 24, v4
	v_and_b32_e32 v4, 0xffff, v4
	v_and_b32_e32 v6, 3, v4
	v_ffbh_u32_e32 v8, v6
	v_min_u32_e32 v8, 32, v8
	v_subrev_u32_e32 v9, 29, v8
	v_bfe_u32 v7, v4, 2, 5
	v_lshlrev_b32_e32 v4, v9, v4
	v_sub_u32_e32 v8, 30, v8
	v_and_b32_e32 v4, 3, v4
	v_cmp_eq_u32_e32 vcc, 0, v7
	v_cndmask_b32_e32 v7, v7, v8, vcc
	v_cndmask_b32_e32 v4, v6, v4, vcc
	v_mov_b32_e32 v6, 0x37800000
	v_lshlrev_b32_e32 v4, 21, v4
	v_and_b32_e32 v5, 0x80000000, v5
	v_lshl_add_u32 v6, v7, 23, v6
	v_or3_b32 v35, v5, v6, v4
.LBB195_2583:
	s_or_b64 exec, exec, s[8:9]
	s_mov_b64 s[6:7], 0
	s_branch .LBB195_2589
.LBB195_2584:
	s_mov_b64 s[6:7], -1
                                        ; implicit-def: $vgpr35
	s_branch .LBB195_2595
.LBB195_2585:
	s_or_saveexec_b64 s[10:11], s[10:11]
	v_mov_b32_e32 v35, s14
	s_xor_b64 exec, exec, s[10:11]
	s_cbranch_execz .LBB195_2568
.LBB195_2586:
	v_cmp_ne_u16_e32 vcc, 0, v4
	s_andn2_b64 s[8:9], s[8:9], exec
	s_and_b64 s[12:13], vcc, exec
	v_mov_b32_e32 v35, 0
	s_or_b64 s[8:9], s[8:9], s[12:13]
	s_or_b64 exec, exec, s[10:11]
	s_and_saveexec_b64 s[10:11], s[8:9]
	s_cbranch_execnz .LBB195_2569
	s_branch .LBB195_2570
.LBB195_2587:
	s_mov_b64 s[6:7], -1
                                        ; implicit-def: $vgpr35
	s_branch .LBB195_2592
.LBB195_2588:
	s_mov_b64 s[6:7], -1
                                        ; implicit-def: $vgpr35
.LBB195_2589:
	s_and_b64 vcc, exec, s[6:7]
	s_cbranch_vccz .LBB195_2591
; %bb.2590:
	global_load_ubyte v4, v[2:3], off
	s_mov_b32 s6, 0x7f800000
	s_waitcnt vmcnt(0)
	v_lshlrev_b32_e32 v4, 24, v4
	v_and_b32_e32 v5, 0x7f000000, v4
	v_ffbh_u32_e32 v6, v5
	v_min_u32_e32 v6, 32, v6
	v_sub_u32_e64 v6, v6, 4 clamp
	v_lshlrev_b32_e32 v8, v6, v5
	v_lshlrev_b32_e32 v6, 23, v6
	v_lshrrev_b32_e32 v8, 4, v8
	v_add_u32_e32 v7, 0x1000000, v5
	v_sub_u32_e32 v6, v8, v6
	v_ashrrev_i32_e32 v7, 8, v7
	v_add_u32_e32 v6, 0x3c000000, v6
	v_and_or_b32 v6, v7, s6, v6
	v_cmp_ne_u32_e32 vcc, 0, v5
	v_cndmask_b32_e32 v5, 0, v6, vcc
	s_brev_b32 s6, 1
	v_and_or_b32 v35, v4, s6, v5
.LBB195_2591:
	s_mov_b64 s[6:7], 0
.LBB195_2592:
	s_andn2_b64 vcc, exec, s[6:7]
	s_cbranch_vccnz .LBB195_2594
; %bb.2593:
	global_load_ubyte v4, v[2:3], off
	s_movk_i32 s6, 0x7f00
	s_brev_b32 s7, 16
	s_waitcnt vmcnt(0)
	v_lshlrev_b16_e32 v5, 8, v4
	v_lshlrev_b32_e32 v4, 25, v4
	v_lshrrev_b32_e32 v6, 4, v4
	v_and_or_b32 v7, v5, s6, 0.5
	v_or_b32_e32 v6, 0x70000000, v6
	v_add_f32_e32 v7, -0.5, v7
	v_mul_f32_e32 v6, 0x7800000, v6
	v_cmp_gt_u32_e32 vcc, s7, v4
	v_bfe_i32 v5, v5, 0, 16
	v_cndmask_b32_e32 v4, v6, v7, vcc
	s_brev_b32 s6, 1
	v_and_or_b32 v35, v5, s6, v4
.LBB195_2594:
	s_mov_b64 s[6:7], 0
	s_mov_b64 s[8:9], -1
.LBB195_2595:
	s_andn2_b64 vcc, exec, s[6:7]
	s_mov_b64 s[6:7], 0
	s_cbranch_vccnz .LBB195_2606
; %bb.2596:
	v_cmp_gt_i16_e64 s[6:7], s20, 14
	s_and_b64 vcc, exec, s[6:7]
	s_cbranch_vccz .LBB195_2599
; %bb.2597:
	v_cmp_eq_u16_e64 s[4:5], s20, 15
	s_and_b64 vcc, exec, s[4:5]
	s_cbranch_vccz .LBB195_2602
; %bb.2598:
	global_load_ushort v4, v[2:3], off
	s_mov_b64 s[4:5], 0
	s_mov_b64 s[8:9], -1
	s_waitcnt vmcnt(0)
	v_lshlrev_b32_e32 v35, 16, v4
	s_branch .LBB195_2603
.LBB195_2599:
	s_mov_b64 s[10:11], -1
                                        ; implicit-def: $vgpr35
	s_branch .LBB195_2604
.LBB195_2600:
	s_or_saveexec_b64 s[8:9], s[8:9]
	v_mov_b32_e32 v35, s12
	s_xor_b64 exec, exec, s[8:9]
	s_cbranch_execz .LBB195_2581
.LBB195_2601:
	v_cmp_ne_u16_e32 vcc, 0, v4
	s_andn2_b64 s[6:7], s[6:7], exec
	s_and_b64 s[10:11], vcc, exec
	v_mov_b32_e32 v35, 0
	s_or_b64 s[6:7], s[6:7], s[10:11]
	s_or_b64 exec, exec, s[8:9]
	s_and_saveexec_b64 s[8:9], s[6:7]
	s_cbranch_execnz .LBB195_2582
	s_branch .LBB195_2583
.LBB195_2602:
	s_mov_b64 s[4:5], -1
                                        ; implicit-def: $vgpr35
.LBB195_2603:
	s_mov_b64 s[10:11], 0
.LBB195_2604:
	s_mov_b64 s[6:7], 0
	s_and_b64 vcc, exec, s[10:11]
	s_cbranch_vccz .LBB195_2606
; %bb.2605:
	v_cmp_ne_u16_e64 s[4:5], s20, 11
	s_mov_b64 s[6:7], -1
                                        ; implicit-def: $vgpr35
.LBB195_2606:
	s_and_b64 vcc, exec, s[4:5]
	s_cbranch_vccnz .LBB195_2670
; %bb.2607:
	s_andn2_b64 vcc, exec, s[6:7]
	s_cbranch_vccnz .LBB195_2609
.LBB195_2608:
	global_load_ubyte v4, v[2:3], off
	s_mov_b64 s[8:9], -1
	s_waitcnt vmcnt(0)
	v_cmp_ne_u16_e32 vcc, 0, v4
	v_cndmask_b32_e64 v35, 0, 1.0, vcc
.LBB195_2609:
	s_mov_b64 s[4:5], 0
.LBB195_2610:
	s_and_b64 vcc, exec, s[4:5]
	s_cbranch_vccz .LBB195_2659
; %bb.2611:
	v_cmp_lt_i16_e64 s[4:5], s20, 5
	s_and_b64 vcc, exec, s[4:5]
	s_cbranch_vccnz .LBB195_2616
; %bb.2612:
	v_cmp_lt_i16_e64 s[4:5], s20, 8
	s_and_b64 vcc, exec, s[4:5]
	s_cbranch_vccnz .LBB195_2617
	;; [unrolled: 4-line block ×3, first 2 shown]
; %bb.2614:
	v_cmp_gt_i16_e64 s[4:5], s20, 9
	s_and_b64 vcc, exec, s[4:5]
	s_cbranch_vccz .LBB195_2619
; %bb.2615:
	global_load_dwordx2 v[4:5], v[2:3], off
	s_mov_b64 s[4:5], 0
	s_waitcnt vmcnt(0)
	v_cvt_f32_f64_e32 v35, v[4:5]
	s_branch .LBB195_2620
.LBB195_2616:
	s_mov_b64 s[4:5], -1
                                        ; implicit-def: $vgpr35
	s_branch .LBB195_2638
.LBB195_2617:
	s_mov_b64 s[4:5], -1
                                        ; implicit-def: $vgpr35
	s_branch .LBB195_2626
.LBB195_2618:
	s_mov_b64 s[4:5], -1
                                        ; implicit-def: $vgpr35
	s_branch .LBB195_2623
.LBB195_2619:
	s_mov_b64 s[4:5], -1
                                        ; implicit-def: $vgpr35
.LBB195_2620:
	s_andn2_b64 vcc, exec, s[4:5]
	s_cbranch_vccnz .LBB195_2622
; %bb.2621:
	global_load_dword v35, v[2:3], off
.LBB195_2622:
	s_mov_b64 s[4:5], 0
.LBB195_2623:
	s_andn2_b64 vcc, exec, s[4:5]
	s_cbranch_vccnz .LBB195_2625
; %bb.2624:
	global_load_dword v4, v[2:3], off
	s_waitcnt vmcnt(0)
	v_cvt_f32_f16_e32 v35, v4
.LBB195_2625:
	s_mov_b64 s[4:5], 0
.LBB195_2626:
	s_andn2_b64 vcc, exec, s[4:5]
	s_cbranch_vccnz .LBB195_2637
; %bb.2627:
	v_cmp_lt_i16_e64 s[4:5], s20, 6
	s_and_b64 vcc, exec, s[4:5]
	s_cbranch_vccnz .LBB195_2630
; %bb.2628:
	v_cmp_gt_i16_e64 s[4:5], s20, 6
	s_and_b64 vcc, exec, s[4:5]
	s_cbranch_vccz .LBB195_2631
; %bb.2629:
	global_load_dwordx2 v[4:5], v[2:3], off
	s_mov_b64 s[4:5], 0
	s_waitcnt vmcnt(0)
	v_cvt_f32_f64_e32 v35, v[4:5]
	s_branch .LBB195_2632
.LBB195_2630:
	s_mov_b64 s[4:5], -1
                                        ; implicit-def: $vgpr35
	s_branch .LBB195_2635
.LBB195_2631:
	s_mov_b64 s[4:5], -1
                                        ; implicit-def: $vgpr35
.LBB195_2632:
	s_andn2_b64 vcc, exec, s[4:5]
	s_cbranch_vccnz .LBB195_2634
; %bb.2633:
	global_load_dword v35, v[2:3], off
.LBB195_2634:
	s_mov_b64 s[4:5], 0
.LBB195_2635:
	s_andn2_b64 vcc, exec, s[4:5]
	s_cbranch_vccnz .LBB195_2637
; %bb.2636:
	global_load_ushort v4, v[2:3], off
	s_waitcnt vmcnt(0)
	v_cvt_f32_f16_e32 v35, v4
.LBB195_2637:
	s_mov_b64 s[4:5], 0
.LBB195_2638:
	s_andn2_b64 vcc, exec, s[4:5]
	s_cbranch_vccnz .LBB195_2658
; %bb.2639:
	v_cmp_lt_i16_e64 s[4:5], s20, 2
	s_and_b64 vcc, exec, s[4:5]
	s_cbranch_vccnz .LBB195_2643
; %bb.2640:
	v_cmp_lt_i16_e64 s[4:5], s20, 3
	s_and_b64 vcc, exec, s[4:5]
	s_cbranch_vccnz .LBB195_2644
; %bb.2641:
	v_cmp_gt_i16_e64 s[4:5], s20, 3
	s_and_b64 vcc, exec, s[4:5]
	s_cbranch_vccz .LBB195_2645
; %bb.2642:
	global_load_dwordx2 v[4:5], v[2:3], off
	s_mov_b64 s[4:5], 0
	s_waitcnt vmcnt(0)
	v_xor_b32_e32 v7, v4, v5
	v_ffbh_i32_e32 v6, v5
	v_ashrrev_i32_e32 v7, 31, v7
	v_add_u32_e32 v6, -1, v6
	v_add_u32_e32 v7, 32, v7
	v_min_u32_e32 v6, v6, v7
	v_lshlrev_b64 v[4:5], v6, v[4:5]
	v_min_u32_e32 v4, 1, v4
	v_or_b32_e32 v4, v5, v4
	v_cvt_f32_i32_e32 v4, v4
	v_sub_u32_e32 v5, 32, v6
	v_ldexp_f32 v35, v4, v5
	s_branch .LBB195_2646
.LBB195_2643:
	s_mov_b64 s[4:5], -1
                                        ; implicit-def: $vgpr35
	s_branch .LBB195_2652
.LBB195_2644:
	s_mov_b64 s[4:5], -1
                                        ; implicit-def: $vgpr35
	s_branch .LBB195_2649
.LBB195_2645:
	s_mov_b64 s[4:5], -1
                                        ; implicit-def: $vgpr35
.LBB195_2646:
	s_andn2_b64 vcc, exec, s[4:5]
	s_cbranch_vccnz .LBB195_2648
; %bb.2647:
	global_load_dword v4, v[2:3], off
	s_waitcnt vmcnt(0)
	v_cvt_f32_i32_e32 v35, v4
.LBB195_2648:
	s_mov_b64 s[4:5], 0
.LBB195_2649:
	s_andn2_b64 vcc, exec, s[4:5]
	s_cbranch_vccnz .LBB195_2651
; %bb.2650:
	global_load_sshort v4, v[2:3], off
	s_waitcnt vmcnt(0)
	v_cvt_f32_i32_e32 v35, v4
.LBB195_2651:
	s_mov_b64 s[4:5], 0
.LBB195_2652:
	s_andn2_b64 vcc, exec, s[4:5]
	s_cbranch_vccnz .LBB195_2658
; %bb.2653:
	v_cmp_gt_i16_e64 s[4:5], s20, 0
	s_and_b64 vcc, exec, s[4:5]
	s_cbranch_vccz .LBB195_2655
; %bb.2654:
	global_load_sbyte v4, v[2:3], off
	s_mov_b64 s[4:5], 0
	s_waitcnt vmcnt(0)
	v_cvt_f32_i32_e32 v35, v4
	s_branch .LBB195_2656
.LBB195_2655:
	s_mov_b64 s[4:5], -1
                                        ; implicit-def: $vgpr35
.LBB195_2656:
	s_andn2_b64 vcc, exec, s[4:5]
	s_cbranch_vccnz .LBB195_2658
; %bb.2657:
	global_load_ubyte v2, v[2:3], off
	s_waitcnt vmcnt(0)
	v_cvt_f32_ubyte0_e32 v35, v2
.LBB195_2658:
	s_mov_b64 s[8:9], -1
.LBB195_2659:
	s_andn2_b64 vcc, exec, s[8:9]
	s_cbranch_vccnz .LBB195_3113
; %bb.2660:
	s_lshr_b32 s22, s18, 8
	s_getpc_b64 s[4:5]
	s_add_u32 s4, s4, _ZZZZN2at6native33launch_standard_gamma_grad_kernelERNS_18TensorIteratorBaseEENKUlvE_clEvENKUlvE0_clEvENKUlffE_clEff@rel32@lo+4
	s_addc_u32 s5, s5, _ZZZZN2at6native33launch_standard_gamma_grad_kernelERNS_18TensorIteratorBaseEENKUlvE_clEvENKUlvE0_clEvENKUlffE_clEff@rel32@hi+12
	s_swappc_b64 s[30:31], s[4:5]
	v_mov_b32_e32 v1, s25
	v_add_co_u32_e32 v2, vcc, s24, v42
	v_addc_co_u32_e32 v3, vcc, 0, v1, vcc
	v_mov_b32_e32 v1, 11
	v_cmp_lt_i16_sdwa s[4:5], s22, v1 src0_sel:BYTE_0 src1_sel:DWORD
	s_and_b64 vcc, exec, s[4:5]
	s_cbranch_vccnz .LBB195_2667
; %bb.2661:
	v_mov_b32_e32 v1, 25
	v_cmp_gt_i16_sdwa s[4:5], s22, v1 src0_sel:BYTE_0 src1_sel:DWORD
	s_mov_b64 s[10:11], -1
	s_mov_b64 s[6:7], 0
	s_and_b64 vcc, exec, s[4:5]
	s_mov_b64 s[8:9], 0
	s_mov_b64 s[4:5], 0
	s_cbranch_vccz .LBB195_2699
; %bb.2662:
	v_mov_b32_e32 v1, 28
	v_cmp_gt_i16_sdwa s[4:5], s22, v1 src0_sel:BYTE_0 src1_sel:DWORD
	s_and_b64 vcc, exec, s[4:5]
	s_cbranch_vccz .LBB195_2668
; %bb.2663:
	v_mov_b32_e32 v1, 43
	v_cmp_gt_i16_sdwa s[4:5], s22, v1 src0_sel:BYTE_0 src1_sel:DWORD
	s_and_b64 vcc, exec, s[4:5]
	;; [unrolled: 5-line block ×3, first 2 shown]
	s_cbranch_vccz .LBB195_2671
; %bb.2665:
	v_mov_b32_e32 v1, 46
	v_cmp_eq_u16_sdwa s[8:9], s22, v1 src0_sel:BYTE_0 src1_sel:DWORD
	s_mov_b64 s[4:5], -1
	s_mov_b64 s[10:11], 0
	s_and_b64 vcc, exec, s[8:9]
	s_mov_b64 s[8:9], 0
	s_cbranch_vccz .LBB195_2672
; %bb.2666:
	v_bfe_u32 v1, v0, 16, 1
	s_movk_i32 s4, 0x7fff
	v_add3_u32 v1, v0, v1, s4
	v_lshrrev_b32_e32 v1, 16, v1
	v_mov_b32_e32 v4, 0x7fc0
	v_cmp_o_f32_e32 vcc, v0, v0
	v_cndmask_b32_e32 v1, v4, v1, vcc
	global_store_dword v[2:3], v1, off
	s_mov_b64 s[4:5], 0
	s_mov_b64 s[8:9], -1
	s_branch .LBB195_2672
.LBB195_2667:
	s_mov_b64 s[4:5], -1
	s_mov_b64 s[8:9], 0
	s_branch .LBB195_2743
.LBB195_2668:
	s_mov_b64 s[4:5], 0
	s_branch .LBB195_2682
.LBB195_2669:
	s_mov_b64 s[4:5], 0
	s_branch .LBB195_2678
.LBB195_2670:
	s_trap 2
	s_or_b64 s[34:35], s[34:35], exec
                                        ; implicit-def: $vgpr35
	s_cbranch_execz .LBB195_2608
	s_branch .LBB195_2609
.LBB195_2671:
	s_mov_b64 s[4:5], 0
.LBB195_2672:
	s_and_b64 vcc, exec, s[10:11]
	s_cbranch_vccz .LBB195_2677
; %bb.2673:
	v_mov_b32_e32 v1, 44
	v_cmp_eq_u16_sdwa s[10:11], s22, v1 src0_sel:BYTE_0 src1_sel:DWORD
	s_mov_b64 s[4:5], -1
	s_and_b64 vcc, exec, s[10:11]
	s_cbranch_vccz .LBB195_2677
; %bb.2674:
	v_bfe_u32 v1, v0, 23, 8
	s_movk_i32 s4, 0xff
	v_cmp_ne_u32_e32 vcc, s4, v1
	v_mov_b32_e32 v4, 0xff
	s_and_saveexec_b64 s[8:9], vcc
; %bb.2675:
	s_mov_b32 s4, 0x3fffff
	v_and_b32_e32 v5, 0x400000, v0
	v_and_or_b32 v1, v0, s4, v1
	v_cmp_ne_u32_e32 vcc, 0, v5
	v_cmp_ne_u32_e64 s[4:5], 0, v1
	s_and_b64 s[4:5], vcc, s[4:5]
	v_lshrrev_b32_e32 v4, 23, v0
	v_cndmask_b32_e64 v1, 0, 1, s[4:5]
	v_add_u32_e32 v4, v4, v1
; %bb.2676:
	s_or_b64 exec, exec, s[8:9]
	s_mov_b64 s[4:5], 0
	s_mov_b64 s[8:9], -1
	global_store_byte v[2:3], v4, off
.LBB195_2677:
	s_mov_b64 s[10:11], 0
.LBB195_2678:
	s_and_b64 vcc, exec, s[10:11]
	s_cbranch_vccz .LBB195_2681
; %bb.2679:
	v_mov_b32_e32 v1, 29
	v_cmp_eq_u16_sdwa s[10:11], s22, v1 src0_sel:BYTE_0 src1_sel:DWORD
	s_mov_b64 s[4:5], -1
	s_and_b64 vcc, exec, s[10:11]
	s_cbranch_vccz .LBB195_2681
; %bb.2680:
	v_trunc_f32_e32 v1, v0
	v_mul_f32_e32 v4, 0x2f800000, v1
	v_floor_f32_e32 v4, v4
	v_fmac_f32_e32 v1, 0xcf800000, v4
	v_cvt_u32_f32_e32 v5, v4
	v_cvt_u32_f32_e32 v4, v1
	s_mov_b64 s[4:5], 0
	s_mov_b64 s[8:9], -1
	s_mov_b64 s[10:11], 0
	global_store_dwordx2 v[2:3], v[4:5], off
	s_branch .LBB195_2682
.LBB195_2681:
	s_mov_b64 s[10:11], 0
.LBB195_2682:
	s_and_b64 vcc, exec, s[10:11]
	s_cbranch_vccz .LBB195_2698
; %bb.2683:
	v_mov_b32_e32 v1, 27
	v_cmp_lt_i16_sdwa s[10:11], s22, v1 src0_sel:BYTE_0 src1_sel:DWORD
	s_mov_b64 s[8:9], -1
	s_and_b64 vcc, exec, s[10:11]
	s_cbranch_vccnz .LBB195_2689
; %bb.2684:
	v_cmp_gt_i16_sdwa s[10:11], s22, v1 src0_sel:BYTE_0 src1_sel:DWORD
	v_cvt_u32_f32_e32 v1, v0
	s_and_b64 vcc, exec, s[10:11]
	s_cbranch_vccz .LBB195_2686
; %bb.2685:
	s_mov_b64 s[8:9], 0
	global_store_dword v[2:3], v1, off
.LBB195_2686:
	s_andn2_b64 vcc, exec, s[8:9]
	s_cbranch_vccnz .LBB195_2688
; %bb.2687:
	global_store_short v[2:3], v1, off
.LBB195_2688:
	s_mov_b64 s[8:9], 0
.LBB195_2689:
	s_andn2_b64 vcc, exec, s[8:9]
	s_cbranch_vccnz .LBB195_2697
; %bb.2690:
	v_and_b32_e32 v1, 0x7fffffff, v0
	s_mov_b32 s8, 0x43800000
	v_cmp_gt_u32_e32 vcc, s8, v1
	v_mov_b32_e32 v4, 0x80
	s_and_saveexec_b64 s[8:9], vcc
	s_cbranch_execz .LBB195_2696
; %bb.2691:
	s_mov_b32 s10, 0x3bffffff
	v_cmp_lt_u32_e32 vcc, s10, v1
	s_mov_b64 s[10:11], 0
                                        ; implicit-def: $vgpr1
	s_and_saveexec_b64 s[12:13], vcc
	s_xor_b64 s[12:13], exec, s[12:13]
	s_cbranch_execz .LBB195_2792
; %bb.2692:
	v_bfe_u32 v1, v0, 20, 1
	s_mov_b32 s14, 0x487ffff
	v_add3_u32 v1, v0, v1, s14
	s_mov_b64 s[10:11], exec
	v_lshrrev_b32_e32 v1, 20, v1
	s_or_saveexec_b64 s[12:13], s[12:13]
                                        ; implicit-def: $sgpr14
	s_xor_b64 exec, exec, s[12:13]
	s_cbranch_execnz .LBB195_2793
.LBB195_2693:
	s_or_b64 exec, exec, s[12:13]
	v_mov_b32_e32 v4, s14
	s_and_saveexec_b64 s[12:13], s[10:11]
.LBB195_2694:
	v_lshrrev_b32_e32 v4, 24, v0
	s_movk_i32 s10, 0x80
	v_and_or_b32 v4, v4, s10, v1
.LBB195_2695:
	s_or_b64 exec, exec, s[12:13]
.LBB195_2696:
	s_or_b64 exec, exec, s[8:9]
	global_store_byte v[2:3], v4, off
.LBB195_2697:
	s_mov_b64 s[8:9], -1
.LBB195_2698:
	s_mov_b64 s[10:11], 0
.LBB195_2699:
	s_and_b64 vcc, exec, s[10:11]
	s_cbranch_vccz .LBB195_2739
; %bb.2700:
	v_mov_b32_e32 v1, 22
	v_cmp_gt_i16_sdwa s[10:11], s22, v1 src0_sel:BYTE_0 src1_sel:DWORD
	s_mov_b64 s[6:7], -1
	s_and_b64 vcc, exec, s[10:11]
	s_cbranch_vccz .LBB195_2732
; %bb.2701:
	v_mov_b32_e32 v1, 24
	v_cmp_lt_i16_sdwa s[8:9], s22, v1 src0_sel:BYTE_0 src1_sel:DWORD
	s_and_b64 vcc, exec, s[8:9]
	s_cbranch_vccnz .LBB195_2721
; %bb.2702:
	v_cmp_gt_i16_sdwa s[8:9], s22, v1 src0_sel:BYTE_0 src1_sel:DWORD
	s_and_b64 vcc, exec, s[8:9]
	s_cbranch_vccz .LBB195_2710
; %bb.2703:
	v_and_b32_e32 v1, 0x7fffffff, v0
	s_mov_b32 s6, 0x47800000
	v_cmp_gt_u32_e32 vcc, s6, v1
	v_mov_b32_e32 v4, 0x80
	s_and_saveexec_b64 s[6:7], vcc
	s_cbranch_execz .LBB195_2709
; %bb.2704:
	s_mov_b32 s8, 0x37ffffff
	v_cmp_lt_u32_e32 vcc, s8, v1
	s_mov_b64 s[8:9], 0
                                        ; implicit-def: $vgpr1
	s_and_saveexec_b64 s[10:11], vcc
	s_xor_b64 s[10:11], exec, s[10:11]
	s_cbranch_execz .LBB195_2796
; %bb.2705:
	v_bfe_u32 v1, v0, 21, 1
	s_mov_b32 s12, 0x88fffff
	v_add3_u32 v1, v0, v1, s12
	s_mov_b64 s[8:9], exec
	v_lshrrev_b32_e32 v1, 21, v1
	s_or_saveexec_b64 s[10:11], s[10:11]
                                        ; implicit-def: $sgpr12
	s_xor_b64 exec, exec, s[10:11]
	s_cbranch_execnz .LBB195_2797
.LBB195_2706:
	s_or_b64 exec, exec, s[10:11]
	v_mov_b32_e32 v4, s12
	s_and_saveexec_b64 s[10:11], s[8:9]
.LBB195_2707:
	v_lshrrev_b32_e32 v4, 24, v0
	s_movk_i32 s8, 0x80
	v_and_or_b32 v4, v4, s8, v1
.LBB195_2708:
	s_or_b64 exec, exec, s[10:11]
.LBB195_2709:
	s_or_b64 exec, exec, s[6:7]
	s_mov_b64 s[6:7], 0
	global_store_byte v[2:3], v4, off
.LBB195_2710:
	s_and_b64 vcc, exec, s[6:7]
	s_cbranch_vccz .LBB195_2720
; %bb.2711:
	v_and_b32_e32 v4, 0x7fffffff, v0
	s_mov_b32 s6, 0x43f00000
	v_cmp_gt_u32_e32 vcc, s6, v4
                                        ; implicit-def: $vgpr1
	s_and_saveexec_b64 s[6:7], vcc
	s_xor_b64 s[6:7], exec, s[6:7]
	s_cbranch_execz .LBB195_2717
; %bb.2712:
	s_mov_b32 s8, 0x3c7fffff
	v_cmp_lt_u32_e32 vcc, s8, v4
                                        ; implicit-def: $vgpr1
	s_and_saveexec_b64 s[8:9], vcc
	s_xor_b64 s[8:9], exec, s[8:9]
; %bb.2713:
	v_bfe_u32 v1, v0, 20, 1
	s_mov_b32 s10, 0x407ffff
	v_add3_u32 v1, v0, v1, s10
	v_lshrrev_b32_e32 v4, 20, v1
	v_and_b32_e32 v1, 0xff00000, v1
	s_mov_b32 s10, 0x7f00000
	v_mov_b32_e32 v5, 0x7e
	v_cmp_ne_u32_e32 vcc, s10, v1
	v_cndmask_b32_e32 v1, v5, v4, vcc
; %bb.2714:
	s_andn2_saveexec_b64 s[8:9], s[8:9]
; %bb.2715:
	s_mov_b32 s10, 0x46800000
	v_add_f32_e64 v1, |v0|, s10
; %bb.2716:
	s_or_b64 exec, exec, s[8:9]
                                        ; implicit-def: $vgpr4
.LBB195_2717:
	s_andn2_saveexec_b64 s[6:7], s[6:7]
; %bb.2718:
	s_mov_b32 s8, 0x7f800000
	v_mov_b32_e32 v1, 0x7e
	v_mov_b32_e32 v5, 0x7f
	v_cmp_lt_u32_e32 vcc, s8, v4
	v_cndmask_b32_e32 v1, v1, v5, vcc
; %bb.2719:
	s_or_b64 exec, exec, s[6:7]
	v_lshrrev_b32_e32 v4, 24, v0
	s_movk_i32 s6, 0x80
	v_and_or_b32 v1, v4, s6, v1
	global_store_byte v[2:3], v1, off
.LBB195_2720:
	s_mov_b64 s[6:7], 0
.LBB195_2721:
	s_andn2_b64 vcc, exec, s[6:7]
	s_cbranch_vccnz .LBB195_2731
; %bb.2722:
	v_and_b32_e32 v4, 0x7fffffff, v0
	s_mov_b32 s6, 0x47800000
	v_cmp_gt_u32_e32 vcc, s6, v4
                                        ; implicit-def: $vgpr1
	s_and_saveexec_b64 s[6:7], vcc
	s_xor_b64 s[6:7], exec, s[6:7]
	s_cbranch_execz .LBB195_2728
; %bb.2723:
	s_mov_b32 s8, 0x387fffff
	v_cmp_lt_u32_e32 vcc, s8, v4
                                        ; implicit-def: $vgpr1
	s_and_saveexec_b64 s[8:9], vcc
	s_xor_b64 s[8:9], exec, s[8:9]
; %bb.2724:
	v_bfe_u32 v1, v0, 21, 1
	s_mov_b32 s10, 0x80fffff
	v_add3_u32 v1, v0, v1, s10
	v_lshrrev_b32_e32 v1, 21, v1
; %bb.2725:
	s_andn2_saveexec_b64 s[8:9], s[8:9]
; %bb.2726:
	s_mov_b32 s10, 0x43000000
	v_add_f32_e64 v1, |v0|, s10
; %bb.2727:
	s_or_b64 exec, exec, s[8:9]
                                        ; implicit-def: $vgpr4
.LBB195_2728:
	s_andn2_saveexec_b64 s[6:7], s[6:7]
; %bb.2729:
	s_mov_b32 s8, 0x7f800000
	v_mov_b32_e32 v1, 0x7c
	v_mov_b32_e32 v5, 0x7f
	v_cmp_lt_u32_e32 vcc, s8, v4
	v_cndmask_b32_e32 v1, v1, v5, vcc
; %bb.2730:
	s_or_b64 exec, exec, s[6:7]
	v_lshrrev_b32_e32 v4, 24, v0
	s_movk_i32 s6, 0x80
	v_and_or_b32 v1, v4, s6, v1
	global_store_byte v[2:3], v1, off
.LBB195_2731:
	s_mov_b64 s[6:7], 0
	s_mov_b64 s[8:9], -1
.LBB195_2732:
	s_andn2_b64 vcc, exec, s[6:7]
	s_mov_b64 s[6:7], 0
	s_cbranch_vccnz .LBB195_2739
; %bb.2733:
	v_mov_b32_e32 v1, 14
	v_cmp_gt_i16_sdwa s[6:7], s22, v1 src0_sel:BYTE_0 src1_sel:DWORD
	s_mov_b64 s[10:11], -1
	s_and_b64 vcc, exec, s[6:7]
	s_cbranch_vccz .LBB195_2737
; %bb.2734:
	v_mov_b32_e32 v1, 15
	v_cmp_eq_u16_sdwa s[6:7], s22, v1 src0_sel:BYTE_0 src1_sel:DWORD
	s_mov_b64 s[4:5], -1
	s_and_b64 vcc, exec, s[6:7]
	s_cbranch_vccz .LBB195_2736
; %bb.2735:
	v_bfe_u32 v1, v0, 16, 1
	s_movk_i32 s4, 0x7fff
	v_add3_u32 v1, v0, v1, s4
	v_lshrrev_b32_e32 v1, 16, v1
	v_mov_b32_e32 v4, 0x7fc0
	v_cmp_o_f32_e32 vcc, v0, v0
	v_cndmask_b32_e32 v1, v4, v1, vcc
	global_store_short v[2:3], v1, off
	s_mov_b64 s[4:5], 0
	s_mov_b64 s[8:9], -1
.LBB195_2736:
	s_mov_b64 s[10:11], 0
.LBB195_2737:
	s_mov_b64 s[6:7], 0
	s_and_b64 vcc, exec, s[10:11]
	s_cbranch_vccz .LBB195_2739
; %bb.2738:
	v_mov_b32_e32 v1, 11
	v_cmp_ne_u16_sdwa s[4:5], s22, v1 src0_sel:BYTE_0 src1_sel:DWORD
	s_mov_b64 s[6:7], -1
.LBB195_2739:
	s_and_b64 vcc, exec, s[4:5]
	s_cbranch_vccnz .LBB195_2795
; %bb.2740:
	s_andn2_b64 vcc, exec, s[6:7]
	s_cbranch_vccnz .LBB195_2742
.LBB195_2741:
	v_cmp_neq_f32_e32 vcc, 0, v0
	v_cndmask_b32_e64 v1, 0, 1, vcc
	s_mov_b64 s[8:9], -1
	global_store_byte v[2:3], v1, off
.LBB195_2742:
	s_mov_b64 s[4:5], 0
.LBB195_2743:
	s_and_b64 vcc, exec, s[4:5]
	s_cbranch_vccz .LBB195_2782
; %bb.2744:
	v_mov_b32_e32 v1, 5
	v_cmp_lt_i16_sdwa s[6:7], s22, v1 src0_sel:BYTE_0 src1_sel:DWORD
	s_mov_b64 s[4:5], -1
	s_and_b64 vcc, exec, s[6:7]
	s_cbranch_vccnz .LBB195_2765
; %bb.2745:
	v_mov_b32_e32 v1, 8
	v_cmp_lt_i16_sdwa s[6:7], s22, v1 src0_sel:BYTE_0 src1_sel:DWORD
	s_and_b64 vcc, exec, s[6:7]
	s_cbranch_vccnz .LBB195_2755
; %bb.2746:
	v_mov_b32_e32 v1, 9
	v_cmp_lt_i16_sdwa s[6:7], s22, v1 src0_sel:BYTE_0 src1_sel:DWORD
	s_and_b64 vcc, exec, s[6:7]
	s_cbranch_vccnz .LBB195_2752
; %bb.2747:
	v_cmp_gt_i16_sdwa s[6:7], s22, v1 src0_sel:BYTE_0 src1_sel:DWORD
	s_and_b64 vcc, exec, s[6:7]
	s_cbranch_vccz .LBB195_2749
; %bb.2748:
	v_mov_b32_e32 v6, 0
	v_cvt_f64_f32_e32 v[4:5], v0
	v_mov_b32_e32 v7, v6
	global_store_dwordx4 v[2:3], v[4:7], off
	s_mov_b64 s[4:5], 0
.LBB195_2749:
	s_andn2_b64 vcc, exec, s[4:5]
	s_cbranch_vccnz .LBB195_2751
; %bb.2750:
	v_mov_b32_e32 v1, 0
	global_store_dwordx2 v[2:3], v[0:1], off
.LBB195_2751:
	s_mov_b64 s[4:5], 0
.LBB195_2752:
	s_andn2_b64 vcc, exec, s[4:5]
	s_cbranch_vccnz .LBB195_2754
; %bb.2753:
	v_cvt_f16_f32_e32 v1, v0
	global_store_dword v[2:3], v1, off
.LBB195_2754:
	s_mov_b64 s[4:5], 0
.LBB195_2755:
	s_andn2_b64 vcc, exec, s[4:5]
	s_cbranch_vccnz .LBB195_2764
; %bb.2756:
	v_mov_b32_e32 v1, 6
	v_cmp_lt_i16_sdwa s[6:7], s22, v1 src0_sel:BYTE_0 src1_sel:DWORD
	s_mov_b64 s[4:5], -1
	s_and_b64 vcc, exec, s[6:7]
	s_cbranch_vccnz .LBB195_2762
; %bb.2757:
	v_cmp_gt_i16_sdwa s[6:7], s22, v1 src0_sel:BYTE_0 src1_sel:DWORD
	s_and_b64 vcc, exec, s[6:7]
	s_cbranch_vccz .LBB195_2759
; %bb.2758:
	v_cvt_f64_f32_e32 v[4:5], v0
	global_store_dwordx2 v[2:3], v[4:5], off
	s_mov_b64 s[4:5], 0
.LBB195_2759:
	s_andn2_b64 vcc, exec, s[4:5]
	s_cbranch_vccnz .LBB195_2761
; %bb.2760:
	global_store_dword v[2:3], v0, off
.LBB195_2761:
	s_mov_b64 s[4:5], 0
.LBB195_2762:
	s_andn2_b64 vcc, exec, s[4:5]
	s_cbranch_vccnz .LBB195_2764
; %bb.2763:
	v_cvt_f16_f32_e32 v1, v0
	global_store_short v[2:3], v1, off
.LBB195_2764:
	s_mov_b64 s[4:5], 0
.LBB195_2765:
	s_andn2_b64 vcc, exec, s[4:5]
	s_cbranch_vccnz .LBB195_2781
; %bb.2766:
	v_mov_b32_e32 v1, 2
	v_cmp_lt_i16_sdwa s[6:7], s22, v1 src0_sel:BYTE_0 src1_sel:DWORD
	s_mov_b64 s[4:5], -1
	s_and_b64 vcc, exec, s[6:7]
	s_cbranch_vccnz .LBB195_2776
; %bb.2767:
	v_mov_b32_e32 v1, 3
	v_cmp_lt_i16_sdwa s[6:7], s22, v1 src0_sel:BYTE_0 src1_sel:DWORD
	s_and_b64 vcc, exec, s[6:7]
	s_cbranch_vccnz .LBB195_2773
; %bb.2768:
	v_cmp_gt_i16_sdwa s[6:7], s22, v1 src0_sel:BYTE_0 src1_sel:DWORD
	s_and_b64 vcc, exec, s[6:7]
	s_cbranch_vccz .LBB195_2770
; %bb.2769:
	v_trunc_f32_e32 v1, v0
	s_mov_b32 s4, 0x2f800000
	v_mul_f32_e64 v4, |v1|, s4
	v_floor_f32_e32 v4, v4
	s_mov_b32 s4, 0xcf800000
	v_cvt_u32_f32_e32 v5, v4
	v_fma_f32 v4, v4, s4, |v1|
	v_cvt_u32_f32_e32 v4, v4
	v_ashrrev_i32_e32 v1, 31, v1
	v_xor_b32_e32 v5, v5, v1
	s_mov_b64 s[4:5], 0
	v_xor_b32_e32 v4, v4, v1
	v_sub_co_u32_e32 v4, vcc, v4, v1
	v_subb_co_u32_e32 v5, vcc, v5, v1, vcc
	global_store_dwordx2 v[2:3], v[4:5], off
.LBB195_2770:
	s_andn2_b64 vcc, exec, s[4:5]
	s_cbranch_vccnz .LBB195_2772
; %bb.2771:
	v_cvt_i32_f32_e32 v1, v0
	global_store_dword v[2:3], v1, off
.LBB195_2772:
	s_mov_b64 s[4:5], 0
.LBB195_2773:
	s_andn2_b64 vcc, exec, s[4:5]
	s_cbranch_vccnz .LBB195_2775
; %bb.2774:
	v_cvt_i32_f32_e32 v1, v0
	global_store_short v[2:3], v1, off
.LBB195_2775:
	s_mov_b64 s[4:5], 0
.LBB195_2776:
	s_andn2_b64 vcc, exec, s[4:5]
	s_cbranch_vccnz .LBB195_2781
; %bb.2777:
	v_mov_b32_e32 v1, 0
	v_cmp_gt_i16_sdwa s[6:7], s22, v1 src0_sel:BYTE_0 src1_sel:DWORD
	s_mov_b64 s[4:5], -1
	s_and_b64 vcc, exec, s[6:7]
	s_cbranch_vccz .LBB195_2779
; %bb.2778:
	v_cvt_i32_f32_e32 v1, v0
	s_mov_b64 s[4:5], 0
	global_store_byte v[2:3], v1, off
.LBB195_2779:
	s_andn2_b64 vcc, exec, s[4:5]
	s_cbranch_vccnz .LBB195_2781
; %bb.2780:
	v_trunc_f32_e32 v0, v0
	s_mov_b32 s4, 0x2f800000
	v_mul_f32_e64 v1, |v0|, s4
	v_floor_f32_e32 v1, v1
	s_mov_b32 s4, 0xcf800000
	v_fma_f32 v1, v1, s4, |v0|
	v_cvt_u32_f32_e32 v1, v1
	v_ashrrev_i32_e32 v0, 31, v0
	v_xor_b32_e32 v1, v1, v0
	v_sub_u32_e32 v0, v1, v0
	global_store_byte v[2:3], v0, off
.LBB195_2781:
	s_mov_b64 s[8:9], -1
.LBB195_2782:
	s_andn2_b64 vcc, exec, s[8:9]
	s_cbranch_vccnz .LBB195_3113
; %bb.2783:
	v_mov_b32_e32 v0, v30
	v_mov_b32_e32 v1, v31
	s_getpc_b64 s[4:5]
	s_add_u32 s4, s4, _ZZZZN2at6native33launch_standard_gamma_grad_kernelERNS_18TensorIteratorBaseEENKUlvE_clEvENKUlvE0_clEvENKUlffE_clEff@rel32@lo+4
	s_addc_u32 s5, s5, _ZZZZN2at6native33launch_standard_gamma_grad_kernelERNS_18TensorIteratorBaseEENKUlvE_clEvENKUlvE0_clEvENKUlffE_clEff@rel32@hi+12
	s_swappc_b64 s[30:31], s[4:5]
	v_mov_b32_e32 v1, s25
	v_add_co_u32_e32 v2, vcc, s24, v40
	v_addc_co_u32_e32 v3, vcc, 0, v1, vcc
	v_mov_b32_e32 v1, 11
	v_cmp_lt_i16_sdwa s[4:5], s22, v1 src0_sel:BYTE_0 src1_sel:DWORD
	s_and_b64 vcc, exec, s[4:5]
	s_cbranch_vccnz .LBB195_2790
; %bb.2784:
	v_mov_b32_e32 v1, 25
	v_cmp_gt_i16_sdwa s[4:5], s22, v1 src0_sel:BYTE_0 src1_sel:DWORD
	s_mov_b64 s[10:11], -1
	s_mov_b64 s[6:7], 0
	s_and_b64 vcc, exec, s[4:5]
	s_mov_b64 s[8:9], 0
	s_mov_b64 s[4:5], 0
	s_cbranch_vccz .LBB195_2826
; %bb.2785:
	v_mov_b32_e32 v1, 28
	v_cmp_gt_i16_sdwa s[4:5], s22, v1 src0_sel:BYTE_0 src1_sel:DWORD
	s_and_b64 vcc, exec, s[4:5]
	s_cbranch_vccz .LBB195_2791
; %bb.2786:
	v_mov_b32_e32 v1, 43
	v_cmp_gt_i16_sdwa s[4:5], s22, v1 src0_sel:BYTE_0 src1_sel:DWORD
	s_and_b64 vcc, exec, s[4:5]
	;; [unrolled: 5-line block ×3, first 2 shown]
	s_cbranch_vccz .LBB195_2798
; %bb.2788:
	v_mov_b32_e32 v1, 46
	v_cmp_eq_u16_sdwa s[8:9], s22, v1 src0_sel:BYTE_0 src1_sel:DWORD
	s_mov_b64 s[4:5], -1
	s_mov_b64 s[10:11], 0
	s_and_b64 vcc, exec, s[8:9]
	s_mov_b64 s[8:9], 0
	s_cbranch_vccz .LBB195_2799
; %bb.2789:
	v_bfe_u32 v1, v0, 16, 1
	s_movk_i32 s4, 0x7fff
	v_add3_u32 v1, v0, v1, s4
	v_lshrrev_b32_e32 v1, 16, v1
	v_mov_b32_e32 v4, 0x7fc0
	v_cmp_o_f32_e32 vcc, v0, v0
	v_cndmask_b32_e32 v1, v4, v1, vcc
	global_store_dword v[2:3], v1, off
	s_mov_b64 s[4:5], 0
	s_mov_b64 s[8:9], -1
	s_branch .LBB195_2799
.LBB195_2790:
	s_mov_b64 s[4:5], -1
	s_mov_b64 s[8:9], 0
	s_branch .LBB195_2870
.LBB195_2791:
	s_mov_b64 s[4:5], 0
	s_branch .LBB195_2809
.LBB195_2792:
	s_or_saveexec_b64 s[12:13], s[12:13]
                                        ; implicit-def: $sgpr14
	s_xor_b64 exec, exec, s[12:13]
	s_cbranch_execz .LBB195_2693
.LBB195_2793:
	s_mov_b32 s14, 0x46000000
	v_add_f32_e64 v1, |v0|, s14
	v_and_b32_e32 v1, 0xff, v1
	v_cmp_ne_u32_e32 vcc, 0, v1
	s_andn2_b64 s[10:11], s[10:11], exec
	s_and_b64 s[16:17], vcc, exec
	s_mov_b32 s14, 0
	s_or_b64 s[10:11], s[10:11], s[16:17]
	s_or_b64 exec, exec, s[12:13]
	v_mov_b32_e32 v4, s14
	s_and_saveexec_b64 s[12:13], s[10:11]
	s_cbranch_execnz .LBB195_2694
	s_branch .LBB195_2695
.LBB195_2794:
	s_mov_b64 s[4:5], 0
	s_branch .LBB195_2805
.LBB195_2795:
	s_trap 2
	s_or_b64 s[34:35], s[34:35], exec
	s_cbranch_execz .LBB195_2741
	s_branch .LBB195_2742
.LBB195_2796:
	s_or_saveexec_b64 s[10:11], s[10:11]
                                        ; implicit-def: $sgpr12
	s_xor_b64 exec, exec, s[10:11]
	s_cbranch_execz .LBB195_2706
.LBB195_2797:
	s_mov_b32 s12, 0x42800000
	v_add_f32_e64 v1, |v0|, s12
	v_and_b32_e32 v1, 0xff, v1
	v_cmp_ne_u32_e32 vcc, 0, v1
	s_andn2_b64 s[8:9], s[8:9], exec
	s_and_b64 s[14:15], vcc, exec
	s_mov_b32 s12, 0
	s_or_b64 s[8:9], s[8:9], s[14:15]
	s_or_b64 exec, exec, s[10:11]
	v_mov_b32_e32 v4, s12
	s_and_saveexec_b64 s[10:11], s[8:9]
	s_cbranch_execnz .LBB195_2707
	s_branch .LBB195_2708
.LBB195_2798:
	s_mov_b64 s[4:5], 0
.LBB195_2799:
	s_and_b64 vcc, exec, s[10:11]
	s_cbranch_vccz .LBB195_2804
; %bb.2800:
	v_mov_b32_e32 v1, 44
	v_cmp_eq_u16_sdwa s[10:11], s22, v1 src0_sel:BYTE_0 src1_sel:DWORD
	s_mov_b64 s[4:5], -1
	s_and_b64 vcc, exec, s[10:11]
	s_cbranch_vccz .LBB195_2804
; %bb.2801:
	v_bfe_u32 v1, v0, 23, 8
	s_movk_i32 s4, 0xff
	v_cmp_ne_u32_e32 vcc, s4, v1
	v_mov_b32_e32 v4, 0xff
	s_and_saveexec_b64 s[8:9], vcc
; %bb.2802:
	s_mov_b32 s4, 0x3fffff
	v_and_b32_e32 v5, 0x400000, v0
	v_and_or_b32 v1, v0, s4, v1
	v_cmp_ne_u32_e32 vcc, 0, v5
	v_cmp_ne_u32_e64 s[4:5], 0, v1
	s_and_b64 s[4:5], vcc, s[4:5]
	v_lshrrev_b32_e32 v4, 23, v0
	v_cndmask_b32_e64 v1, 0, 1, s[4:5]
	v_add_u32_e32 v4, v4, v1
; %bb.2803:
	s_or_b64 exec, exec, s[8:9]
	s_mov_b64 s[4:5], 0
	s_mov_b64 s[8:9], -1
	global_store_byte v[2:3], v4, off
.LBB195_2804:
	s_mov_b64 s[10:11], 0
.LBB195_2805:
	s_and_b64 vcc, exec, s[10:11]
	s_cbranch_vccz .LBB195_2808
; %bb.2806:
	v_mov_b32_e32 v1, 29
	v_cmp_eq_u16_sdwa s[10:11], s22, v1 src0_sel:BYTE_0 src1_sel:DWORD
	s_mov_b64 s[4:5], -1
	s_and_b64 vcc, exec, s[10:11]
	s_cbranch_vccz .LBB195_2808
; %bb.2807:
	v_trunc_f32_e32 v1, v0
	v_mul_f32_e32 v4, 0x2f800000, v1
	v_floor_f32_e32 v4, v4
	v_fmac_f32_e32 v1, 0xcf800000, v4
	v_cvt_u32_f32_e32 v5, v4
	v_cvt_u32_f32_e32 v4, v1
	s_mov_b64 s[4:5], 0
	s_mov_b64 s[8:9], -1
	s_mov_b64 s[10:11], 0
	global_store_dwordx2 v[2:3], v[4:5], off
	s_branch .LBB195_2809
.LBB195_2808:
	s_mov_b64 s[10:11], 0
.LBB195_2809:
	s_and_b64 vcc, exec, s[10:11]
	s_cbranch_vccz .LBB195_2825
; %bb.2810:
	v_mov_b32_e32 v1, 27
	v_cmp_lt_i16_sdwa s[10:11], s22, v1 src0_sel:BYTE_0 src1_sel:DWORD
	s_mov_b64 s[8:9], -1
	s_and_b64 vcc, exec, s[10:11]
	s_cbranch_vccnz .LBB195_2816
; %bb.2811:
	v_cmp_gt_i16_sdwa s[10:11], s22, v1 src0_sel:BYTE_0 src1_sel:DWORD
	s_and_b64 vcc, exec, s[10:11]
	s_cbranch_vccz .LBB195_2813
; %bb.2812:
	v_cvt_u32_f32_e32 v1, v0
	s_mov_b64 s[8:9], 0
	global_store_dword v[2:3], v1, off
.LBB195_2813:
	s_andn2_b64 vcc, exec, s[8:9]
	s_cbranch_vccnz .LBB195_2815
; %bb.2814:
	v_cvt_u32_f32_e32 v1, v0
	global_store_short v[2:3], v1, off
.LBB195_2815:
	s_mov_b64 s[8:9], 0
.LBB195_2816:
	s_andn2_b64 vcc, exec, s[8:9]
	s_cbranch_vccnz .LBB195_2824
; %bb.2817:
	v_and_b32_e32 v1, 0x7fffffff, v0
	s_mov_b32 s8, 0x43800000
	v_cmp_gt_u32_e32 vcc, s8, v1
	v_mov_b32_e32 v4, 0x80
	s_and_saveexec_b64 s[8:9], vcc
	s_cbranch_execz .LBB195_2823
; %bb.2818:
	s_mov_b32 s10, 0x3bffffff
	v_cmp_lt_u32_e32 vcc, s10, v1
	s_mov_b64 s[10:11], 0
                                        ; implicit-def: $vgpr1
	s_and_saveexec_b64 s[12:13], vcc
	s_xor_b64 s[12:13], exec, s[12:13]
	s_cbranch_execz .LBB195_2919
; %bb.2819:
	v_bfe_u32 v1, v0, 20, 1
	s_mov_b32 s14, 0x487ffff
	v_add3_u32 v1, v0, v1, s14
	s_mov_b64 s[10:11], exec
	v_lshrrev_b32_e32 v1, 20, v1
	s_or_saveexec_b64 s[12:13], s[12:13]
                                        ; implicit-def: $sgpr14
	s_xor_b64 exec, exec, s[12:13]
	s_cbranch_execnz .LBB195_2920
.LBB195_2820:
	s_or_b64 exec, exec, s[12:13]
	v_mov_b32_e32 v4, s14
	s_and_saveexec_b64 s[12:13], s[10:11]
.LBB195_2821:
	v_lshrrev_b32_e32 v4, 24, v0
	s_movk_i32 s10, 0x80
	v_and_or_b32 v4, v4, s10, v1
.LBB195_2822:
	s_or_b64 exec, exec, s[12:13]
.LBB195_2823:
	s_or_b64 exec, exec, s[8:9]
	global_store_byte v[2:3], v4, off
.LBB195_2824:
	s_mov_b64 s[8:9], -1
.LBB195_2825:
	s_mov_b64 s[10:11], 0
.LBB195_2826:
	s_and_b64 vcc, exec, s[10:11]
	s_cbranch_vccz .LBB195_2866
; %bb.2827:
	v_mov_b32_e32 v1, 22
	v_cmp_gt_i16_sdwa s[10:11], s22, v1 src0_sel:BYTE_0 src1_sel:DWORD
	s_mov_b64 s[6:7], -1
	s_and_b64 vcc, exec, s[10:11]
	s_cbranch_vccz .LBB195_2859
; %bb.2828:
	v_mov_b32_e32 v1, 24
	v_cmp_lt_i16_sdwa s[8:9], s22, v1 src0_sel:BYTE_0 src1_sel:DWORD
	s_and_b64 vcc, exec, s[8:9]
	s_cbranch_vccnz .LBB195_2848
; %bb.2829:
	v_cmp_gt_i16_sdwa s[8:9], s22, v1 src0_sel:BYTE_0 src1_sel:DWORD
	s_and_b64 vcc, exec, s[8:9]
	s_cbranch_vccz .LBB195_2837
; %bb.2830:
	v_and_b32_e32 v1, 0x7fffffff, v0
	s_mov_b32 s6, 0x47800000
	v_cmp_gt_u32_e32 vcc, s6, v1
	v_mov_b32_e32 v4, 0x80
	s_and_saveexec_b64 s[6:7], vcc
	s_cbranch_execz .LBB195_2836
; %bb.2831:
	s_mov_b32 s8, 0x37ffffff
	v_cmp_lt_u32_e32 vcc, s8, v1
	s_mov_b64 s[8:9], 0
                                        ; implicit-def: $vgpr1
	s_and_saveexec_b64 s[10:11], vcc
	s_xor_b64 s[10:11], exec, s[10:11]
	s_cbranch_execz .LBB195_2923
; %bb.2832:
	v_bfe_u32 v1, v0, 21, 1
	s_mov_b32 s12, 0x88fffff
	v_add3_u32 v1, v0, v1, s12
	s_mov_b64 s[8:9], exec
	v_lshrrev_b32_e32 v1, 21, v1
	s_or_saveexec_b64 s[10:11], s[10:11]
                                        ; implicit-def: $sgpr12
	s_xor_b64 exec, exec, s[10:11]
	s_cbranch_execnz .LBB195_2924
.LBB195_2833:
	s_or_b64 exec, exec, s[10:11]
	v_mov_b32_e32 v4, s12
	s_and_saveexec_b64 s[10:11], s[8:9]
.LBB195_2834:
	v_lshrrev_b32_e32 v4, 24, v0
	s_movk_i32 s8, 0x80
	v_and_or_b32 v4, v4, s8, v1
.LBB195_2835:
	s_or_b64 exec, exec, s[10:11]
.LBB195_2836:
	s_or_b64 exec, exec, s[6:7]
	s_mov_b64 s[6:7], 0
	global_store_byte v[2:3], v4, off
.LBB195_2837:
	s_and_b64 vcc, exec, s[6:7]
	s_cbranch_vccz .LBB195_2847
; %bb.2838:
	v_and_b32_e32 v4, 0x7fffffff, v0
	s_mov_b32 s6, 0x43f00000
	v_cmp_gt_u32_e32 vcc, s6, v4
                                        ; implicit-def: $vgpr1
	s_and_saveexec_b64 s[6:7], vcc
	s_xor_b64 s[6:7], exec, s[6:7]
	s_cbranch_execz .LBB195_2844
; %bb.2839:
	s_mov_b32 s8, 0x3c7fffff
	v_cmp_lt_u32_e32 vcc, s8, v4
                                        ; implicit-def: $vgpr1
	s_and_saveexec_b64 s[8:9], vcc
	s_xor_b64 s[8:9], exec, s[8:9]
; %bb.2840:
	v_bfe_u32 v1, v0, 20, 1
	s_mov_b32 s10, 0x407ffff
	v_add3_u32 v1, v0, v1, s10
	v_lshrrev_b32_e32 v4, 20, v1
	v_and_b32_e32 v1, 0xff00000, v1
	s_mov_b32 s10, 0x7f00000
	v_mov_b32_e32 v5, 0x7e
	v_cmp_ne_u32_e32 vcc, s10, v1
	v_cndmask_b32_e32 v1, v5, v4, vcc
; %bb.2841:
	s_andn2_saveexec_b64 s[8:9], s[8:9]
; %bb.2842:
	s_mov_b32 s10, 0x46800000
	v_add_f32_e64 v1, |v0|, s10
; %bb.2843:
	s_or_b64 exec, exec, s[8:9]
                                        ; implicit-def: $vgpr4
.LBB195_2844:
	s_andn2_saveexec_b64 s[6:7], s[6:7]
; %bb.2845:
	s_mov_b32 s8, 0x7f800000
	v_mov_b32_e32 v1, 0x7e
	v_mov_b32_e32 v5, 0x7f
	v_cmp_lt_u32_e32 vcc, s8, v4
	v_cndmask_b32_e32 v1, v1, v5, vcc
; %bb.2846:
	s_or_b64 exec, exec, s[6:7]
	v_lshrrev_b32_e32 v4, 24, v0
	s_movk_i32 s6, 0x80
	v_and_or_b32 v1, v4, s6, v1
	global_store_byte v[2:3], v1, off
.LBB195_2847:
	s_mov_b64 s[6:7], 0
.LBB195_2848:
	s_andn2_b64 vcc, exec, s[6:7]
	s_cbranch_vccnz .LBB195_2858
; %bb.2849:
	v_and_b32_e32 v4, 0x7fffffff, v0
	s_mov_b32 s6, 0x47800000
	v_cmp_gt_u32_e32 vcc, s6, v4
                                        ; implicit-def: $vgpr1
	s_and_saveexec_b64 s[6:7], vcc
	s_xor_b64 s[6:7], exec, s[6:7]
	s_cbranch_execz .LBB195_2855
; %bb.2850:
	s_mov_b32 s8, 0x387fffff
	v_cmp_lt_u32_e32 vcc, s8, v4
                                        ; implicit-def: $vgpr1
	s_and_saveexec_b64 s[8:9], vcc
	s_xor_b64 s[8:9], exec, s[8:9]
; %bb.2851:
	v_bfe_u32 v1, v0, 21, 1
	s_mov_b32 s10, 0x80fffff
	v_add3_u32 v1, v0, v1, s10
	v_lshrrev_b32_e32 v1, 21, v1
; %bb.2852:
	s_andn2_saveexec_b64 s[8:9], s[8:9]
; %bb.2853:
	s_mov_b32 s10, 0x43000000
	v_add_f32_e64 v1, |v0|, s10
; %bb.2854:
	s_or_b64 exec, exec, s[8:9]
                                        ; implicit-def: $vgpr4
.LBB195_2855:
	s_andn2_saveexec_b64 s[6:7], s[6:7]
; %bb.2856:
	s_mov_b32 s8, 0x7f800000
	v_mov_b32_e32 v1, 0x7c
	v_mov_b32_e32 v5, 0x7f
	v_cmp_lt_u32_e32 vcc, s8, v4
	v_cndmask_b32_e32 v1, v1, v5, vcc
; %bb.2857:
	s_or_b64 exec, exec, s[6:7]
	v_lshrrev_b32_e32 v4, 24, v0
	s_movk_i32 s6, 0x80
	v_and_or_b32 v1, v4, s6, v1
	global_store_byte v[2:3], v1, off
.LBB195_2858:
	s_mov_b64 s[6:7], 0
	s_mov_b64 s[8:9], -1
.LBB195_2859:
	s_andn2_b64 vcc, exec, s[6:7]
	s_mov_b64 s[6:7], 0
	s_cbranch_vccnz .LBB195_2866
; %bb.2860:
	v_mov_b32_e32 v1, 14
	v_cmp_gt_i16_sdwa s[6:7], s22, v1 src0_sel:BYTE_0 src1_sel:DWORD
	s_mov_b64 s[10:11], -1
	s_and_b64 vcc, exec, s[6:7]
	s_cbranch_vccz .LBB195_2864
; %bb.2861:
	v_mov_b32_e32 v1, 15
	v_cmp_eq_u16_sdwa s[6:7], s22, v1 src0_sel:BYTE_0 src1_sel:DWORD
	s_mov_b64 s[4:5], -1
	s_and_b64 vcc, exec, s[6:7]
	s_cbranch_vccz .LBB195_2863
; %bb.2862:
	v_bfe_u32 v1, v0, 16, 1
	s_movk_i32 s4, 0x7fff
	v_add3_u32 v1, v0, v1, s4
	v_lshrrev_b32_e32 v1, 16, v1
	v_mov_b32_e32 v4, 0x7fc0
	v_cmp_o_f32_e32 vcc, v0, v0
	v_cndmask_b32_e32 v1, v4, v1, vcc
	global_store_short v[2:3], v1, off
	s_mov_b64 s[4:5], 0
	s_mov_b64 s[8:9], -1
.LBB195_2863:
	s_mov_b64 s[10:11], 0
.LBB195_2864:
	s_mov_b64 s[6:7], 0
	s_and_b64 vcc, exec, s[10:11]
	s_cbranch_vccz .LBB195_2866
; %bb.2865:
	v_mov_b32_e32 v1, 11
	v_cmp_ne_u16_sdwa s[4:5], s22, v1 src0_sel:BYTE_0 src1_sel:DWORD
	s_mov_b64 s[6:7], -1
.LBB195_2866:
	s_and_b64 vcc, exec, s[4:5]
	s_cbranch_vccnz .LBB195_2922
; %bb.2867:
	s_andn2_b64 vcc, exec, s[6:7]
	s_cbranch_vccnz .LBB195_2869
.LBB195_2868:
	v_cmp_neq_f32_e32 vcc, 0, v0
	v_cndmask_b32_e64 v1, 0, 1, vcc
	s_mov_b64 s[8:9], -1
	global_store_byte v[2:3], v1, off
.LBB195_2869:
	s_mov_b64 s[4:5], 0
.LBB195_2870:
	s_and_b64 vcc, exec, s[4:5]
	s_cbranch_vccz .LBB195_2909
; %bb.2871:
	v_mov_b32_e32 v1, 5
	v_cmp_lt_i16_sdwa s[6:7], s22, v1 src0_sel:BYTE_0 src1_sel:DWORD
	s_mov_b64 s[4:5], -1
	s_and_b64 vcc, exec, s[6:7]
	s_cbranch_vccnz .LBB195_2892
; %bb.2872:
	v_mov_b32_e32 v1, 8
	v_cmp_lt_i16_sdwa s[6:7], s22, v1 src0_sel:BYTE_0 src1_sel:DWORD
	s_and_b64 vcc, exec, s[6:7]
	s_cbranch_vccnz .LBB195_2882
; %bb.2873:
	v_mov_b32_e32 v1, 9
	v_cmp_lt_i16_sdwa s[6:7], s22, v1 src0_sel:BYTE_0 src1_sel:DWORD
	s_and_b64 vcc, exec, s[6:7]
	s_cbranch_vccnz .LBB195_2879
; %bb.2874:
	v_cmp_gt_i16_sdwa s[6:7], s22, v1 src0_sel:BYTE_0 src1_sel:DWORD
	s_and_b64 vcc, exec, s[6:7]
	s_cbranch_vccz .LBB195_2876
; %bb.2875:
	v_mov_b32_e32 v6, 0
	v_cvt_f64_f32_e32 v[4:5], v0
	v_mov_b32_e32 v7, v6
	global_store_dwordx4 v[2:3], v[4:7], off
	s_mov_b64 s[4:5], 0
.LBB195_2876:
	s_andn2_b64 vcc, exec, s[4:5]
	s_cbranch_vccnz .LBB195_2878
; %bb.2877:
	v_mov_b32_e32 v1, 0
	global_store_dwordx2 v[2:3], v[0:1], off
.LBB195_2878:
	s_mov_b64 s[4:5], 0
.LBB195_2879:
	s_andn2_b64 vcc, exec, s[4:5]
	s_cbranch_vccnz .LBB195_2881
; %bb.2880:
	v_cvt_f16_f32_e32 v1, v0
	global_store_dword v[2:3], v1, off
.LBB195_2881:
	s_mov_b64 s[4:5], 0
.LBB195_2882:
	s_andn2_b64 vcc, exec, s[4:5]
	s_cbranch_vccnz .LBB195_2891
; %bb.2883:
	v_mov_b32_e32 v1, 6
	v_cmp_lt_i16_sdwa s[6:7], s22, v1 src0_sel:BYTE_0 src1_sel:DWORD
	s_mov_b64 s[4:5], -1
	s_and_b64 vcc, exec, s[6:7]
	s_cbranch_vccnz .LBB195_2889
; %bb.2884:
	v_cmp_gt_i16_sdwa s[6:7], s22, v1 src0_sel:BYTE_0 src1_sel:DWORD
	s_and_b64 vcc, exec, s[6:7]
	s_cbranch_vccz .LBB195_2886
; %bb.2885:
	v_cvt_f64_f32_e32 v[4:5], v0
	global_store_dwordx2 v[2:3], v[4:5], off
	s_mov_b64 s[4:5], 0
.LBB195_2886:
	s_andn2_b64 vcc, exec, s[4:5]
	s_cbranch_vccnz .LBB195_2888
; %bb.2887:
	global_store_dword v[2:3], v0, off
.LBB195_2888:
	s_mov_b64 s[4:5], 0
.LBB195_2889:
	s_andn2_b64 vcc, exec, s[4:5]
	s_cbranch_vccnz .LBB195_2891
; %bb.2890:
	v_cvt_f16_f32_e32 v1, v0
	global_store_short v[2:3], v1, off
.LBB195_2891:
	s_mov_b64 s[4:5], 0
.LBB195_2892:
	s_andn2_b64 vcc, exec, s[4:5]
	s_cbranch_vccnz .LBB195_2908
; %bb.2893:
	v_mov_b32_e32 v1, 2
	v_cmp_lt_i16_sdwa s[6:7], s22, v1 src0_sel:BYTE_0 src1_sel:DWORD
	s_mov_b64 s[4:5], -1
	s_and_b64 vcc, exec, s[6:7]
	s_cbranch_vccnz .LBB195_2903
; %bb.2894:
	v_mov_b32_e32 v1, 3
	v_cmp_lt_i16_sdwa s[6:7], s22, v1 src0_sel:BYTE_0 src1_sel:DWORD
	s_and_b64 vcc, exec, s[6:7]
	s_cbranch_vccnz .LBB195_2900
; %bb.2895:
	v_cmp_gt_i16_sdwa s[6:7], s22, v1 src0_sel:BYTE_0 src1_sel:DWORD
	s_and_b64 vcc, exec, s[6:7]
	s_cbranch_vccz .LBB195_2897
; %bb.2896:
	v_trunc_f32_e32 v1, v0
	s_mov_b32 s4, 0x2f800000
	v_mul_f32_e64 v4, |v1|, s4
	v_floor_f32_e32 v4, v4
	s_mov_b32 s4, 0xcf800000
	v_cvt_u32_f32_e32 v5, v4
	v_fma_f32 v4, v4, s4, |v1|
	v_cvt_u32_f32_e32 v4, v4
	v_ashrrev_i32_e32 v1, 31, v1
	v_xor_b32_e32 v5, v5, v1
	s_mov_b64 s[4:5], 0
	v_xor_b32_e32 v4, v4, v1
	v_sub_co_u32_e32 v4, vcc, v4, v1
	v_subb_co_u32_e32 v5, vcc, v5, v1, vcc
	global_store_dwordx2 v[2:3], v[4:5], off
.LBB195_2897:
	s_andn2_b64 vcc, exec, s[4:5]
	s_cbranch_vccnz .LBB195_2899
; %bb.2898:
	v_cvt_i32_f32_e32 v1, v0
	global_store_dword v[2:3], v1, off
.LBB195_2899:
	s_mov_b64 s[4:5], 0
.LBB195_2900:
	s_andn2_b64 vcc, exec, s[4:5]
	s_cbranch_vccnz .LBB195_2902
; %bb.2901:
	v_cvt_i32_f32_e32 v1, v0
	global_store_short v[2:3], v1, off
.LBB195_2902:
	s_mov_b64 s[4:5], 0
.LBB195_2903:
	s_andn2_b64 vcc, exec, s[4:5]
	s_cbranch_vccnz .LBB195_2908
; %bb.2904:
	v_mov_b32_e32 v1, 0
	v_cmp_gt_i16_sdwa s[6:7], s22, v1 src0_sel:BYTE_0 src1_sel:DWORD
	s_mov_b64 s[4:5], -1
	s_and_b64 vcc, exec, s[6:7]
	s_cbranch_vccz .LBB195_2906
; %bb.2905:
	v_cvt_i32_f32_e32 v1, v0
	s_mov_b64 s[4:5], 0
	global_store_byte v[2:3], v1, off
.LBB195_2906:
	s_andn2_b64 vcc, exec, s[4:5]
	s_cbranch_vccnz .LBB195_2908
; %bb.2907:
	v_trunc_f32_e32 v0, v0
	s_mov_b32 s4, 0x2f800000
	v_mul_f32_e64 v1, |v0|, s4
	v_floor_f32_e32 v1, v1
	s_mov_b32 s4, 0xcf800000
	v_fma_f32 v1, v1, s4, |v0|
	v_cvt_u32_f32_e32 v1, v1
	v_ashrrev_i32_e32 v0, 31, v0
	v_xor_b32_e32 v1, v1, v0
	v_sub_u32_e32 v0, v1, v0
	global_store_byte v[2:3], v0, off
.LBB195_2908:
	s_mov_b64 s[8:9], -1
.LBB195_2909:
	s_andn2_b64 vcc, exec, s[8:9]
	s_cbranch_vccnz .LBB195_3113
; %bb.2910:
	v_mov_b32_e32 v0, v32
	v_mov_b32_e32 v1, v33
	s_getpc_b64 s[4:5]
	s_add_u32 s4, s4, _ZZZZN2at6native33launch_standard_gamma_grad_kernelERNS_18TensorIteratorBaseEENKUlvE_clEvENKUlvE0_clEvENKUlffE_clEff@rel32@lo+4
	s_addc_u32 s5, s5, _ZZZZN2at6native33launch_standard_gamma_grad_kernelERNS_18TensorIteratorBaseEENKUlvE_clEvENKUlvE0_clEvENKUlffE_clEff@rel32@hi+12
	s_swappc_b64 s[30:31], s[4:5]
	v_mov_b32_e32 v1, s25
	v_add_co_u32_e32 v2, vcc, s24, v38
	v_addc_co_u32_e32 v3, vcc, 0, v1, vcc
	v_mov_b32_e32 v1, 11
	v_cmp_lt_i16_sdwa s[4:5], s22, v1 src0_sel:BYTE_0 src1_sel:DWORD
	s_and_b64 vcc, exec, s[4:5]
	s_cbranch_vccnz .LBB195_2917
; %bb.2911:
	v_mov_b32_e32 v1, 25
	v_cmp_gt_i16_sdwa s[4:5], s22, v1 src0_sel:BYTE_0 src1_sel:DWORD
	s_mov_b64 s[10:11], -1
	s_mov_b64 s[6:7], 0
	s_and_b64 vcc, exec, s[4:5]
	s_mov_b64 s[8:9], 0
	s_mov_b64 s[4:5], 0
	s_cbranch_vccz .LBB195_2953
; %bb.2912:
	v_mov_b32_e32 v1, 28
	v_cmp_gt_i16_sdwa s[4:5], s22, v1 src0_sel:BYTE_0 src1_sel:DWORD
	s_and_b64 vcc, exec, s[4:5]
	s_cbranch_vccz .LBB195_2918
; %bb.2913:
	v_mov_b32_e32 v1, 43
	v_cmp_gt_i16_sdwa s[4:5], s22, v1 src0_sel:BYTE_0 src1_sel:DWORD
	s_and_b64 vcc, exec, s[4:5]
	;; [unrolled: 5-line block ×3, first 2 shown]
	s_cbranch_vccz .LBB195_2925
; %bb.2915:
	v_mov_b32_e32 v1, 46
	v_cmp_eq_u16_sdwa s[8:9], s22, v1 src0_sel:BYTE_0 src1_sel:DWORD
	s_mov_b64 s[4:5], -1
	s_mov_b64 s[10:11], 0
	s_and_b64 vcc, exec, s[8:9]
	s_mov_b64 s[8:9], 0
	s_cbranch_vccz .LBB195_2926
; %bb.2916:
	v_bfe_u32 v1, v0, 16, 1
	s_movk_i32 s4, 0x7fff
	v_add3_u32 v1, v0, v1, s4
	v_lshrrev_b32_e32 v1, 16, v1
	v_mov_b32_e32 v4, 0x7fc0
	v_cmp_o_f32_e32 vcc, v0, v0
	v_cndmask_b32_e32 v1, v4, v1, vcc
	global_store_dword v[2:3], v1, off
	s_mov_b64 s[4:5], 0
	s_mov_b64 s[8:9], -1
	s_branch .LBB195_2926
.LBB195_2917:
	s_mov_b64 s[4:5], -1
	s_mov_b64 s[8:9], 0
	s_branch .LBB195_2997
.LBB195_2918:
	s_mov_b64 s[4:5], 0
	s_branch .LBB195_2936
.LBB195_2919:
	s_or_saveexec_b64 s[12:13], s[12:13]
                                        ; implicit-def: $sgpr14
	s_xor_b64 exec, exec, s[12:13]
	s_cbranch_execz .LBB195_2820
.LBB195_2920:
	s_mov_b32 s14, 0x46000000
	v_add_f32_e64 v1, |v0|, s14
	v_and_b32_e32 v1, 0xff, v1
	v_cmp_ne_u32_e32 vcc, 0, v1
	s_andn2_b64 s[10:11], s[10:11], exec
	s_and_b64 s[16:17], vcc, exec
	s_mov_b32 s14, 0
	s_or_b64 s[10:11], s[10:11], s[16:17]
	s_or_b64 exec, exec, s[12:13]
	v_mov_b32_e32 v4, s14
	s_and_saveexec_b64 s[12:13], s[10:11]
	s_cbranch_execnz .LBB195_2821
	s_branch .LBB195_2822
.LBB195_2921:
	s_mov_b64 s[4:5], 0
	s_branch .LBB195_2932
.LBB195_2922:
	s_trap 2
	s_or_b64 s[34:35], s[34:35], exec
	s_cbranch_execz .LBB195_2868
	s_branch .LBB195_2869
.LBB195_2923:
	s_or_saveexec_b64 s[10:11], s[10:11]
                                        ; implicit-def: $sgpr12
	s_xor_b64 exec, exec, s[10:11]
	s_cbranch_execz .LBB195_2833
.LBB195_2924:
	s_mov_b32 s12, 0x42800000
	v_add_f32_e64 v1, |v0|, s12
	v_and_b32_e32 v1, 0xff, v1
	v_cmp_ne_u32_e32 vcc, 0, v1
	s_andn2_b64 s[8:9], s[8:9], exec
	s_and_b64 s[14:15], vcc, exec
	s_mov_b32 s12, 0
	s_or_b64 s[8:9], s[8:9], s[14:15]
	s_or_b64 exec, exec, s[10:11]
	v_mov_b32_e32 v4, s12
	s_and_saveexec_b64 s[10:11], s[8:9]
	s_cbranch_execnz .LBB195_2834
	s_branch .LBB195_2835
.LBB195_2925:
	s_mov_b64 s[4:5], 0
.LBB195_2926:
	s_and_b64 vcc, exec, s[10:11]
	s_cbranch_vccz .LBB195_2931
; %bb.2927:
	v_mov_b32_e32 v1, 44
	v_cmp_eq_u16_sdwa s[10:11], s22, v1 src0_sel:BYTE_0 src1_sel:DWORD
	s_mov_b64 s[4:5], -1
	s_and_b64 vcc, exec, s[10:11]
	s_cbranch_vccz .LBB195_2931
; %bb.2928:
	v_bfe_u32 v1, v0, 23, 8
	s_movk_i32 s4, 0xff
	v_cmp_ne_u32_e32 vcc, s4, v1
	v_mov_b32_e32 v4, 0xff
	s_and_saveexec_b64 s[8:9], vcc
; %bb.2929:
	s_mov_b32 s4, 0x3fffff
	v_and_b32_e32 v5, 0x400000, v0
	v_and_or_b32 v1, v0, s4, v1
	v_cmp_ne_u32_e32 vcc, 0, v5
	v_cmp_ne_u32_e64 s[4:5], 0, v1
	s_and_b64 s[4:5], vcc, s[4:5]
	v_lshrrev_b32_e32 v4, 23, v0
	v_cndmask_b32_e64 v1, 0, 1, s[4:5]
	v_add_u32_e32 v4, v4, v1
; %bb.2930:
	s_or_b64 exec, exec, s[8:9]
	s_mov_b64 s[4:5], 0
	s_mov_b64 s[8:9], -1
	global_store_byte v[2:3], v4, off
.LBB195_2931:
	s_mov_b64 s[10:11], 0
.LBB195_2932:
	s_and_b64 vcc, exec, s[10:11]
	s_cbranch_vccz .LBB195_2935
; %bb.2933:
	v_mov_b32_e32 v1, 29
	v_cmp_eq_u16_sdwa s[10:11], s22, v1 src0_sel:BYTE_0 src1_sel:DWORD
	s_mov_b64 s[4:5], -1
	s_and_b64 vcc, exec, s[10:11]
	s_cbranch_vccz .LBB195_2935
; %bb.2934:
	v_trunc_f32_e32 v1, v0
	v_mul_f32_e32 v4, 0x2f800000, v1
	v_floor_f32_e32 v4, v4
	v_fmac_f32_e32 v1, 0xcf800000, v4
	v_cvt_u32_f32_e32 v5, v4
	v_cvt_u32_f32_e32 v4, v1
	s_mov_b64 s[4:5], 0
	s_mov_b64 s[8:9], -1
	s_mov_b64 s[10:11], 0
	global_store_dwordx2 v[2:3], v[4:5], off
	s_branch .LBB195_2936
.LBB195_2935:
	s_mov_b64 s[10:11], 0
.LBB195_2936:
	s_and_b64 vcc, exec, s[10:11]
	s_cbranch_vccz .LBB195_2952
; %bb.2937:
	v_mov_b32_e32 v1, 27
	v_cmp_lt_i16_sdwa s[10:11], s22, v1 src0_sel:BYTE_0 src1_sel:DWORD
	s_mov_b64 s[8:9], -1
	s_and_b64 vcc, exec, s[10:11]
	s_cbranch_vccnz .LBB195_2943
; %bb.2938:
	v_cmp_gt_i16_sdwa s[10:11], s22, v1 src0_sel:BYTE_0 src1_sel:DWORD
	s_and_b64 vcc, exec, s[10:11]
	s_cbranch_vccz .LBB195_2940
; %bb.2939:
	v_cvt_u32_f32_e32 v1, v0
	s_mov_b64 s[8:9], 0
	global_store_dword v[2:3], v1, off
.LBB195_2940:
	s_andn2_b64 vcc, exec, s[8:9]
	s_cbranch_vccnz .LBB195_2942
; %bb.2941:
	v_cvt_u32_f32_e32 v1, v0
	global_store_short v[2:3], v1, off
.LBB195_2942:
	s_mov_b64 s[8:9], 0
.LBB195_2943:
	s_andn2_b64 vcc, exec, s[8:9]
	s_cbranch_vccnz .LBB195_2951
; %bb.2944:
	v_and_b32_e32 v1, 0x7fffffff, v0
	s_mov_b32 s8, 0x43800000
	v_cmp_gt_u32_e32 vcc, s8, v1
	v_mov_b32_e32 v4, 0x80
	s_and_saveexec_b64 s[8:9], vcc
	s_cbranch_execz .LBB195_2950
; %bb.2945:
	s_mov_b32 s10, 0x3bffffff
	v_cmp_lt_u32_e32 vcc, s10, v1
	s_mov_b64 s[10:11], 0
                                        ; implicit-def: $vgpr1
	s_and_saveexec_b64 s[12:13], vcc
	s_xor_b64 s[12:13], exec, s[12:13]
	s_cbranch_execz .LBB195_3159
; %bb.2946:
	v_bfe_u32 v1, v0, 20, 1
	s_mov_b32 s14, 0x487ffff
	v_add3_u32 v1, v0, v1, s14
	s_mov_b64 s[10:11], exec
	v_lshrrev_b32_e32 v1, 20, v1
	s_or_saveexec_b64 s[12:13], s[12:13]
                                        ; implicit-def: $sgpr14
	s_xor_b64 exec, exec, s[12:13]
	s_cbranch_execnz .LBB195_3160
.LBB195_2947:
	s_or_b64 exec, exec, s[12:13]
	v_mov_b32_e32 v4, s14
	s_and_saveexec_b64 s[12:13], s[10:11]
.LBB195_2948:
	v_lshrrev_b32_e32 v4, 24, v0
	s_movk_i32 s10, 0x80
	v_and_or_b32 v4, v4, s10, v1
.LBB195_2949:
	s_or_b64 exec, exec, s[12:13]
.LBB195_2950:
	s_or_b64 exec, exec, s[8:9]
	global_store_byte v[2:3], v4, off
.LBB195_2951:
	s_mov_b64 s[8:9], -1
.LBB195_2952:
	s_mov_b64 s[10:11], 0
.LBB195_2953:
	s_and_b64 vcc, exec, s[10:11]
	s_cbranch_vccz .LBB195_2993
; %bb.2954:
	v_mov_b32_e32 v1, 22
	v_cmp_gt_i16_sdwa s[10:11], s22, v1 src0_sel:BYTE_0 src1_sel:DWORD
	s_mov_b64 s[6:7], -1
	s_and_b64 vcc, exec, s[10:11]
	s_cbranch_vccz .LBB195_2986
; %bb.2955:
	v_mov_b32_e32 v1, 24
	v_cmp_lt_i16_sdwa s[8:9], s22, v1 src0_sel:BYTE_0 src1_sel:DWORD
	s_and_b64 vcc, exec, s[8:9]
	s_cbranch_vccnz .LBB195_2975
; %bb.2956:
	v_cmp_gt_i16_sdwa s[8:9], s22, v1 src0_sel:BYTE_0 src1_sel:DWORD
	s_and_b64 vcc, exec, s[8:9]
	s_cbranch_vccz .LBB195_2964
; %bb.2957:
	v_and_b32_e32 v1, 0x7fffffff, v0
	s_mov_b32 s6, 0x47800000
	v_cmp_gt_u32_e32 vcc, s6, v1
	v_mov_b32_e32 v4, 0x80
	s_and_saveexec_b64 s[6:7], vcc
	s_cbranch_execz .LBB195_2963
; %bb.2958:
	s_mov_b32 s8, 0x37ffffff
	v_cmp_lt_u32_e32 vcc, s8, v1
	s_mov_b64 s[8:9], 0
                                        ; implicit-def: $vgpr1
	s_and_saveexec_b64 s[10:11], vcc
	s_xor_b64 s[10:11], exec, s[10:11]
	s_cbranch_execz .LBB195_3162
; %bb.2959:
	v_bfe_u32 v1, v0, 21, 1
	s_mov_b32 s12, 0x88fffff
	v_add3_u32 v1, v0, v1, s12
	s_mov_b64 s[8:9], exec
	v_lshrrev_b32_e32 v1, 21, v1
	s_or_saveexec_b64 s[10:11], s[10:11]
                                        ; implicit-def: $sgpr12
	s_xor_b64 exec, exec, s[10:11]
	s_cbranch_execnz .LBB195_3163
.LBB195_2960:
	s_or_b64 exec, exec, s[10:11]
	v_mov_b32_e32 v4, s12
	s_and_saveexec_b64 s[10:11], s[8:9]
.LBB195_2961:
	v_lshrrev_b32_e32 v4, 24, v0
	s_movk_i32 s8, 0x80
	v_and_or_b32 v4, v4, s8, v1
.LBB195_2962:
	s_or_b64 exec, exec, s[10:11]
.LBB195_2963:
	s_or_b64 exec, exec, s[6:7]
	s_mov_b64 s[6:7], 0
	global_store_byte v[2:3], v4, off
.LBB195_2964:
	s_and_b64 vcc, exec, s[6:7]
	s_cbranch_vccz .LBB195_2974
; %bb.2965:
	v_and_b32_e32 v4, 0x7fffffff, v0
	s_mov_b32 s6, 0x43f00000
	v_cmp_gt_u32_e32 vcc, s6, v4
                                        ; implicit-def: $vgpr1
	s_and_saveexec_b64 s[6:7], vcc
	s_xor_b64 s[6:7], exec, s[6:7]
	s_cbranch_execz .LBB195_2971
; %bb.2966:
	s_mov_b32 s8, 0x3c7fffff
	v_cmp_lt_u32_e32 vcc, s8, v4
                                        ; implicit-def: $vgpr1
	s_and_saveexec_b64 s[8:9], vcc
	s_xor_b64 s[8:9], exec, s[8:9]
; %bb.2967:
	v_bfe_u32 v1, v0, 20, 1
	s_mov_b32 s10, 0x407ffff
	v_add3_u32 v1, v0, v1, s10
	v_lshrrev_b32_e32 v4, 20, v1
	v_and_b32_e32 v1, 0xff00000, v1
	s_mov_b32 s10, 0x7f00000
	v_mov_b32_e32 v5, 0x7e
	v_cmp_ne_u32_e32 vcc, s10, v1
	v_cndmask_b32_e32 v1, v5, v4, vcc
; %bb.2968:
	s_andn2_saveexec_b64 s[8:9], s[8:9]
; %bb.2969:
	s_mov_b32 s10, 0x46800000
	v_add_f32_e64 v1, |v0|, s10
; %bb.2970:
	s_or_b64 exec, exec, s[8:9]
                                        ; implicit-def: $vgpr4
.LBB195_2971:
	s_andn2_saveexec_b64 s[6:7], s[6:7]
; %bb.2972:
	s_mov_b32 s8, 0x7f800000
	v_mov_b32_e32 v1, 0x7e
	v_mov_b32_e32 v5, 0x7f
	v_cmp_lt_u32_e32 vcc, s8, v4
	v_cndmask_b32_e32 v1, v1, v5, vcc
; %bb.2973:
	s_or_b64 exec, exec, s[6:7]
	v_lshrrev_b32_e32 v4, 24, v0
	s_movk_i32 s6, 0x80
	v_and_or_b32 v1, v4, s6, v1
	global_store_byte v[2:3], v1, off
.LBB195_2974:
	s_mov_b64 s[6:7], 0
.LBB195_2975:
	s_andn2_b64 vcc, exec, s[6:7]
	s_cbranch_vccnz .LBB195_2985
; %bb.2976:
	v_and_b32_e32 v4, 0x7fffffff, v0
	s_mov_b32 s6, 0x47800000
	v_cmp_gt_u32_e32 vcc, s6, v4
                                        ; implicit-def: $vgpr1
	s_and_saveexec_b64 s[6:7], vcc
	s_xor_b64 s[6:7], exec, s[6:7]
	s_cbranch_execz .LBB195_2982
; %bb.2977:
	s_mov_b32 s8, 0x387fffff
	v_cmp_lt_u32_e32 vcc, s8, v4
                                        ; implicit-def: $vgpr1
	s_and_saveexec_b64 s[8:9], vcc
	s_xor_b64 s[8:9], exec, s[8:9]
; %bb.2978:
	v_bfe_u32 v1, v0, 21, 1
	s_mov_b32 s10, 0x80fffff
	v_add3_u32 v1, v0, v1, s10
	v_lshrrev_b32_e32 v1, 21, v1
; %bb.2979:
	s_andn2_saveexec_b64 s[8:9], s[8:9]
; %bb.2980:
	s_mov_b32 s10, 0x43000000
	v_add_f32_e64 v1, |v0|, s10
; %bb.2981:
	s_or_b64 exec, exec, s[8:9]
                                        ; implicit-def: $vgpr4
.LBB195_2982:
	s_andn2_saveexec_b64 s[6:7], s[6:7]
; %bb.2983:
	s_mov_b32 s8, 0x7f800000
	v_mov_b32_e32 v1, 0x7c
	v_mov_b32_e32 v5, 0x7f
	v_cmp_lt_u32_e32 vcc, s8, v4
	v_cndmask_b32_e32 v1, v1, v5, vcc
; %bb.2984:
	s_or_b64 exec, exec, s[6:7]
	v_lshrrev_b32_e32 v4, 24, v0
	s_movk_i32 s6, 0x80
	v_and_or_b32 v1, v4, s6, v1
	global_store_byte v[2:3], v1, off
.LBB195_2985:
	s_mov_b64 s[6:7], 0
	s_mov_b64 s[8:9], -1
.LBB195_2986:
	s_andn2_b64 vcc, exec, s[6:7]
	s_mov_b64 s[6:7], 0
	s_cbranch_vccnz .LBB195_2993
; %bb.2987:
	v_mov_b32_e32 v1, 14
	v_cmp_gt_i16_sdwa s[6:7], s22, v1 src0_sel:BYTE_0 src1_sel:DWORD
	s_mov_b64 s[10:11], -1
	s_and_b64 vcc, exec, s[6:7]
	s_cbranch_vccz .LBB195_2991
; %bb.2988:
	v_mov_b32_e32 v1, 15
	v_cmp_eq_u16_sdwa s[6:7], s22, v1 src0_sel:BYTE_0 src1_sel:DWORD
	s_mov_b64 s[4:5], -1
	s_and_b64 vcc, exec, s[6:7]
	s_cbranch_vccz .LBB195_2990
; %bb.2989:
	v_bfe_u32 v1, v0, 16, 1
	s_movk_i32 s4, 0x7fff
	v_add3_u32 v1, v0, v1, s4
	v_lshrrev_b32_e32 v1, 16, v1
	v_mov_b32_e32 v4, 0x7fc0
	v_cmp_o_f32_e32 vcc, v0, v0
	v_cndmask_b32_e32 v1, v4, v1, vcc
	global_store_short v[2:3], v1, off
	s_mov_b64 s[4:5], 0
	s_mov_b64 s[8:9], -1
.LBB195_2990:
	s_mov_b64 s[10:11], 0
.LBB195_2991:
	s_mov_b64 s[6:7], 0
	s_and_b64 vcc, exec, s[10:11]
	s_cbranch_vccz .LBB195_2993
; %bb.2992:
	v_mov_b32_e32 v1, 11
	v_cmp_ne_u16_sdwa s[4:5], s22, v1 src0_sel:BYTE_0 src1_sel:DWORD
	s_mov_b64 s[6:7], -1
.LBB195_2993:
	s_and_b64 vcc, exec, s[4:5]
	s_cbranch_vccnz .LBB195_3161
; %bb.2994:
	s_andn2_b64 vcc, exec, s[6:7]
	s_cbranch_vccnz .LBB195_2996
.LBB195_2995:
	v_cmp_neq_f32_e32 vcc, 0, v0
	v_cndmask_b32_e64 v1, 0, 1, vcc
	s_mov_b64 s[8:9], -1
	global_store_byte v[2:3], v1, off
.LBB195_2996:
	s_mov_b64 s[4:5], 0
.LBB195_2997:
	s_and_b64 vcc, exec, s[4:5]
	s_cbranch_vccz .LBB195_3036
; %bb.2998:
	v_mov_b32_e32 v1, 5
	v_cmp_lt_i16_sdwa s[6:7], s22, v1 src0_sel:BYTE_0 src1_sel:DWORD
	s_mov_b64 s[4:5], -1
	s_and_b64 vcc, exec, s[6:7]
	s_cbranch_vccnz .LBB195_3019
; %bb.2999:
	v_mov_b32_e32 v1, 8
	v_cmp_lt_i16_sdwa s[6:7], s22, v1 src0_sel:BYTE_0 src1_sel:DWORD
	s_and_b64 vcc, exec, s[6:7]
	s_cbranch_vccnz .LBB195_3009
; %bb.3000:
	v_mov_b32_e32 v1, 9
	v_cmp_lt_i16_sdwa s[6:7], s22, v1 src0_sel:BYTE_0 src1_sel:DWORD
	s_and_b64 vcc, exec, s[6:7]
	s_cbranch_vccnz .LBB195_3006
; %bb.3001:
	v_cmp_gt_i16_sdwa s[6:7], s22, v1 src0_sel:BYTE_0 src1_sel:DWORD
	s_and_b64 vcc, exec, s[6:7]
	s_cbranch_vccz .LBB195_3003
; %bb.3002:
	v_mov_b32_e32 v6, 0
	v_cvt_f64_f32_e32 v[4:5], v0
	v_mov_b32_e32 v7, v6
	global_store_dwordx4 v[2:3], v[4:7], off
	s_mov_b64 s[4:5], 0
.LBB195_3003:
	s_andn2_b64 vcc, exec, s[4:5]
	s_cbranch_vccnz .LBB195_3005
; %bb.3004:
	v_mov_b32_e32 v1, 0
	global_store_dwordx2 v[2:3], v[0:1], off
.LBB195_3005:
	s_mov_b64 s[4:5], 0
.LBB195_3006:
	s_andn2_b64 vcc, exec, s[4:5]
	s_cbranch_vccnz .LBB195_3008
; %bb.3007:
	v_cvt_f16_f32_e32 v1, v0
	global_store_dword v[2:3], v1, off
.LBB195_3008:
	s_mov_b64 s[4:5], 0
.LBB195_3009:
	s_andn2_b64 vcc, exec, s[4:5]
	s_cbranch_vccnz .LBB195_3018
; %bb.3010:
	v_mov_b32_e32 v1, 6
	v_cmp_lt_i16_sdwa s[6:7], s22, v1 src0_sel:BYTE_0 src1_sel:DWORD
	s_mov_b64 s[4:5], -1
	s_and_b64 vcc, exec, s[6:7]
	s_cbranch_vccnz .LBB195_3016
; %bb.3011:
	v_cmp_gt_i16_sdwa s[6:7], s22, v1 src0_sel:BYTE_0 src1_sel:DWORD
	s_and_b64 vcc, exec, s[6:7]
	s_cbranch_vccz .LBB195_3013
; %bb.3012:
	v_cvt_f64_f32_e32 v[4:5], v0
	global_store_dwordx2 v[2:3], v[4:5], off
	s_mov_b64 s[4:5], 0
.LBB195_3013:
	s_andn2_b64 vcc, exec, s[4:5]
	s_cbranch_vccnz .LBB195_3015
; %bb.3014:
	global_store_dword v[2:3], v0, off
.LBB195_3015:
	s_mov_b64 s[4:5], 0
.LBB195_3016:
	s_andn2_b64 vcc, exec, s[4:5]
	s_cbranch_vccnz .LBB195_3018
; %bb.3017:
	v_cvt_f16_f32_e32 v1, v0
	global_store_short v[2:3], v1, off
.LBB195_3018:
	s_mov_b64 s[4:5], 0
.LBB195_3019:
	s_andn2_b64 vcc, exec, s[4:5]
	s_cbranch_vccnz .LBB195_3035
; %bb.3020:
	v_mov_b32_e32 v1, 2
	v_cmp_lt_i16_sdwa s[6:7], s22, v1 src0_sel:BYTE_0 src1_sel:DWORD
	s_mov_b64 s[4:5], -1
	s_and_b64 vcc, exec, s[6:7]
	s_cbranch_vccnz .LBB195_3030
; %bb.3021:
	v_mov_b32_e32 v1, 3
	v_cmp_lt_i16_sdwa s[6:7], s22, v1 src0_sel:BYTE_0 src1_sel:DWORD
	s_and_b64 vcc, exec, s[6:7]
	s_cbranch_vccnz .LBB195_3027
; %bb.3022:
	v_cmp_gt_i16_sdwa s[6:7], s22, v1 src0_sel:BYTE_0 src1_sel:DWORD
	s_and_b64 vcc, exec, s[6:7]
	s_cbranch_vccz .LBB195_3024
; %bb.3023:
	v_trunc_f32_e32 v1, v0
	s_mov_b32 s4, 0x2f800000
	v_mul_f32_e64 v4, |v1|, s4
	v_floor_f32_e32 v4, v4
	s_mov_b32 s4, 0xcf800000
	v_cvt_u32_f32_e32 v5, v4
	v_fma_f32 v4, v4, s4, |v1|
	v_cvt_u32_f32_e32 v4, v4
	v_ashrrev_i32_e32 v1, 31, v1
	v_xor_b32_e32 v5, v5, v1
	s_mov_b64 s[4:5], 0
	v_xor_b32_e32 v4, v4, v1
	v_sub_co_u32_e32 v4, vcc, v4, v1
	v_subb_co_u32_e32 v5, vcc, v5, v1, vcc
	global_store_dwordx2 v[2:3], v[4:5], off
.LBB195_3024:
	s_andn2_b64 vcc, exec, s[4:5]
	s_cbranch_vccnz .LBB195_3026
; %bb.3025:
	v_cvt_i32_f32_e32 v1, v0
	global_store_dword v[2:3], v1, off
.LBB195_3026:
	s_mov_b64 s[4:5], 0
.LBB195_3027:
	s_andn2_b64 vcc, exec, s[4:5]
	s_cbranch_vccnz .LBB195_3029
; %bb.3028:
	v_cvt_i32_f32_e32 v1, v0
	global_store_short v[2:3], v1, off
.LBB195_3029:
	s_mov_b64 s[4:5], 0
.LBB195_3030:
	s_andn2_b64 vcc, exec, s[4:5]
	s_cbranch_vccnz .LBB195_3035
; %bb.3031:
	v_mov_b32_e32 v1, 0
	v_cmp_gt_i16_sdwa s[6:7], s22, v1 src0_sel:BYTE_0 src1_sel:DWORD
	s_mov_b64 s[4:5], -1
	s_and_b64 vcc, exec, s[6:7]
	s_cbranch_vccz .LBB195_3033
; %bb.3032:
	v_cvt_i32_f32_e32 v1, v0
	s_mov_b64 s[4:5], 0
	global_store_byte v[2:3], v1, off
.LBB195_3033:
	s_andn2_b64 vcc, exec, s[4:5]
	s_cbranch_vccnz .LBB195_3035
; %bb.3034:
	v_trunc_f32_e32 v0, v0
	s_mov_b32 s4, 0x2f800000
	v_mul_f32_e64 v1, |v0|, s4
	v_floor_f32_e32 v1, v1
	s_mov_b32 s4, 0xcf800000
	v_fma_f32 v1, v1, s4, |v0|
	v_cvt_u32_f32_e32 v1, v1
	v_ashrrev_i32_e32 v0, 31, v0
	v_xor_b32_e32 v1, v1, v0
	v_sub_u32_e32 v0, v1, v0
	global_store_byte v[2:3], v0, off
.LBB195_3035:
	s_mov_b64 s[8:9], -1
.LBB195_3036:
	s_andn2_b64 vcc, exec, s[8:9]
	s_cbranch_vccnz .LBB195_3113
; %bb.3037:
	v_mov_b32_e32 v0, v34
	v_mov_b32_e32 v1, v35
	s_getpc_b64 s[4:5]
	s_add_u32 s4, s4, _ZZZZN2at6native33launch_standard_gamma_grad_kernelERNS_18TensorIteratorBaseEENKUlvE_clEvENKUlvE0_clEvENKUlffE_clEff@rel32@lo+4
	s_addc_u32 s5, s5, _ZZZZN2at6native33launch_standard_gamma_grad_kernelERNS_18TensorIteratorBaseEENKUlvE_clEvENKUlvE0_clEvENKUlffE_clEff@rel32@hi+12
	s_swappc_b64 s[30:31], s[4:5]
	v_mov_b32_e32 v1, 0xff
	v_and_b32_e32 v4, s22, v1
	v_mov_b32_e32 v1, s25
	v_add_co_u32_e32 v2, vcc, s24, v36
	v_addc_co_u32_e32 v3, vcc, 0, v1, vcc
	v_cmp_gt_i16_e32 vcc, 11, v4
	s_cbranch_vccnz .LBB195_3158
; %bb.3038:
	v_cmp_lt_i16_e32 vcc, 25, v4
	s_mov_b64 s[8:9], -1
	s_mov_b64 s[6:7], 0
	s_mov_b64 s[4:5], 0
	s_cbranch_vccz .LBB195_3071
; %bb.3039:
	v_cmp_lt_i16_e32 vcc, 28, v4
	s_cbranch_vccz .LBB195_3055
; %bb.3040:
	v_cmp_lt_i16_e32 vcc, 43, v4
	;; [unrolled: 3-line block ×3, first 2 shown]
	s_cbranch_vccz .LBB195_3045
; %bb.3042:
	v_cmp_eq_u16_e32 vcc, 46, v4
	s_mov_b64 s[4:5], -1
	s_cbranch_vccz .LBB195_3044
; %bb.3043:
	v_bfe_u32 v1, v0, 16, 1
	s_movk_i32 s4, 0x7fff
	v_add3_u32 v1, v0, v1, s4
	v_lshrrev_b32_e32 v1, 16, v1
	v_mov_b32_e32 v5, 0x7fc0
	v_cmp_o_f32_e32 vcc, v0, v0
	v_cndmask_b32_e32 v1, v5, v1, vcc
	global_store_dword v[2:3], v1, off
	s_mov_b64 s[4:5], 0
.LBB195_3044:
	s_mov_b64 s[8:9], 0
.LBB195_3045:
	s_and_b64 vcc, exec, s[8:9]
	s_cbranch_vccz .LBB195_3050
; %bb.3046:
	v_cmp_eq_u16_e32 vcc, 44, v4
	s_mov_b64 s[4:5], -1
	s_cbranch_vccz .LBB195_3050
; %bb.3047:
	v_bfe_u32 v1, v0, 23, 8
	s_movk_i32 s4, 0xff
	v_cmp_ne_u32_e32 vcc, s4, v1
	v_mov_b32_e32 v5, 0xff
	s_and_saveexec_b64 s[8:9], vcc
; %bb.3048:
	s_mov_b32 s4, 0x3fffff
	v_and_b32_e32 v6, 0x400000, v0
	v_and_or_b32 v1, v0, s4, v1
	v_cmp_ne_u32_e32 vcc, 0, v6
	v_cmp_ne_u32_e64 s[4:5], 0, v1
	s_and_b64 s[4:5], vcc, s[4:5]
	v_lshrrev_b32_e32 v5, 23, v0
	v_cndmask_b32_e64 v1, 0, 1, s[4:5]
	v_add_u32_e32 v5, v5, v1
; %bb.3049:
	s_or_b64 exec, exec, s[8:9]
	s_mov_b64 s[4:5], 0
	global_store_byte v[2:3], v5, off
.LBB195_3050:
	s_mov_b64 s[8:9], 0
.LBB195_3051:
	s_and_b64 vcc, exec, s[8:9]
	s_cbranch_vccz .LBB195_3054
; %bb.3052:
	v_cmp_eq_u16_e32 vcc, 29, v4
	s_mov_b64 s[4:5], -1
	s_cbranch_vccz .LBB195_3054
; %bb.3053:
	v_trunc_f32_e32 v1, v0
	v_mul_f32_e32 v5, 0x2f800000, v1
	v_floor_f32_e32 v5, v5
	v_fmac_f32_e32 v1, 0xcf800000, v5
	v_cvt_u32_f32_e32 v7, v5
	v_cvt_u32_f32_e32 v6, v1
	s_mov_b64 s[4:5], 0
	global_store_dwordx2 v[2:3], v[6:7], off
.LBB195_3054:
	s_mov_b64 s[8:9], 0
.LBB195_3055:
	s_and_b64 vcc, exec, s[8:9]
	s_cbranch_vccz .LBB195_3070
; %bb.3056:
	v_cmp_gt_i16_e32 vcc, 27, v4
	s_mov_b64 s[8:9], -1
	s_cbranch_vccnz .LBB195_3062
; %bb.3057:
	v_cvt_u32_f32_e32 v1, v0
	v_cmp_lt_i16_e32 vcc, 27, v4
	s_cbranch_vccz .LBB195_3059
; %bb.3058:
	global_store_dword v[2:3], v1, off
	s_mov_b64 s[8:9], 0
.LBB195_3059:
	s_andn2_b64 vcc, exec, s[8:9]
	s_cbranch_vccnz .LBB195_3061
; %bb.3060:
	global_store_short v[2:3], v1, off
.LBB195_3061:
	s_mov_b64 s[8:9], 0
.LBB195_3062:
	s_andn2_b64 vcc, exec, s[8:9]
	s_cbranch_vccnz .LBB195_3070
; %bb.3063:
	v_and_b32_e32 v1, 0x7fffffff, v0
	s_mov_b32 s8, 0x43800000
	v_cmp_gt_u32_e32 vcc, s8, v1
	v_mov_b32_e32 v5, 0x80
	s_and_saveexec_b64 s[8:9], vcc
	s_cbranch_execz .LBB195_3069
; %bb.3064:
	s_mov_b32 s10, 0x3bffffff
	v_cmp_lt_u32_e32 vcc, s10, v1
	s_mov_b64 s[10:11], 0
                                        ; implicit-def: $vgpr1
	s_and_saveexec_b64 s[12:13], vcc
	s_xor_b64 s[12:13], exec, s[12:13]
	s_cbranch_execz .LBB195_3164
; %bb.3065:
	v_bfe_u32 v1, v0, 20, 1
	s_mov_b32 s14, 0x487ffff
	v_add3_u32 v1, v0, v1, s14
	s_mov_b64 s[10:11], exec
	v_lshrrev_b32_e32 v1, 20, v1
	s_or_saveexec_b64 s[12:13], s[12:13]
                                        ; implicit-def: $sgpr14
	s_xor_b64 exec, exec, s[12:13]
	s_cbranch_execnz .LBB195_3165
.LBB195_3066:
	s_or_b64 exec, exec, s[12:13]
	v_mov_b32_e32 v5, s14
	s_and_saveexec_b64 s[12:13], s[10:11]
.LBB195_3067:
	v_lshrrev_b32_e32 v5, 24, v0
	s_movk_i32 s10, 0x80
	v_and_or_b32 v5, v5, s10, v1
.LBB195_3068:
	s_or_b64 exec, exec, s[12:13]
.LBB195_3069:
	s_or_b64 exec, exec, s[8:9]
	global_store_byte v[2:3], v5, off
.LBB195_3070:
	s_mov_b64 s[8:9], 0
.LBB195_3071:
	s_and_b64 vcc, exec, s[8:9]
	s_cbranch_vccz .LBB195_3111
; %bb.3072:
	v_cmp_lt_i16_e32 vcc, 22, v4
	s_mov_b64 s[6:7], -1
	s_cbranch_vccz .LBB195_3104
; %bb.3073:
	v_cmp_gt_i16_e32 vcc, 24, v4
	s_cbranch_vccnz .LBB195_3093
; %bb.3074:
	v_cmp_lt_i16_e32 vcc, 24, v4
	s_cbranch_vccz .LBB195_3082
; %bb.3075:
	v_and_b32_e32 v1, 0x7fffffff, v0
	s_mov_b32 s6, 0x47800000
	v_cmp_gt_u32_e32 vcc, s6, v1
	v_mov_b32_e32 v5, 0x80
	s_and_saveexec_b64 s[6:7], vcc
	s_cbranch_execz .LBB195_3081
; %bb.3076:
	s_mov_b32 s8, 0x37ffffff
	v_cmp_lt_u32_e32 vcc, s8, v1
	s_mov_b64 s[8:9], 0
                                        ; implicit-def: $vgpr1
	s_and_saveexec_b64 s[10:11], vcc
	s_xor_b64 s[10:11], exec, s[10:11]
	s_cbranch_execz .LBB195_3167
; %bb.3077:
	v_bfe_u32 v1, v0, 21, 1
	s_mov_b32 s12, 0x88fffff
	v_add3_u32 v1, v0, v1, s12
	s_mov_b64 s[8:9], exec
	v_lshrrev_b32_e32 v1, 21, v1
	s_or_saveexec_b64 s[10:11], s[10:11]
                                        ; implicit-def: $sgpr12
	s_xor_b64 exec, exec, s[10:11]
	s_cbranch_execnz .LBB195_3168
.LBB195_3078:
	s_or_b64 exec, exec, s[10:11]
	v_mov_b32_e32 v5, s12
	s_and_saveexec_b64 s[10:11], s[8:9]
.LBB195_3079:
	v_lshrrev_b32_e32 v5, 24, v0
	s_movk_i32 s8, 0x80
	v_and_or_b32 v5, v5, s8, v1
.LBB195_3080:
	s_or_b64 exec, exec, s[10:11]
.LBB195_3081:
	s_or_b64 exec, exec, s[6:7]
	s_mov_b64 s[6:7], 0
	global_store_byte v[2:3], v5, off
.LBB195_3082:
	s_and_b64 vcc, exec, s[6:7]
	s_cbranch_vccz .LBB195_3092
; %bb.3083:
	v_and_b32_e32 v5, 0x7fffffff, v0
	s_mov_b32 s6, 0x43f00000
	v_cmp_gt_u32_e32 vcc, s6, v5
                                        ; implicit-def: $vgpr1
	s_and_saveexec_b64 s[6:7], vcc
	s_xor_b64 s[6:7], exec, s[6:7]
	s_cbranch_execz .LBB195_3089
; %bb.3084:
	s_mov_b32 s8, 0x3c7fffff
	v_cmp_lt_u32_e32 vcc, s8, v5
                                        ; implicit-def: $vgpr1
	s_and_saveexec_b64 s[8:9], vcc
	s_xor_b64 s[8:9], exec, s[8:9]
; %bb.3085:
	v_bfe_u32 v1, v0, 20, 1
	s_mov_b32 s10, 0x407ffff
	v_add3_u32 v1, v0, v1, s10
	v_lshrrev_b32_e32 v5, 20, v1
	v_and_b32_e32 v1, 0xff00000, v1
	s_mov_b32 s10, 0x7f00000
	v_mov_b32_e32 v6, 0x7e
	v_cmp_ne_u32_e32 vcc, s10, v1
	v_cndmask_b32_e32 v1, v6, v5, vcc
; %bb.3086:
	s_andn2_saveexec_b64 s[8:9], s[8:9]
; %bb.3087:
	s_mov_b32 s10, 0x46800000
	v_add_f32_e64 v1, |v0|, s10
; %bb.3088:
	s_or_b64 exec, exec, s[8:9]
                                        ; implicit-def: $vgpr5
.LBB195_3089:
	s_andn2_saveexec_b64 s[6:7], s[6:7]
; %bb.3090:
	s_mov_b32 s8, 0x7f800000
	v_mov_b32_e32 v1, 0x7e
	v_mov_b32_e32 v6, 0x7f
	v_cmp_lt_u32_e32 vcc, s8, v5
	v_cndmask_b32_e32 v1, v1, v6, vcc
; %bb.3091:
	s_or_b64 exec, exec, s[6:7]
	v_lshrrev_b32_e32 v5, 24, v0
	s_movk_i32 s6, 0x80
	v_and_or_b32 v1, v5, s6, v1
	global_store_byte v[2:3], v1, off
.LBB195_3092:
	s_mov_b64 s[6:7], 0
.LBB195_3093:
	s_andn2_b64 vcc, exec, s[6:7]
	s_cbranch_vccnz .LBB195_3103
; %bb.3094:
	v_and_b32_e32 v5, 0x7fffffff, v0
	s_mov_b32 s6, 0x47800000
	v_cmp_gt_u32_e32 vcc, s6, v5
                                        ; implicit-def: $vgpr1
	s_and_saveexec_b64 s[6:7], vcc
	s_xor_b64 s[6:7], exec, s[6:7]
	s_cbranch_execz .LBB195_3100
; %bb.3095:
	s_mov_b32 s8, 0x387fffff
	v_cmp_lt_u32_e32 vcc, s8, v5
                                        ; implicit-def: $vgpr1
	s_and_saveexec_b64 s[8:9], vcc
	s_xor_b64 s[8:9], exec, s[8:9]
; %bb.3096:
	v_bfe_u32 v1, v0, 21, 1
	s_mov_b32 s10, 0x80fffff
	v_add3_u32 v1, v0, v1, s10
	v_lshrrev_b32_e32 v1, 21, v1
; %bb.3097:
	s_andn2_saveexec_b64 s[8:9], s[8:9]
; %bb.3098:
	s_mov_b32 s10, 0x43000000
	v_add_f32_e64 v1, |v0|, s10
; %bb.3099:
	s_or_b64 exec, exec, s[8:9]
                                        ; implicit-def: $vgpr5
.LBB195_3100:
	s_andn2_saveexec_b64 s[6:7], s[6:7]
; %bb.3101:
	s_mov_b32 s8, 0x7f800000
	v_mov_b32_e32 v1, 0x7c
	v_mov_b32_e32 v6, 0x7f
	v_cmp_lt_u32_e32 vcc, s8, v5
	v_cndmask_b32_e32 v1, v1, v6, vcc
; %bb.3102:
	s_or_b64 exec, exec, s[6:7]
	v_lshrrev_b32_e32 v5, 24, v0
	s_movk_i32 s6, 0x80
	v_and_or_b32 v1, v5, s6, v1
	global_store_byte v[2:3], v1, off
.LBB195_3103:
	s_mov_b64 s[6:7], 0
.LBB195_3104:
	s_andn2_b64 vcc, exec, s[6:7]
	s_mov_b64 s[6:7], 0
	s_cbranch_vccnz .LBB195_3111
; %bb.3105:
	v_cmp_lt_i16_e32 vcc, 14, v4
	s_mov_b64 s[8:9], -1
	s_cbranch_vccz .LBB195_3109
; %bb.3106:
	v_cmp_eq_u16_e32 vcc, 15, v4
	s_mov_b64 s[4:5], -1
	s_cbranch_vccz .LBB195_3108
; %bb.3107:
	v_bfe_u32 v1, v0, 16, 1
	s_movk_i32 s4, 0x7fff
	v_add3_u32 v1, v0, v1, s4
	v_lshrrev_b32_e32 v1, 16, v1
	v_mov_b32_e32 v5, 0x7fc0
	v_cmp_o_f32_e32 vcc, v0, v0
	v_cndmask_b32_e32 v1, v5, v1, vcc
	global_store_short v[2:3], v1, off
	s_mov_b64 s[4:5], 0
.LBB195_3108:
	s_mov_b64 s[8:9], 0
.LBB195_3109:
	s_and_b64 vcc, exec, s[8:9]
	s_cbranch_vccz .LBB195_3111
; %bb.3110:
	v_cmp_ne_u16_e64 s[4:5], 11, v4
	s_mov_b64 s[6:7], -1
.LBB195_3111:
	s_and_b64 vcc, exec, s[4:5]
	s_cbranch_vccnz .LBB195_3166
.LBB195_3112:
	s_mov_b64 s[4:5], 0
	s_branch .LBB195_3114
.LBB195_3113:
	s_mov_b64 s[4:5], 0
	s_mov_b64 s[6:7], 0
                                        ; implicit-def: $vgpr2_vgpr3
                                        ; implicit-def: $vgpr4
                                        ; implicit-def: $vgpr0
.LBB195_3114:
	s_and_b64 s[8:9], s[4:5], exec
	s_and_b64 s[28:29], s[6:7], exec
	s_andn2_b64 s[4:5], s[36:37], exec
	s_and_b64 s[6:7], s[34:35], exec
	s_or_b64 s[36:37], s[4:5], s[6:7]
.LBB195_3115:
	s_or_b64 exec, exec, s[38:39]
	s_and_saveexec_b64 s[4:5], s[36:37]
	s_cbranch_execz .LBB195_3118
; %bb.3116:
	; divergent unreachable
	s_or_b64 exec, exec, s[4:5]
	s_and_saveexec_b64 s[4:5], s[28:29]
	s_xor_b64 s[4:5], exec, s[4:5]
	s_cbranch_execnz .LBB195_3119
.LBB195_3117:
	s_or_b64 exec, exec, s[4:5]
	s_and_saveexec_b64 s[4:5], s[8:9]
	s_cbranch_execnz .LBB195_3120
	s_branch .LBB195_3157
.LBB195_3118:
	s_or_b64 exec, exec, s[4:5]
	s_and_saveexec_b64 s[4:5], s[28:29]
	s_xor_b64 s[4:5], exec, s[4:5]
	s_cbranch_execz .LBB195_3117
.LBB195_3119:
	s_waitcnt vmcnt(0)
	v_cmp_neq_f32_e32 vcc, 0, v0
	v_cndmask_b32_e64 v1, 0, 1, vcc
	global_store_byte v[2:3], v1, off
	s_or_b64 exec, exec, s[4:5]
	s_and_saveexec_b64 s[4:5], s[8:9]
	s_cbranch_execz .LBB195_3157
.LBB195_3120:
	v_cmp_gt_i16_e32 vcc, 5, v4
	s_mov_b64 s[4:5], -1
	s_cbranch_vccnz .LBB195_3141
; %bb.3121:
	v_cmp_gt_i16_e32 vcc, 8, v4
	s_cbranch_vccnz .LBB195_3131
; %bb.3122:
	v_cmp_gt_i16_e32 vcc, 9, v4
	s_cbranch_vccnz .LBB195_3128
; %bb.3123:
	v_cmp_lt_i16_e32 vcc, 9, v4
	s_cbranch_vccz .LBB195_3125
; %bb.3124:
	v_mov_b32_e32 v8, 0
	s_waitcnt vmcnt(0)
	v_cvt_f64_f32_e32 v[6:7], v0
	v_mov_b32_e32 v9, v8
	global_store_dwordx4 v[2:3], v[6:9], off
	s_mov_b64 s[4:5], 0
.LBB195_3125:
	s_andn2_b64 vcc, exec, s[4:5]
	s_cbranch_vccnz .LBB195_3127
; %bb.3126:
	s_waitcnt vmcnt(0)
	v_mov_b32_e32 v1, 0
	global_store_dwordx2 v[2:3], v[0:1], off
.LBB195_3127:
	s_mov_b64 s[4:5], 0
.LBB195_3128:
	s_andn2_b64 vcc, exec, s[4:5]
	s_cbranch_vccnz .LBB195_3130
; %bb.3129:
	s_waitcnt vmcnt(0)
	v_cvt_f16_f32_e32 v1, v0
	global_store_dword v[2:3], v1, off
.LBB195_3130:
	s_mov_b64 s[4:5], 0
.LBB195_3131:
	s_andn2_b64 vcc, exec, s[4:5]
	s_cbranch_vccnz .LBB195_3140
; %bb.3132:
	v_cmp_gt_i16_e32 vcc, 6, v4
	s_mov_b64 s[4:5], -1
	s_cbranch_vccnz .LBB195_3138
; %bb.3133:
	v_cmp_lt_i16_e32 vcc, 6, v4
	s_cbranch_vccz .LBB195_3135
; %bb.3134:
	s_waitcnt vmcnt(0)
	v_cvt_f64_f32_e32 v[6:7], v0
	global_store_dwordx2 v[2:3], v[6:7], off
	s_mov_b64 s[4:5], 0
.LBB195_3135:
	s_andn2_b64 vcc, exec, s[4:5]
	s_cbranch_vccnz .LBB195_3137
; %bb.3136:
	s_waitcnt vmcnt(0)
	global_store_dword v[2:3], v0, off
.LBB195_3137:
	s_mov_b64 s[4:5], 0
.LBB195_3138:
	s_andn2_b64 vcc, exec, s[4:5]
	s_cbranch_vccnz .LBB195_3140
; %bb.3139:
	s_waitcnt vmcnt(0)
	v_cvt_f16_f32_e32 v1, v0
	global_store_short v[2:3], v1, off
.LBB195_3140:
	s_mov_b64 s[4:5], 0
.LBB195_3141:
	s_andn2_b64 vcc, exec, s[4:5]
	s_cbranch_vccnz .LBB195_3157
; %bb.3142:
	v_cmp_gt_i16_e32 vcc, 2, v4
	s_mov_b64 s[4:5], -1
	s_cbranch_vccnz .LBB195_3152
; %bb.3143:
	v_cmp_gt_i16_e32 vcc, 3, v4
	s_cbranch_vccnz .LBB195_3149
; %bb.3144:
	v_cmp_lt_i16_e32 vcc, 3, v4
	s_cbranch_vccz .LBB195_3146
; %bb.3145:
	s_waitcnt vmcnt(0)
	v_trunc_f32_e32 v1, v0
	s_mov_b32 s4, 0x2f800000
	v_mul_f32_e64 v5, |v1|, s4
	v_floor_f32_e32 v5, v5
	s_mov_b32 s4, 0xcf800000
	v_cvt_u32_f32_e32 v6, v5
	v_fma_f32 v5, v5, s4, |v1|
	v_cvt_u32_f32_e32 v5, v5
	v_ashrrev_i32_e32 v1, 31, v1
	v_xor_b32_e32 v7, v6, v1
	s_mov_b64 s[4:5], 0
	v_xor_b32_e32 v5, v5, v1
	v_sub_co_u32_e32 v6, vcc, v5, v1
	v_subb_co_u32_e32 v7, vcc, v7, v1, vcc
	global_store_dwordx2 v[2:3], v[6:7], off
.LBB195_3146:
	s_andn2_b64 vcc, exec, s[4:5]
	s_cbranch_vccnz .LBB195_3148
; %bb.3147:
	s_waitcnt vmcnt(0)
	v_cvt_i32_f32_e32 v1, v0
	global_store_dword v[2:3], v1, off
.LBB195_3148:
	s_mov_b64 s[4:5], 0
.LBB195_3149:
	s_andn2_b64 vcc, exec, s[4:5]
	s_cbranch_vccnz .LBB195_3151
; %bb.3150:
	s_waitcnt vmcnt(0)
	v_cvt_i32_f32_e32 v1, v0
	global_store_short v[2:3], v1, off
.LBB195_3151:
	s_mov_b64 s[4:5], 0
.LBB195_3152:
	s_andn2_b64 vcc, exec, s[4:5]
	s_cbranch_vccnz .LBB195_3157
; %bb.3153:
	v_cmp_lt_i16_e32 vcc, 0, v4
	s_mov_b64 s[4:5], -1
	s_cbranch_vccz .LBB195_3155
; %bb.3154:
	s_waitcnt vmcnt(0)
	v_cvt_i32_f32_e32 v1, v0
	s_mov_b64 s[4:5], 0
	global_store_byte v[2:3], v1, off
.LBB195_3155:
	s_andn2_b64 vcc, exec, s[4:5]
	s_cbranch_vccnz .LBB195_3157
; %bb.3156:
	s_waitcnt vmcnt(0)
	v_trunc_f32_e32 v0, v0
	s_mov_b32 s4, 0x2f800000
	v_mul_f32_e64 v1, |v0|, s4
	v_floor_f32_e32 v1, v1
	s_mov_b32 s4, 0xcf800000
	v_fma_f32 v1, v1, s4, |v0|
	v_cvt_u32_f32_e32 v1, v1
	v_ashrrev_i32_e32 v0, 31, v0
	v_xor_b32_e32 v1, v1, v0
	v_sub_u32_e32 v0, v1, v0
	global_store_byte v[2:3], v0, off
	s_endpgm
.LBB195_3157:
	s_endpgm
.LBB195_3158:
	s_mov_b64 s[6:7], 0
	s_mov_b64 s[4:5], -1
	s_branch .LBB195_3114
.LBB195_3159:
	s_or_saveexec_b64 s[12:13], s[12:13]
                                        ; implicit-def: $sgpr14
	s_xor_b64 exec, exec, s[12:13]
	s_cbranch_execz .LBB195_2947
.LBB195_3160:
	s_mov_b32 s14, 0x46000000
	v_add_f32_e64 v1, |v0|, s14
	v_and_b32_e32 v1, 0xff, v1
	v_cmp_ne_u32_e32 vcc, 0, v1
	s_andn2_b64 s[10:11], s[10:11], exec
	s_and_b64 s[16:17], vcc, exec
	s_mov_b32 s14, 0
	s_or_b64 s[10:11], s[10:11], s[16:17]
	s_or_b64 exec, exec, s[12:13]
	v_mov_b32_e32 v4, s14
	s_and_saveexec_b64 s[12:13], s[10:11]
	s_cbranch_execnz .LBB195_2948
	s_branch .LBB195_2949
.LBB195_3161:
	s_trap 2
	s_or_b64 s[34:35], s[34:35], exec
	s_cbranch_execz .LBB195_2995
	s_branch .LBB195_2996
.LBB195_3162:
	s_or_saveexec_b64 s[10:11], s[10:11]
                                        ; implicit-def: $sgpr12
	s_xor_b64 exec, exec, s[10:11]
	s_cbranch_execz .LBB195_2960
.LBB195_3163:
	s_mov_b32 s12, 0x42800000
	v_add_f32_e64 v1, |v0|, s12
	v_and_b32_e32 v1, 0xff, v1
	v_cmp_ne_u32_e32 vcc, 0, v1
	s_andn2_b64 s[8:9], s[8:9], exec
	s_and_b64 s[14:15], vcc, exec
	s_mov_b32 s12, 0
	s_or_b64 s[8:9], s[8:9], s[14:15]
	s_or_b64 exec, exec, s[10:11]
	v_mov_b32_e32 v4, s12
	s_and_saveexec_b64 s[10:11], s[8:9]
	s_cbranch_execnz .LBB195_2961
	s_branch .LBB195_2962
.LBB195_3164:
	s_or_saveexec_b64 s[12:13], s[12:13]
                                        ; implicit-def: $sgpr14
	s_xor_b64 exec, exec, s[12:13]
	s_cbranch_execz .LBB195_3066
.LBB195_3165:
	s_mov_b32 s14, 0x46000000
	v_add_f32_e64 v1, |v0|, s14
	v_and_b32_e32 v1, 0xff, v1
	v_cmp_ne_u32_e32 vcc, 0, v1
	s_andn2_b64 s[10:11], s[10:11], exec
	s_and_b64 s[16:17], vcc, exec
	s_mov_b32 s14, 0
	s_or_b64 s[10:11], s[10:11], s[16:17]
	s_or_b64 exec, exec, s[12:13]
	v_mov_b32_e32 v5, s14
	s_and_saveexec_b64 s[12:13], s[10:11]
	s_cbranch_execnz .LBB195_3067
	s_branch .LBB195_3068
.LBB195_3166:
	s_mov_b64 s[6:7], 0
	s_or_b64 s[34:35], s[34:35], exec
	s_trap 2
	s_branch .LBB195_3112
.LBB195_3167:
	s_or_saveexec_b64 s[10:11], s[10:11]
                                        ; implicit-def: $sgpr12
	s_xor_b64 exec, exec, s[10:11]
	s_cbranch_execz .LBB195_3078
.LBB195_3168:
	s_mov_b32 s12, 0x42800000
	v_add_f32_e64 v1, |v0|, s12
	v_and_b32_e32 v1, 0xff, v1
	v_cmp_ne_u32_e32 vcc, 0, v1
	s_andn2_b64 s[8:9], s[8:9], exec
	s_and_b64 s[14:15], vcc, exec
	s_mov_b32 s12, 0
	s_or_b64 s[8:9], s[8:9], s[14:15]
	s_or_b64 exec, exec, s[10:11]
	v_mov_b32_e32 v5, s12
	s_and_saveexec_b64 s[10:11], s[8:9]
	s_cbranch_execnz .LBB195_3079
	s_branch .LBB195_3080
	.section	.rodata,"a",@progbits
	.p2align	6, 0x0
	.amdhsa_kernel _ZN2at6native32elementwise_kernel_manual_unrollILi128ELi4EZNS0_15gpu_kernel_implIZZZNS0_33launch_standard_gamma_grad_kernelERNS_18TensorIteratorBaseEENKUlvE_clEvENKUlvE0_clEvEUlffE_EEvS4_RKT_EUlibE0_EEviT1_
		.amdhsa_group_segment_fixed_size 0
		.amdhsa_private_segment_fixed_size 0
		.amdhsa_kernarg_size 432
		.amdhsa_user_sgpr_count 8
		.amdhsa_user_sgpr_private_segment_buffer 1
		.amdhsa_user_sgpr_dispatch_ptr 0
		.amdhsa_user_sgpr_queue_ptr 0
		.amdhsa_user_sgpr_kernarg_segment_ptr 1
		.amdhsa_user_sgpr_dispatch_id 0
		.amdhsa_user_sgpr_flat_scratch_init 1
		.amdhsa_user_sgpr_kernarg_preload_length 0
		.amdhsa_user_sgpr_kernarg_preload_offset 0
		.amdhsa_user_sgpr_private_segment_size 0
		.amdhsa_uses_dynamic_stack 0
		.amdhsa_system_sgpr_private_segment_wavefront_offset 0
		.amdhsa_system_sgpr_workgroup_id_x 1
		.amdhsa_system_sgpr_workgroup_id_y 0
		.amdhsa_system_sgpr_workgroup_id_z 0
		.amdhsa_system_sgpr_workgroup_info 0
		.amdhsa_system_vgpr_workitem_id 0
		.amdhsa_next_free_vgpr 44
		.amdhsa_next_free_sgpr 83
		.amdhsa_accum_offset 44
		.amdhsa_reserve_vcc 1
		.amdhsa_reserve_flat_scratch 1
		.amdhsa_float_round_mode_32 0
		.amdhsa_float_round_mode_16_64 0
		.amdhsa_float_denorm_mode_32 3
		.amdhsa_float_denorm_mode_16_64 3
		.amdhsa_dx10_clamp 1
		.amdhsa_ieee_mode 1
		.amdhsa_fp16_overflow 0
		.amdhsa_tg_split 0
		.amdhsa_exception_fp_ieee_invalid_op 0
		.amdhsa_exception_fp_denorm_src 0
		.amdhsa_exception_fp_ieee_div_zero 0
		.amdhsa_exception_fp_ieee_overflow 0
		.amdhsa_exception_fp_ieee_underflow 0
		.amdhsa_exception_fp_ieee_inexact 0
		.amdhsa_exception_int_div_zero 0
	.end_amdhsa_kernel
	.section	.text._ZN2at6native32elementwise_kernel_manual_unrollILi128ELi4EZNS0_15gpu_kernel_implIZZZNS0_33launch_standard_gamma_grad_kernelERNS_18TensorIteratorBaseEENKUlvE_clEvENKUlvE0_clEvEUlffE_EEvS4_RKT_EUlibE0_EEviT1_,"axG",@progbits,_ZN2at6native32elementwise_kernel_manual_unrollILi128ELi4EZNS0_15gpu_kernel_implIZZZNS0_33launch_standard_gamma_grad_kernelERNS_18TensorIteratorBaseEENKUlvE_clEvENKUlvE0_clEvEUlffE_EEvS4_RKT_EUlibE0_EEviT1_,comdat
.Lfunc_end195:
	.size	_ZN2at6native32elementwise_kernel_manual_unrollILi128ELi4EZNS0_15gpu_kernel_implIZZZNS0_33launch_standard_gamma_grad_kernelERNS_18TensorIteratorBaseEENKUlvE_clEvENKUlvE0_clEvEUlffE_EEvS4_RKT_EUlibE0_EEviT1_, .Lfunc_end195-_ZN2at6native32elementwise_kernel_manual_unrollILi128ELi4EZNS0_15gpu_kernel_implIZZZNS0_33launch_standard_gamma_grad_kernelERNS_18TensorIteratorBaseEENKUlvE_clEvENKUlvE0_clEvEUlffE_EEvS4_RKT_EUlibE0_EEviT1_
                                        ; -- End function
	.section	.AMDGPU.csdata,"",@progbits
; Kernel info:
; codeLenInByte = 57720
; NumSgprs: 89
; NumVgprs: 44
; NumAgprs: 0
; TotalNumVgprs: 44
; ScratchSize: 0
; MemoryBound: 1
; FloatMode: 240
; IeeeMode: 1
; LDSByteSize: 0 bytes/workgroup (compile time only)
; SGPRBlocks: 11
; VGPRBlocks: 5
; NumSGPRsForWavesPerEU: 89
; NumVGPRsForWavesPerEU: 44
; AccumOffset: 44
; Occupancy: 8
; WaveLimiterHint : 1
; COMPUTE_PGM_RSRC2:SCRATCH_EN: 0
; COMPUTE_PGM_RSRC2:USER_SGPR: 8
; COMPUTE_PGM_RSRC2:TRAP_HANDLER: 0
; COMPUTE_PGM_RSRC2:TGID_X_EN: 1
; COMPUTE_PGM_RSRC2:TGID_Y_EN: 0
; COMPUTE_PGM_RSRC2:TGID_Z_EN: 0
; COMPUTE_PGM_RSRC2:TIDIG_COMP_CNT: 0
; COMPUTE_PGM_RSRC3_GFX90A:ACCUM_OFFSET: 10
; COMPUTE_PGM_RSRC3_GFX90A:TG_SPLIT: 0
	.text
	.p2align	2                               ; -- Begin function _ZZZZN2at6native33launch_standard_gamma_grad_kernelERNS_18TensorIteratorBaseEENKUlvE_clEvENKUlvE1_clEvENKUlN3c104HalfES6_E_clES6_S6_
	.type	_ZZZZN2at6native33launch_standard_gamma_grad_kernelERNS_18TensorIteratorBaseEENKUlvE_clEvENKUlvE1_clEvENKUlN3c104HalfES6_E_clES6_S6_,@function
_ZZZZN2at6native33launch_standard_gamma_grad_kernelERNS_18TensorIteratorBaseEENKUlvE_clEvENKUlvE1_clEvENKUlN3c104HalfES6_E_clES6_S6_: ; @_ZZZZN2at6native33launch_standard_gamma_grad_kernelERNS_18TensorIteratorBaseEENKUlvE_clEvENKUlvE1_clEvENKUlN3c104HalfES6_E_clES6_S6_
; %bb.0:
	s_waitcnt vmcnt(0) expcnt(0) lgkmcnt(0)
	v_cvt_f32_f16_e32 v3, v1
	v_cvt_f32_f16_e32 v5, v0
	s_mov_b32 s4, 0x3f4ccccd
                                        ; implicit-def: $vgpr2
	v_cmp_ngt_f32_e32 vcc, s4, v3
	s_and_saveexec_b64 s[4:5], vcc
	s_xor_b64 s[8:9], exec, s[4:5]
	s_cbranch_execnz .LBB196_3
; %bb.1:
	s_andn2_saveexec_b64 s[12:13], s[8:9]
	s_cbranch_execnz .LBB196_12
.LBB196_2:
	s_or_b64 exec, exec, s[12:13]
	v_mov_b32_e32 v0, v2
	s_setpc_b64 s[30:31]
.LBB196_3:
	s_movk_i32 s4, 0x4800
	v_cmp_nlt_f16_e32 vcc, s4, v0
                                        ; implicit-def: $vgpr2
	s_and_saveexec_b64 s[4:5], vcc
	s_xor_b64 s[6:7], exec, s[4:5]
	s_cbranch_execz .LBB196_5
; %bb.4:
	v_div_scale_f32 v0, s[4:5], v5, v5, v3
	v_rcp_f32_e32 v1, v0
	v_div_scale_f32 v2, vcc, v3, v5, v3
	s_mov_b32 s10, 0x800000
	v_fma_f32 v4, -v0, v1, 1.0
	v_fmac_f32_e32 v1, v4, v1
	v_mul_f32_e32 v4, v2, v1
	v_fma_f32 v6, -v0, v4, v2
	v_fmac_f32_e32 v4, v6, v1
	v_fma_f32 v0, -v0, v4, v2
	v_div_fmas_f32 v0, v0, v1, v4
	v_div_fixup_f32 v0, v0, v5, v3
	v_mov_b32_e32 v1, 0x4f800000
	v_cmp_gt_f32_e32 vcc, s10, v0
	v_cndmask_b32_e32 v2, 1.0, v1, vcc
	v_mul_f32_e32 v0, v0, v2
	v_log_f32_e32 v0, v0
	s_mov_b32 s11, 0x3f317217
	s_mov_b32 s12, 0x7f800000
	v_mov_b32_e32 v4, 0x3e23efad
	v_mul_f32_e32 v2, 0x3f317217, v0
	v_fma_f32 v3, v0, s11, -v2
	v_fmac_f32_e32 v3, 0x3377d1cf, v0
	v_add_f32_e32 v2, v2, v3
	v_cmp_lt_f32_e64 s[4:5], |v0|, s12
	v_cndmask_b32_e64 v0, v0, v2, s[4:5]
	v_mov_b32_e32 v2, 0x41b17218
	v_cndmask_b32_e32 v3, 0, v2, vcc
	v_sub_f32_e32 v0, v0, v3
	v_mov_b32_e32 v3, 0x3f08edd3
	v_fmac_f32_e32 v3, 0x3d2455ec, v0
	v_fmac_f32_e32 v4, v0, v3
	v_mov_b32_e32 v3, 0x3e04ec27
	v_fmac_f32_e32 v3, 0xbbd7fcb0, v0
	v_mov_b32_e32 v6, 0xbdc1cfe5
	v_cmp_gt_f32_e32 vcc, s10, v5
	v_fmac_f32_e32 v6, v0, v3
	v_mov_b32_e32 v3, 0x3d86a092
	v_mov_b32_e32 v9, 0x3ca46a14
	v_cndmask_b32_e32 v1, 1.0, v1, vcc
	v_fmac_f32_e32 v3, 0xbb2c44ab, v0
	v_mov_b32_e32 v7, 0x3ccdffc6
	v_fmac_f32_e32 v9, 0xbb0ba71e, v0
	v_mov_b32_e32 v10, 0x3ea742c0
	v_mul_f32_e32 v1, v5, v1
	v_fmac_f32_e32 v7, v0, v3
	v_mov_b32_e32 v3, 0xbacd1fe0
	v_fmac_f32_e32 v10, v0, v9
	v_mov_b32_e32 v9, 0xbb6b877e
	v_log_f32_e32 v1, v1
	v_fmac_f32_e32 v3, 0xbab02f1f, v0
	v_mov_b32_e32 v8, 0xbb48db63
	v_fmac_f32_e32 v9, 0x3a5f1085, v0
	v_mov_b32_e32 v11, 0x3dd51de0
	;; [unrolled: 2-line block ×4, first 2 shown]
	v_fmac_f32_e32 v3, 0x3c8badca, v0
	v_fmac_f32_e32 v9, 0xb423b90c, v0
	v_mov_b32_e32 v5, 0x3ab9d91c
	v_fma_f32 v3, v0, v3, 1.0
	v_fmac_f32_e32 v5, v0, v9
	v_mul_f32_e32 v0, 0x3f317217, v1
	v_fma_f32 v9, v1, s11, -v0
	v_fmac_f32_e32 v9, 0x3377d1cf, v1
	v_add_f32_e32 v0, v0, v9
	v_cmp_lt_f32_e64 s[4:5], |v1|, s12
	v_cndmask_b32_e64 v0, v1, v0, s[4:5]
	v_cndmask_b32_e32 v1, 0, v2, vcc
	v_sub_f32_e32 v0, v0, v1
	v_fmac_f32_e32 v7, v0, v8
	v_fmac_f32_e32 v11, v0, v5
	;; [unrolled: 1-line block ×6, first 2 shown]
	v_div_scale_f32 v0, s[4:5], v3, v3, v4
	v_rcp_f32_e32 v1, v0
	s_mov_b32 s4, 0x3fb8aa3b
	v_fma_f32 v2, -v0, v1, 1.0
	v_fmac_f32_e32 v1, v2, v1
	v_div_scale_f32 v2, vcc, v4, v3, v4
	v_mul_f32_e32 v5, v2, v1
	v_fma_f32 v6, -v0, v5, v2
	v_fmac_f32_e32 v5, v6, v1
	v_fma_f32 v0, -v0, v5, v2
	v_div_fmas_f32 v0, v0, v1, v5
	v_div_fixup_f32 v0, v0, v3, v4
	v_mul_f32_e32 v1, 0x3fb8aa3b, v0
	v_fma_f32 v2, v0, s4, -v1
	v_rndne_f32_e32 v3, v1
	v_fmac_f32_e32 v2, 0x32a5705f, v0
	v_sub_f32_e32 v1, v1, v3
	v_add_f32_e32 v1, v1, v2
	v_exp_f32_e32 v1, v1
	v_cvt_i32_f32_e32 v2, v3
	s_mov_b32 s4, 0xc2ce8ed0
	v_cmp_ngt_f32_e32 vcc, s4, v0
	s_mov_b32 s4, 0x42b17218
	v_ldexp_f32 v1, v1, v2
	v_cndmask_b32_e32 v1, 0, v1, vcc
	v_mov_b32_e32 v2, 0x7f800000
	v_cmp_nlt_f32_e32 vcc, s4, v0
	v_cndmask_b32_e32 v0, v2, v1, vcc
	v_cvt_f16_f32_e32 v2, v0
                                        ; implicit-def: $vgpr5
                                        ; implicit-def: $vgpr3
                                        ; implicit-def: $vgpr1
                                        ; implicit-def: $vgpr0
.LBB196_5:
	s_andn2_saveexec_b64 s[10:11], s[6:7]
	s_cbranch_execz .LBB196_11
; %bb.6:
	v_mul_f32_e32 v2, 0x3f666666, v5
	v_cmp_le_f32_e32 vcc, v2, v3
	v_mul_f32_e32 v2, 0x3f8ccccd, v5
	v_cmp_ge_f32_e64 s[4:5], v2, v3
	s_and_b64 s[4:5], vcc, s[4:5]
                                        ; implicit-def: $vgpr2
	s_and_saveexec_b64 s[6:7], s[4:5]
	s_xor_b64 s[4:5], exec, s[6:7]
	s_cbranch_execz .LBB196_8
; %bb.7:
	v_mul_f32_e32 v2, 0xc2820000, v3
	v_mul_f32_e32 v2, v2, v3
	v_div_scale_f32 v6, s[12:13], v5, v5, v2
	v_rcp_f32_e32 v7, v6
	v_mov_b32_e32 v8, 0x42540000
	v_mul_f32_e32 v1, 0x40c00000, v3
	v_fmac_f32_e32 v8, 0xc2f00000, v3
	v_mul_f32_e32 v8, v1, v8
	v_fma_f32 v1, -v6, v7, 1.0
	v_fmac_f32_e32 v7, v1, v7
	v_div_scale_f32 v1, vcc, v2, v5, v2
	v_mul_f32_e32 v9, v1, v7
	v_fma_f32 v10, -v6, v9, v1
	v_fmac_f32_e32 v9, v10, v7
	v_fma_f32 v1, -v6, v9, v1
	s_mov_b32 s7, 0x41400000
	v_div_fmas_f32 v1, v1, v7, v9
	v_mul_f32_e32 v4, 0x41c00000, v5
	v_fma_f32 v0, v5, s7, 1.0
	v_div_fixup_f32 v6, v1, v5, v2
	v_mov_b32_e32 v7, 0x42d60000
	v_mov_b32_e32 v1, v5
	v_fmac_f32_e32 v7, 0x45610000, v3
	v_pk_mul_f32 v[2:3], v[4:5], v[0:1]
	s_mov_b32 s6, 1.0
	v_fmac_f32_e32 v8, 0x44b40000, v3
	v_add_f32_e32 v6, v8, v6
	v_pk_fma_f32 v[0:1], v[4:5], v[0:1], s[6:7]
	s_mov_b32 s7, 0x4997e000
	v_fmac_f32_e32 v6, v7, v5
	v_pk_mul_f32 v[4:5], v[2:3], s[6:7]
	v_mov_b32_e32 v1, v5
	v_mov_b32_e32 v7, v3
	v_pk_mul_f32 v[0:1], v[0:1], v[6:7]
	v_div_scale_f32 v2, s[6:7], v1, v1, v0
	v_rcp_f32_e32 v3, v2
	v_fma_f32 v4, -v2, v3, 1.0
	v_fmac_f32_e32 v3, v4, v3
	v_div_scale_f32 v4, vcc, v0, v1, v0
	v_mul_f32_e32 v5, v4, v3
	v_fma_f32 v6, -v2, v5, v4
	v_fmac_f32_e32 v5, v6, v3
	v_fma_f32 v2, -v2, v5, v4
	v_div_fmas_f32 v2, v2, v3, v5
	v_div_fixup_f32 v0, v2, v1, v0
	v_cvt_f16_f32_e32 v2, v0
                                        ; implicit-def: $vgpr5
                                        ; implicit-def: $vgpr3
                                        ; implicit-def: $vgpr1
                                        ; implicit-def: $vgpr0
.LBB196_8:
	s_andn2_saveexec_b64 s[12:13], s[4:5]
	s_cbranch_execz .LBB196_10
; %bb.9:
	v_mul_f32_e32 v2, 0x41000000, v5
	s_mov_b32 s14, 0xf800000
	v_mul_f32_e32 v4, 0x4f800000, v2
	v_cmp_gt_f32_e32 vcc, s14, v2
	v_cndmask_b32_e32 v2, v2, v4, vcc
	v_sqrt_f32_e32 v4, v2
	v_mov_b32_e32 v24, 0x260
	v_sub_f32_e32 v26, v5, v3
	s_mov_b32 s6, 0x7f800000
	v_add_u32_e32 v6, -1, v4
	v_fma_f32 v7, -v6, v4, v2
	v_cmp_ge_f32_e64 s[4:5], 0, v7
	v_add_u32_e32 v7, 1, v4
	v_cndmask_b32_e64 v6, v4, v6, s[4:5]
	v_fma_f32 v4, -v7, v4, v2
	v_cmp_lt_f32_e64 s[4:5], 0, v4
	v_cndmask_b32_e64 v4, v6, v7, s[4:5]
	v_mul_f32_e32 v6, 0x37800000, v4
	v_cndmask_b32_e32 v4, v4, v6, vcc
	v_cmp_class_f32_e32 vcc, v2, v24
	v_cndmask_b32_e32 v25, v4, v2, vcc
	v_div_scale_f32 v2, s[4:5], v26, v26, v25
	v_rcp_f32_e32 v4, v2
	s_movk_i32 s7, 0x204
	s_brev_b32 s15, -2
	v_fma_f32 v6, -v2, v4, 1.0
	v_fmac_f32_e32 v4, v6, v4
	v_div_scale_f32 v6, vcc, v25, v26, v25
	v_mul_f32_e32 v7, v6, v4
	v_fma_f32 v8, -v2, v7, v6
	v_fmac_f32_e32 v7, v8, v4
	v_div_scale_f32 v8, s[4:5], v5, v5, v3
	v_rcp_f32_e32 v9, v8
	v_fma_f32 v2, -v2, v7, v6
	v_div_fmas_f32 v2, v2, v4, v7
	s_mov_b32 s4, 0x800000
	v_fma_f32 v4, -v8, v9, 1.0
	v_fmac_f32_e32 v9, v4, v9
	v_div_scale_f32 v4, vcc, v3, v5, v3
	v_mul_f32_e32 v6, v4, v9
	v_fma_f32 v7, -v8, v6, v4
	v_fmac_f32_e32 v6, v7, v9
	v_fma_f32 v4, -v8, v6, v4
	v_div_fmas_f32 v4, v4, v9, v6
	v_div_fixup_f32 v4, v4, v5, v3
	v_mov_b32_e32 v6, 0x4f800000
	v_cmp_gt_f32_e32 vcc, s4, v4
	v_cndmask_b32_e32 v6, 1.0, v6, vcc
	v_mul_f32_e32 v4, v4, v6
	v_log_f32_e32 v6, v4
	s_mov_b32 s4, 0x3f317217
	v_div_fixup_f32 v4, v2, v26, v25
	v_sub_f32_e32 v2, v3, v5
	v_mul_f32_e32 v7, 0x3f317217, v6
	v_fma_f32 v8, v6, s4, -v7
	v_fmac_f32_e32 v8, 0x3377d1cf, v6
	v_add_f32_e32 v7, v7, v8
	v_cmp_lt_f32_e64 s[4:5], |v6|, s6
	v_cndmask_b32_e64 v6, v6, v7, s[4:5]
	v_mov_b32_e32 v7, 0x41b17218
	v_cndmask_b32_e32 v7, 0, v7, vcc
	v_sub_f32_e32 v6, v6, v7
	v_fma_f32 v27, -v6, v5, v2
	v_mov_b32_e32 v2, 0xbfc00000
	v_cmp_eq_f32_e32 vcc, 1.0, v27
	v_cndmask_b32_e64 v28, v2, 1.0, vcc
	v_frexp_mant_f32_e64 v2, |v27|
	s_mov_b32 s4, 0x3f2aaaab
	v_cmp_gt_f32_e32 vcc, s4, v2
	v_cndmask_b32_e64 v7, 1.0, 2.0, vcc
	v_mul_f32_e32 v2, v2, v7
	v_add_f32_e32 v7, 1.0, v2
	v_rcp_f32_e32 v16, v7
	v_add_f32_e32 v8, -1.0, v7
	v_add_f32_e32 v9, -1.0, v2
	v_sub_f32_e32 v8, v2, v8
	v_mul_f32_e32 v2, v9, v16
	v_mul_f32_e32 v10, v7, v2
	v_fma_f32 v12, v2, v7, -v10
	v_fmac_f32_e32 v12, v2, v8
	v_add_f32_e32 v8, v10, v12
	v_sub_f32_e32 v11, v9, v8
	v_pk_add_f32 v[14:15], v[8:9], v[10:11] neg_lo:[0,1] neg_hi:[0,1]
	v_mov_b32_e32 v13, v8
	v_pk_add_f32 v[8:9], v[14:15], v[12:13] neg_lo:[0,1] neg_hi:[0,1]
	v_add_f32_e32 v7, v8, v9
	v_add_f32_e32 v7, v11, v7
	v_mul_f32_e32 v7, v16, v7
	v_add_f32_e32 v8, v2, v7
	v_sub_f32_e32 v2, v8, v2
	v_sub_f32_e32 v7, v7, v2
	v_mul_f32_e32 v2, v8, v8
	v_fma_f32 v9, v8, v8, -v2
	v_add_f32_e32 v10, v7, v7
	v_fmac_f32_e32 v9, v8, v10
	v_add_f32_e32 v10, v2, v9
	v_mov_b32_e32 v11, 0x3e91f4c4
	v_fmac_f32_e32 v11, 0x3e76c4e1, v10
	v_mov_b32_e32 v12, 0x3ecccdef
	v_fmac_f32_e32 v12, v10, v11
	v_sub_f32_e32 v2, v10, v2
	v_sub_f32_e32 v2, v9, v2
	v_mul_f32_e32 v9, v10, v12
	v_fma_f32 v11, v10, v12, -v9
	v_fmac_f32_e32 v11, v2, v12
	v_add_f32_e32 v12, v9, v11
	v_add_f32_e32 v13, 0x3f2aaaaa, v12
	v_sub_f32_e32 v9, v12, v9
	v_sub_f32_e32 v9, v11, v9
	v_add_f32_e32 v11, 0xbf2aaaaa, v13
	v_add_f32_e32 v9, 0x31739010, v9
	v_sub_f32_e32 v11, v12, v11
	v_pk_mul_f32 v[14:15], v[8:9], v[10:11]
	v_fma_f32 v12, v10, v8, -v14
	v_pk_add_f32 v[16:17], v[8:9], v[10:11]
	v_fmac_f32_e32 v12, v10, v7
	v_mov_b32_e32 v15, v17
	v_fmac_f32_e32 v12, v2, v8
	v_pk_add_f32 v[10:11], v[14:15], v[12:13]
	v_sub_f32_e32 v2, v10, v14
	v_sub_f32_e32 v9, v12, v2
	;; [unrolled: 1-line block ×3, first 2 shown]
	v_add_f32_e32 v15, v17, v2
	v_mov_b32_e32 v2, v11
	v_cvt_f64_f32_e64 v[16:17], |v27|
	v_pk_mul_f32 v[12:13], v[10:11], v[2:3]
	v_frexp_exp_i32_f64_e32 v2, v[16:17]
	v_subbrev_co_u32_e32 v2, vcc, 0, v2, vcc
	v_cvt_f32_i32_e32 v2, v2
	v_fma_f32 v14, v10, v11, -v12
	v_fmac_f32_e32 v14, v10, v15
	s_mov_b32 s4, 0x3f317218
	v_mul_f32_e32 v10, 0x3f317218, v2
	v_fmac_f32_e32 v14, v9, v11
	v_fma_f32 v16, v2, s4, -v10
	v_fmac_f32_e32 v16, 0xb102e308, v2
	v_ldexp_f32 v17, v8, 1
	v_add_f32_e32 v11, v12, v14
	v_pk_add_f32 v[8:9], v[10:11], v[16:17]
	v_mov_b32_e32 v18, v11
	v_mov_b32_e32 v19, v9
	;; [unrolled: 1-line block ×3, first 2 shown]
	v_pk_add_f32 v[12:13], v[18:19], v[12:13] neg_lo:[0,1] neg_hi:[0,1]
	v_mov_b32_e32 v15, v11
	v_ldexp_f32 v2, v7, 1
	v_pk_add_f32 v[12:13], v[14:15], v[12:13] neg_lo:[0,1] neg_hi:[0,1]
	v_add_f32_e32 v2, v2, v12
	v_add_f32_e32 v11, v2, v13
	v_pk_add_f32 v[12:13], v[8:9], v[10:11] neg_lo:[0,1] neg_hi:[0,1]
	v_pk_add_f32 v[14:15], v[8:9], v[10:11]
	v_mov_b32_e32 v18, v12
	v_mov_b32_e32 v19, v15
	;; [unrolled: 1-line block ×3, first 2 shown]
	v_pk_add_f32 v[18:19], v[16:17], v[18:19]
	v_mov_b32_e32 v2, v19
	v_pk_add_f32 v[20:21], v[2:3], v[8:9] neg_lo:[0,1] neg_hi:[0,1]
	v_mov_b32_e32 v7, v20
	v_mov_b32_e32 v18, v15
	;; [unrolled: 1-line block ×4, first 2 shown]
	v_pk_add_f32 v[12:13], v[16:17], v[12:13] neg_lo:[0,1] neg_hi:[0,1]
	v_pk_add_f32 v[22:23], v[14:15], v[6:7] neg_lo:[0,1] neg_hi:[0,1]
	;; [unrolled: 1-line block ×3, first 2 shown]
	v_mov_b32_e32 v16, v11
	v_pk_add_f32 v[8:9], v[16:17], v[8:9] neg_lo:[0,1] neg_hi:[0,1]
	v_mov_b32_e32 v22, v12
	v_pk_add_f32 v[10:11], v[22:23], v[8:9]
	v_mov_b32_e32 v14, v11
	v_pk_add_f32 v[14:15], v[10:11], v[14:15]
	v_pk_add_f32 v[16:17], v[2:3], v[14:15]
	v_mov_b32_e32 v13, v19
	v_mov_b32_e32 v11, v16
	v_pk_add_f32 v[18:19], v[10:11], v[12:13] neg_lo:[0,1] neg_hi:[0,1]
	v_mov_b32_e32 v9, v14
	v_sub_f32_e32 v2, v10, v18
	v_pk_add_f32 v[8:9], v[8:9], v[18:19] neg_lo:[0,1] neg_hi:[0,1]
	v_sub_f32_e32 v2, v12, v2
	v_add_f32_e32 v2, v8, v2
	v_add_f32_e32 v2, v2, v9
	;; [unrolled: 1-line block ×3, first 2 shown]
	v_sub_f32_e32 v8, v7, v16
	v_sub_f32_e32 v2, v2, v8
	v_mul_f32_e32 v8, v28, v7
	v_fma_f32 v7, v28, v7, -v8
	v_fmac_f32_e32 v7, v28, v2
	v_add_f32_e32 v2, v8, v7
	v_cmp_class_f32_e64 vcc, v8, s7
	v_sub_f32_e32 v9, v2, v8
	v_cndmask_b32_e32 v2, v2, v8, vcc
	s_mov_b32 s4, 0x42b17218
	v_mov_b32_e32 v8, 0x37000000
	v_cmp_eq_f32_e32 vcc, s4, v2
	v_cndmask_b32_e32 v8, 0, v8, vcc
	v_sub_f32_e32 v7, v7, v9
	v_sub_f32_e32 v9, v2, v8
	s_mov_b32 s5, 0x3fb8aa3b
	v_mul_f32_e32 v10, 0x3fb8aa3b, v9
	v_fma_f32 v11, v9, s5, -v10
	v_rndne_f32_e32 v12, v10
	v_fmac_f32_e32 v11, 0x32a5705f, v9
	v_sub_f32_e32 v10, v10, v12
	v_add_f32_e32 v10, v10, v11
	v_exp_f32_e32 v10, v10
	v_cvt_i32_f32_e32 v11, v12
	v_cmp_neq_f32_e64 vcc, |v2|, s6
	s_mov_b32 s5, 0xc2ce8ed0
	v_cndmask_b32_e32 v2, 0, v7, vcc
	v_ldexp_f32 v7, v10, v11
	v_cmp_ngt_f32_e32 vcc, s5, v9
	v_add_f32_e32 v2, v8, v2
	v_cndmask_b32_e32 v7, 0, v7, vcc
	v_mov_b32_e32 v8, 0x7f800000
	v_cmp_nlt_f32_e32 vcc, s4, v9
	v_cndmask_b32_e32 v7, v8, v7, vcc
	v_fma_f32 v2, v7, v2, v7
	v_cmp_class_f32_e64 vcc, v7, s7
	v_cndmask_b32_e32 v2, v2, v7, vcc
	v_trunc_f32_e32 v7, v28
	v_cmp_eq_f32_e32 vcc, v7, v28
	v_mul_f32_e32 v7, 0.5, v28
	v_trunc_f32_e32 v10, v7
	v_cmp_neq_f32_e64 s[4:5], v10, v7
	s_and_b64 s[4:5], vcc, s[4:5]
	v_cndmask_b32_e64 v7, 1.0, v27, s[4:5]
	v_mov_b32_e32 v9, 0x7fc00000
	v_bfi_b32 v2, s15, v2, v7
	v_cndmask_b32_e32 v7, v9, v2, vcc
	v_cmp_gt_f32_e32 vcc, 0, v27
	v_cndmask_b32_e32 v2, v2, v7, vcc
	v_cmp_class_f32_e64 s[16:17], v27, s7
	v_cmp_eq_f32_e32 vcc, 0, v27
	v_cmp_gt_f32_e64 s[6:7], 0, v28
	s_xor_b64 s[6:7], vcc, s[6:7]
	v_cndmask_b32_e64 v7, v8, 0, s[6:7]
	v_cndmask_b32_e64 v8, 0, v27, s[4:5]
	v_div_scale_f32 v10, s[4:5], v5, v5, 2.0
	v_rcp_f32_e32 v11, v10
	v_bfi_b32 v7, s15, v7, v8
	s_or_b64 vcc, vcc, s[16:17]
	v_cndmask_b32_e32 v2, v2, v7, vcc
	v_fma_f32 v7, -v10, v11, 1.0
	v_fmac_f32_e32 v11, v7, v11
	v_div_scale_f32 v7, vcc, 2.0, v5, 2.0
	v_mul_f32_e32 v8, v7, v11
	v_fma_f32 v12, -v10, v8, v7
	v_fmac_f32_e32 v8, v12, v11
	v_fma_f32 v7, -v10, v8, v7
	v_div_fmas_f32 v7, v7, v11, v8
	v_div_fixup_f32 v7, v7, v5, 2.0
	v_mul_f32_e32 v8, 0x4f800000, v7
	v_cmp_gt_f32_e32 vcc, s14, v7
	v_cndmask_b32_e32 v7, v7, v8, vcc
	v_sqrt_f32_e32 v8, v7
	v_cmp_o_f32_e64 s[4:5], v27, v27
	v_cndmask_b32_e64 v2, v9, v2, s[4:5]
	v_cmp_lt_f16_e64 s[4:5], v1, v0
	v_add_u32_e32 v0, -1, v8
	v_fma_f32 v1, -v0, v8, v7
	v_cndmask_b32_e64 v2, v2, -v2, s[4:5]
	v_cmp_ge_f32_e64 s[4:5], 0, v1
	v_add_u32_e32 v1, 1, v8
	v_cndmask_b32_e64 v0, v8, v0, s[4:5]
	v_fma_f32 v8, -v1, v8, v7
	v_cmp_lt_f32_e64 s[4:5], 0, v8
	v_cndmask_b32_e64 v0, v0, v1, s[4:5]
	v_mul_f32_e32 v1, 0x37800000, v0
	v_cndmask_b32_e32 v0, v0, v1, vcc
	v_cmp_class_f32_e32 vcc, v7, v24
	v_cndmask_b32_e32 v7, v0, v7, vcc
	v_pk_add_f32 v[0:1], v[4:5], v[2:3]
	v_pk_mul_f32 v[0:1], v[6:7], v[0:1]
	v_mul_f32_e32 v6, v26, v26
	v_div_scale_f32 v2, s[4:5], v6, v6, v1
	v_rcp_f32_e32 v7, v2
	s_mov_b32 s4, 0x41400000
	s_mov_b32 s5, 0x41c00000
	v_fma_f32 v4, -v2, v7, 1.0
	v_fmac_f32_e32 v7, v4, v7
	v_div_scale_f32 v4, vcc, v1, v6, v1
	v_mul_f32_e32 v8, v4, v7
	v_fma_f32 v9, -v2, v8, v4
	v_fmac_f32_e32 v8, v9, v7
	v_fma_f32 v9, -v2, v8, v4
	v_mov_b32_e32 v2, v5
	v_pk_mul_f32 v[4:5], v[2:3], s[4:5] op_sel_hi:[0,1]
	v_div_scale_f32 v2, s[4:5], v4, v4, 1.0
	v_rcp_f32_e32 v10, v2
	v_div_fmas_f32 v7, v9, v7, v8
	v_div_fixup_f32 v1, v7, v6, v1
	v_sub_f32_e32 v0, v0, v1
	v_fma_f32 v1, -v2, v10, 1.0
	v_fmac_f32_e32 v10, v1, v10
	v_div_scale_f32 v1, vcc, 1.0, v4, 1.0
	v_mul_f32_e32 v6, v1, v10
	v_fma_f32 v7, -v2, v6, v1
	v_fmac_f32_e32 v6, v7, v10
	v_fma_f32 v1, -v2, v6, v1
	v_div_scale_f32 v2, s[4:5], v5, v5, 1.0
	v_rcp_f32_e32 v7, v2
	v_div_fmas_f32 v1, v1, v10, v6
	v_div_fixup_f32 v1, v1, v4, 1.0
	v_mul_f32_e32 v0, v0, v3
	v_fma_f32 v4, -v2, v7, 1.0
	v_fmac_f32_e32 v7, v4, v7
	v_div_scale_f32 v4, vcc, 1.0, v5, 1.0
	v_mul_f32_e32 v6, v4, v7
	v_fma_f32 v8, -v2, v6, v4
	v_fmac_f32_e32 v6, v8, v7
	v_fma_f32 v2, -v2, v6, v4
	v_div_fmas_f32 v2, v2, v7, v6
	v_div_fixup_f32 v2, v2, v5, 1.0
	v_add_f32_e32 v2, 1.0, v2
	v_fma_f32 v1, v1, v2, 1.0
	v_mul_f32_e64 v0, v0, -v1
	v_div_scale_f32 v1, s[4:5], v25, v25, v0
	v_rcp_f32_e32 v2, v1
	v_fma_f32 v3, -v1, v2, 1.0
	v_fmac_f32_e32 v2, v3, v2
	v_div_scale_f32 v3, vcc, v0, v25, v0
	v_mul_f32_e32 v4, v3, v2
	v_fma_f32 v5, -v1, v4, v3
	v_fmac_f32_e32 v4, v5, v2
	v_fma_f32 v1, -v1, v4, v3
	v_div_fmas_f32 v1, v1, v2, v4
	v_div_fixup_f32 v0, v1, v25, v0
	v_cvt_f16_f32_e32 v2, v0
.LBB196_10:
	s_or_b64 exec, exec, s[12:13]
.LBB196_11:
	s_or_b64 exec, exec, s[10:11]
                                        ; implicit-def: $vgpr5
                                        ; implicit-def: $vgpr3
                                        ; implicit-def: $vgpr1
                                        ; implicit-def: $vgpr0
	s_andn2_saveexec_b64 s[12:13], s[8:9]
	s_cbranch_execz .LBB196_2
.LBB196_12:
	v_cmp_neq_f16_e32 vcc, 0, v0
	v_mov_b32_e32 v2, 0x7f800000
	v_mov_b32_e32 v4, 0x7f800000
	s_and_saveexec_b64 s[10:11], vcc
	s_cbranch_execz .LBB196_34
; %bb.13:
	v_cmp_gt_f16_e32 vcc, 0, v0
	s_mov_b64 s[4:5], -1
	v_mov_b32_e32 v0, 0
	v_mov_b32_e32 v6, v5
                                        ; implicit-def: $sgpr6
	s_and_saveexec_b64 s[14:15], vcc
	s_cbranch_execz .LBB196_21
; %bb.14:
	v_floor_f32_e32 v0, v5
	v_cmp_neq_f32_e32 vcc, v0, v5
	s_mov_b64 s[4:5], 0
	v_mov_b32_e32 v0, 0
                                        ; implicit-def: $vgpr6
	s_and_saveexec_b64 s[16:17], vcc
	s_cbranch_execz .LBB196_20
; %bb.15:
	v_mul_f32_e32 v0, 0x40490fdb, v5
	s_brev_b32 s4, 18
	v_and_b32_e32 v4, 0x7fffffff, v0
	v_cmp_nlt_f32_e64 s[4:5], |v0|, s4
                                        ; implicit-def: $vgpr7
                                        ; implicit-def: $vgpr6
	s_and_saveexec_b64 s[6:7], s[4:5]
	s_xor_b64 s[18:19], exec, s[6:7]
	s_cbranch_execz .LBB196_17
; %bb.16:
	v_lshrrev_b32_e32 v6, 23, v4
	v_add_u32_e32 v6, 0xffffff88, v6
	v_not_b32_e32 v8, 63
	v_cmp_lt_u32_e32 vcc, 63, v6
	v_cndmask_b32_e32 v8, 0, v8, vcc
	v_add_u32_e32 v6, v8, v6
	v_not_b32_e32 v8, 31
	v_cmp_lt_u32_e64 s[4:5], 31, v6
	v_cndmask_b32_e64 v9, 0, v8, s[4:5]
	v_add_u32_e32 v6, v9, v6
	v_cmp_lt_u32_e64 s[6:7], 31, v6
	v_cndmask_b32_e64 v8, 0, v8, s[6:7]
	v_add_u32_e32 v20, v8, v6
	v_and_b32_e32 v6, 0x7fffff, v4
	v_or_b32_e32 v21, 0x800000, v6
	s_mov_b32 s8, 0xfe5163ab
	v_mad_u64_u32 v[8:9], s[8:9], v21, s8, 0
	v_mov_b32_e32 v7, 0
	v_mov_b32_e32 v6, v9
	s_mov_b32 s8, 0x3c439041
	v_mad_u64_u32 v[10:11], s[8:9], v21, s8, v[6:7]
	v_mov_b32_e32 v6, v11
	s_mov_b32 s8, 0xdb629599
	v_mad_u64_u32 v[12:13], s[8:9], v21, s8, v[6:7]
	;; [unrolled: 3-line block ×6, first 2 shown]
	v_cndmask_b32_e32 v9, v18, v14, vcc
	v_cndmask_b32_e32 v6, v6, v16, vcc
	;; [unrolled: 1-line block ×3, first 2 shown]
	v_cndmask_b32_e64 v11, v6, v9, s[4:5]
	v_cndmask_b32_e64 v6, v7, v6, s[4:5]
	v_cndmask_b32_e32 v7, v16, v12, vcc
	v_cndmask_b32_e64 v9, v9, v7, s[4:5]
	v_cndmask_b32_e64 v6, v6, v11, s[6:7]
	;; [unrolled: 1-line block ×3, first 2 shown]
	v_sub_u32_e32 v13, 32, v20
	v_alignbit_b32 v15, v6, v11, v13
	v_cmp_eq_u32_e64 s[8:9], 0, v20
	v_cndmask_b32_e64 v15, v15, v6, s[8:9]
	v_cndmask_b32_e32 v6, v14, v10, vcc
	v_cndmask_b32_e64 v7, v7, v6, s[4:5]
	v_cndmask_b32_e64 v9, v9, v7, s[6:7]
	v_alignbit_b32 v10, v11, v9, v13
	v_cndmask_b32_e32 v8, v12, v8, vcc
	v_cndmask_b32_e64 v10, v10, v11, s[8:9]
	v_bfe_u32 v16, v15, 29, 1
	v_cndmask_b32_e64 v6, v6, v8, s[4:5]
	v_alignbit_b32 v11, v15, v10, 30
	v_sub_u32_e32 v17, 0, v16
	v_cndmask_b32_e64 v6, v7, v6, s[6:7]
	v_xor_b32_e32 v18, v11, v17
	v_alignbit_b32 v7, v9, v6, v13
	v_cndmask_b32_e64 v7, v7, v9, s[8:9]
	v_ffbh_u32_e32 v9, v18
	v_add_u32_e32 v9, 1, v9
	v_cmp_ne_u32_e32 vcc, v11, v17
	v_alignbit_b32 v8, v10, v7, 30
	v_cndmask_b32_e32 v9, 33, v9, vcc
	v_alignbit_b32 v6, v7, v6, 30
	v_xor_b32_e32 v8, v8, v17
	v_sub_u32_e32 v10, 32, v9
	v_xor_b32_e32 v6, v6, v17
	v_alignbit_b32 v11, v18, v8, v10
	v_alignbit_b32 v6, v8, v6, v10
	;; [unrolled: 1-line block ×3, first 2 shown]
	v_ffbh_u32_e32 v8, v7
	v_min_u32_e32 v8, 32, v8
	v_lshrrev_b32_e32 v14, 29, v15
	v_sub_u32_e32 v10, 31, v8
	v_alignbit_b32 v6, v7, v6, v10
	v_lshlrev_b32_e32 v7, 31, v14
	v_or_b32_e32 v10, 0x33800000, v7
	v_add_lshl_u32 v8, v8, v9, 23
	v_lshrrev_b32_e32 v6, 9, v6
	v_sub_u32_e32 v8, v10, v8
	v_or_b32_e32 v6, v8, v6
	v_alignbit_b32 v8, v9, v11, 9
	v_or_b32_e32 v7, v8, v7
	v_xor_b32_e32 v7, 1.0, v7
	s_mov_b32 s4, 0x3fc90fda
	v_mul_f32_e32 v8, 0x3fc90fda, v7
	v_fma_f32 v9, v7, s4, -v8
	v_fmac_f32_e32 v9, 0x33a22168, v7
	v_fmac_f32_e32 v9, 0x3fc90fda, v6
	v_lshrrev_b32_e32 v7, 30, v15
	v_add_f32_e32 v6, v8, v9
	v_add_u32_e32 v7, v16, v7
.LBB196_17:
	s_andn2_saveexec_b64 s[4:5], s[18:19]
; %bb.18:
	s_mov_b32 s6, 0x3f22f983
	v_mul_f32_e64 v6, |v0|, s6
	v_rndne_f32_e32 v8, v6
	s_mov_b32 s6, 0xbfc90fda
	v_cvt_i32_f32_e32 v7, v8
	v_fma_f32 v6, v8, s6, |v0|
	v_fmac_f32_e32 v6, 0xb3a22168, v8
	v_fmac_f32_e32 v6, 0xa7c234c4, v8
; %bb.19:
	s_or_b64 exec, exec, s[4:5]
	v_mul_f32_e32 v8, v6, v6
	v_mov_b32_e32 v9, 0xbf039337
	v_fmac_f32_e32 v9, 0x3c971480, v8
	v_mov_b32_e32 v10, 0x3f93f425
	v_fmac_f32_e32 v10, v8, v9
	v_rcp_f32_e32 v9, v10
	v_mov_b32_e32 v10, 0x3ec54587
	v_fmac_f32_e32 v10, 0xbc8cedd3, v8
	v_and_b32_e32 v7, 1, v7
	v_mul_f32_e32 v9, v10, v9
	v_mul_f32_e32 v8, v8, v9
	v_fma_f32 v9, v8, v6, v6
	v_rcp_f32_e32 v10, v9
	v_sub_f32_e32 v11, v9, v6
	v_fma_f32 v6, v8, v6, -v11
	v_cmp_eq_u32_e32 vcc, 0, v7
	v_fma_f32 v8, v9, -v10, 1.0
	v_fma_f32 v6, v6, -v10, v8
	v_fma_f32 v6, v6, -v10, -v10
	v_cndmask_b32_e32 v6, v6, v9, vcc
	v_xor_b32_e32 v4, v4, v0
	v_xor_b32_e32 v4, v4, v6
	s_mov_b32 s8, 0xc0490fdb
	v_div_scale_f32 v6, s[6:7], v4, v4, s8
	v_rcp_f32_e32 v7, v6
	s_movk_i32 s6, 0x1f8
	s_mov_b64 s[4:5], exec
	v_fma_f32 v8, -v6, v7, 1.0
	v_fmac_f32_e32 v7, v8, v7
	v_div_scale_f32 v8, vcc, s8, v4, s8
	v_mul_f32_e32 v9, v8, v7
	v_fma_f32 v10, -v6, v9, v8
	v_fmac_f32_e32 v9, v10, v7
	v_fma_f32 v6, -v6, v9, v8
	v_div_fmas_f32 v6, v6, v7, v9
	v_div_fixup_f32 v4, v6, v4, s8
	v_mov_b32_e32 v6, 0x7fc00000
	v_cmp_class_f32_e64 vcc, v0, s6
	v_cndmask_b32_e32 v0, v6, v4, vcc
	v_sub_f32_e32 v6, 1.0, v5
.LBB196_20:
	s_or_b64 exec, exec, s[16:17]
	s_mov_b32 s6, 0x7f800000
	s_orn2_b64 s[4:5], s[4:5], exec
.LBB196_21:
	s_or_b64 exec, exec, s[14:15]
	v_mov_b32_e32 v4, s6
	s_and_saveexec_b64 s[6:7], s[4:5]
	s_cbranch_execz .LBB196_33
; %bb.22:
	s_mov_b32 s14, 0x41200000
	v_cmp_gt_f32_e32 vcc, s14, v6
	v_mov_b32_e32 v4, 0
	s_and_saveexec_b64 s[4:5], vcc
	s_cbranch_execz .LBB196_26
; %bb.23:
	s_mov_b64 s[8:9], 0
	v_mov_b32_e32 v4, 0
.LBB196_24:                             ; =>This Inner Loop Header: Depth=1
	v_div_scale_f32 v7, s[16:17], v6, v6, 1.0
	v_rcp_f32_e32 v8, v7
	v_div_scale_f32 v9, vcc, 1.0, v6, 1.0
	v_fma_f32 v10, -v7, v8, 1.0
	v_fmac_f32_e32 v8, v10, v8
	v_mul_f32_e32 v10, v9, v8
	v_fma_f32 v11, -v7, v10, v9
	v_fmac_f32_e32 v10, v11, v8
	v_fma_f32 v7, -v7, v10, v9
	v_div_fmas_f32 v7, v7, v8, v10
	v_div_fixup_f32 v7, v7, v6, 1.0
	v_add_f32_e32 v6, 1.0, v6
	v_cmp_ngt_f32_e32 vcc, s14, v6
	s_or_b64 s[8:9], vcc, s[8:9]
	v_sub_f32_e32 v4, v4, v7
	s_andn2_b64 exec, exec, s[8:9]
	s_cbranch_execnz .LBB196_24
; %bb.25:
	s_or_b64 exec, exec, s[8:9]
.LBB196_26:
	s_or_b64 exec, exec, s[4:5]
	s_mov_b32 s4, 0x41200000
	v_cmp_neq_f32_e32 vcc, s4, v6
                                        ; implicit-def: $vgpr7
	s_and_saveexec_b64 s[4:5], vcc
	s_xor_b64 s[8:9], exec, s[4:5]
	s_cbranch_execz .LBB196_30
; %bb.27:
	s_mov_b32 s4, 0x5bb1a2bc
	v_cmp_gt_f32_e32 vcc, s4, v6
	v_mov_b32_e32 v7, 0
	s_and_saveexec_b64 s[4:5], vcc
	s_cbranch_execz .LBB196_29
; %bb.28:
	v_mul_f32_e32 v7, v6, v6
	v_div_scale_f32 v8, s[14:15], v7, v7, 1.0
	v_rcp_f32_e32 v9, v8
	v_div_scale_f32 v10, vcc, 1.0, v7, 1.0
	v_fma_f32 v11, -v8, v9, 1.0
	v_fmac_f32_e32 v9, v11, v9
	v_mul_f32_e32 v11, v10, v9
	v_fma_f32 v12, -v8, v11, v10
	v_fmac_f32_e32 v11, v12, v9
	v_fma_f32 v8, -v8, v11, v10
	v_div_fmas_f32 v8, v8, v9, v11
	v_div_fixup_f32 v7, v8, v7, 1.0
	v_mov_b32_e32 v8, 0x3daaaaab
	v_fma_f32 v9, 0, v7, v8
	v_mov_b32_e32 v10, 0xbcaccacd
	v_fmac_f32_e32 v10, v7, v9
	v_mov_b32_e32 v9, 0x3bf83e10
	v_fmac_f32_e32 v9, v7, v10
	;; [unrolled: 2-line block ×5, first 2 shown]
	v_fmac_f32_e32 v8, v7, v10
	v_mul_f32_e32 v7, v7, v8
.LBB196_29:
	s_or_b64 exec, exec, s[4:5]
	s_mov_b32 s4, 0x800000
	v_mov_b32_e32 v8, 0x4f800000
	v_cmp_gt_f32_e32 vcc, s4, v6
	v_cndmask_b32_e32 v8, 1.0, v8, vcc
	v_mul_f32_e32 v8, v6, v8
	v_log_f32_e32 v8, v8
	s_mov_b32 s4, 0x3f317217
	v_mul_f32_e32 v9, 0x3f317217, v8
	v_fma_f32 v10, v8, s4, -v9
	v_fmac_f32_e32 v10, 0x3377d1cf, v8
	s_mov_b32 s4, 0x7f800000
	v_add_f32_e32 v9, v9, v10
	v_cmp_lt_f32_e64 s[4:5], |v8|, s4
	v_cndmask_b32_e64 v8, v8, v9, s[4:5]
	v_div_scale_f32 v10, s[4:5], v6, v6, -0.5
	v_rcp_f32_e32 v11, v10
	v_mov_b32_e32 v9, 0x41b17218
	v_cndmask_b32_e32 v9, 0, v9, vcc
	v_sub_f32_e32 v8, v8, v9
	v_add_f32_e32 v4, v4, v8
	v_fma_f32 v8, -v10, v11, 1.0
	v_fmac_f32_e32 v11, v8, v11
	v_div_scale_f32 v8, vcc, -0.5, v6, -0.5
	v_mul_f32_e32 v9, v8, v11
	v_fma_f32 v12, -v10, v9, v8
	v_fmac_f32_e32 v9, v12, v11
	v_fma_f32 v8, -v10, v9, v8
	v_div_fmas_f32 v8, v8, v11, v9
	v_div_fixup_f32 v6, v8, v6, -0.5
	v_add_f32_e32 v4, v4, v6
	v_sub_f32_e32 v7, v4, v7
                                        ; implicit-def: $vgpr4
.LBB196_30:
	s_andn2_saveexec_b64 s[4:5], s[8:9]
; %bb.31:
	v_add_f32_e32 v7, 0x40101cb7, v4
; %bb.32:
	s_or_b64 exec, exec, s[4:5]
	v_add_f32_e32 v4, v0, v7
.LBB196_33:
	s_or_b64 exec, exec, s[6:7]
.LBB196_34:
	s_or_b64 exec, exec, s[10:11]
	v_div_scale_f32 v0, s[4:5], v5, v5, 1.0
	v_rcp_f32_e32 v6, v0
	v_div_scale_f32 v7, vcc, 1.0, v5, 1.0
	s_mov_b32 s6, 0xc0400000
	v_fma_f32 v8, -v0, v6, 1.0
	v_fmac_f32_e32 v6, v8, v6
	v_mul_f32_e32 v8, v7, v6
	v_fma_f32 v9, -v0, v8, v7
	v_fmac_f32_e32 v8, v9, v6
	v_fma_f32 v0, -v0, v8, v7
	v_mul_f32_e32 v7, v5, v5
	v_div_scale_f32 v9, s[4:5], v7, v7, 1.0
	v_rcp_f32_e32 v10, v9
	v_div_fmas_f32 v0, v0, v6, v8
	v_div_fixup_f32 v0, v0, v5, 1.0
	s_mov_b32 s18, 0x3f2aaaab
	v_fma_f32 v6, -v9, v10, 1.0
	v_fmac_f32_e32 v10, v6, v10
	v_div_scale_f32 v6, vcc, 1.0, v7, 1.0
	v_mul_f32_e32 v8, v6, v10
	v_fma_f32 v11, -v9, v8, v6
	v_fmac_f32_e32 v8, v11, v10
	v_fma_f32 v6, -v9, v8, v6
	v_add_f32_e32 v9, 1.0, v5
	v_div_scale_f32 v11, s[4:5], v9, v9, v3
	v_rcp_f32_e32 v12, v11
	v_div_fmas_f32 v6, v6, v10, v8
	v_div_fixup_f32 v6, v6, v7, 1.0
	v_mov_b32_e32 v26, 0x3ecccdef
	v_fma_f32 v7, -v11, v12, 1.0
	v_fmac_f32_e32 v12, v7, v12
	v_div_scale_f32 v7, vcc, v3, v9, v3
	v_mul_f32_e32 v8, v7, v12
	v_fma_f32 v10, -v11, v8, v7
	v_fmac_f32_e32 v8, v10, v12
	v_mul_f32_e32 v10, v9, v9
	v_fma_f32 v7, -v11, v8, v7
	v_div_scale_f32 v11, s[4:5], v10, v10, v3
	v_rcp_f32_e32 v13, v11
	v_div_fmas_f32 v7, v7, v12, v8
	v_div_fixup_f32 v7, v7, v9, v3
	v_sub_f32_e32 v0, v0, v7
	v_fma_f32 v7, -v11, v13, 1.0
	v_fmac_f32_e32 v13, v7, v13
	v_div_scale_f32 v7, vcc, v3, v10, v3
	v_mul_f32_e32 v8, v7, v13
	v_fma_f32 v12, -v11, v8, v7
	v_fmac_f32_e32 v8, v12, v13
	v_fma_f32 v7, -v11, v8, v7
	v_mul_f32_e32 v11, 0.5, v3
	v_mul_f32_e32 v11, v11, v3
	v_add_f32_e32 v9, 1.0, v9
	v_div_scale_f32 v12, s[4:5], v9, v9, v11
	v_rcp_f32_e32 v14, v12
	v_div_fmas_f32 v7, v7, v13, v8
	v_div_fixup_f32 v7, v7, v10, v3
	v_sub_f32_e32 v6, v6, v7
	v_fma_f32 v7, -v12, v14, 1.0
	v_fmac_f32_e32 v14, v7, v14
	v_div_scale_f32 v7, vcc, v11, v9, v11
	v_mul_f32_e32 v8, v7, v14
	v_fma_f32 v10, -v12, v8, v7
	v_fmac_f32_e32 v8, v10, v14
	v_mul_f32_e32 v10, v9, v9
	v_fma_f32 v7, -v12, v8, v7
	v_div_scale_f32 v12, s[4:5], v10, v10, v11
	v_rcp_f32_e32 v13, v12
	v_div_fmas_f32 v7, v7, v14, v8
	v_div_fixup_f32 v7, v7, v9, v11
	v_add_f32_e32 v9, 1.0, v9
	v_fma_f32 v8, -v12, v13, 1.0
	v_fmac_f32_e32 v13, v8, v13
	v_div_scale_f32 v8, vcc, v11, v10, v11
	v_mul_f32_e32 v14, v8, v13
	v_fma_f32 v15, -v12, v14, v8
	v_fmac_f32_e32 v14, v15, v13
	v_div_scale_f32 v15, s[4:5], s6, s6, v3
	v_rcp_f32_e32 v16, v15
	v_fma_f32 v8, -v12, v14, v8
	v_div_fmas_f32 v8, v8, v13, v14
	v_add_f32_e32 v0, v0, v7
	v_fma_f32 v12, -v15, v16, 1.0
	v_fmac_f32_e32 v16, v12, v16
	v_div_scale_f32 v12, vcc, v3, s6, v3
	v_mul_f32_e32 v13, v12, v16
	v_fma_f32 v14, -v15, v13, v12
	v_fmac_f32_e32 v13, v14, v16
	v_fma_f32 v12, -v15, v13, v12
	v_div_fmas_f32 v12, v12, v16, v13
	v_div_fixup_f32 v12, v12, s6, v3
	v_mul_f32_e32 v12, v12, v11
	v_div_scale_f32 v13, s[4:5], v9, v9, v12
	v_rcp_f32_e32 v14, v13
	v_div_fixup_f32 v7, v8, v10, v11
	v_add_f32_e32 v6, v6, v7
	s_mov_b32 s6, 0xc0a00000
	v_fma_f32 v7, -v13, v14, 1.0
	v_fmac_f32_e32 v14, v7, v14
	v_div_scale_f32 v7, vcc, v12, v9, v12
	v_mul_f32_e32 v8, v7, v14
	v_fma_f32 v10, -v13, v8, v7
	v_fmac_f32_e32 v8, v10, v14
	v_mul_f32_e32 v10, v9, v9
	v_div_scale_f32 v11, s[4:5], v10, v10, v12
	v_fma_f32 v7, -v13, v8, v7
	v_rcp_f32_e32 v13, v11
	v_div_fmas_f32 v7, v7, v14, v8
	v_div_fixup_f32 v7, v7, v9, v12
	v_add_f32_e32 v0, v0, v7
	v_fma_f32 v7, -v11, v13, 1.0
	v_fmac_f32_e32 v13, v7, v13
	v_div_scale_f32 v7, vcc, v12, v10, v12
	v_mul_f32_e32 v8, v7, v13
	v_fma_f32 v14, -v11, v8, v7
	v_fmac_f32_e32 v8, v14, v13
	v_fma_f32 v7, -v11, v8, v7
	v_mul_f32_e32 v11, 0xbe800000, v3
	v_mul_f32_e32 v11, v11, v12
	v_add_f32_e32 v9, 1.0, v9
	v_div_scale_f32 v14, s[4:5], v9, v9, v11
	v_rcp_f32_e32 v15, v14
	v_div_fmas_f32 v7, v7, v13, v8
	v_div_fixup_f32 v7, v7, v10, v12
	v_add_f32_e32 v6, v6, v7
	v_fma_f32 v7, -v14, v15, 1.0
	v_fmac_f32_e32 v15, v7, v15
	v_div_scale_f32 v7, vcc, v11, v9, v11
	v_mul_f32_e32 v8, v7, v15
	v_fma_f32 v10, -v14, v8, v7
	v_fmac_f32_e32 v8, v10, v15
	v_mul_f32_e32 v10, v9, v9
	v_div_scale_f32 v12, s[4:5], v10, v10, v11
	v_rcp_f32_e32 v13, v12
	v_fma_f32 v7, -v14, v8, v7
	v_div_fmas_f32 v7, v7, v15, v8
	v_div_fixup_f32 v7, v7, v9, v11
	v_fma_f32 v8, -v12, v13, 1.0
	v_fmac_f32_e32 v13, v8, v13
	v_div_scale_f32 v8, vcc, v11, v10, v11
	v_mul_f32_e32 v14, v8, v13
	v_fma_f32 v15, -v12, v14, v8
	v_fmac_f32_e32 v14, v15, v13
	v_div_scale_f32 v15, s[4:5], s6, s6, v3
	v_rcp_f32_e32 v16, v15
	v_fma_f32 v8, -v12, v14, v8
	v_div_fmas_f32 v8, v8, v13, v14
	v_add_f32_e32 v9, 1.0, v9
	v_fma_f32 v12, -v15, v16, 1.0
	v_fmac_f32_e32 v16, v12, v16
	v_div_scale_f32 v12, vcc, v3, s6, v3
	v_mul_f32_e32 v13, v12, v16
	v_fma_f32 v14, -v15, v13, v12
	v_fmac_f32_e32 v13, v14, v16
	v_fma_f32 v12, -v15, v13, v12
	v_div_fmas_f32 v12, v12, v16, v13
	v_div_fixup_f32 v12, v12, s6, v3
	v_mul_f32_e32 v12, v12, v11
	v_div_scale_f32 v13, s[4:5], v9, v9, v12
	v_rcp_f32_e32 v14, v13
	v_add_f32_e32 v0, v0, v7
	v_div_fixup_f32 v7, v8, v10, v11
	v_add_f32_e32 v6, v6, v7
	v_fma_f32 v7, -v13, v14, 1.0
	v_fmac_f32_e32 v14, v7, v14
	v_div_scale_f32 v7, vcc, v12, v9, v12
	v_mul_f32_e32 v8, v7, v14
	v_fma_f32 v10, -v13, v8, v7
	v_fmac_f32_e32 v8, v10, v14
	v_mul_f32_e32 v10, v9, v9
	v_div_scale_f32 v11, s[4:5], v10, v10, v12
	v_fma_f32 v7, -v13, v8, v7
	v_rcp_f32_e32 v13, v11
	v_div_fmas_f32 v7, v7, v14, v8
	v_div_fixup_f32 v7, v7, v9, v12
	v_add_f32_e32 v0, v0, v7
	v_fma_f32 v7, -v11, v13, 1.0
	v_fmac_f32_e32 v13, v7, v13
	v_div_scale_f32 v7, vcc, v12, v10, v12
	v_mul_f32_e32 v8, v7, v13
	v_fma_f32 v9, -v11, v8, v7
	v_fmac_f32_e32 v8, v9, v13
	v_fma_f32 v7, -v11, v8, v7
	v_div_fmas_f32 v7, v7, v13, v8
	v_div_fixup_f32 v7, v7, v10, v12
	v_cmp_eq_f16_e32 vcc, 1.0, v1
	v_add_f32_e32 v6, v6, v7
	v_cndmask_b32_e64 v7, v5, 1.0, vcc
	v_cmp_eq_f32_e64 s[4:5], 0, v7
	v_cndmask_b32_e64 v24, |v3|, 1.0, s[4:5]
	v_frexp_mant_f32_e32 v1, v24
	v_cmp_gt_f32_e64 s[6:7], s18, v1
	v_cndmask_b32_e64 v8, 1.0, 2.0, s[6:7]
	v_mul_f32_e32 v1, v1, v8
	v_add_f32_e32 v8, 1.0, v1
	v_rcp_f32_e32 v16, v8
	v_add_f32_e32 v9, -1.0, v8
	v_sub_f32_e32 v11, v1, v9
	v_add_f32_e32 v9, -1.0, v1
	v_mul_f32_e32 v1, v9, v16
	v_mul_f32_e32 v10, v8, v1
	v_fma_f32 v12, v1, v8, -v10
	v_fmac_f32_e32 v12, v1, v11
	v_add_f32_e32 v8, v10, v12
	v_sub_f32_e32 v11, v9, v8
	v_pk_add_f32 v[14:15], v[8:9], v[10:11] neg_lo:[0,1] neg_hi:[0,1]
	v_mov_b32_e32 v13, v8
	v_pk_add_f32 v[8:9], v[14:15], v[12:13] neg_lo:[0,1] neg_hi:[0,1]
	v_add_f32_e32 v8, v8, v9
	v_add_f32_e32 v8, v11, v8
	v_mul_f32_e32 v9, v16, v8
	v_add_f32_e32 v8, v1, v9
	v_sub_f32_e32 v1, v8, v1
	v_sub_f32_e32 v1, v9, v1
	v_mul_f32_e32 v9, v8, v8
	v_fma_f32 v11, v8, v8, -v9
	v_add_f32_e32 v10, v1, v1
	v_fmac_f32_e32 v11, v8, v10
	v_add_f32_e32 v10, v9, v11
	v_mov_b32_e32 v12, 0x3e91f4c4
	v_fmac_f32_e32 v12, 0x3e76c4e1, v10
	v_fma_f32 v12, v10, v12, v26
	v_sub_f32_e32 v9, v10, v9
	v_sub_f32_e32 v18, v11, v9
	v_mul_f32_e32 v9, v10, v12
	v_fma_f32 v11, v10, v12, -v9
	v_fmac_f32_e32 v11, v18, v12
	v_add_f32_e32 v12, v9, v11
	v_add_f32_e32 v13, 0x3f2aaaaa, v12
	v_sub_f32_e32 v9, v12, v9
	v_sub_f32_e32 v9, v11, v9
	v_add_f32_e32 v11, 0xbf2aaaaa, v13
	v_add_f32_e32 v9, 0x31739010, v9
	v_sub_f32_e32 v11, v12, v11
	v_pk_mul_f32 v[14:15], v[8:9], v[10:11]
	v_fma_f32 v12, v10, v8, -v14
	v_pk_add_f32 v[16:17], v[8:9], v[10:11]
	v_fmac_f32_e32 v12, v10, v1
	v_mov_b32_e32 v15, v17
	v_fmac_f32_e32 v12, v18, v8
	v_pk_add_f32 v[10:11], v[14:15], v[12:13]
	v_sub_f32_e32 v9, v10, v14
	v_sub_f32_e32 v9, v12, v9
	;; [unrolled: 1-line block ×3, first 2 shown]
	v_add_f32_e32 v15, v17, v12
	v_mov_b32_e32 v12, v11
	v_pk_mul_f32 v[12:13], v[10:11], v[12:13]
	v_cvt_f64_f32_e32 v[16:17], v24
	v_frexp_exp_i32_f64_e32 v13, v[16:17]
	v_subbrev_co_u32_e64 v13, s[6:7], 0, v13, s[6:7]
	v_cvt_f32_i32_e32 v13, v13
	v_fma_f32 v14, v10, v11, -v12
	v_fmac_f32_e32 v14, v10, v15
	s_mov_b32 s19, 0x3f317218
	v_mul_f32_e32 v10, 0x3f317218, v13
	v_fmac_f32_e32 v14, v9, v11
	v_fma_f32 v16, v13, s19, -v10
	v_fmac_f32_e32 v16, 0xb102e308, v13
	v_ldexp_f32 v17, v8, 1
	v_add_f32_e32 v11, v12, v14
	v_pk_add_f32 v[8:9], v[10:11], v[16:17]
	v_mov_b32_e32 v18, v11
	v_mov_b32_e32 v19, v9
	;; [unrolled: 1-line block ×3, first 2 shown]
	v_pk_add_f32 v[12:13], v[18:19], v[12:13] neg_lo:[0,1] neg_hi:[0,1]
	v_mov_b32_e32 v15, v11
	v_ldexp_f32 v1, v1, 1
	v_pk_add_f32 v[12:13], v[14:15], v[12:13] neg_lo:[0,1] neg_hi:[0,1]
	v_add_f32_e32 v1, v1, v12
	v_add_f32_e32 v11, v1, v13
	v_pk_add_f32 v[12:13], v[8:9], v[10:11] neg_lo:[0,1] neg_hi:[0,1]
	v_pk_add_f32 v[14:15], v[8:9], v[10:11]
	v_mov_b32_e32 v18, v12
	v_mov_b32_e32 v19, v15
	;; [unrolled: 1-line block ×3, first 2 shown]
	v_pk_add_f32 v[18:19], v[16:17], v[18:19]
	v_mov_b32_e32 v10, v19
	v_pk_add_f32 v[20:21], v[10:11], v[8:9] neg_lo:[0,1] neg_hi:[0,1]
	v_mov_b32_e32 v1, v20
	v_mov_b32_e32 v18, v15
	;; [unrolled: 1-line block ×4, first 2 shown]
	v_pk_add_f32 v[12:13], v[16:17], v[12:13] neg_lo:[0,1] neg_hi:[0,1]
	v_pk_add_f32 v[22:23], v[14:15], v[0:1] neg_lo:[0,1] neg_hi:[0,1]
	;; [unrolled: 1-line block ×3, first 2 shown]
	v_mov_b32_e32 v16, v11
	v_pk_add_f32 v[8:9], v[16:17], v[8:9] neg_lo:[0,1] neg_hi:[0,1]
	v_mov_b32_e32 v22, v12
	v_pk_add_f32 v[14:15], v[22:23], v[8:9]
	v_mov_b32_e32 v16, v15
	v_pk_add_f32 v[16:17], v[14:15], v[16:17]
	v_pk_add_f32 v[10:11], v[10:11], v[16:17]
	v_mov_b32_e32 v13, v19
	v_mov_b32_e32 v15, v10
	v_pk_add_f32 v[18:19], v[14:15], v[12:13] neg_lo:[0,1] neg_hi:[0,1]
	v_mov_b32_e32 v9, v16
	v_sub_f32_e32 v1, v14, v18
	v_pk_add_f32 v[8:9], v[8:9], v[18:19] neg_lo:[0,1] neg_hi:[0,1]
	v_sub_f32_e32 v1, v12, v1
	v_add_f32_e32 v1, v8, v1
	v_add_f32_e32 v1, v1, v9
	v_add_f32_e32 v8, v10, v1
	v_sub_f32_e32 v9, v8, v10
	v_sub_f32_e32 v1, v1, v9
	v_mul_f32_e32 v9, v7, v8
	v_fma_f32 v8, v7, v8, -v9
	v_fmac_f32_e32 v8, v7, v1
	s_movk_i32 s15, 0x204
	v_add_f32_e32 v1, v9, v8
	v_cmp_class_f32_e64 s[6:7], v9, s15
	v_sub_f32_e32 v10, v1, v9
	v_cndmask_b32_e64 v1, v1, v9, s[6:7]
	s_mov_b32 s16, 0x42b17218
	v_mov_b32_e32 v27, 0x37000000
	v_cmp_eq_f32_e64 s[6:7], s16, v1
	v_cndmask_b32_e64 v9, 0, v27, s[6:7]
	v_sub_f32_e32 v8, v8, v10
	v_sub_f32_e32 v10, v1, v9
	s_mov_b32 s20, 0x3fb8aa3b
	v_mul_f32_e32 v11, 0x3fb8aa3b, v10
	v_fma_f32 v12, v10, s20, -v11
	v_rndne_f32_e32 v13, v11
	v_fmac_f32_e32 v12, 0x32a5705f, v10
	v_sub_f32_e32 v11, v11, v13
	v_add_f32_e32 v11, v11, v12
	v_exp_f32_e32 v11, v11
	v_cvt_i32_f32_e32 v12, v13
	s_mov_b32 s14, 0x7f800000
	v_cmp_neq_f32_e64 s[6:7], |v1|, s14
	s_mov_b32 s21, 0xc2ce8ed0
	v_cndmask_b32_e64 v1, 0, v8, s[6:7]
	v_ldexp_f32 v8, v11, v12
	v_cmp_ngt_f32_e64 s[6:7], s21, v10
	v_cndmask_b32_e64 v8, 0, v8, s[6:7]
	v_cmp_nlt_f32_e64 s[6:7], s16, v10
	v_add_f32_e32 v1, v9, v1
	v_cndmask_b32_e64 v8, v2, v8, s[6:7]
	v_fma_f32 v1, v8, v1, v8
	v_cmp_class_f32_e64 s[6:7], v8, s15
	v_trunc_f32_e32 v9, v7
	v_cndmask_b32_e64 v1, v1, v8, s[6:7]
	v_cndmask_b32_e64 v8, v3, 1.0, s[4:5]
	v_cmp_eq_f32_e64 s[4:5], v9, v7
	v_mul_f32_e32 v9, 0.5, v7
	v_trunc_f32_e32 v10, v9
	v_cmp_neq_f32_e64 s[6:7], v10, v9
	s_and_b64 s[6:7], s[4:5], s[6:7]
	v_cndmask_b32_e64 v9, 1.0, v8, s[6:7]
	s_brev_b32 s17, -2
	v_mov_b32_e32 v28, 0x7fc00000
	v_bfi_b32 v1, s17, v1, v9
	v_cndmask_b32_e64 v9, v28, v1, s[4:5]
	v_cmp_gt_f32_e64 s[4:5], 0, v8
	v_cndmask_b32_e64 v1, v1, v9, s[4:5]
	v_cndmask_b32_e64 v9, |v5|, 1.0, vcc
	v_cmp_neq_f32_e64 s[4:5], v7, v9
	v_cmp_gt_f32_e64 s[8:9], 1.0, v24
	s_xor_b64 s[4:5], s[4:5], s[8:9]
	v_cndmask_b32_e64 v10, v9, 0, s[4:5]
	v_cmp_eq_f32_e64 s[4:5], 1.0, v24
	v_cmp_eq_f32_e64 s[8:9], 0, v8
	v_cmp_gt_f32_e64 s[10:11], 0, v7
	v_cndmask_b32_e64 v10, v10, v24, s[4:5]
	v_cmp_eq_f32_e64 s[4:5], s14, v9
	s_xor_b64 s[10:11], s[10:11], s[8:9]
	v_cndmask_b32_e64 v1, v1, v10, s[4:5]
	v_cmp_eq_f32_e64 s[4:5], s14, v24
	v_cndmask_b32_e64 v9, v2, 0, s[10:11]
	v_cndmask_b32_e64 v8, 0, v8, s[6:7]
	v_bfi_b32 v8, s17, v9, v8
	s_or_b64 s[4:5], s[4:5], s[8:9]
	v_add_f32_e32 v5, -1.0, v5
	v_cndmask_b32_e64 v1, v1, v8, s[4:5]
	v_cmp_o_f32_e64 s[4:5], v7, v7
	v_cndmask_b32_e64 v24, v5, 1.0, vcc
	v_cndmask_b32_e64 v7, v28, v1, s[4:5]
	v_cmp_eq_f32_e64 s[4:5], 0, v24
	v_cndmask_b32_e64 v29, |v3|, 1.0, s[4:5]
	v_frexp_mant_f32_e32 v1, v29
	v_cmp_gt_f32_e64 s[6:7], s18, v1
	v_cndmask_b32_e64 v8, 1.0, 2.0, s[6:7]
	v_mul_f32_e32 v1, v1, v8
	v_add_f32_e32 v8, 1.0, v1
	v_rcp_f32_e32 v16, v8
	v_add_f32_e32 v9, -1.0, v8
	v_sub_f32_e32 v11, v1, v9
	v_add_f32_e32 v9, -1.0, v1
	v_mul_f32_e32 v1, v9, v16
	v_mul_f32_e32 v10, v8, v1
	v_fma_f32 v12, v1, v8, -v10
	v_fmac_f32_e32 v12, v1, v11
	v_add_f32_e32 v8, v10, v12
	v_sub_f32_e32 v11, v9, v8
	v_pk_add_f32 v[14:15], v[8:9], v[10:11] neg_lo:[0,1] neg_hi:[0,1]
	v_mov_b32_e32 v13, v8
	v_pk_add_f32 v[8:9], v[14:15], v[12:13] neg_lo:[0,1] neg_hi:[0,1]
	v_add_f32_e32 v8, v8, v9
	v_add_f32_e32 v8, v11, v8
	v_mul_f32_e32 v9, v16, v8
	v_add_f32_e32 v8, v1, v9
	v_sub_f32_e32 v1, v8, v1
	v_sub_f32_e32 v1, v9, v1
	v_mul_f32_e32 v9, v8, v8
	v_fma_f32 v11, v8, v8, -v9
	v_add_f32_e32 v10, v1, v1
	v_fmac_f32_e32 v11, v8, v10
	v_mov_b32_e32 v25, 0x3e91f4c4
	v_add_f32_e32 v10, v9, v11
	v_fmac_f32_e32 v25, 0x3e76c4e1, v10
	v_fmac_f32_e32 v26, v10, v25
	v_sub_f32_e32 v9, v10, v9
	v_sub_f32_e32 v18, v11, v9
	v_mul_f32_e32 v9, v10, v26
	v_fma_f32 v11, v10, v26, -v9
	v_fmac_f32_e32 v11, v18, v26
	v_add_f32_e32 v12, v9, v11
	v_add_f32_e32 v13, 0x3f2aaaaa, v12
	v_sub_f32_e32 v9, v12, v9
	v_sub_f32_e32 v9, v11, v9
	v_add_f32_e32 v11, 0xbf2aaaaa, v13
	v_add_f32_e32 v9, 0x31739010, v9
	v_sub_f32_e32 v11, v12, v11
	v_pk_mul_f32 v[14:15], v[8:9], v[10:11]
	v_fma_f32 v12, v10, v8, -v14
	v_pk_add_f32 v[16:17], v[8:9], v[10:11]
	v_fmac_f32_e32 v12, v10, v1
	v_mov_b32_e32 v15, v17
	v_fmac_f32_e32 v12, v18, v8
	v_pk_add_f32 v[10:11], v[14:15], v[12:13]
	v_sub_f32_e32 v9, v10, v14
	v_sub_f32_e32 v9, v12, v9
	;; [unrolled: 1-line block ×3, first 2 shown]
	v_add_f32_e32 v16, v17, v12
	v_mov_b32_e32 v12, v11
	v_pk_mul_f32 v[12:13], v[10:11], v[12:13]
	v_cvt_f64_f32_e32 v[14:15], v29
	v_frexp_exp_i32_f64_e32 v13, v[14:15]
	v_subbrev_co_u32_e64 v13, s[6:7], 0, v13, s[6:7]
	v_cvt_f32_i32_e32 v13, v13
	v_fma_f32 v14, v10, v11, -v12
	v_fmac_f32_e32 v14, v10, v16
	v_fmac_f32_e32 v14, v9, v11
	v_mul_f32_e32 v10, 0x3f317218, v13
	v_fma_f32 v16, v13, s19, -v10
	v_fmac_f32_e32 v16, 0xb102e308, v13
	v_ldexp_f32 v17, v8, 1
	v_add_f32_e32 v11, v12, v14
	v_pk_add_f32 v[8:9], v[10:11], v[16:17]
	v_mov_b32_e32 v18, v11
	v_mov_b32_e32 v19, v9
	;; [unrolled: 1-line block ×3, first 2 shown]
	v_pk_add_f32 v[12:13], v[18:19], v[12:13] neg_lo:[0,1] neg_hi:[0,1]
	v_mov_b32_e32 v15, v11
	v_ldexp_f32 v1, v1, 1
	v_pk_add_f32 v[12:13], v[14:15], v[12:13] neg_lo:[0,1] neg_hi:[0,1]
	v_add_f32_e32 v1, v1, v12
	v_add_f32_e32 v11, v1, v13
	v_pk_add_f32 v[12:13], v[8:9], v[10:11] neg_lo:[0,1] neg_hi:[0,1]
	v_pk_add_f32 v[14:15], v[8:9], v[10:11]
	v_mov_b32_e32 v18, v12
	v_mov_b32_e32 v19, v15
	;; [unrolled: 1-line block ×3, first 2 shown]
	v_pk_add_f32 v[18:19], v[16:17], v[18:19]
	v_mov_b32_e32 v10, v19
	v_pk_add_f32 v[20:21], v[10:11], v[8:9] neg_lo:[0,1] neg_hi:[0,1]
	v_mov_b32_e32 v1, v20
	v_mov_b32_e32 v18, v15
	;; [unrolled: 1-line block ×4, first 2 shown]
	v_pk_add_f32 v[12:13], v[16:17], v[12:13] neg_lo:[0,1] neg_hi:[0,1]
	v_pk_add_f32 v[22:23], v[14:15], v[0:1] neg_lo:[0,1] neg_hi:[0,1]
	;; [unrolled: 1-line block ×3, first 2 shown]
	v_mov_b32_e32 v16, v11
	v_pk_add_f32 v[8:9], v[16:17], v[8:9] neg_lo:[0,1] neg_hi:[0,1]
	v_mov_b32_e32 v22, v12
	v_pk_add_f32 v[14:15], v[22:23], v[8:9]
	v_mov_b32_e32 v16, v15
	v_pk_add_f32 v[16:17], v[14:15], v[16:17]
	v_pk_add_f32 v[10:11], v[10:11], v[16:17]
	v_mov_b32_e32 v13, v19
	v_mov_b32_e32 v15, v10
	v_pk_add_f32 v[18:19], v[14:15], v[12:13] neg_lo:[0,1] neg_hi:[0,1]
	v_mov_b32_e32 v9, v16
	v_sub_f32_e32 v1, v14, v18
	v_pk_add_f32 v[8:9], v[8:9], v[18:19] neg_lo:[0,1] neg_hi:[0,1]
	v_sub_f32_e32 v1, v12, v1
	v_add_f32_e32 v1, v8, v1
	v_add_f32_e32 v1, v1, v9
	;; [unrolled: 1-line block ×3, first 2 shown]
	v_sub_f32_e32 v9, v8, v10
	v_sub_f32_e32 v1, v1, v9
	v_mul_f32_e32 v9, v24, v8
	v_fma_f32 v8, v24, v8, -v9
	v_fmac_f32_e32 v8, v24, v1
	v_add_f32_e32 v1, v9, v8
	v_cmp_class_f32_e64 s[6:7], v9, s15
	v_sub_f32_e32 v10, v1, v9
	v_cndmask_b32_e64 v1, v1, v9, s[6:7]
	v_cmp_eq_f32_e64 s[6:7], s16, v1
	v_cndmask_b32_e64 v9, 0, v27, s[6:7]
	v_sub_f32_e32 v8, v8, v10
	v_sub_f32_e32 v10, v1, v9
	v_mul_f32_e32 v11, 0x3fb8aa3b, v10
	v_fma_f32 v12, v10, s20, -v11
	v_rndne_f32_e32 v13, v11
	v_fmac_f32_e32 v12, 0x32a5705f, v10
	v_sub_f32_e32 v11, v11, v13
	v_add_f32_e32 v11, v11, v12
	v_exp_f32_e32 v11, v11
	v_cvt_i32_f32_e32 v12, v13
	v_cmp_neq_f32_e64 s[6:7], |v1|, s14
	v_cndmask_b32_e64 v1, 0, v8, s[6:7]
	v_cmp_ngt_f32_e64 s[6:7], s21, v10
	v_ldexp_f32 v8, v11, v12
	v_cndmask_b32_e64 v8, 0, v8, s[6:7]
	v_cmp_nlt_f32_e64 s[6:7], s16, v10
	v_add_f32_e32 v1, v9, v1
	v_cndmask_b32_e64 v8, v2, v8, s[6:7]
	v_fma_f32 v1, v8, v1, v8
	v_cmp_class_f32_e64 s[6:7], v8, s15
	v_trunc_f32_e32 v9, v24
	v_cndmask_b32_e64 v1, v1, v8, s[6:7]
	v_cndmask_b32_e64 v8, v3, 1.0, s[4:5]
	v_cmp_eq_f32_e64 s[4:5], v9, v24
	v_mul_f32_e32 v9, 0.5, v24
	v_trunc_f32_e32 v10, v9
	v_cmp_neq_f32_e64 s[6:7], v10, v9
	s_and_b64 s[6:7], s[4:5], s[6:7]
	v_cndmask_b32_e64 v9, 1.0, v8, s[6:7]
	v_bfi_b32 v1, s17, v1, v9
	v_cndmask_b32_e64 v9, v28, v1, s[4:5]
	v_cmp_gt_f32_e64 s[4:5], 0, v8
	v_cndmask_b32_e64 v5, |v5|, 1.0, vcc
	v_cndmask_b32_e64 v1, v1, v9, s[4:5]
	v_cmp_neq_f32_e32 vcc, v24, v5
	v_cmp_gt_f32_e64 s[4:5], 1.0, v29
	s_xor_b64 s[4:5], vcc, s[4:5]
	v_cndmask_b32_e64 v9, v5, 0, s[4:5]
	v_cmp_eq_f32_e64 s[4:5], 0, v8
	v_cmp_gt_f32_e64 s[8:9], 0, v24
	v_cmp_eq_f32_e32 vcc, 1.0, v29
	s_xor_b64 s[8:9], s[8:9], s[4:5]
	v_cndmask_b32_e32 v9, v9, v29, vcc
	v_cmp_eq_f32_e32 vcc, s14, v5
	v_cndmask_b32_e64 v5, v2, 0, s[8:9]
	v_cndmask_b32_e64 v8, 0, v8, s[6:7]
	v_bfi_b32 v5, s17, v5, v8
	v_mul_f32_e32 v8, 0xbfb8aa3b, v3
	v_cndmask_b32_e32 v1, v1, v9, vcc
	s_mov_b32 s6, 0xbfb8aa3b
	v_rndne_f32_e32 v9, v8
	v_sub_f32_e32 v10, v8, v9
	v_fma_f32 v8, v3, s6, -v8
	v_fmac_f32_e32 v8, 0xb2a5705f, v3
	v_add_f32_e32 v8, v10, v8
	v_exp_f32_e32 v8, v8
	v_cvt_i32_f32_e32 v9, v9
	v_cmp_eq_f32_e32 vcc, s14, v29
	s_or_b64 vcc, vcc, s[4:5]
	v_cndmask_b32_e32 v1, v1, v5, vcc
	v_cmp_o_f32_e32 vcc, v24, v24
	s_mov_b32 s4, 0x42ce8ed0
	v_cndmask_b32_e32 v1, v28, v1, vcc
	v_ldexp_f32 v5, v8, v9
	v_cmp_nlt_f32_e32 vcc, s4, v3
	s_mov_b32 s4, 0xc2b17218
	v_cndmask_b32_e32 v5, 0, v5, vcc
	v_cmp_ngt_f32_e32 vcc, s4, v3
	s_mov_b32 s4, 0x800000
	v_cndmask_b32_e32 v2, v2, v5, vcc
	v_mov_b32_e32 v5, 0x4f800000
	v_cmp_gt_f32_e32 vcc, s4, v3
	v_cndmask_b32_e32 v5, 1.0, v5, vcc
	v_mul_f32_e32 v3, v3, v5
	v_log_f32_e32 v3, v3
	v_mul_f32_e32 v1, v2, v1
	s_mov_b32 s4, 0x3f317217
	v_mul_f32_e32 v0, v0, v7
	v_mul_f32_e32 v2, 0x3f317217, v3
	v_fma_f32 v5, v3, s4, -v2
	v_fmac_f32_e32 v5, 0x3377d1cf, v3
	v_add_f32_e32 v2, v2, v5
	v_cmp_lt_f32_e64 s[4:5], |v3|, s14
	v_cndmask_b32_e64 v2, v3, v2, s[4:5]
	v_mov_b32_e32 v3, 0x41b17218
	v_cndmask_b32_e32 v3, 0, v3, vcc
	v_sub_f32_e32 v2, v2, v3
	v_sub_f32_e32 v2, v2, v4
	v_mul_f32_e32 v3, v6, v7
	v_fma_f32 v0, v0, v2, -v3
	v_div_scale_f32 v2, s[4:5], v1, v1, -v0
	v_rcp_f32_e32 v3, v2
	v_fma_f32 v4, -v2, v3, 1.0
	v_fmac_f32_e32 v3, v4, v3
	v_div_scale_f32 v4, vcc, -v0, v1, -v0
	v_mul_f32_e32 v5, v4, v3
	v_fma_f32 v6, -v2, v5, v4
	v_fmac_f32_e32 v5, v6, v3
	v_fma_f32 v2, -v2, v5, v4
	v_div_fmas_f32 v2, v2, v3, v5
	v_div_fixup_f32 v0, v2, v1, -v0
	v_cvt_f16_f32_e32 v1, v0
	v_cmp_o_f32_e32 vcc, v0, v0
	v_cndmask_b32_e32 v2, 0, v1, vcc
	s_or_b64 exec, exec, s[12:13]
	v_mov_b32_e32 v0, v2
	s_setpc_b64 s[30:31]
.Lfunc_end196:
	.size	_ZZZZN2at6native33launch_standard_gamma_grad_kernelERNS_18TensorIteratorBaseEENKUlvE_clEvENKUlvE1_clEvENKUlN3c104HalfES6_E_clES6_S6_, .Lfunc_end196-_ZZZZN2at6native33launch_standard_gamma_grad_kernelERNS_18TensorIteratorBaseEENKUlvE_clEvENKUlvE1_clEvENKUlN3c104HalfES6_E_clES6_S6_
                                        ; -- End function
	.section	.AMDGPU.csdata,"",@progbits
; Function info:
; codeLenInByte = 8292
; NumSgprs: 36
; NumVgprs: 30
; NumAgprs: 0
; TotalNumVgprs: 30
; ScratchSize: 0
; MemoryBound: 0
	.section	.text._ZN2at6native29vectorized_elementwise_kernelILi16EZZZNS0_33launch_standard_gamma_grad_kernelERNS_18TensorIteratorBaseEENKUlvE_clEvENKUlvE1_clEvEUlN3c104HalfES7_E_St5arrayIPcLm3EEEEviT0_T1_,"axG",@progbits,_ZN2at6native29vectorized_elementwise_kernelILi16EZZZNS0_33launch_standard_gamma_grad_kernelERNS_18TensorIteratorBaseEENKUlvE_clEvENKUlvE1_clEvEUlN3c104HalfES7_E_St5arrayIPcLm3EEEEviT0_T1_,comdat
	.globl	_ZN2at6native29vectorized_elementwise_kernelILi16EZZZNS0_33launch_standard_gamma_grad_kernelERNS_18TensorIteratorBaseEENKUlvE_clEvENKUlvE1_clEvEUlN3c104HalfES7_E_St5arrayIPcLm3EEEEviT0_T1_ ; -- Begin function _ZN2at6native29vectorized_elementwise_kernelILi16EZZZNS0_33launch_standard_gamma_grad_kernelERNS_18TensorIteratorBaseEENKUlvE_clEvENKUlvE1_clEvEUlN3c104HalfES7_E_St5arrayIPcLm3EEEEviT0_T1_
	.p2align	8
	.type	_ZN2at6native29vectorized_elementwise_kernelILi16EZZZNS0_33launch_standard_gamma_grad_kernelERNS_18TensorIteratorBaseEENKUlvE_clEvENKUlvE1_clEvEUlN3c104HalfES7_E_St5arrayIPcLm3EEEEviT0_T1_,@function
_ZN2at6native29vectorized_elementwise_kernelILi16EZZZNS0_33launch_standard_gamma_grad_kernelERNS_18TensorIteratorBaseEENKUlvE_clEvENKUlvE1_clEvEUlN3c104HalfES7_E_St5arrayIPcLm3EEEEviT0_T1_: ; @_ZN2at6native29vectorized_elementwise_kernelILi16EZZZNS0_33launch_standard_gamma_grad_kernelERNS_18TensorIteratorBaseEENKUlvE_clEvENKUlvE1_clEvEUlN3c104HalfES7_E_St5arrayIPcLm3EEEEviT0_T1_
; %bb.0:
	s_add_u32 flat_scratch_lo, s6, s9
	s_addc_u32 flat_scratch_hi, s7, 0
	s_load_dword s6, s[4:5], 0x0
	s_load_dwordx4 s[24:27], s[4:5], 0x8
	s_load_dwordx2 s[34:35], s[4:5], 0x18
	s_add_u32 s0, s0, s9
	s_addc_u32 s1, s1, 0
	s_lshl_b32 s28, s8, 11
	s_waitcnt lgkmcnt(0)
	s_sub_i32 s33, s6, s28
	v_mov_b32_e32 v30, v0
	s_cmpk_gt_i32 s33, 0x7ff
	s_mov_b64 s[4:5], -1
	s_mov_b32 s32, 0
	s_cbranch_scc0 .LBB197_2
; %bb.1:
	s_ashr_i32 s29, s28, 31
	s_lshl_b64 s[22:23], s[28:29], 1
	s_add_u32 s4, s26, s22
	s_addc_u32 s5, s27, s23
	v_lshlrev_b32_e32 v47, 4, v30
	global_load_dwordx4 v[32:35], v47, s[4:5]
	s_add_u32 s4, s34, s22
	s_addc_u32 s5, s35, s23
	global_load_dwordx4 v[36:39], v47, s[4:5]
	s_getpc_b64 s[36:37]
	s_add_u32 s36, s36, _ZZZZN2at6native33launch_standard_gamma_grad_kernelERNS_18TensorIteratorBaseEENKUlvE_clEvENKUlvE1_clEvENKUlN3c104HalfES6_E_clES6_S6_@rel32@lo+4
	s_addc_u32 s37, s37, _ZZZZN2at6native33launch_standard_gamma_grad_kernelERNS_18TensorIteratorBaseEENKUlvE_clEvENKUlvE1_clEvENKUlN3c104HalfES6_E_clES6_S6_@rel32@hi+12
	s_waitcnt vmcnt(1)
	v_mov_b32_e32 v0, v32
	v_lshrrev_b32_e32 v31, 16, v32
	v_lshrrev_b32_e32 v40, 16, v33
	s_waitcnt vmcnt(0)
	v_mov_b32_e32 v1, v36
	v_lshrrev_b32_e32 v41, 16, v34
	v_lshrrev_b32_e32 v42, 16, v35
	;; [unrolled: 1-line block ×6, first 2 shown]
	s_swappc_b64 s[30:31], s[36:37]
	v_mov_b32_e32 v32, v0
	v_mov_b32_e32 v0, v31
	v_mov_b32_e32 v1, v43
	s_swappc_b64 s[30:31], s[36:37]
	v_mov_b32_e32 v31, v0
	v_mov_b32_e32 v0, v33
	v_mov_b32_e32 v1, v37
	;; [unrolled: 4-line block ×7, first 2 shown]
	s_swappc_b64 s[30:31], s[36:37]
	s_add_u32 s4, s24, s22
	s_mov_b32 s6, 0x5040100
	s_addc_u32 s5, s25, s23
	v_perm_b32 v2, v31, v32, s6
	v_perm_b32 v3, v36, v33, s6
	;; [unrolled: 1-line block ×4, first 2 shown]
	global_store_dwordx4 v47, v[2:5], s[4:5]
	s_mov_b64 s[4:5], 0
.LBB197_2:
	s_andn2_b64 vcc, exec, s[4:5]
	s_cbranch_vccnz .LBB197_43
; %bb.3:
	v_cmp_gt_i32_e64 s[22:23], s33, v30
	v_mov_b32_e32 v31, 0
	v_or_b32_e32 v48, s28, v30
	v_mov_b32_e32 v0, 0
	v_mov_b32_e32 v1, 0
	;; [unrolled: 1-line block ×3, first 2 shown]
	s_and_saveexec_b64 s[4:5], s[22:23]
	s_cbranch_execz .LBB197_5
; %bb.4:
	v_mov_b32_e32 v49, 0
	v_lshlrev_b64 v[0:1], 1, v[48:49]
	v_mov_b32_e32 v3, s35
	v_add_co_u32_e32 v2, vcc, s34, v0
	v_addc_co_u32_e32 v3, vcc, v3, v1, vcc
	v_mov_b32_e32 v5, s27
	v_add_co_u32_e32 v4, vcc, s26, v0
	v_addc_co_u32_e32 v5, vcc, v5, v1, vcc
	global_load_ushort v0, v[4:5], off
	global_load_ushort v1, v[2:3], off
	v_or_b32_e32 v2, 0x100, v30
.LBB197_5:
	s_or_b64 exec, exec, s[4:5]
	v_cmp_gt_i32_e32 vcc, s33, v2
	v_mov_b32_e32 v33, 0
	s_and_saveexec_b64 s[4:5], vcc
	s_cbranch_execz .LBB197_7
; %bb.6:
	v_add_u32_e32 v4, s28, v2
	v_mov_b32_e32 v5, 0
	v_lshlrev_b64 v[4:5], 1, v[4:5]
	v_mov_b32_e32 v3, s35
	v_add_co_u32_e32 v6, vcc, s34, v4
	v_addc_co_u32_e32 v7, vcc, v3, v5, vcc
	v_mov_b32_e32 v3, s27
	v_add_co_u32_e32 v4, vcc, s26, v4
	v_addc_co_u32_e32 v5, vcc, v3, v5, vcc
	global_load_ushort v31, v[4:5], off
	global_load_ushort v33, v[6:7], off
	v_add_u32_e32 v2, 0x100, v2
.LBB197_7:
	s_or_b64 exec, exec, s[4:5]
	v_cmp_gt_i32_e32 vcc, s33, v2
	v_mov_b32_e32 v32, 0
	v_mov_b32_e32 v34, 0
	v_mov_b32_e32 v35, 0
	s_and_saveexec_b64 s[4:5], vcc
	s_cbranch_execz .LBB197_9
; %bb.8:
	v_add_u32_e32 v4, s28, v2
	v_mov_b32_e32 v5, 0
	v_lshlrev_b64 v[4:5], 1, v[4:5]
	v_mov_b32_e32 v3, s35
	v_add_co_u32_e32 v6, vcc, s34, v4
	v_addc_co_u32_e32 v7, vcc, v3, v5, vcc
	v_mov_b32_e32 v3, s27
	v_add_co_u32_e32 v4, vcc, s26, v4
	v_addc_co_u32_e32 v5, vcc, v3, v5, vcc
	global_load_ushort v34, v[4:5], off
	global_load_ushort v35, v[6:7], off
	v_add_u32_e32 v2, 0x100, v2
.LBB197_9:
	s_or_b64 exec, exec, s[4:5]
	v_cmp_gt_i32_e32 vcc, s33, v2
	v_mov_b32_e32 v37, 0
	s_and_saveexec_b64 s[4:5], vcc
	s_cbranch_execz .LBB197_11
; %bb.10:
	v_add_u32_e32 v4, s28, v2
	v_mov_b32_e32 v5, 0
	v_lshlrev_b64 v[4:5], 1, v[4:5]
	v_mov_b32_e32 v3, s35
	v_add_co_u32_e32 v6, vcc, s34, v4
	v_addc_co_u32_e32 v7, vcc, v3, v5, vcc
	v_mov_b32_e32 v3, s27
	v_add_co_u32_e32 v4, vcc, s26, v4
	v_addc_co_u32_e32 v5, vcc, v3, v5, vcc
	global_load_ushort v32, v[4:5], off
	global_load_ushort v37, v[6:7], off
	v_add_u32_e32 v2, 0x100, v2
.LBB197_11:
	s_or_b64 exec, exec, s[4:5]
	v_cmp_gt_i32_e32 vcc, s33, v2
	v_mov_b32_e32 v36, 0
	v_mov_b32_e32 v38, 0
	v_mov_b32_e32 v39, 0
	s_and_saveexec_b64 s[4:5], vcc
	s_cbranch_execz .LBB197_13
; %bb.12:
	v_add_u32_e32 v4, s28, v2
	v_mov_b32_e32 v5, 0
	v_lshlrev_b64 v[4:5], 1, v[4:5]
	v_mov_b32_e32 v3, s35
	v_add_co_u32_e32 v6, vcc, s34, v4
	v_addc_co_u32_e32 v7, vcc, v3, v5, vcc
	v_mov_b32_e32 v3, s27
	v_add_co_u32_e32 v4, vcc, s26, v4
	v_addc_co_u32_e32 v5, vcc, v3, v5, vcc
	global_load_ushort v38, v[4:5], off
	global_load_ushort v39, v[6:7], off
	v_add_u32_e32 v2, 0x100, v2
.LBB197_13:
	;; [unrolled: 40-line block ×3, first 2 shown]
	s_or_b64 exec, exec, s[4:5]
	v_cmp_gt_i32_e32 vcc, s33, v2
	v_mov_b32_e32 v47, 0
	s_and_saveexec_b64 s[4:5], vcc
	s_cbranch_execz .LBB197_19
; %bb.18:
	v_add_u32_e32 v2, s28, v2
	v_mov_b32_e32 v3, 0
	v_lshlrev_b64 v[2:3], 1, v[2:3]
	v_mov_b32_e32 v5, s35
	v_add_co_u32_e32 v4, vcc, s34, v2
	v_addc_co_u32_e32 v5, vcc, v5, v3, vcc
	v_mov_b32_e32 v6, s27
	v_add_co_u32_e32 v2, vcc, s26, v2
	v_addc_co_u32_e32 v3, vcc, v6, v3, vcc
	global_load_ushort v40, v[2:3], off
	global_load_ushort v47, v[4:5], off
.LBB197_19:
	s_or_b64 exec, exec, s[4:5]
                                        ; implicit-def: $vgpr46
	s_and_saveexec_b64 s[26:27], s[22:23]
	s_cbranch_execz .LBB197_21
; %bb.20:
	s_getpc_b64 s[4:5]
	s_add_u32 s4, s4, _ZZZZN2at6native33launch_standard_gamma_grad_kernelERNS_18TensorIteratorBaseEENKUlvE_clEvENKUlvE1_clEvENKUlN3c104HalfES6_E_clES6_S6_@rel32@lo+4
	s_addc_u32 s5, s5, _ZZZZN2at6native33launch_standard_gamma_grad_kernelERNS_18TensorIteratorBaseEENKUlvE_clEvENKUlvE1_clEvENKUlN3c104HalfES6_E_clES6_S6_@rel32@hi+12
	s_swappc_b64 s[30:31], s[4:5]
	v_mov_b32_e32 v46, v0
.LBB197_21:
	s_or_b64 exec, exec, s[26:27]
	v_or_b32_e32 v50, 0x100, v30
	v_cmp_gt_i32_e32 vcc, s33, v50
                                        ; implicit-def: $vgpr45
	s_and_saveexec_b64 s[26:27], vcc
	s_cbranch_execz .LBB197_23
; %bb.22:
	s_waitcnt vmcnt(1)
	v_mov_b32_e32 v0, v31
	s_waitcnt vmcnt(0)
	v_mov_b32_e32 v1, v33
	s_getpc_b64 s[4:5]
	s_add_u32 s4, s4, _ZZZZN2at6native33launch_standard_gamma_grad_kernelERNS_18TensorIteratorBaseEENKUlvE_clEvENKUlvE1_clEvENKUlN3c104HalfES6_E_clES6_S6_@rel32@lo+4
	s_addc_u32 s5, s5, _ZZZZN2at6native33launch_standard_gamma_grad_kernelERNS_18TensorIteratorBaseEENKUlvE_clEvENKUlvE1_clEvENKUlN3c104HalfES6_E_clES6_S6_@rel32@hi+12
	s_swappc_b64 s[30:31], s[4:5]
	v_mov_b32_e32 v45, v0
.LBB197_23:
	s_or_b64 exec, exec, s[26:27]
	s_waitcnt vmcnt(1)
	v_or_b32_e32 v0, 0x200, v30
	v_cmp_gt_i32_e32 vcc, s33, v0
                                        ; implicit-def: $vgpr44
	s_and_saveexec_b64 s[26:27], vcc
	s_cbranch_execz .LBB197_25
; %bb.24:
	v_mov_b32_e32 v0, v34
	s_waitcnt vmcnt(0)
	v_mov_b32_e32 v1, v35
	s_getpc_b64 s[4:5]
	s_add_u32 s4, s4, _ZZZZN2at6native33launch_standard_gamma_grad_kernelERNS_18TensorIteratorBaseEENKUlvE_clEvENKUlvE1_clEvENKUlN3c104HalfES6_E_clES6_S6_@rel32@lo+4
	s_addc_u32 s5, s5, _ZZZZN2at6native33launch_standard_gamma_grad_kernelERNS_18TensorIteratorBaseEENKUlvE_clEvENKUlvE1_clEvENKUlN3c104HalfES6_E_clES6_S6_@rel32@hi+12
	s_swappc_b64 s[30:31], s[4:5]
	v_mov_b32_e32 v44, v0
.LBB197_25:
	s_or_b64 exec, exec, s[26:27]
	v_or_b32_e32 v0, 0x300, v30
	v_cmp_gt_i32_e32 vcc, s33, v0
                                        ; implicit-def: $vgpr34
	s_and_saveexec_b64 s[26:27], vcc
	s_cbranch_execz .LBB197_27
; %bb.26:
	v_mov_b32_e32 v0, v32
	s_waitcnt vmcnt(0)
	v_mov_b32_e32 v1, v37
	s_getpc_b64 s[4:5]
	s_add_u32 s4, s4, _ZZZZN2at6native33launch_standard_gamma_grad_kernelERNS_18TensorIteratorBaseEENKUlvE_clEvENKUlvE1_clEvENKUlN3c104HalfES6_E_clES6_S6_@rel32@lo+4
	s_addc_u32 s5, s5, _ZZZZN2at6native33launch_standard_gamma_grad_kernelERNS_18TensorIteratorBaseEENKUlvE_clEvENKUlvE1_clEvENKUlN3c104HalfES6_E_clES6_S6_@rel32@hi+12
	s_swappc_b64 s[30:31], s[4:5]
	v_mov_b32_e32 v34, v0
.LBB197_27:
	s_or_b64 exec, exec, s[26:27]
	v_or_b32_e32 v0, 0x400, v30
	v_cmp_gt_i32_e32 vcc, s33, v0
                                        ; implicit-def: $vgpr33
	s_and_saveexec_b64 s[26:27], vcc
	s_cbranch_execz .LBB197_29
; %bb.28:
	v_mov_b32_e32 v0, v38
	s_waitcnt vmcnt(0)
	v_mov_b32_e32 v1, v39
	s_getpc_b64 s[4:5]
	s_add_u32 s4, s4, _ZZZZN2at6native33launch_standard_gamma_grad_kernelERNS_18TensorIteratorBaseEENKUlvE_clEvENKUlvE1_clEvENKUlN3c104HalfES6_E_clES6_S6_@rel32@lo+4
	s_addc_u32 s5, s5, _ZZZZN2at6native33launch_standard_gamma_grad_kernelERNS_18TensorIteratorBaseEENKUlvE_clEvENKUlvE1_clEvENKUlN3c104HalfES6_E_clES6_S6_@rel32@hi+12
	s_swappc_b64 s[30:31], s[4:5]
	v_mov_b32_e32 v33, v0
.LBB197_29:
	s_or_b64 exec, exec, s[26:27]
	v_or_b32_e32 v0, 0x500, v30
	v_cmp_gt_i32_e32 vcc, s33, v0
                                        ; implicit-def: $vgpr32
	s_and_saveexec_b64 s[26:27], vcc
	s_cbranch_execz .LBB197_31
; %bb.30:
	v_mov_b32_e32 v0, v36
	s_waitcnt vmcnt(0)
	v_mov_b32_e32 v1, v41
	s_getpc_b64 s[4:5]
	s_add_u32 s4, s4, _ZZZZN2at6native33launch_standard_gamma_grad_kernelERNS_18TensorIteratorBaseEENKUlvE_clEvENKUlvE1_clEvENKUlN3c104HalfES6_E_clES6_S6_@rel32@lo+4
	s_addc_u32 s5, s5, _ZZZZN2at6native33launch_standard_gamma_grad_kernelERNS_18TensorIteratorBaseEENKUlvE_clEvENKUlvE1_clEvENKUlN3c104HalfES6_E_clES6_S6_@rel32@hi+12
	s_swappc_b64 s[30:31], s[4:5]
	v_mov_b32_e32 v32, v0
.LBB197_31:
	s_or_b64 exec, exec, s[26:27]
	v_or_b32_e32 v0, 0x600, v30
	v_cmp_gt_i32_e32 vcc, s33, v0
                                        ; implicit-def: $vgpr31
	s_and_saveexec_b64 s[26:27], vcc
	s_cbranch_execz .LBB197_33
; %bb.32:
	v_mov_b32_e32 v0, v42
	s_waitcnt vmcnt(0)
	v_mov_b32_e32 v1, v43
	s_getpc_b64 s[4:5]
	s_add_u32 s4, s4, _ZZZZN2at6native33launch_standard_gamma_grad_kernelERNS_18TensorIteratorBaseEENKUlvE_clEvENKUlvE1_clEvENKUlN3c104HalfES6_E_clES6_S6_@rel32@lo+4
	s_addc_u32 s5, s5, _ZZZZN2at6native33launch_standard_gamma_grad_kernelERNS_18TensorIteratorBaseEENKUlvE_clEvENKUlvE1_clEvENKUlN3c104HalfES6_E_clES6_S6_@rel32@hi+12
	s_swappc_b64 s[30:31], s[4:5]
	v_mov_b32_e32 v31, v0
.LBB197_33:
	s_or_b64 exec, exec, s[26:27]
	v_or_b32_e32 v0, 0x700, v30
	v_cmp_gt_i32_e32 vcc, s33, v0
                                        ; implicit-def: $vgpr0
	s_and_saveexec_b64 s[26:27], vcc
	s_cbranch_execnz .LBB197_44
; %bb.34:
	s_or_b64 exec, exec, s[26:27]
	s_and_saveexec_b64 s[4:5], s[22:23]
	s_xor_b64 s[4:5], exec, s[4:5]
	s_cbranch_execnz .LBB197_45
.LBB197_35:
	s_or_b64 exec, exec, s[4:5]
	v_cmp_gt_i32_e32 vcc, s33, v30
	s_and_saveexec_b64 s[4:5], vcc
	s_cbranch_execnz .LBB197_46
.LBB197_36:
	s_or_b64 exec, exec, s[4:5]
	v_cmp_gt_i32_e32 vcc, s33, v30
	s_and_saveexec_b64 s[4:5], vcc
	s_cbranch_execnz .LBB197_47
.LBB197_37:
	s_or_b64 exec, exec, s[4:5]
	v_cmp_gt_i32_e32 vcc, s33, v30
	s_and_saveexec_b64 s[4:5], vcc
	s_cbranch_execnz .LBB197_48
.LBB197_38:
	s_or_b64 exec, exec, s[4:5]
	v_cmp_gt_i32_e32 vcc, s33, v30
	s_and_saveexec_b64 s[4:5], vcc
	s_cbranch_execnz .LBB197_49
.LBB197_39:
	s_or_b64 exec, exec, s[4:5]
	v_cmp_gt_i32_e32 vcc, s33, v30
	s_and_saveexec_b64 s[4:5], vcc
	s_cbranch_execnz .LBB197_50
.LBB197_40:
	s_or_b64 exec, exec, s[4:5]
	v_cmp_gt_i32_e32 vcc, s33, v30
	s_and_saveexec_b64 s[4:5], vcc
	s_cbranch_execnz .LBB197_51
.LBB197_41:
	s_or_b64 exec, exec, s[4:5]
	v_cmp_gt_i32_e32 vcc, s33, v30
	s_and_saveexec_b64 s[4:5], vcc
	s_cbranch_execz .LBB197_43
.LBB197_42:
	v_add_u32_e32 v2, s28, v30
	v_mov_b32_e32 v3, 0
	v_lshlrev_b64 v[2:3], 1, v[2:3]
	s_waitcnt vmcnt(0)
	v_mov_b32_e32 v1, s25
	v_add_co_u32_e32 v2, vcc, s24, v2
	v_addc_co_u32_e32 v3, vcc, v1, v3, vcc
	global_store_short v[2:3], v0, off
.LBB197_43:
	s_endpgm
.LBB197_44:
	v_mov_b32_e32 v0, v40
	s_waitcnt vmcnt(0)
	v_mov_b32_e32 v1, v47
	s_getpc_b64 s[4:5]
	s_add_u32 s4, s4, _ZZZZN2at6native33launch_standard_gamma_grad_kernelERNS_18TensorIteratorBaseEENKUlvE_clEvENKUlvE1_clEvENKUlN3c104HalfES6_E_clES6_S6_@rel32@lo+4
	s_addc_u32 s5, s5, _ZZZZN2at6native33launch_standard_gamma_grad_kernelERNS_18TensorIteratorBaseEENKUlvE_clEvENKUlvE1_clEvENKUlN3c104HalfES6_E_clES6_S6_@rel32@hi+12
	s_swappc_b64 s[30:31], s[4:5]
	s_or_b64 exec, exec, s[26:27]
	s_and_saveexec_b64 s[4:5], s[22:23]
	s_xor_b64 s[4:5], exec, s[4:5]
	s_cbranch_execz .LBB197_35
.LBB197_45:
	v_mov_b32_e32 v49, 0
	v_lshlrev_b64 v[2:3], 1, v[48:49]
	s_waitcnt vmcnt(0)
	v_mov_b32_e32 v1, s25
	v_add_co_u32_e32 v2, vcc, s24, v2
	v_addc_co_u32_e32 v3, vcc, v1, v3, vcc
	v_mov_b32_e32 v30, v50
	global_store_short v[2:3], v46, off
	s_or_b64 exec, exec, s[4:5]
	v_cmp_gt_i32_e32 vcc, s33, v30
	s_and_saveexec_b64 s[4:5], vcc
	s_cbranch_execz .LBB197_36
.LBB197_46:
	v_add_u32_e32 v2, s28, v30
	v_mov_b32_e32 v3, 0
	v_lshlrev_b64 v[2:3], 1, v[2:3]
	s_waitcnt vmcnt(0)
	v_mov_b32_e32 v1, s25
	v_add_co_u32_e32 v2, vcc, s24, v2
	v_addc_co_u32_e32 v3, vcc, v1, v3, vcc
	v_add_u32_e32 v30, 0x100, v30
	global_store_short v[2:3], v45, off
	s_or_b64 exec, exec, s[4:5]
	v_cmp_gt_i32_e32 vcc, s33, v30
	s_and_saveexec_b64 s[4:5], vcc
	s_cbranch_execz .LBB197_37
.LBB197_47:
	v_add_u32_e32 v2, s28, v30
	v_mov_b32_e32 v3, 0
	v_lshlrev_b64 v[2:3], 1, v[2:3]
	s_waitcnt vmcnt(0)
	v_mov_b32_e32 v1, s25
	v_add_co_u32_e32 v2, vcc, s24, v2
	v_addc_co_u32_e32 v3, vcc, v1, v3, vcc
	v_add_u32_e32 v30, 0x100, v30
	global_store_short v[2:3], v44, off
	s_or_b64 exec, exec, s[4:5]
	v_cmp_gt_i32_e32 vcc, s33, v30
	s_and_saveexec_b64 s[4:5], vcc
	s_cbranch_execz .LBB197_38
.LBB197_48:
	v_add_u32_e32 v2, s28, v30
	v_mov_b32_e32 v3, 0
	v_lshlrev_b64 v[2:3], 1, v[2:3]
	s_waitcnt vmcnt(0)
	v_mov_b32_e32 v1, s25
	v_add_co_u32_e32 v2, vcc, s24, v2
	v_addc_co_u32_e32 v3, vcc, v1, v3, vcc
	v_add_u32_e32 v30, 0x100, v30
	global_store_short v[2:3], v34, off
	s_or_b64 exec, exec, s[4:5]
	v_cmp_gt_i32_e32 vcc, s33, v30
	s_and_saveexec_b64 s[4:5], vcc
	s_cbranch_execz .LBB197_39
.LBB197_49:
	v_add_u32_e32 v2, s28, v30
	v_mov_b32_e32 v3, 0
	v_lshlrev_b64 v[2:3], 1, v[2:3]
	s_waitcnt vmcnt(0)
	v_mov_b32_e32 v1, s25
	v_add_co_u32_e32 v2, vcc, s24, v2
	v_addc_co_u32_e32 v3, vcc, v1, v3, vcc
	v_add_u32_e32 v30, 0x100, v30
	global_store_short v[2:3], v33, off
	s_or_b64 exec, exec, s[4:5]
	v_cmp_gt_i32_e32 vcc, s33, v30
	s_and_saveexec_b64 s[4:5], vcc
	s_cbranch_execz .LBB197_40
.LBB197_50:
	v_add_u32_e32 v2, s28, v30
	v_mov_b32_e32 v3, 0
	v_lshlrev_b64 v[2:3], 1, v[2:3]
	s_waitcnt vmcnt(0)
	v_mov_b32_e32 v1, s25
	v_add_co_u32_e32 v2, vcc, s24, v2
	v_addc_co_u32_e32 v3, vcc, v1, v3, vcc
	v_add_u32_e32 v30, 0x100, v30
	global_store_short v[2:3], v32, off
	s_or_b64 exec, exec, s[4:5]
	v_cmp_gt_i32_e32 vcc, s33, v30
	s_and_saveexec_b64 s[4:5], vcc
	s_cbranch_execz .LBB197_41
.LBB197_51:
	v_add_u32_e32 v2, s28, v30
	v_mov_b32_e32 v3, 0
	v_lshlrev_b64 v[2:3], 1, v[2:3]
	s_waitcnt vmcnt(0)
	v_mov_b32_e32 v1, s25
	v_add_co_u32_e32 v2, vcc, s24, v2
	v_addc_co_u32_e32 v3, vcc, v1, v3, vcc
	v_add_u32_e32 v30, 0x100, v30
	global_store_short v[2:3], v31, off
	s_or_b64 exec, exec, s[4:5]
	v_cmp_gt_i32_e32 vcc, s33, v30
	s_and_saveexec_b64 s[4:5], vcc
	s_cbranch_execnz .LBB197_42
	s_branch .LBB197_43
	.section	.rodata,"a",@progbits
	.p2align	6, 0x0
	.amdhsa_kernel _ZN2at6native29vectorized_elementwise_kernelILi16EZZZNS0_33launch_standard_gamma_grad_kernelERNS_18TensorIteratorBaseEENKUlvE_clEvENKUlvE1_clEvEUlN3c104HalfES7_E_St5arrayIPcLm3EEEEviT0_T1_
		.amdhsa_group_segment_fixed_size 0
		.amdhsa_private_segment_fixed_size 0
		.amdhsa_kernarg_size 32
		.amdhsa_user_sgpr_count 8
		.amdhsa_user_sgpr_private_segment_buffer 1
		.amdhsa_user_sgpr_dispatch_ptr 0
		.amdhsa_user_sgpr_queue_ptr 0
		.amdhsa_user_sgpr_kernarg_segment_ptr 1
		.amdhsa_user_sgpr_dispatch_id 0
		.amdhsa_user_sgpr_flat_scratch_init 1
		.amdhsa_user_sgpr_kernarg_preload_length 0
		.amdhsa_user_sgpr_kernarg_preload_offset 0
		.amdhsa_user_sgpr_private_segment_size 0
		.amdhsa_uses_dynamic_stack 0
		.amdhsa_system_sgpr_private_segment_wavefront_offset 0
		.amdhsa_system_sgpr_workgroup_id_x 1
		.amdhsa_system_sgpr_workgroup_id_y 0
		.amdhsa_system_sgpr_workgroup_id_z 0
		.amdhsa_system_sgpr_workgroup_info 0
		.amdhsa_system_vgpr_workitem_id 0
		.amdhsa_next_free_vgpr 51
		.amdhsa_next_free_sgpr 38
		.amdhsa_accum_offset 52
		.amdhsa_reserve_vcc 1
		.amdhsa_reserve_flat_scratch 1
		.amdhsa_float_round_mode_32 0
		.amdhsa_float_round_mode_16_64 0
		.amdhsa_float_denorm_mode_32 3
		.amdhsa_float_denorm_mode_16_64 3
		.amdhsa_dx10_clamp 1
		.amdhsa_ieee_mode 1
		.amdhsa_fp16_overflow 0
		.amdhsa_tg_split 0
		.amdhsa_exception_fp_ieee_invalid_op 0
		.amdhsa_exception_fp_denorm_src 0
		.amdhsa_exception_fp_ieee_div_zero 0
		.amdhsa_exception_fp_ieee_overflow 0
		.amdhsa_exception_fp_ieee_underflow 0
		.amdhsa_exception_fp_ieee_inexact 0
		.amdhsa_exception_int_div_zero 0
	.end_amdhsa_kernel
	.section	.text._ZN2at6native29vectorized_elementwise_kernelILi16EZZZNS0_33launch_standard_gamma_grad_kernelERNS_18TensorIteratorBaseEENKUlvE_clEvENKUlvE1_clEvEUlN3c104HalfES7_E_St5arrayIPcLm3EEEEviT0_T1_,"axG",@progbits,_ZN2at6native29vectorized_elementwise_kernelILi16EZZZNS0_33launch_standard_gamma_grad_kernelERNS_18TensorIteratorBaseEENKUlvE_clEvENKUlvE1_clEvEUlN3c104HalfES7_E_St5arrayIPcLm3EEEEviT0_T1_,comdat
.Lfunc_end197:
	.size	_ZN2at6native29vectorized_elementwise_kernelILi16EZZZNS0_33launch_standard_gamma_grad_kernelERNS_18TensorIteratorBaseEENKUlvE_clEvENKUlvE1_clEvEUlN3c104HalfES7_E_St5arrayIPcLm3EEEEviT0_T1_, .Lfunc_end197-_ZN2at6native29vectorized_elementwise_kernelILi16EZZZNS0_33launch_standard_gamma_grad_kernelERNS_18TensorIteratorBaseEENKUlvE_clEvENKUlvE1_clEvEUlN3c104HalfES7_E_St5arrayIPcLm3EEEEviT0_T1_
                                        ; -- End function
	.section	.AMDGPU.csdata,"",@progbits
; Kernel info:
; codeLenInByte = 2192
; NumSgprs: 44
; NumVgprs: 51
; NumAgprs: 0
; TotalNumVgprs: 51
; ScratchSize: 0
; MemoryBound: 0
; FloatMode: 240
; IeeeMode: 1
; LDSByteSize: 0 bytes/workgroup (compile time only)
; SGPRBlocks: 5
; VGPRBlocks: 6
; NumSGPRsForWavesPerEU: 44
; NumVGPRsForWavesPerEU: 51
; AccumOffset: 52
; Occupancy: 8
; WaveLimiterHint : 0
; COMPUTE_PGM_RSRC2:SCRATCH_EN: 0
; COMPUTE_PGM_RSRC2:USER_SGPR: 8
; COMPUTE_PGM_RSRC2:TRAP_HANDLER: 0
; COMPUTE_PGM_RSRC2:TGID_X_EN: 1
; COMPUTE_PGM_RSRC2:TGID_Y_EN: 0
; COMPUTE_PGM_RSRC2:TGID_Z_EN: 0
; COMPUTE_PGM_RSRC2:TIDIG_COMP_CNT: 0
; COMPUTE_PGM_RSRC3_GFX90A:ACCUM_OFFSET: 12
; COMPUTE_PGM_RSRC3_GFX90A:TG_SPLIT: 0
	.section	.text._ZN2at6native29vectorized_elementwise_kernelILi8EZZZNS0_33launch_standard_gamma_grad_kernelERNS_18TensorIteratorBaseEENKUlvE_clEvENKUlvE1_clEvEUlN3c104HalfES7_E_St5arrayIPcLm3EEEEviT0_T1_,"axG",@progbits,_ZN2at6native29vectorized_elementwise_kernelILi8EZZZNS0_33launch_standard_gamma_grad_kernelERNS_18TensorIteratorBaseEENKUlvE_clEvENKUlvE1_clEvEUlN3c104HalfES7_E_St5arrayIPcLm3EEEEviT0_T1_,comdat
	.globl	_ZN2at6native29vectorized_elementwise_kernelILi8EZZZNS0_33launch_standard_gamma_grad_kernelERNS_18TensorIteratorBaseEENKUlvE_clEvENKUlvE1_clEvEUlN3c104HalfES7_E_St5arrayIPcLm3EEEEviT0_T1_ ; -- Begin function _ZN2at6native29vectorized_elementwise_kernelILi8EZZZNS0_33launch_standard_gamma_grad_kernelERNS_18TensorIteratorBaseEENKUlvE_clEvENKUlvE1_clEvEUlN3c104HalfES7_E_St5arrayIPcLm3EEEEviT0_T1_
	.p2align	8
	.type	_ZN2at6native29vectorized_elementwise_kernelILi8EZZZNS0_33launch_standard_gamma_grad_kernelERNS_18TensorIteratorBaseEENKUlvE_clEvENKUlvE1_clEvEUlN3c104HalfES7_E_St5arrayIPcLm3EEEEviT0_T1_,@function
_ZN2at6native29vectorized_elementwise_kernelILi8EZZZNS0_33launch_standard_gamma_grad_kernelERNS_18TensorIteratorBaseEENKUlvE_clEvENKUlvE1_clEvEUlN3c104HalfES7_E_St5arrayIPcLm3EEEEviT0_T1_: ; @_ZN2at6native29vectorized_elementwise_kernelILi8EZZZNS0_33launch_standard_gamma_grad_kernelERNS_18TensorIteratorBaseEENKUlvE_clEvENKUlvE1_clEvEUlN3c104HalfES7_E_St5arrayIPcLm3EEEEviT0_T1_
; %bb.0:
	s_add_u32 flat_scratch_lo, s6, s9
	s_addc_u32 flat_scratch_hi, s7, 0
	s_load_dword s6, s[4:5], 0x0
	s_load_dwordx4 s[24:27], s[4:5], 0x8
	s_load_dwordx2 s[34:35], s[4:5], 0x18
	s_add_u32 s0, s0, s9
	s_addc_u32 s1, s1, 0
	s_lshl_b32 s28, s8, 11
	s_waitcnt lgkmcnt(0)
	s_sub_i32 s33, s6, s28
	v_mov_b32_e32 v30, v0
	s_cmpk_gt_i32 s33, 0x7ff
	s_mov_b64 s[4:5], -1
	s_mov_b32 s32, 0
	s_cbranch_scc0 .LBB198_2
; %bb.1:
	s_ashr_i32 s29, s28, 31
	s_lshl_b64 s[22:23], s[28:29], 1
	s_add_u32 s4, s26, s22
	s_addc_u32 s5, s27, s23
	v_lshlrev_b32_e32 v47, 4, v30
	global_load_dwordx4 v[32:35], v47, s[4:5]
	s_add_u32 s4, s34, s22
	s_addc_u32 s5, s35, s23
	global_load_dwordx4 v[36:39], v47, s[4:5]
	s_getpc_b64 s[36:37]
	s_add_u32 s36, s36, _ZZZZN2at6native33launch_standard_gamma_grad_kernelERNS_18TensorIteratorBaseEENKUlvE_clEvENKUlvE1_clEvENKUlN3c104HalfES6_E_clES6_S6_@rel32@lo+4
	s_addc_u32 s37, s37, _ZZZZN2at6native33launch_standard_gamma_grad_kernelERNS_18TensorIteratorBaseEENKUlvE_clEvENKUlvE1_clEvENKUlN3c104HalfES6_E_clES6_S6_@rel32@hi+12
	s_waitcnt vmcnt(1)
	v_mov_b32_e32 v0, v32
	v_lshrrev_b32_e32 v31, 16, v32
	v_lshrrev_b32_e32 v40, 16, v33
	s_waitcnt vmcnt(0)
	v_mov_b32_e32 v1, v36
	v_lshrrev_b32_e32 v41, 16, v34
	v_lshrrev_b32_e32 v42, 16, v35
	;; [unrolled: 1-line block ×6, first 2 shown]
	s_swappc_b64 s[30:31], s[36:37]
	v_mov_b32_e32 v32, v0
	v_mov_b32_e32 v0, v31
	v_mov_b32_e32 v1, v43
	s_swappc_b64 s[30:31], s[36:37]
	v_mov_b32_e32 v31, v0
	v_mov_b32_e32 v0, v33
	v_mov_b32_e32 v1, v37
	;; [unrolled: 4-line block ×7, first 2 shown]
	s_swappc_b64 s[30:31], s[36:37]
	s_add_u32 s4, s24, s22
	s_mov_b32 s6, 0x5040100
	s_addc_u32 s5, s25, s23
	v_perm_b32 v2, v31, v32, s6
	v_perm_b32 v3, v36, v33, s6
	;; [unrolled: 1-line block ×4, first 2 shown]
	global_store_dwordx4 v47, v[2:5], s[4:5]
	s_mov_b64 s[4:5], 0
.LBB198_2:
	s_andn2_b64 vcc, exec, s[4:5]
	s_cbranch_vccnz .LBB198_43
; %bb.3:
	v_cmp_gt_i32_e64 s[22:23], s33, v30
	v_mov_b32_e32 v31, 0
	v_or_b32_e32 v48, s28, v30
	v_mov_b32_e32 v0, 0
	v_mov_b32_e32 v1, 0
	v_mov_b32_e32 v2, v30
	s_and_saveexec_b64 s[4:5], s[22:23]
	s_cbranch_execz .LBB198_5
; %bb.4:
	v_mov_b32_e32 v49, 0
	v_lshlrev_b64 v[0:1], 1, v[48:49]
	v_mov_b32_e32 v3, s35
	v_add_co_u32_e32 v2, vcc, s34, v0
	v_addc_co_u32_e32 v3, vcc, v3, v1, vcc
	v_mov_b32_e32 v5, s27
	v_add_co_u32_e32 v4, vcc, s26, v0
	v_addc_co_u32_e32 v5, vcc, v5, v1, vcc
	global_load_ushort v0, v[4:5], off
	global_load_ushort v1, v[2:3], off
	v_or_b32_e32 v2, 0x100, v30
.LBB198_5:
	s_or_b64 exec, exec, s[4:5]
	v_cmp_gt_i32_e32 vcc, s33, v2
	v_mov_b32_e32 v33, 0
	s_and_saveexec_b64 s[4:5], vcc
	s_cbranch_execz .LBB198_7
; %bb.6:
	v_add_u32_e32 v4, s28, v2
	v_mov_b32_e32 v5, 0
	v_lshlrev_b64 v[4:5], 1, v[4:5]
	v_mov_b32_e32 v3, s35
	v_add_co_u32_e32 v6, vcc, s34, v4
	v_addc_co_u32_e32 v7, vcc, v3, v5, vcc
	v_mov_b32_e32 v3, s27
	v_add_co_u32_e32 v4, vcc, s26, v4
	v_addc_co_u32_e32 v5, vcc, v3, v5, vcc
	global_load_ushort v31, v[4:5], off
	global_load_ushort v33, v[6:7], off
	v_add_u32_e32 v2, 0x100, v2
.LBB198_7:
	s_or_b64 exec, exec, s[4:5]
	v_cmp_gt_i32_e32 vcc, s33, v2
	v_mov_b32_e32 v32, 0
	v_mov_b32_e32 v34, 0
	v_mov_b32_e32 v35, 0
	s_and_saveexec_b64 s[4:5], vcc
	s_cbranch_execz .LBB198_9
; %bb.8:
	v_add_u32_e32 v4, s28, v2
	v_mov_b32_e32 v5, 0
	v_lshlrev_b64 v[4:5], 1, v[4:5]
	v_mov_b32_e32 v3, s35
	v_add_co_u32_e32 v6, vcc, s34, v4
	v_addc_co_u32_e32 v7, vcc, v3, v5, vcc
	v_mov_b32_e32 v3, s27
	v_add_co_u32_e32 v4, vcc, s26, v4
	v_addc_co_u32_e32 v5, vcc, v3, v5, vcc
	global_load_ushort v34, v[4:5], off
	global_load_ushort v35, v[6:7], off
	v_add_u32_e32 v2, 0x100, v2
.LBB198_9:
	s_or_b64 exec, exec, s[4:5]
	v_cmp_gt_i32_e32 vcc, s33, v2
	v_mov_b32_e32 v37, 0
	s_and_saveexec_b64 s[4:5], vcc
	s_cbranch_execz .LBB198_11
; %bb.10:
	v_add_u32_e32 v4, s28, v2
	v_mov_b32_e32 v5, 0
	v_lshlrev_b64 v[4:5], 1, v[4:5]
	v_mov_b32_e32 v3, s35
	v_add_co_u32_e32 v6, vcc, s34, v4
	v_addc_co_u32_e32 v7, vcc, v3, v5, vcc
	v_mov_b32_e32 v3, s27
	v_add_co_u32_e32 v4, vcc, s26, v4
	v_addc_co_u32_e32 v5, vcc, v3, v5, vcc
	global_load_ushort v32, v[4:5], off
	global_load_ushort v37, v[6:7], off
	v_add_u32_e32 v2, 0x100, v2
.LBB198_11:
	s_or_b64 exec, exec, s[4:5]
	v_cmp_gt_i32_e32 vcc, s33, v2
	v_mov_b32_e32 v36, 0
	v_mov_b32_e32 v38, 0
	v_mov_b32_e32 v39, 0
	s_and_saveexec_b64 s[4:5], vcc
	s_cbranch_execz .LBB198_13
; %bb.12:
	v_add_u32_e32 v4, s28, v2
	v_mov_b32_e32 v5, 0
	v_lshlrev_b64 v[4:5], 1, v[4:5]
	v_mov_b32_e32 v3, s35
	v_add_co_u32_e32 v6, vcc, s34, v4
	v_addc_co_u32_e32 v7, vcc, v3, v5, vcc
	v_mov_b32_e32 v3, s27
	v_add_co_u32_e32 v4, vcc, s26, v4
	v_addc_co_u32_e32 v5, vcc, v3, v5, vcc
	global_load_ushort v38, v[4:5], off
	global_load_ushort v39, v[6:7], off
	v_add_u32_e32 v2, 0x100, v2
.LBB198_13:
	;; [unrolled: 40-line block ×3, first 2 shown]
	s_or_b64 exec, exec, s[4:5]
	v_cmp_gt_i32_e32 vcc, s33, v2
	v_mov_b32_e32 v47, 0
	s_and_saveexec_b64 s[4:5], vcc
	s_cbranch_execz .LBB198_19
; %bb.18:
	v_add_u32_e32 v2, s28, v2
	v_mov_b32_e32 v3, 0
	v_lshlrev_b64 v[2:3], 1, v[2:3]
	v_mov_b32_e32 v5, s35
	v_add_co_u32_e32 v4, vcc, s34, v2
	v_addc_co_u32_e32 v5, vcc, v5, v3, vcc
	v_mov_b32_e32 v6, s27
	v_add_co_u32_e32 v2, vcc, s26, v2
	v_addc_co_u32_e32 v3, vcc, v6, v3, vcc
	global_load_ushort v40, v[2:3], off
	global_load_ushort v47, v[4:5], off
.LBB198_19:
	s_or_b64 exec, exec, s[4:5]
                                        ; implicit-def: $vgpr46
	s_and_saveexec_b64 s[26:27], s[22:23]
	s_cbranch_execz .LBB198_21
; %bb.20:
	s_getpc_b64 s[4:5]
	s_add_u32 s4, s4, _ZZZZN2at6native33launch_standard_gamma_grad_kernelERNS_18TensorIteratorBaseEENKUlvE_clEvENKUlvE1_clEvENKUlN3c104HalfES6_E_clES6_S6_@rel32@lo+4
	s_addc_u32 s5, s5, _ZZZZN2at6native33launch_standard_gamma_grad_kernelERNS_18TensorIteratorBaseEENKUlvE_clEvENKUlvE1_clEvENKUlN3c104HalfES6_E_clES6_S6_@rel32@hi+12
	s_swappc_b64 s[30:31], s[4:5]
	v_mov_b32_e32 v46, v0
.LBB198_21:
	s_or_b64 exec, exec, s[26:27]
	v_or_b32_e32 v50, 0x100, v30
	v_cmp_gt_i32_e32 vcc, s33, v50
                                        ; implicit-def: $vgpr45
	s_and_saveexec_b64 s[26:27], vcc
	s_cbranch_execz .LBB198_23
; %bb.22:
	s_waitcnt vmcnt(1)
	v_mov_b32_e32 v0, v31
	s_waitcnt vmcnt(0)
	v_mov_b32_e32 v1, v33
	s_getpc_b64 s[4:5]
	s_add_u32 s4, s4, _ZZZZN2at6native33launch_standard_gamma_grad_kernelERNS_18TensorIteratorBaseEENKUlvE_clEvENKUlvE1_clEvENKUlN3c104HalfES6_E_clES6_S6_@rel32@lo+4
	s_addc_u32 s5, s5, _ZZZZN2at6native33launch_standard_gamma_grad_kernelERNS_18TensorIteratorBaseEENKUlvE_clEvENKUlvE1_clEvENKUlN3c104HalfES6_E_clES6_S6_@rel32@hi+12
	s_swappc_b64 s[30:31], s[4:5]
	v_mov_b32_e32 v45, v0
.LBB198_23:
	s_or_b64 exec, exec, s[26:27]
	s_waitcnt vmcnt(1)
	v_or_b32_e32 v0, 0x200, v30
	v_cmp_gt_i32_e32 vcc, s33, v0
                                        ; implicit-def: $vgpr44
	s_and_saveexec_b64 s[26:27], vcc
	s_cbranch_execz .LBB198_25
; %bb.24:
	v_mov_b32_e32 v0, v34
	s_waitcnt vmcnt(0)
	v_mov_b32_e32 v1, v35
	s_getpc_b64 s[4:5]
	s_add_u32 s4, s4, _ZZZZN2at6native33launch_standard_gamma_grad_kernelERNS_18TensorIteratorBaseEENKUlvE_clEvENKUlvE1_clEvENKUlN3c104HalfES6_E_clES6_S6_@rel32@lo+4
	s_addc_u32 s5, s5, _ZZZZN2at6native33launch_standard_gamma_grad_kernelERNS_18TensorIteratorBaseEENKUlvE_clEvENKUlvE1_clEvENKUlN3c104HalfES6_E_clES6_S6_@rel32@hi+12
	s_swappc_b64 s[30:31], s[4:5]
	v_mov_b32_e32 v44, v0
.LBB198_25:
	s_or_b64 exec, exec, s[26:27]
	v_or_b32_e32 v0, 0x300, v30
	v_cmp_gt_i32_e32 vcc, s33, v0
                                        ; implicit-def: $vgpr34
	s_and_saveexec_b64 s[26:27], vcc
	s_cbranch_execz .LBB198_27
; %bb.26:
	v_mov_b32_e32 v0, v32
	s_waitcnt vmcnt(0)
	v_mov_b32_e32 v1, v37
	s_getpc_b64 s[4:5]
	s_add_u32 s4, s4, _ZZZZN2at6native33launch_standard_gamma_grad_kernelERNS_18TensorIteratorBaseEENKUlvE_clEvENKUlvE1_clEvENKUlN3c104HalfES6_E_clES6_S6_@rel32@lo+4
	s_addc_u32 s5, s5, _ZZZZN2at6native33launch_standard_gamma_grad_kernelERNS_18TensorIteratorBaseEENKUlvE_clEvENKUlvE1_clEvENKUlN3c104HalfES6_E_clES6_S6_@rel32@hi+12
	s_swappc_b64 s[30:31], s[4:5]
	v_mov_b32_e32 v34, v0
.LBB198_27:
	s_or_b64 exec, exec, s[26:27]
	v_or_b32_e32 v0, 0x400, v30
	v_cmp_gt_i32_e32 vcc, s33, v0
                                        ; implicit-def: $vgpr33
	s_and_saveexec_b64 s[26:27], vcc
	s_cbranch_execz .LBB198_29
; %bb.28:
	v_mov_b32_e32 v0, v38
	s_waitcnt vmcnt(0)
	v_mov_b32_e32 v1, v39
	s_getpc_b64 s[4:5]
	s_add_u32 s4, s4, _ZZZZN2at6native33launch_standard_gamma_grad_kernelERNS_18TensorIteratorBaseEENKUlvE_clEvENKUlvE1_clEvENKUlN3c104HalfES6_E_clES6_S6_@rel32@lo+4
	s_addc_u32 s5, s5, _ZZZZN2at6native33launch_standard_gamma_grad_kernelERNS_18TensorIteratorBaseEENKUlvE_clEvENKUlvE1_clEvENKUlN3c104HalfES6_E_clES6_S6_@rel32@hi+12
	s_swappc_b64 s[30:31], s[4:5]
	v_mov_b32_e32 v33, v0
.LBB198_29:
	s_or_b64 exec, exec, s[26:27]
	v_or_b32_e32 v0, 0x500, v30
	v_cmp_gt_i32_e32 vcc, s33, v0
                                        ; implicit-def: $vgpr32
	s_and_saveexec_b64 s[26:27], vcc
	s_cbranch_execz .LBB198_31
; %bb.30:
	v_mov_b32_e32 v0, v36
	s_waitcnt vmcnt(0)
	v_mov_b32_e32 v1, v41
	s_getpc_b64 s[4:5]
	s_add_u32 s4, s4, _ZZZZN2at6native33launch_standard_gamma_grad_kernelERNS_18TensorIteratorBaseEENKUlvE_clEvENKUlvE1_clEvENKUlN3c104HalfES6_E_clES6_S6_@rel32@lo+4
	s_addc_u32 s5, s5, _ZZZZN2at6native33launch_standard_gamma_grad_kernelERNS_18TensorIteratorBaseEENKUlvE_clEvENKUlvE1_clEvENKUlN3c104HalfES6_E_clES6_S6_@rel32@hi+12
	s_swappc_b64 s[30:31], s[4:5]
	v_mov_b32_e32 v32, v0
.LBB198_31:
	s_or_b64 exec, exec, s[26:27]
	v_or_b32_e32 v0, 0x600, v30
	v_cmp_gt_i32_e32 vcc, s33, v0
                                        ; implicit-def: $vgpr31
	s_and_saveexec_b64 s[26:27], vcc
	s_cbranch_execz .LBB198_33
; %bb.32:
	v_mov_b32_e32 v0, v42
	s_waitcnt vmcnt(0)
	v_mov_b32_e32 v1, v43
	s_getpc_b64 s[4:5]
	s_add_u32 s4, s4, _ZZZZN2at6native33launch_standard_gamma_grad_kernelERNS_18TensorIteratorBaseEENKUlvE_clEvENKUlvE1_clEvENKUlN3c104HalfES6_E_clES6_S6_@rel32@lo+4
	s_addc_u32 s5, s5, _ZZZZN2at6native33launch_standard_gamma_grad_kernelERNS_18TensorIteratorBaseEENKUlvE_clEvENKUlvE1_clEvENKUlN3c104HalfES6_E_clES6_S6_@rel32@hi+12
	s_swappc_b64 s[30:31], s[4:5]
	v_mov_b32_e32 v31, v0
.LBB198_33:
	s_or_b64 exec, exec, s[26:27]
	v_or_b32_e32 v0, 0x700, v30
	v_cmp_gt_i32_e32 vcc, s33, v0
                                        ; implicit-def: $vgpr0
	s_and_saveexec_b64 s[26:27], vcc
	s_cbranch_execnz .LBB198_44
; %bb.34:
	s_or_b64 exec, exec, s[26:27]
	s_and_saveexec_b64 s[4:5], s[22:23]
	s_xor_b64 s[4:5], exec, s[4:5]
	s_cbranch_execnz .LBB198_45
.LBB198_35:
	s_or_b64 exec, exec, s[4:5]
	v_cmp_gt_i32_e32 vcc, s33, v30
	s_and_saveexec_b64 s[4:5], vcc
	s_cbranch_execnz .LBB198_46
.LBB198_36:
	s_or_b64 exec, exec, s[4:5]
	v_cmp_gt_i32_e32 vcc, s33, v30
	s_and_saveexec_b64 s[4:5], vcc
	s_cbranch_execnz .LBB198_47
.LBB198_37:
	s_or_b64 exec, exec, s[4:5]
	v_cmp_gt_i32_e32 vcc, s33, v30
	s_and_saveexec_b64 s[4:5], vcc
	s_cbranch_execnz .LBB198_48
.LBB198_38:
	s_or_b64 exec, exec, s[4:5]
	v_cmp_gt_i32_e32 vcc, s33, v30
	s_and_saveexec_b64 s[4:5], vcc
	s_cbranch_execnz .LBB198_49
.LBB198_39:
	s_or_b64 exec, exec, s[4:5]
	v_cmp_gt_i32_e32 vcc, s33, v30
	s_and_saveexec_b64 s[4:5], vcc
	s_cbranch_execnz .LBB198_50
.LBB198_40:
	s_or_b64 exec, exec, s[4:5]
	v_cmp_gt_i32_e32 vcc, s33, v30
	s_and_saveexec_b64 s[4:5], vcc
	s_cbranch_execnz .LBB198_51
.LBB198_41:
	s_or_b64 exec, exec, s[4:5]
	v_cmp_gt_i32_e32 vcc, s33, v30
	s_and_saveexec_b64 s[4:5], vcc
	s_cbranch_execz .LBB198_43
.LBB198_42:
	v_add_u32_e32 v2, s28, v30
	v_mov_b32_e32 v3, 0
	v_lshlrev_b64 v[2:3], 1, v[2:3]
	s_waitcnt vmcnt(0)
	v_mov_b32_e32 v1, s25
	v_add_co_u32_e32 v2, vcc, s24, v2
	v_addc_co_u32_e32 v3, vcc, v1, v3, vcc
	global_store_short v[2:3], v0, off
.LBB198_43:
	s_endpgm
.LBB198_44:
	v_mov_b32_e32 v0, v40
	s_waitcnt vmcnt(0)
	v_mov_b32_e32 v1, v47
	s_getpc_b64 s[4:5]
	s_add_u32 s4, s4, _ZZZZN2at6native33launch_standard_gamma_grad_kernelERNS_18TensorIteratorBaseEENKUlvE_clEvENKUlvE1_clEvENKUlN3c104HalfES6_E_clES6_S6_@rel32@lo+4
	s_addc_u32 s5, s5, _ZZZZN2at6native33launch_standard_gamma_grad_kernelERNS_18TensorIteratorBaseEENKUlvE_clEvENKUlvE1_clEvENKUlN3c104HalfES6_E_clES6_S6_@rel32@hi+12
	s_swappc_b64 s[30:31], s[4:5]
	s_or_b64 exec, exec, s[26:27]
	s_and_saveexec_b64 s[4:5], s[22:23]
	s_xor_b64 s[4:5], exec, s[4:5]
	s_cbranch_execz .LBB198_35
.LBB198_45:
	v_mov_b32_e32 v49, 0
	v_lshlrev_b64 v[2:3], 1, v[48:49]
	s_waitcnt vmcnt(0)
	v_mov_b32_e32 v1, s25
	v_add_co_u32_e32 v2, vcc, s24, v2
	v_addc_co_u32_e32 v3, vcc, v1, v3, vcc
	v_mov_b32_e32 v30, v50
	global_store_short v[2:3], v46, off
	s_or_b64 exec, exec, s[4:5]
	v_cmp_gt_i32_e32 vcc, s33, v30
	s_and_saveexec_b64 s[4:5], vcc
	s_cbranch_execz .LBB198_36
.LBB198_46:
	v_add_u32_e32 v2, s28, v30
	v_mov_b32_e32 v3, 0
	v_lshlrev_b64 v[2:3], 1, v[2:3]
	s_waitcnt vmcnt(0)
	v_mov_b32_e32 v1, s25
	v_add_co_u32_e32 v2, vcc, s24, v2
	v_addc_co_u32_e32 v3, vcc, v1, v3, vcc
	v_add_u32_e32 v30, 0x100, v30
	global_store_short v[2:3], v45, off
	s_or_b64 exec, exec, s[4:5]
	v_cmp_gt_i32_e32 vcc, s33, v30
	s_and_saveexec_b64 s[4:5], vcc
	s_cbranch_execz .LBB198_37
.LBB198_47:
	v_add_u32_e32 v2, s28, v30
	v_mov_b32_e32 v3, 0
	v_lshlrev_b64 v[2:3], 1, v[2:3]
	s_waitcnt vmcnt(0)
	v_mov_b32_e32 v1, s25
	v_add_co_u32_e32 v2, vcc, s24, v2
	v_addc_co_u32_e32 v3, vcc, v1, v3, vcc
	v_add_u32_e32 v30, 0x100, v30
	global_store_short v[2:3], v44, off
	s_or_b64 exec, exec, s[4:5]
	v_cmp_gt_i32_e32 vcc, s33, v30
	s_and_saveexec_b64 s[4:5], vcc
	s_cbranch_execz .LBB198_38
.LBB198_48:
	v_add_u32_e32 v2, s28, v30
	v_mov_b32_e32 v3, 0
	v_lshlrev_b64 v[2:3], 1, v[2:3]
	s_waitcnt vmcnt(0)
	v_mov_b32_e32 v1, s25
	v_add_co_u32_e32 v2, vcc, s24, v2
	v_addc_co_u32_e32 v3, vcc, v1, v3, vcc
	v_add_u32_e32 v30, 0x100, v30
	global_store_short v[2:3], v34, off
	s_or_b64 exec, exec, s[4:5]
	v_cmp_gt_i32_e32 vcc, s33, v30
	s_and_saveexec_b64 s[4:5], vcc
	s_cbranch_execz .LBB198_39
.LBB198_49:
	v_add_u32_e32 v2, s28, v30
	v_mov_b32_e32 v3, 0
	v_lshlrev_b64 v[2:3], 1, v[2:3]
	s_waitcnt vmcnt(0)
	v_mov_b32_e32 v1, s25
	v_add_co_u32_e32 v2, vcc, s24, v2
	v_addc_co_u32_e32 v3, vcc, v1, v3, vcc
	v_add_u32_e32 v30, 0x100, v30
	global_store_short v[2:3], v33, off
	s_or_b64 exec, exec, s[4:5]
	v_cmp_gt_i32_e32 vcc, s33, v30
	s_and_saveexec_b64 s[4:5], vcc
	s_cbranch_execz .LBB198_40
.LBB198_50:
	v_add_u32_e32 v2, s28, v30
	v_mov_b32_e32 v3, 0
	v_lshlrev_b64 v[2:3], 1, v[2:3]
	s_waitcnt vmcnt(0)
	v_mov_b32_e32 v1, s25
	v_add_co_u32_e32 v2, vcc, s24, v2
	v_addc_co_u32_e32 v3, vcc, v1, v3, vcc
	v_add_u32_e32 v30, 0x100, v30
	global_store_short v[2:3], v32, off
	s_or_b64 exec, exec, s[4:5]
	v_cmp_gt_i32_e32 vcc, s33, v30
	s_and_saveexec_b64 s[4:5], vcc
	s_cbranch_execz .LBB198_41
.LBB198_51:
	v_add_u32_e32 v2, s28, v30
	v_mov_b32_e32 v3, 0
	v_lshlrev_b64 v[2:3], 1, v[2:3]
	s_waitcnt vmcnt(0)
	v_mov_b32_e32 v1, s25
	v_add_co_u32_e32 v2, vcc, s24, v2
	v_addc_co_u32_e32 v3, vcc, v1, v3, vcc
	v_add_u32_e32 v30, 0x100, v30
	global_store_short v[2:3], v31, off
	s_or_b64 exec, exec, s[4:5]
	v_cmp_gt_i32_e32 vcc, s33, v30
	s_and_saveexec_b64 s[4:5], vcc
	s_cbranch_execnz .LBB198_42
	s_branch .LBB198_43
	.section	.rodata,"a",@progbits
	.p2align	6, 0x0
	.amdhsa_kernel _ZN2at6native29vectorized_elementwise_kernelILi8EZZZNS0_33launch_standard_gamma_grad_kernelERNS_18TensorIteratorBaseEENKUlvE_clEvENKUlvE1_clEvEUlN3c104HalfES7_E_St5arrayIPcLm3EEEEviT0_T1_
		.amdhsa_group_segment_fixed_size 0
		.amdhsa_private_segment_fixed_size 0
		.amdhsa_kernarg_size 32
		.amdhsa_user_sgpr_count 8
		.amdhsa_user_sgpr_private_segment_buffer 1
		.amdhsa_user_sgpr_dispatch_ptr 0
		.amdhsa_user_sgpr_queue_ptr 0
		.amdhsa_user_sgpr_kernarg_segment_ptr 1
		.amdhsa_user_sgpr_dispatch_id 0
		.amdhsa_user_sgpr_flat_scratch_init 1
		.amdhsa_user_sgpr_kernarg_preload_length 0
		.amdhsa_user_sgpr_kernarg_preload_offset 0
		.amdhsa_user_sgpr_private_segment_size 0
		.amdhsa_uses_dynamic_stack 0
		.amdhsa_system_sgpr_private_segment_wavefront_offset 0
		.amdhsa_system_sgpr_workgroup_id_x 1
		.amdhsa_system_sgpr_workgroup_id_y 0
		.amdhsa_system_sgpr_workgroup_id_z 0
		.amdhsa_system_sgpr_workgroup_info 0
		.amdhsa_system_vgpr_workitem_id 0
		.amdhsa_next_free_vgpr 51
		.amdhsa_next_free_sgpr 38
		.amdhsa_accum_offset 52
		.amdhsa_reserve_vcc 1
		.amdhsa_reserve_flat_scratch 1
		.amdhsa_float_round_mode_32 0
		.amdhsa_float_round_mode_16_64 0
		.amdhsa_float_denorm_mode_32 3
		.amdhsa_float_denorm_mode_16_64 3
		.amdhsa_dx10_clamp 1
		.amdhsa_ieee_mode 1
		.amdhsa_fp16_overflow 0
		.amdhsa_tg_split 0
		.amdhsa_exception_fp_ieee_invalid_op 0
		.amdhsa_exception_fp_denorm_src 0
		.amdhsa_exception_fp_ieee_div_zero 0
		.amdhsa_exception_fp_ieee_overflow 0
		.amdhsa_exception_fp_ieee_underflow 0
		.amdhsa_exception_fp_ieee_inexact 0
		.amdhsa_exception_int_div_zero 0
	.end_amdhsa_kernel
	.section	.text._ZN2at6native29vectorized_elementwise_kernelILi8EZZZNS0_33launch_standard_gamma_grad_kernelERNS_18TensorIteratorBaseEENKUlvE_clEvENKUlvE1_clEvEUlN3c104HalfES7_E_St5arrayIPcLm3EEEEviT0_T1_,"axG",@progbits,_ZN2at6native29vectorized_elementwise_kernelILi8EZZZNS0_33launch_standard_gamma_grad_kernelERNS_18TensorIteratorBaseEENKUlvE_clEvENKUlvE1_clEvEUlN3c104HalfES7_E_St5arrayIPcLm3EEEEviT0_T1_,comdat
.Lfunc_end198:
	.size	_ZN2at6native29vectorized_elementwise_kernelILi8EZZZNS0_33launch_standard_gamma_grad_kernelERNS_18TensorIteratorBaseEENKUlvE_clEvENKUlvE1_clEvEUlN3c104HalfES7_E_St5arrayIPcLm3EEEEviT0_T1_, .Lfunc_end198-_ZN2at6native29vectorized_elementwise_kernelILi8EZZZNS0_33launch_standard_gamma_grad_kernelERNS_18TensorIteratorBaseEENKUlvE_clEvENKUlvE1_clEvEUlN3c104HalfES7_E_St5arrayIPcLm3EEEEviT0_T1_
                                        ; -- End function
	.section	.AMDGPU.csdata,"",@progbits
; Kernel info:
; codeLenInByte = 2192
; NumSgprs: 44
; NumVgprs: 51
; NumAgprs: 0
; TotalNumVgprs: 51
; ScratchSize: 0
; MemoryBound: 0
; FloatMode: 240
; IeeeMode: 1
; LDSByteSize: 0 bytes/workgroup (compile time only)
; SGPRBlocks: 5
; VGPRBlocks: 6
; NumSGPRsForWavesPerEU: 44
; NumVGPRsForWavesPerEU: 51
; AccumOffset: 52
; Occupancy: 8
; WaveLimiterHint : 0
; COMPUTE_PGM_RSRC2:SCRATCH_EN: 0
; COMPUTE_PGM_RSRC2:USER_SGPR: 8
; COMPUTE_PGM_RSRC2:TRAP_HANDLER: 0
; COMPUTE_PGM_RSRC2:TGID_X_EN: 1
; COMPUTE_PGM_RSRC2:TGID_Y_EN: 0
; COMPUTE_PGM_RSRC2:TGID_Z_EN: 0
; COMPUTE_PGM_RSRC2:TIDIG_COMP_CNT: 0
; COMPUTE_PGM_RSRC3_GFX90A:ACCUM_OFFSET: 12
; COMPUTE_PGM_RSRC3_GFX90A:TG_SPLIT: 0
	.section	.text._ZN2at6native29vectorized_elementwise_kernelILi4EZZZNS0_33launch_standard_gamma_grad_kernelERNS_18TensorIteratorBaseEENKUlvE_clEvENKUlvE1_clEvEUlN3c104HalfES7_E_St5arrayIPcLm3EEEEviT0_T1_,"axG",@progbits,_ZN2at6native29vectorized_elementwise_kernelILi4EZZZNS0_33launch_standard_gamma_grad_kernelERNS_18TensorIteratorBaseEENKUlvE_clEvENKUlvE1_clEvEUlN3c104HalfES7_E_St5arrayIPcLm3EEEEviT0_T1_,comdat
	.globl	_ZN2at6native29vectorized_elementwise_kernelILi4EZZZNS0_33launch_standard_gamma_grad_kernelERNS_18TensorIteratorBaseEENKUlvE_clEvENKUlvE1_clEvEUlN3c104HalfES7_E_St5arrayIPcLm3EEEEviT0_T1_ ; -- Begin function _ZN2at6native29vectorized_elementwise_kernelILi4EZZZNS0_33launch_standard_gamma_grad_kernelERNS_18TensorIteratorBaseEENKUlvE_clEvENKUlvE1_clEvEUlN3c104HalfES7_E_St5arrayIPcLm3EEEEviT0_T1_
	.p2align	8
	.type	_ZN2at6native29vectorized_elementwise_kernelILi4EZZZNS0_33launch_standard_gamma_grad_kernelERNS_18TensorIteratorBaseEENKUlvE_clEvENKUlvE1_clEvEUlN3c104HalfES7_E_St5arrayIPcLm3EEEEviT0_T1_,@function
_ZN2at6native29vectorized_elementwise_kernelILi4EZZZNS0_33launch_standard_gamma_grad_kernelERNS_18TensorIteratorBaseEENKUlvE_clEvENKUlvE1_clEvEUlN3c104HalfES7_E_St5arrayIPcLm3EEEEviT0_T1_: ; @_ZN2at6native29vectorized_elementwise_kernelILi4EZZZNS0_33launch_standard_gamma_grad_kernelERNS_18TensorIteratorBaseEENKUlvE_clEvENKUlvE1_clEvEUlN3c104HalfES7_E_St5arrayIPcLm3EEEEviT0_T1_
; %bb.0:
	s_add_u32 flat_scratch_lo, s6, s9
	s_addc_u32 flat_scratch_hi, s7, 0
	s_load_dword s6, s[4:5], 0x0
	s_load_dwordx4 s[24:27], s[4:5], 0x8
	s_load_dwordx2 s[34:35], s[4:5], 0x18
	s_add_u32 s0, s0, s9
	s_addc_u32 s1, s1, 0
	s_lshl_b32 s28, s8, 11
	s_waitcnt lgkmcnt(0)
	s_sub_i32 s33, s6, s28
	v_mov_b32_e32 v30, v0
	s_cmpk_gt_i32 s33, 0x7ff
	s_mov_b64 s[4:5], -1
	s_mov_b32 s32, 0
	s_cbranch_scc0 .LBB199_2
; %bb.1:
	s_ashr_i32 s29, s28, 31
	s_lshl_b64 s[22:23], s[28:29], 1
	s_add_u32 s4, s26, s22
	s_addc_u32 s5, s27, s23
	v_lshlrev_b32_e32 v47, 3, v30
	s_add_u32 s6, s34, s22
	global_load_dwordx2 v[32:33], v47, s[4:5]
	global_load_dwordx2 v[34:35], v47, s[4:5] offset:2048
	s_addc_u32 s7, s35, s23
	global_load_dwordx2 v[36:37], v47, s[6:7]
	global_load_dwordx2 v[38:39], v47, s[6:7] offset:2048
	s_getpc_b64 s[36:37]
	s_add_u32 s36, s36, _ZZZZN2at6native33launch_standard_gamma_grad_kernelERNS_18TensorIteratorBaseEENKUlvE_clEvENKUlvE1_clEvENKUlN3c104HalfES6_E_clES6_S6_@rel32@lo+4
	s_addc_u32 s37, s37, _ZZZZN2at6native33launch_standard_gamma_grad_kernelERNS_18TensorIteratorBaseEENKUlvE_clEvENKUlvE1_clEvENKUlN3c104HalfES6_E_clES6_S6_@rel32@hi+12
	s_waitcnt vmcnt(3)
	v_mov_b32_e32 v0, v32
	v_lshrrev_b32_e32 v31, 16, v32
	s_waitcnt vmcnt(1)
	v_mov_b32_e32 v1, v36
	v_lshrrev_b32_e32 v40, 16, v33
	v_lshrrev_b32_e32 v41, 16, v34
	;; [unrolled: 1-line block ×5, first 2 shown]
	s_waitcnt vmcnt(0)
	v_lshrrev_b32_e32 v45, 16, v38
	v_lshrrev_b32_e32 v46, 16, v39
	s_swappc_b64 s[30:31], s[36:37]
	v_mov_b32_e32 v32, v0
	v_mov_b32_e32 v0, v31
	v_mov_b32_e32 v1, v43
	s_swappc_b64 s[30:31], s[36:37]
	v_mov_b32_e32 v31, v0
	v_mov_b32_e32 v0, v33
	v_mov_b32_e32 v1, v37
	;; [unrolled: 4-line block ×7, first 2 shown]
	s_swappc_b64 s[30:31], s[36:37]
	v_lshlrev_b32_e32 v3, 16, v31
	v_and_b32_e32 v4, 0xffff, v32
	s_add_u32 s4, s24, s22
	v_lshlrev_b32_e32 v1, 16, v36
	v_and_b32_e32 v2, 0xffff, v33
	v_or_b32_e32 v4, v3, v4
	s_addc_u32 s5, s25, s23
	v_or3_b32 v3, 0, v2, v1
	v_or3_b32 v2, v4, 0, 0
	global_store_dwordx2 v47, v[2:3], s[4:5]
	v_lshlrev_b32_e32 v2, 16, v37
	v_and_b32_e32 v3, 0xffff, v34
	v_lshlrev_b32_e32 v0, 16, v0
	v_and_b32_e32 v1, 0xffff, v35
	v_or_b32_e32 v2, v2, v3
	v_or3_b32 v1, 0, v1, v0
	v_or3_b32 v0, v2, 0, 0
	global_store_dwordx2 v47, v[0:1], s[4:5] offset:2048
	s_mov_b64 s[4:5], 0
.LBB199_2:
	s_andn2_b64 vcc, exec, s[4:5]
	s_cbranch_vccnz .LBB199_43
; %bb.3:
	v_cmp_gt_i32_e64 s[22:23], s33, v30
	v_mov_b32_e32 v31, 0
	v_or_b32_e32 v48, s28, v30
	v_mov_b32_e32 v0, 0
	v_mov_b32_e32 v1, 0
	v_mov_b32_e32 v2, v30
	s_and_saveexec_b64 s[4:5], s[22:23]
	s_cbranch_execz .LBB199_5
; %bb.4:
	v_mov_b32_e32 v49, 0
	v_lshlrev_b64 v[0:1], 1, v[48:49]
	v_mov_b32_e32 v3, s35
	v_add_co_u32_e32 v2, vcc, s34, v0
	v_addc_co_u32_e32 v3, vcc, v3, v1, vcc
	v_mov_b32_e32 v5, s27
	v_add_co_u32_e32 v4, vcc, s26, v0
	v_addc_co_u32_e32 v5, vcc, v5, v1, vcc
	global_load_ushort v0, v[4:5], off
	global_load_ushort v1, v[2:3], off
	v_or_b32_e32 v2, 0x100, v30
.LBB199_5:
	s_or_b64 exec, exec, s[4:5]
	v_cmp_gt_i32_e32 vcc, s33, v2
	v_mov_b32_e32 v33, 0
	s_and_saveexec_b64 s[4:5], vcc
	s_cbranch_execz .LBB199_7
; %bb.6:
	v_add_u32_e32 v4, s28, v2
	v_mov_b32_e32 v5, 0
	v_lshlrev_b64 v[4:5], 1, v[4:5]
	v_mov_b32_e32 v3, s35
	v_add_co_u32_e32 v6, vcc, s34, v4
	v_addc_co_u32_e32 v7, vcc, v3, v5, vcc
	v_mov_b32_e32 v3, s27
	v_add_co_u32_e32 v4, vcc, s26, v4
	v_addc_co_u32_e32 v5, vcc, v3, v5, vcc
	global_load_ushort v31, v[4:5], off
	global_load_ushort v33, v[6:7], off
	v_add_u32_e32 v2, 0x100, v2
.LBB199_7:
	s_or_b64 exec, exec, s[4:5]
	v_cmp_gt_i32_e32 vcc, s33, v2
	v_mov_b32_e32 v32, 0
	v_mov_b32_e32 v34, 0
	v_mov_b32_e32 v35, 0
	s_and_saveexec_b64 s[4:5], vcc
	s_cbranch_execz .LBB199_9
; %bb.8:
	v_add_u32_e32 v4, s28, v2
	v_mov_b32_e32 v5, 0
	v_lshlrev_b64 v[4:5], 1, v[4:5]
	v_mov_b32_e32 v3, s35
	v_add_co_u32_e32 v6, vcc, s34, v4
	v_addc_co_u32_e32 v7, vcc, v3, v5, vcc
	v_mov_b32_e32 v3, s27
	v_add_co_u32_e32 v4, vcc, s26, v4
	v_addc_co_u32_e32 v5, vcc, v3, v5, vcc
	global_load_ushort v34, v[4:5], off
	global_load_ushort v35, v[6:7], off
	v_add_u32_e32 v2, 0x100, v2
.LBB199_9:
	s_or_b64 exec, exec, s[4:5]
	v_cmp_gt_i32_e32 vcc, s33, v2
	v_mov_b32_e32 v37, 0
	s_and_saveexec_b64 s[4:5], vcc
	s_cbranch_execz .LBB199_11
; %bb.10:
	v_add_u32_e32 v4, s28, v2
	v_mov_b32_e32 v5, 0
	v_lshlrev_b64 v[4:5], 1, v[4:5]
	v_mov_b32_e32 v3, s35
	v_add_co_u32_e32 v6, vcc, s34, v4
	v_addc_co_u32_e32 v7, vcc, v3, v5, vcc
	v_mov_b32_e32 v3, s27
	v_add_co_u32_e32 v4, vcc, s26, v4
	v_addc_co_u32_e32 v5, vcc, v3, v5, vcc
	global_load_ushort v32, v[4:5], off
	global_load_ushort v37, v[6:7], off
	v_add_u32_e32 v2, 0x100, v2
.LBB199_11:
	s_or_b64 exec, exec, s[4:5]
	v_cmp_gt_i32_e32 vcc, s33, v2
	v_mov_b32_e32 v36, 0
	v_mov_b32_e32 v38, 0
	v_mov_b32_e32 v39, 0
	s_and_saveexec_b64 s[4:5], vcc
	s_cbranch_execz .LBB199_13
; %bb.12:
	v_add_u32_e32 v4, s28, v2
	v_mov_b32_e32 v5, 0
	v_lshlrev_b64 v[4:5], 1, v[4:5]
	v_mov_b32_e32 v3, s35
	v_add_co_u32_e32 v6, vcc, s34, v4
	v_addc_co_u32_e32 v7, vcc, v3, v5, vcc
	v_mov_b32_e32 v3, s27
	v_add_co_u32_e32 v4, vcc, s26, v4
	v_addc_co_u32_e32 v5, vcc, v3, v5, vcc
	global_load_ushort v38, v[4:5], off
	global_load_ushort v39, v[6:7], off
	v_add_u32_e32 v2, 0x100, v2
.LBB199_13:
	;; [unrolled: 40-line block ×3, first 2 shown]
	s_or_b64 exec, exec, s[4:5]
	v_cmp_gt_i32_e32 vcc, s33, v2
	v_mov_b32_e32 v47, 0
	s_and_saveexec_b64 s[4:5], vcc
	s_cbranch_execz .LBB199_19
; %bb.18:
	v_add_u32_e32 v2, s28, v2
	v_mov_b32_e32 v3, 0
	v_lshlrev_b64 v[2:3], 1, v[2:3]
	v_mov_b32_e32 v5, s35
	v_add_co_u32_e32 v4, vcc, s34, v2
	v_addc_co_u32_e32 v5, vcc, v5, v3, vcc
	v_mov_b32_e32 v6, s27
	v_add_co_u32_e32 v2, vcc, s26, v2
	v_addc_co_u32_e32 v3, vcc, v6, v3, vcc
	global_load_ushort v40, v[2:3], off
	global_load_ushort v47, v[4:5], off
.LBB199_19:
	s_or_b64 exec, exec, s[4:5]
                                        ; implicit-def: $vgpr46
	s_and_saveexec_b64 s[26:27], s[22:23]
	s_cbranch_execz .LBB199_21
; %bb.20:
	s_getpc_b64 s[4:5]
	s_add_u32 s4, s4, _ZZZZN2at6native33launch_standard_gamma_grad_kernelERNS_18TensorIteratorBaseEENKUlvE_clEvENKUlvE1_clEvENKUlN3c104HalfES6_E_clES6_S6_@rel32@lo+4
	s_addc_u32 s5, s5, _ZZZZN2at6native33launch_standard_gamma_grad_kernelERNS_18TensorIteratorBaseEENKUlvE_clEvENKUlvE1_clEvENKUlN3c104HalfES6_E_clES6_S6_@rel32@hi+12
	s_swappc_b64 s[30:31], s[4:5]
	v_mov_b32_e32 v46, v0
.LBB199_21:
	s_or_b64 exec, exec, s[26:27]
	v_or_b32_e32 v50, 0x100, v30
	v_cmp_gt_i32_e32 vcc, s33, v50
                                        ; implicit-def: $vgpr45
	s_and_saveexec_b64 s[26:27], vcc
	s_cbranch_execz .LBB199_23
; %bb.22:
	s_waitcnt vmcnt(1)
	v_mov_b32_e32 v0, v31
	s_waitcnt vmcnt(0)
	v_mov_b32_e32 v1, v33
	s_getpc_b64 s[4:5]
	s_add_u32 s4, s4, _ZZZZN2at6native33launch_standard_gamma_grad_kernelERNS_18TensorIteratorBaseEENKUlvE_clEvENKUlvE1_clEvENKUlN3c104HalfES6_E_clES6_S6_@rel32@lo+4
	s_addc_u32 s5, s5, _ZZZZN2at6native33launch_standard_gamma_grad_kernelERNS_18TensorIteratorBaseEENKUlvE_clEvENKUlvE1_clEvENKUlN3c104HalfES6_E_clES6_S6_@rel32@hi+12
	s_swappc_b64 s[30:31], s[4:5]
	v_mov_b32_e32 v45, v0
.LBB199_23:
	s_or_b64 exec, exec, s[26:27]
	s_waitcnt vmcnt(1)
	v_or_b32_e32 v0, 0x200, v30
	v_cmp_gt_i32_e32 vcc, s33, v0
                                        ; implicit-def: $vgpr44
	s_and_saveexec_b64 s[26:27], vcc
	s_cbranch_execz .LBB199_25
; %bb.24:
	v_mov_b32_e32 v0, v34
	s_waitcnt vmcnt(0)
	v_mov_b32_e32 v1, v35
	s_getpc_b64 s[4:5]
	s_add_u32 s4, s4, _ZZZZN2at6native33launch_standard_gamma_grad_kernelERNS_18TensorIteratorBaseEENKUlvE_clEvENKUlvE1_clEvENKUlN3c104HalfES6_E_clES6_S6_@rel32@lo+4
	s_addc_u32 s5, s5, _ZZZZN2at6native33launch_standard_gamma_grad_kernelERNS_18TensorIteratorBaseEENKUlvE_clEvENKUlvE1_clEvENKUlN3c104HalfES6_E_clES6_S6_@rel32@hi+12
	s_swappc_b64 s[30:31], s[4:5]
	v_mov_b32_e32 v44, v0
.LBB199_25:
	s_or_b64 exec, exec, s[26:27]
	v_or_b32_e32 v0, 0x300, v30
	v_cmp_gt_i32_e32 vcc, s33, v0
                                        ; implicit-def: $vgpr34
	s_and_saveexec_b64 s[26:27], vcc
	s_cbranch_execz .LBB199_27
; %bb.26:
	v_mov_b32_e32 v0, v32
	s_waitcnt vmcnt(0)
	v_mov_b32_e32 v1, v37
	s_getpc_b64 s[4:5]
	s_add_u32 s4, s4, _ZZZZN2at6native33launch_standard_gamma_grad_kernelERNS_18TensorIteratorBaseEENKUlvE_clEvENKUlvE1_clEvENKUlN3c104HalfES6_E_clES6_S6_@rel32@lo+4
	s_addc_u32 s5, s5, _ZZZZN2at6native33launch_standard_gamma_grad_kernelERNS_18TensorIteratorBaseEENKUlvE_clEvENKUlvE1_clEvENKUlN3c104HalfES6_E_clES6_S6_@rel32@hi+12
	s_swappc_b64 s[30:31], s[4:5]
	v_mov_b32_e32 v34, v0
.LBB199_27:
	s_or_b64 exec, exec, s[26:27]
	v_or_b32_e32 v0, 0x400, v30
	v_cmp_gt_i32_e32 vcc, s33, v0
                                        ; implicit-def: $vgpr33
	s_and_saveexec_b64 s[26:27], vcc
	s_cbranch_execz .LBB199_29
; %bb.28:
	v_mov_b32_e32 v0, v38
	s_waitcnt vmcnt(0)
	v_mov_b32_e32 v1, v39
	s_getpc_b64 s[4:5]
	s_add_u32 s4, s4, _ZZZZN2at6native33launch_standard_gamma_grad_kernelERNS_18TensorIteratorBaseEENKUlvE_clEvENKUlvE1_clEvENKUlN3c104HalfES6_E_clES6_S6_@rel32@lo+4
	s_addc_u32 s5, s5, _ZZZZN2at6native33launch_standard_gamma_grad_kernelERNS_18TensorIteratorBaseEENKUlvE_clEvENKUlvE1_clEvENKUlN3c104HalfES6_E_clES6_S6_@rel32@hi+12
	s_swappc_b64 s[30:31], s[4:5]
	v_mov_b32_e32 v33, v0
.LBB199_29:
	s_or_b64 exec, exec, s[26:27]
	v_or_b32_e32 v0, 0x500, v30
	v_cmp_gt_i32_e32 vcc, s33, v0
                                        ; implicit-def: $vgpr32
	s_and_saveexec_b64 s[26:27], vcc
	s_cbranch_execz .LBB199_31
; %bb.30:
	v_mov_b32_e32 v0, v36
	s_waitcnt vmcnt(0)
	v_mov_b32_e32 v1, v41
	s_getpc_b64 s[4:5]
	s_add_u32 s4, s4, _ZZZZN2at6native33launch_standard_gamma_grad_kernelERNS_18TensorIteratorBaseEENKUlvE_clEvENKUlvE1_clEvENKUlN3c104HalfES6_E_clES6_S6_@rel32@lo+4
	s_addc_u32 s5, s5, _ZZZZN2at6native33launch_standard_gamma_grad_kernelERNS_18TensorIteratorBaseEENKUlvE_clEvENKUlvE1_clEvENKUlN3c104HalfES6_E_clES6_S6_@rel32@hi+12
	s_swappc_b64 s[30:31], s[4:5]
	v_mov_b32_e32 v32, v0
.LBB199_31:
	s_or_b64 exec, exec, s[26:27]
	v_or_b32_e32 v0, 0x600, v30
	v_cmp_gt_i32_e32 vcc, s33, v0
                                        ; implicit-def: $vgpr31
	s_and_saveexec_b64 s[26:27], vcc
	s_cbranch_execz .LBB199_33
; %bb.32:
	v_mov_b32_e32 v0, v42
	s_waitcnt vmcnt(0)
	v_mov_b32_e32 v1, v43
	s_getpc_b64 s[4:5]
	s_add_u32 s4, s4, _ZZZZN2at6native33launch_standard_gamma_grad_kernelERNS_18TensorIteratorBaseEENKUlvE_clEvENKUlvE1_clEvENKUlN3c104HalfES6_E_clES6_S6_@rel32@lo+4
	s_addc_u32 s5, s5, _ZZZZN2at6native33launch_standard_gamma_grad_kernelERNS_18TensorIteratorBaseEENKUlvE_clEvENKUlvE1_clEvENKUlN3c104HalfES6_E_clES6_S6_@rel32@hi+12
	s_swappc_b64 s[30:31], s[4:5]
	v_mov_b32_e32 v31, v0
.LBB199_33:
	s_or_b64 exec, exec, s[26:27]
	v_or_b32_e32 v0, 0x700, v30
	v_cmp_gt_i32_e32 vcc, s33, v0
                                        ; implicit-def: $vgpr0
	s_and_saveexec_b64 s[26:27], vcc
	s_cbranch_execnz .LBB199_44
; %bb.34:
	s_or_b64 exec, exec, s[26:27]
	s_and_saveexec_b64 s[4:5], s[22:23]
	s_xor_b64 s[4:5], exec, s[4:5]
	s_cbranch_execnz .LBB199_45
.LBB199_35:
	s_or_b64 exec, exec, s[4:5]
	v_cmp_gt_i32_e32 vcc, s33, v30
	s_and_saveexec_b64 s[4:5], vcc
	s_cbranch_execnz .LBB199_46
.LBB199_36:
	s_or_b64 exec, exec, s[4:5]
	v_cmp_gt_i32_e32 vcc, s33, v30
	s_and_saveexec_b64 s[4:5], vcc
	s_cbranch_execnz .LBB199_47
.LBB199_37:
	s_or_b64 exec, exec, s[4:5]
	v_cmp_gt_i32_e32 vcc, s33, v30
	s_and_saveexec_b64 s[4:5], vcc
	s_cbranch_execnz .LBB199_48
.LBB199_38:
	s_or_b64 exec, exec, s[4:5]
	v_cmp_gt_i32_e32 vcc, s33, v30
	s_and_saveexec_b64 s[4:5], vcc
	s_cbranch_execnz .LBB199_49
.LBB199_39:
	s_or_b64 exec, exec, s[4:5]
	v_cmp_gt_i32_e32 vcc, s33, v30
	s_and_saveexec_b64 s[4:5], vcc
	s_cbranch_execnz .LBB199_50
.LBB199_40:
	s_or_b64 exec, exec, s[4:5]
	v_cmp_gt_i32_e32 vcc, s33, v30
	s_and_saveexec_b64 s[4:5], vcc
	s_cbranch_execnz .LBB199_51
.LBB199_41:
	s_or_b64 exec, exec, s[4:5]
	v_cmp_gt_i32_e32 vcc, s33, v30
	s_and_saveexec_b64 s[4:5], vcc
	s_cbranch_execz .LBB199_43
.LBB199_42:
	v_add_u32_e32 v2, s28, v30
	v_mov_b32_e32 v3, 0
	v_lshlrev_b64 v[2:3], 1, v[2:3]
	s_waitcnt vmcnt(0)
	v_mov_b32_e32 v1, s25
	v_add_co_u32_e32 v2, vcc, s24, v2
	v_addc_co_u32_e32 v3, vcc, v1, v3, vcc
	global_store_short v[2:3], v0, off
.LBB199_43:
	s_endpgm
.LBB199_44:
	v_mov_b32_e32 v0, v40
	s_waitcnt vmcnt(0)
	v_mov_b32_e32 v1, v47
	s_getpc_b64 s[4:5]
	s_add_u32 s4, s4, _ZZZZN2at6native33launch_standard_gamma_grad_kernelERNS_18TensorIteratorBaseEENKUlvE_clEvENKUlvE1_clEvENKUlN3c104HalfES6_E_clES6_S6_@rel32@lo+4
	s_addc_u32 s5, s5, _ZZZZN2at6native33launch_standard_gamma_grad_kernelERNS_18TensorIteratorBaseEENKUlvE_clEvENKUlvE1_clEvENKUlN3c104HalfES6_E_clES6_S6_@rel32@hi+12
	s_swappc_b64 s[30:31], s[4:5]
	s_or_b64 exec, exec, s[26:27]
	s_and_saveexec_b64 s[4:5], s[22:23]
	s_xor_b64 s[4:5], exec, s[4:5]
	s_cbranch_execz .LBB199_35
.LBB199_45:
	v_mov_b32_e32 v49, 0
	v_lshlrev_b64 v[2:3], 1, v[48:49]
	s_waitcnt vmcnt(0)
	v_mov_b32_e32 v1, s25
	v_add_co_u32_e32 v2, vcc, s24, v2
	v_addc_co_u32_e32 v3, vcc, v1, v3, vcc
	v_mov_b32_e32 v30, v50
	global_store_short v[2:3], v46, off
	s_or_b64 exec, exec, s[4:5]
	v_cmp_gt_i32_e32 vcc, s33, v30
	s_and_saveexec_b64 s[4:5], vcc
	s_cbranch_execz .LBB199_36
.LBB199_46:
	v_add_u32_e32 v2, s28, v30
	v_mov_b32_e32 v3, 0
	v_lshlrev_b64 v[2:3], 1, v[2:3]
	s_waitcnt vmcnt(0)
	v_mov_b32_e32 v1, s25
	v_add_co_u32_e32 v2, vcc, s24, v2
	v_addc_co_u32_e32 v3, vcc, v1, v3, vcc
	v_add_u32_e32 v30, 0x100, v30
	global_store_short v[2:3], v45, off
	s_or_b64 exec, exec, s[4:5]
	v_cmp_gt_i32_e32 vcc, s33, v30
	s_and_saveexec_b64 s[4:5], vcc
	s_cbranch_execz .LBB199_37
.LBB199_47:
	v_add_u32_e32 v2, s28, v30
	v_mov_b32_e32 v3, 0
	v_lshlrev_b64 v[2:3], 1, v[2:3]
	s_waitcnt vmcnt(0)
	v_mov_b32_e32 v1, s25
	v_add_co_u32_e32 v2, vcc, s24, v2
	v_addc_co_u32_e32 v3, vcc, v1, v3, vcc
	v_add_u32_e32 v30, 0x100, v30
	global_store_short v[2:3], v44, off
	s_or_b64 exec, exec, s[4:5]
	v_cmp_gt_i32_e32 vcc, s33, v30
	s_and_saveexec_b64 s[4:5], vcc
	s_cbranch_execz .LBB199_38
.LBB199_48:
	v_add_u32_e32 v2, s28, v30
	v_mov_b32_e32 v3, 0
	v_lshlrev_b64 v[2:3], 1, v[2:3]
	s_waitcnt vmcnt(0)
	v_mov_b32_e32 v1, s25
	v_add_co_u32_e32 v2, vcc, s24, v2
	v_addc_co_u32_e32 v3, vcc, v1, v3, vcc
	v_add_u32_e32 v30, 0x100, v30
	global_store_short v[2:3], v34, off
	s_or_b64 exec, exec, s[4:5]
	v_cmp_gt_i32_e32 vcc, s33, v30
	s_and_saveexec_b64 s[4:5], vcc
	s_cbranch_execz .LBB199_39
.LBB199_49:
	v_add_u32_e32 v2, s28, v30
	v_mov_b32_e32 v3, 0
	v_lshlrev_b64 v[2:3], 1, v[2:3]
	s_waitcnt vmcnt(0)
	v_mov_b32_e32 v1, s25
	v_add_co_u32_e32 v2, vcc, s24, v2
	v_addc_co_u32_e32 v3, vcc, v1, v3, vcc
	v_add_u32_e32 v30, 0x100, v30
	global_store_short v[2:3], v33, off
	s_or_b64 exec, exec, s[4:5]
	v_cmp_gt_i32_e32 vcc, s33, v30
	s_and_saveexec_b64 s[4:5], vcc
	s_cbranch_execz .LBB199_40
.LBB199_50:
	v_add_u32_e32 v2, s28, v30
	v_mov_b32_e32 v3, 0
	v_lshlrev_b64 v[2:3], 1, v[2:3]
	s_waitcnt vmcnt(0)
	v_mov_b32_e32 v1, s25
	v_add_co_u32_e32 v2, vcc, s24, v2
	v_addc_co_u32_e32 v3, vcc, v1, v3, vcc
	v_add_u32_e32 v30, 0x100, v30
	global_store_short v[2:3], v32, off
	s_or_b64 exec, exec, s[4:5]
	v_cmp_gt_i32_e32 vcc, s33, v30
	s_and_saveexec_b64 s[4:5], vcc
	s_cbranch_execz .LBB199_41
.LBB199_51:
	v_add_u32_e32 v2, s28, v30
	v_mov_b32_e32 v3, 0
	v_lshlrev_b64 v[2:3], 1, v[2:3]
	s_waitcnt vmcnt(0)
	v_mov_b32_e32 v1, s25
	v_add_co_u32_e32 v2, vcc, s24, v2
	v_addc_co_u32_e32 v3, vcc, v1, v3, vcc
	v_add_u32_e32 v30, 0x100, v30
	global_store_short v[2:3], v31, off
	s_or_b64 exec, exec, s[4:5]
	v_cmp_gt_i32_e32 vcc, s33, v30
	s_and_saveexec_b64 s[4:5], vcc
	s_cbranch_execnz .LBB199_42
	s_branch .LBB199_43
	.section	.rodata,"a",@progbits
	.p2align	6, 0x0
	.amdhsa_kernel _ZN2at6native29vectorized_elementwise_kernelILi4EZZZNS0_33launch_standard_gamma_grad_kernelERNS_18TensorIteratorBaseEENKUlvE_clEvENKUlvE1_clEvEUlN3c104HalfES7_E_St5arrayIPcLm3EEEEviT0_T1_
		.amdhsa_group_segment_fixed_size 0
		.amdhsa_private_segment_fixed_size 0
		.amdhsa_kernarg_size 32
		.amdhsa_user_sgpr_count 8
		.amdhsa_user_sgpr_private_segment_buffer 1
		.amdhsa_user_sgpr_dispatch_ptr 0
		.amdhsa_user_sgpr_queue_ptr 0
		.amdhsa_user_sgpr_kernarg_segment_ptr 1
		.amdhsa_user_sgpr_dispatch_id 0
		.amdhsa_user_sgpr_flat_scratch_init 1
		.amdhsa_user_sgpr_kernarg_preload_length 0
		.amdhsa_user_sgpr_kernarg_preload_offset 0
		.amdhsa_user_sgpr_private_segment_size 0
		.amdhsa_uses_dynamic_stack 0
		.amdhsa_system_sgpr_private_segment_wavefront_offset 0
		.amdhsa_system_sgpr_workgroup_id_x 1
		.amdhsa_system_sgpr_workgroup_id_y 0
		.amdhsa_system_sgpr_workgroup_id_z 0
		.amdhsa_system_sgpr_workgroup_info 0
		.amdhsa_system_vgpr_workitem_id 0
		.amdhsa_next_free_vgpr 51
		.amdhsa_next_free_sgpr 38
		.amdhsa_accum_offset 52
		.amdhsa_reserve_vcc 1
		.amdhsa_reserve_flat_scratch 1
		.amdhsa_float_round_mode_32 0
		.amdhsa_float_round_mode_16_64 0
		.amdhsa_float_denorm_mode_32 3
		.amdhsa_float_denorm_mode_16_64 3
		.amdhsa_dx10_clamp 1
		.amdhsa_ieee_mode 1
		.amdhsa_fp16_overflow 0
		.amdhsa_tg_split 0
		.amdhsa_exception_fp_ieee_invalid_op 0
		.amdhsa_exception_fp_denorm_src 0
		.amdhsa_exception_fp_ieee_div_zero 0
		.amdhsa_exception_fp_ieee_overflow 0
		.amdhsa_exception_fp_ieee_underflow 0
		.amdhsa_exception_fp_ieee_inexact 0
		.amdhsa_exception_int_div_zero 0
	.end_amdhsa_kernel
	.section	.text._ZN2at6native29vectorized_elementwise_kernelILi4EZZZNS0_33launch_standard_gamma_grad_kernelERNS_18TensorIteratorBaseEENKUlvE_clEvENKUlvE1_clEvEUlN3c104HalfES7_E_St5arrayIPcLm3EEEEviT0_T1_,"axG",@progbits,_ZN2at6native29vectorized_elementwise_kernelILi4EZZZNS0_33launch_standard_gamma_grad_kernelERNS_18TensorIteratorBaseEENKUlvE_clEvENKUlvE1_clEvEUlN3c104HalfES7_E_St5arrayIPcLm3EEEEviT0_T1_,comdat
.Lfunc_end199:
	.size	_ZN2at6native29vectorized_elementwise_kernelILi4EZZZNS0_33launch_standard_gamma_grad_kernelERNS_18TensorIteratorBaseEENKUlvE_clEvENKUlvE1_clEvEUlN3c104HalfES7_E_St5arrayIPcLm3EEEEviT0_T1_, .Lfunc_end199-_ZN2at6native29vectorized_elementwise_kernelILi4EZZZNS0_33launch_standard_gamma_grad_kernelERNS_18TensorIteratorBaseEENKUlvE_clEvENKUlvE1_clEvEUlN3c104HalfES7_E_St5arrayIPcLm3EEEEviT0_T1_
                                        ; -- End function
	.section	.AMDGPU.csdata,"",@progbits
; Kernel info:
; codeLenInByte = 2268
; NumSgprs: 44
; NumVgprs: 51
; NumAgprs: 0
; TotalNumVgprs: 51
; ScratchSize: 0
; MemoryBound: 0
; FloatMode: 240
; IeeeMode: 1
; LDSByteSize: 0 bytes/workgroup (compile time only)
; SGPRBlocks: 5
; VGPRBlocks: 6
; NumSGPRsForWavesPerEU: 44
; NumVGPRsForWavesPerEU: 51
; AccumOffset: 52
; Occupancy: 8
; WaveLimiterHint : 0
; COMPUTE_PGM_RSRC2:SCRATCH_EN: 0
; COMPUTE_PGM_RSRC2:USER_SGPR: 8
; COMPUTE_PGM_RSRC2:TRAP_HANDLER: 0
; COMPUTE_PGM_RSRC2:TGID_X_EN: 1
; COMPUTE_PGM_RSRC2:TGID_Y_EN: 0
; COMPUTE_PGM_RSRC2:TGID_Z_EN: 0
; COMPUTE_PGM_RSRC2:TIDIG_COMP_CNT: 0
; COMPUTE_PGM_RSRC3_GFX90A:ACCUM_OFFSET: 12
; COMPUTE_PGM_RSRC3_GFX90A:TG_SPLIT: 0
	.section	.text._ZN2at6native29vectorized_elementwise_kernelILi2EZZZNS0_33launch_standard_gamma_grad_kernelERNS_18TensorIteratorBaseEENKUlvE_clEvENKUlvE1_clEvEUlN3c104HalfES7_E_St5arrayIPcLm3EEEEviT0_T1_,"axG",@progbits,_ZN2at6native29vectorized_elementwise_kernelILi2EZZZNS0_33launch_standard_gamma_grad_kernelERNS_18TensorIteratorBaseEENKUlvE_clEvENKUlvE1_clEvEUlN3c104HalfES7_E_St5arrayIPcLm3EEEEviT0_T1_,comdat
	.globl	_ZN2at6native29vectorized_elementwise_kernelILi2EZZZNS0_33launch_standard_gamma_grad_kernelERNS_18TensorIteratorBaseEENKUlvE_clEvENKUlvE1_clEvEUlN3c104HalfES7_E_St5arrayIPcLm3EEEEviT0_T1_ ; -- Begin function _ZN2at6native29vectorized_elementwise_kernelILi2EZZZNS0_33launch_standard_gamma_grad_kernelERNS_18TensorIteratorBaseEENKUlvE_clEvENKUlvE1_clEvEUlN3c104HalfES7_E_St5arrayIPcLm3EEEEviT0_T1_
	.p2align	8
	.type	_ZN2at6native29vectorized_elementwise_kernelILi2EZZZNS0_33launch_standard_gamma_grad_kernelERNS_18TensorIteratorBaseEENKUlvE_clEvENKUlvE1_clEvEUlN3c104HalfES7_E_St5arrayIPcLm3EEEEviT0_T1_,@function
_ZN2at6native29vectorized_elementwise_kernelILi2EZZZNS0_33launch_standard_gamma_grad_kernelERNS_18TensorIteratorBaseEENKUlvE_clEvENKUlvE1_clEvEUlN3c104HalfES7_E_St5arrayIPcLm3EEEEviT0_T1_: ; @_ZN2at6native29vectorized_elementwise_kernelILi2EZZZNS0_33launch_standard_gamma_grad_kernelERNS_18TensorIteratorBaseEENKUlvE_clEvENKUlvE1_clEvEUlN3c104HalfES7_E_St5arrayIPcLm3EEEEviT0_T1_
; %bb.0:
	s_add_u32 flat_scratch_lo, s6, s9
	s_addc_u32 flat_scratch_hi, s7, 0
	s_load_dword s6, s[4:5], 0x0
	s_load_dwordx4 s[24:27], s[4:5], 0x8
	s_load_dwordx2 s[34:35], s[4:5], 0x18
	s_add_u32 s0, s0, s9
	s_addc_u32 s1, s1, 0
	s_lshl_b32 s28, s8, 11
	s_waitcnt lgkmcnt(0)
	s_sub_i32 s33, s6, s28
	v_mov_b32_e32 v30, v0
	s_cmpk_gt_i32 s33, 0x7ff
	s_mov_b64 s[4:5], -1
	s_mov_b32 s32, 0
	s_cbranch_scc0 .LBB200_2
; %bb.1:
	s_ashr_i32 s29, s28, 31
	s_lshl_b64 s[22:23], s[28:29], 1
	s_add_u32 s4, s26, s22
	s_addc_u32 s5, s27, s23
	v_lshlrev_b32_e32 v46, 2, v30
	s_add_u32 s6, s34, s22
	s_addc_u32 s7, s35, s23
	global_load_dword v0, v46, s[4:5]
	global_load_dword v31, v46, s[4:5] offset:1024
	global_load_dword v32, v46, s[4:5] offset:2048
	;; [unrolled: 1-line block ×3, first 2 shown]
	global_load_dword v1, v46, s[6:7]
	global_load_dword v34, v46, s[6:7] offset:1024
	global_load_dword v35, v46, s[6:7] offset:2048
	;; [unrolled: 1-line block ×3, first 2 shown]
	s_getpc_b64 s[36:37]
	s_add_u32 s36, s36, _ZZZZN2at6native33launch_standard_gamma_grad_kernelERNS_18TensorIteratorBaseEENKUlvE_clEvENKUlvE1_clEvENKUlN3c104HalfES6_E_clES6_S6_@rel32@lo+4
	s_addc_u32 s37, s37, _ZZZZN2at6native33launch_standard_gamma_grad_kernelERNS_18TensorIteratorBaseEENKUlvE_clEvENKUlvE1_clEvENKUlN3c104HalfES6_E_clES6_S6_@rel32@hi+12
	s_waitcnt vmcnt(7)
	v_lshrrev_b32_e32 v37, 16, v0
	s_waitcnt vmcnt(6)
	v_lshrrev_b32_e32 v38, 16, v31
	;; [unrolled: 2-line block ×8, first 2 shown]
	s_swappc_b64 s[30:31], s[36:37]
	v_mov_b32_e32 v45, v0
	v_mov_b32_e32 v0, v37
	v_mov_b32_e32 v1, v41
	s_swappc_b64 s[30:31], s[36:37]
	v_mov_b32_e32 v37, v0
	v_mov_b32_e32 v0, v31
	v_mov_b32_e32 v1, v34
	s_swappc_b64 s[30:31], s[36:37]
	v_mov_b32_e32 v31, v0
	v_mov_b32_e32 v0, v38
	v_mov_b32_e32 v1, v42
	s_swappc_b64 s[30:31], s[36:37]
	v_mov_b32_e32 v34, v0
	v_mov_b32_e32 v0, v32
	v_mov_b32_e32 v1, v35
	s_swappc_b64 s[30:31], s[36:37]
	v_mov_b32_e32 v32, v0
	v_mov_b32_e32 v0, v39
	v_mov_b32_e32 v1, v43
	s_swappc_b64 s[30:31], s[36:37]
	v_mov_b32_e32 v35, v0
	v_mov_b32_e32 v0, v33
	v_mov_b32_e32 v1, v36
	s_swappc_b64 s[30:31], s[36:37]
	v_mov_b32_e32 v33, v0
	v_mov_b32_e32 v0, v40
	v_mov_b32_e32 v1, v44
	s_swappc_b64 s[30:31], s[36:37]
	s_add_u32 s4, s24, s22
	v_lshlrev_b32_e32 v1, 16, v37
	s_addc_u32 s5, s25, s23
	v_or_b32_sdwa v1, v1, v45 dst_sel:DWORD dst_unused:UNUSED_PAD src0_sel:DWORD src1_sel:WORD_0
	global_store_dword v46, v1, s[4:5]
	v_lshlrev_b32_e32 v1, 16, v34
	v_or_b32_sdwa v1, v1, v31 dst_sel:DWORD dst_unused:UNUSED_PAD src0_sel:DWORD src1_sel:WORD_0
	global_store_dword v46, v1, s[4:5] offset:1024
	v_lshlrev_b32_e32 v1, 16, v35
	v_lshlrev_b32_e32 v0, 16, v0
	v_or_b32_sdwa v1, v1, v32 dst_sel:DWORD dst_unused:UNUSED_PAD src0_sel:DWORD src1_sel:WORD_0
	v_or_b32_sdwa v0, v0, v33 dst_sel:DWORD dst_unused:UNUSED_PAD src0_sel:DWORD src1_sel:WORD_0
	global_store_dword v46, v1, s[4:5] offset:2048
	global_store_dword v46, v0, s[4:5] offset:3072
	s_mov_b64 s[4:5], 0
.LBB200_2:
	s_andn2_b64 vcc, exec, s[4:5]
	s_cbranch_vccnz .LBB200_43
; %bb.3:
	v_cmp_gt_i32_e64 s[22:23], s33, v30
	v_mov_b32_e32 v31, 0
	v_or_b32_e32 v48, s28, v30
	v_mov_b32_e32 v0, 0
	v_mov_b32_e32 v1, 0
	;; [unrolled: 1-line block ×3, first 2 shown]
	s_and_saveexec_b64 s[4:5], s[22:23]
	s_cbranch_execz .LBB200_5
; %bb.4:
	v_mov_b32_e32 v49, 0
	v_lshlrev_b64 v[0:1], 1, v[48:49]
	v_mov_b32_e32 v3, s35
	v_add_co_u32_e32 v2, vcc, s34, v0
	v_addc_co_u32_e32 v3, vcc, v3, v1, vcc
	v_mov_b32_e32 v5, s27
	v_add_co_u32_e32 v4, vcc, s26, v0
	v_addc_co_u32_e32 v5, vcc, v5, v1, vcc
	global_load_ushort v0, v[4:5], off
	global_load_ushort v1, v[2:3], off
	v_or_b32_e32 v2, 0x100, v30
.LBB200_5:
	s_or_b64 exec, exec, s[4:5]
	v_cmp_gt_i32_e32 vcc, s33, v2
	v_mov_b32_e32 v33, 0
	s_and_saveexec_b64 s[4:5], vcc
	s_cbranch_execz .LBB200_7
; %bb.6:
	v_add_u32_e32 v4, s28, v2
	v_mov_b32_e32 v5, 0
	v_lshlrev_b64 v[4:5], 1, v[4:5]
	v_mov_b32_e32 v3, s35
	v_add_co_u32_e32 v6, vcc, s34, v4
	v_addc_co_u32_e32 v7, vcc, v3, v5, vcc
	v_mov_b32_e32 v3, s27
	v_add_co_u32_e32 v4, vcc, s26, v4
	v_addc_co_u32_e32 v5, vcc, v3, v5, vcc
	global_load_ushort v31, v[4:5], off
	global_load_ushort v33, v[6:7], off
	v_add_u32_e32 v2, 0x100, v2
.LBB200_7:
	s_or_b64 exec, exec, s[4:5]
	v_cmp_gt_i32_e32 vcc, s33, v2
	v_mov_b32_e32 v32, 0
	v_mov_b32_e32 v34, 0
	v_mov_b32_e32 v35, 0
	s_and_saveexec_b64 s[4:5], vcc
	s_cbranch_execz .LBB200_9
; %bb.8:
	v_add_u32_e32 v4, s28, v2
	v_mov_b32_e32 v5, 0
	v_lshlrev_b64 v[4:5], 1, v[4:5]
	v_mov_b32_e32 v3, s35
	v_add_co_u32_e32 v6, vcc, s34, v4
	v_addc_co_u32_e32 v7, vcc, v3, v5, vcc
	v_mov_b32_e32 v3, s27
	v_add_co_u32_e32 v4, vcc, s26, v4
	v_addc_co_u32_e32 v5, vcc, v3, v5, vcc
	global_load_ushort v34, v[4:5], off
	global_load_ushort v35, v[6:7], off
	v_add_u32_e32 v2, 0x100, v2
.LBB200_9:
	s_or_b64 exec, exec, s[4:5]
	v_cmp_gt_i32_e32 vcc, s33, v2
	v_mov_b32_e32 v37, 0
	s_and_saveexec_b64 s[4:5], vcc
	s_cbranch_execz .LBB200_11
; %bb.10:
	v_add_u32_e32 v4, s28, v2
	v_mov_b32_e32 v5, 0
	v_lshlrev_b64 v[4:5], 1, v[4:5]
	v_mov_b32_e32 v3, s35
	v_add_co_u32_e32 v6, vcc, s34, v4
	v_addc_co_u32_e32 v7, vcc, v3, v5, vcc
	v_mov_b32_e32 v3, s27
	v_add_co_u32_e32 v4, vcc, s26, v4
	v_addc_co_u32_e32 v5, vcc, v3, v5, vcc
	global_load_ushort v32, v[4:5], off
	global_load_ushort v37, v[6:7], off
	v_add_u32_e32 v2, 0x100, v2
.LBB200_11:
	s_or_b64 exec, exec, s[4:5]
	v_cmp_gt_i32_e32 vcc, s33, v2
	v_mov_b32_e32 v36, 0
	v_mov_b32_e32 v38, 0
	v_mov_b32_e32 v39, 0
	s_and_saveexec_b64 s[4:5], vcc
	s_cbranch_execz .LBB200_13
; %bb.12:
	v_add_u32_e32 v4, s28, v2
	v_mov_b32_e32 v5, 0
	v_lshlrev_b64 v[4:5], 1, v[4:5]
	v_mov_b32_e32 v3, s35
	v_add_co_u32_e32 v6, vcc, s34, v4
	v_addc_co_u32_e32 v7, vcc, v3, v5, vcc
	v_mov_b32_e32 v3, s27
	v_add_co_u32_e32 v4, vcc, s26, v4
	v_addc_co_u32_e32 v5, vcc, v3, v5, vcc
	global_load_ushort v38, v[4:5], off
	global_load_ushort v39, v[6:7], off
	v_add_u32_e32 v2, 0x100, v2
.LBB200_13:
	;; [unrolled: 40-line block ×3, first 2 shown]
	s_or_b64 exec, exec, s[4:5]
	v_cmp_gt_i32_e32 vcc, s33, v2
	v_mov_b32_e32 v47, 0
	s_and_saveexec_b64 s[4:5], vcc
	s_cbranch_execz .LBB200_19
; %bb.18:
	v_add_u32_e32 v2, s28, v2
	v_mov_b32_e32 v3, 0
	v_lshlrev_b64 v[2:3], 1, v[2:3]
	v_mov_b32_e32 v5, s35
	v_add_co_u32_e32 v4, vcc, s34, v2
	v_addc_co_u32_e32 v5, vcc, v5, v3, vcc
	v_mov_b32_e32 v6, s27
	v_add_co_u32_e32 v2, vcc, s26, v2
	v_addc_co_u32_e32 v3, vcc, v6, v3, vcc
	global_load_ushort v40, v[2:3], off
	global_load_ushort v47, v[4:5], off
.LBB200_19:
	s_or_b64 exec, exec, s[4:5]
                                        ; implicit-def: $vgpr46
	s_and_saveexec_b64 s[26:27], s[22:23]
	s_cbranch_execz .LBB200_21
; %bb.20:
	s_getpc_b64 s[4:5]
	s_add_u32 s4, s4, _ZZZZN2at6native33launch_standard_gamma_grad_kernelERNS_18TensorIteratorBaseEENKUlvE_clEvENKUlvE1_clEvENKUlN3c104HalfES6_E_clES6_S6_@rel32@lo+4
	s_addc_u32 s5, s5, _ZZZZN2at6native33launch_standard_gamma_grad_kernelERNS_18TensorIteratorBaseEENKUlvE_clEvENKUlvE1_clEvENKUlN3c104HalfES6_E_clES6_S6_@rel32@hi+12
	s_swappc_b64 s[30:31], s[4:5]
	v_mov_b32_e32 v46, v0
.LBB200_21:
	s_or_b64 exec, exec, s[26:27]
	v_or_b32_e32 v50, 0x100, v30
	v_cmp_gt_i32_e32 vcc, s33, v50
                                        ; implicit-def: $vgpr45
	s_and_saveexec_b64 s[26:27], vcc
	s_cbranch_execz .LBB200_23
; %bb.22:
	s_waitcnt vmcnt(1)
	v_mov_b32_e32 v0, v31
	s_waitcnt vmcnt(0)
	v_mov_b32_e32 v1, v33
	s_getpc_b64 s[4:5]
	s_add_u32 s4, s4, _ZZZZN2at6native33launch_standard_gamma_grad_kernelERNS_18TensorIteratorBaseEENKUlvE_clEvENKUlvE1_clEvENKUlN3c104HalfES6_E_clES6_S6_@rel32@lo+4
	s_addc_u32 s5, s5, _ZZZZN2at6native33launch_standard_gamma_grad_kernelERNS_18TensorIteratorBaseEENKUlvE_clEvENKUlvE1_clEvENKUlN3c104HalfES6_E_clES6_S6_@rel32@hi+12
	s_swappc_b64 s[30:31], s[4:5]
	v_mov_b32_e32 v45, v0
.LBB200_23:
	s_or_b64 exec, exec, s[26:27]
	s_waitcnt vmcnt(1)
	v_or_b32_e32 v0, 0x200, v30
	v_cmp_gt_i32_e32 vcc, s33, v0
                                        ; implicit-def: $vgpr44
	s_and_saveexec_b64 s[26:27], vcc
	s_cbranch_execz .LBB200_25
; %bb.24:
	v_mov_b32_e32 v0, v34
	s_waitcnt vmcnt(0)
	v_mov_b32_e32 v1, v35
	s_getpc_b64 s[4:5]
	s_add_u32 s4, s4, _ZZZZN2at6native33launch_standard_gamma_grad_kernelERNS_18TensorIteratorBaseEENKUlvE_clEvENKUlvE1_clEvENKUlN3c104HalfES6_E_clES6_S6_@rel32@lo+4
	s_addc_u32 s5, s5, _ZZZZN2at6native33launch_standard_gamma_grad_kernelERNS_18TensorIteratorBaseEENKUlvE_clEvENKUlvE1_clEvENKUlN3c104HalfES6_E_clES6_S6_@rel32@hi+12
	s_swappc_b64 s[30:31], s[4:5]
	v_mov_b32_e32 v44, v0
.LBB200_25:
	s_or_b64 exec, exec, s[26:27]
	v_or_b32_e32 v0, 0x300, v30
	v_cmp_gt_i32_e32 vcc, s33, v0
                                        ; implicit-def: $vgpr34
	s_and_saveexec_b64 s[26:27], vcc
	s_cbranch_execz .LBB200_27
; %bb.26:
	v_mov_b32_e32 v0, v32
	s_waitcnt vmcnt(0)
	v_mov_b32_e32 v1, v37
	s_getpc_b64 s[4:5]
	s_add_u32 s4, s4, _ZZZZN2at6native33launch_standard_gamma_grad_kernelERNS_18TensorIteratorBaseEENKUlvE_clEvENKUlvE1_clEvENKUlN3c104HalfES6_E_clES6_S6_@rel32@lo+4
	s_addc_u32 s5, s5, _ZZZZN2at6native33launch_standard_gamma_grad_kernelERNS_18TensorIteratorBaseEENKUlvE_clEvENKUlvE1_clEvENKUlN3c104HalfES6_E_clES6_S6_@rel32@hi+12
	s_swappc_b64 s[30:31], s[4:5]
	v_mov_b32_e32 v34, v0
.LBB200_27:
	s_or_b64 exec, exec, s[26:27]
	v_or_b32_e32 v0, 0x400, v30
	v_cmp_gt_i32_e32 vcc, s33, v0
                                        ; implicit-def: $vgpr33
	s_and_saveexec_b64 s[26:27], vcc
	s_cbranch_execz .LBB200_29
; %bb.28:
	v_mov_b32_e32 v0, v38
	s_waitcnt vmcnt(0)
	v_mov_b32_e32 v1, v39
	s_getpc_b64 s[4:5]
	s_add_u32 s4, s4, _ZZZZN2at6native33launch_standard_gamma_grad_kernelERNS_18TensorIteratorBaseEENKUlvE_clEvENKUlvE1_clEvENKUlN3c104HalfES6_E_clES6_S6_@rel32@lo+4
	s_addc_u32 s5, s5, _ZZZZN2at6native33launch_standard_gamma_grad_kernelERNS_18TensorIteratorBaseEENKUlvE_clEvENKUlvE1_clEvENKUlN3c104HalfES6_E_clES6_S6_@rel32@hi+12
	s_swappc_b64 s[30:31], s[4:5]
	v_mov_b32_e32 v33, v0
.LBB200_29:
	s_or_b64 exec, exec, s[26:27]
	v_or_b32_e32 v0, 0x500, v30
	v_cmp_gt_i32_e32 vcc, s33, v0
                                        ; implicit-def: $vgpr32
	s_and_saveexec_b64 s[26:27], vcc
	s_cbranch_execz .LBB200_31
; %bb.30:
	v_mov_b32_e32 v0, v36
	s_waitcnt vmcnt(0)
	v_mov_b32_e32 v1, v41
	s_getpc_b64 s[4:5]
	s_add_u32 s4, s4, _ZZZZN2at6native33launch_standard_gamma_grad_kernelERNS_18TensorIteratorBaseEENKUlvE_clEvENKUlvE1_clEvENKUlN3c104HalfES6_E_clES6_S6_@rel32@lo+4
	s_addc_u32 s5, s5, _ZZZZN2at6native33launch_standard_gamma_grad_kernelERNS_18TensorIteratorBaseEENKUlvE_clEvENKUlvE1_clEvENKUlN3c104HalfES6_E_clES6_S6_@rel32@hi+12
	s_swappc_b64 s[30:31], s[4:5]
	v_mov_b32_e32 v32, v0
.LBB200_31:
	s_or_b64 exec, exec, s[26:27]
	v_or_b32_e32 v0, 0x600, v30
	v_cmp_gt_i32_e32 vcc, s33, v0
                                        ; implicit-def: $vgpr31
	s_and_saveexec_b64 s[26:27], vcc
	s_cbranch_execz .LBB200_33
; %bb.32:
	v_mov_b32_e32 v0, v42
	s_waitcnt vmcnt(0)
	v_mov_b32_e32 v1, v43
	s_getpc_b64 s[4:5]
	s_add_u32 s4, s4, _ZZZZN2at6native33launch_standard_gamma_grad_kernelERNS_18TensorIteratorBaseEENKUlvE_clEvENKUlvE1_clEvENKUlN3c104HalfES6_E_clES6_S6_@rel32@lo+4
	s_addc_u32 s5, s5, _ZZZZN2at6native33launch_standard_gamma_grad_kernelERNS_18TensorIteratorBaseEENKUlvE_clEvENKUlvE1_clEvENKUlN3c104HalfES6_E_clES6_S6_@rel32@hi+12
	s_swappc_b64 s[30:31], s[4:5]
	v_mov_b32_e32 v31, v0
.LBB200_33:
	s_or_b64 exec, exec, s[26:27]
	v_or_b32_e32 v0, 0x700, v30
	v_cmp_gt_i32_e32 vcc, s33, v0
                                        ; implicit-def: $vgpr0
	s_and_saveexec_b64 s[26:27], vcc
	s_cbranch_execnz .LBB200_44
; %bb.34:
	s_or_b64 exec, exec, s[26:27]
	s_and_saveexec_b64 s[4:5], s[22:23]
	s_xor_b64 s[4:5], exec, s[4:5]
	s_cbranch_execnz .LBB200_45
.LBB200_35:
	s_or_b64 exec, exec, s[4:5]
	v_cmp_gt_i32_e32 vcc, s33, v30
	s_and_saveexec_b64 s[4:5], vcc
	s_cbranch_execnz .LBB200_46
.LBB200_36:
	s_or_b64 exec, exec, s[4:5]
	v_cmp_gt_i32_e32 vcc, s33, v30
	s_and_saveexec_b64 s[4:5], vcc
	s_cbranch_execnz .LBB200_47
.LBB200_37:
	s_or_b64 exec, exec, s[4:5]
	v_cmp_gt_i32_e32 vcc, s33, v30
	s_and_saveexec_b64 s[4:5], vcc
	s_cbranch_execnz .LBB200_48
.LBB200_38:
	s_or_b64 exec, exec, s[4:5]
	v_cmp_gt_i32_e32 vcc, s33, v30
	s_and_saveexec_b64 s[4:5], vcc
	s_cbranch_execnz .LBB200_49
.LBB200_39:
	s_or_b64 exec, exec, s[4:5]
	v_cmp_gt_i32_e32 vcc, s33, v30
	s_and_saveexec_b64 s[4:5], vcc
	s_cbranch_execnz .LBB200_50
.LBB200_40:
	s_or_b64 exec, exec, s[4:5]
	v_cmp_gt_i32_e32 vcc, s33, v30
	s_and_saveexec_b64 s[4:5], vcc
	s_cbranch_execnz .LBB200_51
.LBB200_41:
	s_or_b64 exec, exec, s[4:5]
	v_cmp_gt_i32_e32 vcc, s33, v30
	s_and_saveexec_b64 s[4:5], vcc
	s_cbranch_execz .LBB200_43
.LBB200_42:
	v_add_u32_e32 v2, s28, v30
	v_mov_b32_e32 v3, 0
	v_lshlrev_b64 v[2:3], 1, v[2:3]
	s_waitcnt vmcnt(0)
	v_mov_b32_e32 v1, s25
	v_add_co_u32_e32 v2, vcc, s24, v2
	v_addc_co_u32_e32 v3, vcc, v1, v3, vcc
	global_store_short v[2:3], v0, off
.LBB200_43:
	s_endpgm
.LBB200_44:
	v_mov_b32_e32 v0, v40
	s_waitcnt vmcnt(0)
	v_mov_b32_e32 v1, v47
	s_getpc_b64 s[4:5]
	s_add_u32 s4, s4, _ZZZZN2at6native33launch_standard_gamma_grad_kernelERNS_18TensorIteratorBaseEENKUlvE_clEvENKUlvE1_clEvENKUlN3c104HalfES6_E_clES6_S6_@rel32@lo+4
	s_addc_u32 s5, s5, _ZZZZN2at6native33launch_standard_gamma_grad_kernelERNS_18TensorIteratorBaseEENKUlvE_clEvENKUlvE1_clEvENKUlN3c104HalfES6_E_clES6_S6_@rel32@hi+12
	s_swappc_b64 s[30:31], s[4:5]
	s_or_b64 exec, exec, s[26:27]
	s_and_saveexec_b64 s[4:5], s[22:23]
	s_xor_b64 s[4:5], exec, s[4:5]
	s_cbranch_execz .LBB200_35
.LBB200_45:
	v_mov_b32_e32 v49, 0
	v_lshlrev_b64 v[2:3], 1, v[48:49]
	s_waitcnt vmcnt(0)
	v_mov_b32_e32 v1, s25
	v_add_co_u32_e32 v2, vcc, s24, v2
	v_addc_co_u32_e32 v3, vcc, v1, v3, vcc
	v_mov_b32_e32 v30, v50
	global_store_short v[2:3], v46, off
	s_or_b64 exec, exec, s[4:5]
	v_cmp_gt_i32_e32 vcc, s33, v30
	s_and_saveexec_b64 s[4:5], vcc
	s_cbranch_execz .LBB200_36
.LBB200_46:
	v_add_u32_e32 v2, s28, v30
	v_mov_b32_e32 v3, 0
	v_lshlrev_b64 v[2:3], 1, v[2:3]
	s_waitcnt vmcnt(0)
	v_mov_b32_e32 v1, s25
	v_add_co_u32_e32 v2, vcc, s24, v2
	v_addc_co_u32_e32 v3, vcc, v1, v3, vcc
	v_add_u32_e32 v30, 0x100, v30
	global_store_short v[2:3], v45, off
	s_or_b64 exec, exec, s[4:5]
	v_cmp_gt_i32_e32 vcc, s33, v30
	s_and_saveexec_b64 s[4:5], vcc
	s_cbranch_execz .LBB200_37
.LBB200_47:
	v_add_u32_e32 v2, s28, v30
	v_mov_b32_e32 v3, 0
	v_lshlrev_b64 v[2:3], 1, v[2:3]
	s_waitcnt vmcnt(0)
	v_mov_b32_e32 v1, s25
	v_add_co_u32_e32 v2, vcc, s24, v2
	v_addc_co_u32_e32 v3, vcc, v1, v3, vcc
	v_add_u32_e32 v30, 0x100, v30
	global_store_short v[2:3], v44, off
	s_or_b64 exec, exec, s[4:5]
	v_cmp_gt_i32_e32 vcc, s33, v30
	s_and_saveexec_b64 s[4:5], vcc
	s_cbranch_execz .LBB200_38
.LBB200_48:
	v_add_u32_e32 v2, s28, v30
	v_mov_b32_e32 v3, 0
	v_lshlrev_b64 v[2:3], 1, v[2:3]
	s_waitcnt vmcnt(0)
	v_mov_b32_e32 v1, s25
	v_add_co_u32_e32 v2, vcc, s24, v2
	v_addc_co_u32_e32 v3, vcc, v1, v3, vcc
	v_add_u32_e32 v30, 0x100, v30
	global_store_short v[2:3], v34, off
	s_or_b64 exec, exec, s[4:5]
	v_cmp_gt_i32_e32 vcc, s33, v30
	s_and_saveexec_b64 s[4:5], vcc
	s_cbranch_execz .LBB200_39
.LBB200_49:
	v_add_u32_e32 v2, s28, v30
	v_mov_b32_e32 v3, 0
	v_lshlrev_b64 v[2:3], 1, v[2:3]
	s_waitcnt vmcnt(0)
	v_mov_b32_e32 v1, s25
	v_add_co_u32_e32 v2, vcc, s24, v2
	v_addc_co_u32_e32 v3, vcc, v1, v3, vcc
	v_add_u32_e32 v30, 0x100, v30
	global_store_short v[2:3], v33, off
	s_or_b64 exec, exec, s[4:5]
	v_cmp_gt_i32_e32 vcc, s33, v30
	s_and_saveexec_b64 s[4:5], vcc
	s_cbranch_execz .LBB200_40
.LBB200_50:
	v_add_u32_e32 v2, s28, v30
	v_mov_b32_e32 v3, 0
	v_lshlrev_b64 v[2:3], 1, v[2:3]
	s_waitcnt vmcnt(0)
	v_mov_b32_e32 v1, s25
	v_add_co_u32_e32 v2, vcc, s24, v2
	v_addc_co_u32_e32 v3, vcc, v1, v3, vcc
	v_add_u32_e32 v30, 0x100, v30
	global_store_short v[2:3], v32, off
	s_or_b64 exec, exec, s[4:5]
	v_cmp_gt_i32_e32 vcc, s33, v30
	s_and_saveexec_b64 s[4:5], vcc
	s_cbranch_execz .LBB200_41
.LBB200_51:
	v_add_u32_e32 v2, s28, v30
	v_mov_b32_e32 v3, 0
	v_lshlrev_b64 v[2:3], 1, v[2:3]
	s_waitcnt vmcnt(0)
	v_mov_b32_e32 v1, s25
	v_add_co_u32_e32 v2, vcc, s24, v2
	v_addc_co_u32_e32 v3, vcc, v1, v3, vcc
	v_add_u32_e32 v30, 0x100, v30
	global_store_short v[2:3], v31, off
	s_or_b64 exec, exec, s[4:5]
	v_cmp_gt_i32_e32 vcc, s33, v30
	s_and_saveexec_b64 s[4:5], vcc
	s_cbranch_execnz .LBB200_42
	s_branch .LBB200_43
	.section	.rodata,"a",@progbits
	.p2align	6, 0x0
	.amdhsa_kernel _ZN2at6native29vectorized_elementwise_kernelILi2EZZZNS0_33launch_standard_gamma_grad_kernelERNS_18TensorIteratorBaseEENKUlvE_clEvENKUlvE1_clEvEUlN3c104HalfES7_E_St5arrayIPcLm3EEEEviT0_T1_
		.amdhsa_group_segment_fixed_size 0
		.amdhsa_private_segment_fixed_size 0
		.amdhsa_kernarg_size 32
		.amdhsa_user_sgpr_count 8
		.amdhsa_user_sgpr_private_segment_buffer 1
		.amdhsa_user_sgpr_dispatch_ptr 0
		.amdhsa_user_sgpr_queue_ptr 0
		.amdhsa_user_sgpr_kernarg_segment_ptr 1
		.amdhsa_user_sgpr_dispatch_id 0
		.amdhsa_user_sgpr_flat_scratch_init 1
		.amdhsa_user_sgpr_kernarg_preload_length 0
		.amdhsa_user_sgpr_kernarg_preload_offset 0
		.amdhsa_user_sgpr_private_segment_size 0
		.amdhsa_uses_dynamic_stack 0
		.amdhsa_system_sgpr_private_segment_wavefront_offset 0
		.amdhsa_system_sgpr_workgroup_id_x 1
		.amdhsa_system_sgpr_workgroup_id_y 0
		.amdhsa_system_sgpr_workgroup_id_z 0
		.amdhsa_system_sgpr_workgroup_info 0
		.amdhsa_system_vgpr_workitem_id 0
		.amdhsa_next_free_vgpr 51
		.amdhsa_next_free_sgpr 38
		.amdhsa_accum_offset 52
		.amdhsa_reserve_vcc 1
		.amdhsa_reserve_flat_scratch 1
		.amdhsa_float_round_mode_32 0
		.amdhsa_float_round_mode_16_64 0
		.amdhsa_float_denorm_mode_32 3
		.amdhsa_float_denorm_mode_16_64 3
		.amdhsa_dx10_clamp 1
		.amdhsa_ieee_mode 1
		.amdhsa_fp16_overflow 0
		.amdhsa_tg_split 0
		.amdhsa_exception_fp_ieee_invalid_op 0
		.amdhsa_exception_fp_denorm_src 0
		.amdhsa_exception_fp_ieee_div_zero 0
		.amdhsa_exception_fp_ieee_overflow 0
		.amdhsa_exception_fp_ieee_underflow 0
		.amdhsa_exception_fp_ieee_inexact 0
		.amdhsa_exception_int_div_zero 0
	.end_amdhsa_kernel
	.section	.text._ZN2at6native29vectorized_elementwise_kernelILi2EZZZNS0_33launch_standard_gamma_grad_kernelERNS_18TensorIteratorBaseEENKUlvE_clEvENKUlvE1_clEvEUlN3c104HalfES7_E_St5arrayIPcLm3EEEEviT0_T1_,"axG",@progbits,_ZN2at6native29vectorized_elementwise_kernelILi2EZZZNS0_33launch_standard_gamma_grad_kernelERNS_18TensorIteratorBaseEENKUlvE_clEvENKUlvE1_clEvEUlN3c104HalfES7_E_St5arrayIPcLm3EEEEviT0_T1_,comdat
.Lfunc_end200:
	.size	_ZN2at6native29vectorized_elementwise_kernelILi2EZZZNS0_33launch_standard_gamma_grad_kernelERNS_18TensorIteratorBaseEENKUlvE_clEvENKUlvE1_clEvEUlN3c104HalfES7_E_St5arrayIPcLm3EEEEviT0_T1_, .Lfunc_end200-_ZN2at6native29vectorized_elementwise_kernelILi2EZZZNS0_33launch_standard_gamma_grad_kernelERNS_18TensorIteratorBaseEENKUlvE_clEvENKUlvE1_clEvEUlN3c104HalfES7_E_St5arrayIPcLm3EEEEviT0_T1_
                                        ; -- End function
	.section	.AMDGPU.csdata,"",@progbits
; Kernel info:
; codeLenInByte = 2288
; NumSgprs: 44
; NumVgprs: 51
; NumAgprs: 0
; TotalNumVgprs: 51
; ScratchSize: 0
; MemoryBound: 0
; FloatMode: 240
; IeeeMode: 1
; LDSByteSize: 0 bytes/workgroup (compile time only)
; SGPRBlocks: 5
; VGPRBlocks: 6
; NumSGPRsForWavesPerEU: 44
; NumVGPRsForWavesPerEU: 51
; AccumOffset: 52
; Occupancy: 8
; WaveLimiterHint : 0
; COMPUTE_PGM_RSRC2:SCRATCH_EN: 0
; COMPUTE_PGM_RSRC2:USER_SGPR: 8
; COMPUTE_PGM_RSRC2:TRAP_HANDLER: 0
; COMPUTE_PGM_RSRC2:TGID_X_EN: 1
; COMPUTE_PGM_RSRC2:TGID_Y_EN: 0
; COMPUTE_PGM_RSRC2:TGID_Z_EN: 0
; COMPUTE_PGM_RSRC2:TIDIG_COMP_CNT: 0
; COMPUTE_PGM_RSRC3_GFX90A:ACCUM_OFFSET: 12
; COMPUTE_PGM_RSRC3_GFX90A:TG_SPLIT: 0
	.section	.text._ZN2at6native27unrolled_elementwise_kernelIZZZNS0_33launch_standard_gamma_grad_kernelERNS_18TensorIteratorBaseEENKUlvE_clEvENKUlvE1_clEvEUlN3c104HalfES7_E_St5arrayIPcLm3EELi4E23TrivialOffsetCalculatorILi2EjESC_ILi1EjENS0_6memory15LoadWithoutCastENSF_16StoreWithoutCastEEEviT_T0_T2_T3_T4_T5_,"axG",@progbits,_ZN2at6native27unrolled_elementwise_kernelIZZZNS0_33launch_standard_gamma_grad_kernelERNS_18TensorIteratorBaseEENKUlvE_clEvENKUlvE1_clEvEUlN3c104HalfES7_E_St5arrayIPcLm3EELi4E23TrivialOffsetCalculatorILi2EjESC_ILi1EjENS0_6memory15LoadWithoutCastENSF_16StoreWithoutCastEEEviT_T0_T2_T3_T4_T5_,comdat
	.globl	_ZN2at6native27unrolled_elementwise_kernelIZZZNS0_33launch_standard_gamma_grad_kernelERNS_18TensorIteratorBaseEENKUlvE_clEvENKUlvE1_clEvEUlN3c104HalfES7_E_St5arrayIPcLm3EELi4E23TrivialOffsetCalculatorILi2EjESC_ILi1EjENS0_6memory15LoadWithoutCastENSF_16StoreWithoutCastEEEviT_T0_T2_T3_T4_T5_ ; -- Begin function _ZN2at6native27unrolled_elementwise_kernelIZZZNS0_33launch_standard_gamma_grad_kernelERNS_18TensorIteratorBaseEENKUlvE_clEvENKUlvE1_clEvEUlN3c104HalfES7_E_St5arrayIPcLm3EELi4E23TrivialOffsetCalculatorILi2EjESC_ILi1EjENS0_6memory15LoadWithoutCastENSF_16StoreWithoutCastEEEviT_T0_T2_T3_T4_T5_
	.p2align	8
	.type	_ZN2at6native27unrolled_elementwise_kernelIZZZNS0_33launch_standard_gamma_grad_kernelERNS_18TensorIteratorBaseEENKUlvE_clEvENKUlvE1_clEvEUlN3c104HalfES7_E_St5arrayIPcLm3EELi4E23TrivialOffsetCalculatorILi2EjESC_ILi1EjENS0_6memory15LoadWithoutCastENSF_16StoreWithoutCastEEEviT_T0_T2_T3_T4_T5_,@function
_ZN2at6native27unrolled_elementwise_kernelIZZZNS0_33launch_standard_gamma_grad_kernelERNS_18TensorIteratorBaseEENKUlvE_clEvENKUlvE1_clEvEUlN3c104HalfES7_E_St5arrayIPcLm3EELi4E23TrivialOffsetCalculatorILi2EjESC_ILi1EjENS0_6memory15LoadWithoutCastENSF_16StoreWithoutCastEEEviT_T0_T2_T3_T4_T5_: ; @_ZN2at6native27unrolled_elementwise_kernelIZZZNS0_33launch_standard_gamma_grad_kernelERNS_18TensorIteratorBaseEENKUlvE_clEvENKUlvE1_clEvEUlN3c104HalfES7_E_St5arrayIPcLm3EELi4E23TrivialOffsetCalculatorILi2EjESC_ILi1EjENS0_6memory15LoadWithoutCastENSF_16StoreWithoutCastEEEviT_T0_T2_T3_T4_T5_
; %bb.0:
	s_add_u32 flat_scratch_lo, s6, s9
	s_addc_u32 flat_scratch_hi, s7, 0
	s_add_u32 s0, s0, s9
	s_load_dword s9, s[4:5], 0x0
	s_load_dwordx4 s[24:27], s[4:5], 0x8
	s_load_dwordx2 s[6:7], s[4:5], 0x18
	s_addc_u32 s1, s1, 0
	s_lshl_b32 s28, s8, 10
	v_mov_b32_e32 v30, v0
	s_waitcnt lgkmcnt(0)
	s_sub_i32 s29, s9, s28
	v_cmp_gt_i32_e64 s[22:23], s29, v30
	v_mov_b32_e32 v31, 0
	v_or_b32_e32 v40, s28, v30
	v_mov_b32_e32 v0, 0
	v_mov_b32_e32 v1, 0
	;; [unrolled: 1-line block ×3, first 2 shown]
	s_mov_b32 s32, 0
	s_and_saveexec_b64 s[4:5], s[22:23]
	s_cbranch_execz .LBB201_2
; %bb.1:
	v_mov_b32_e32 v41, 0
	v_lshlrev_b64 v[0:1], 1, v[40:41]
	v_mov_b32_e32 v3, s27
	v_add_co_u32_e32 v2, vcc, s26, v0
	v_addc_co_u32_e32 v3, vcc, v3, v1, vcc
	v_mov_b32_e32 v5, s7
	v_add_co_u32_e32 v4, vcc, s6, v0
	v_addc_co_u32_e32 v5, vcc, v5, v1, vcc
	global_load_ushort v0, v[2:3], off
	global_load_ushort v1, v[4:5], off
	v_or_b32_e32 v2, 0x100, v30
.LBB201_2:
	s_or_b64 exec, exec, s[4:5]
	v_cmp_gt_i32_e32 vcc, s29, v2
	v_mov_b32_e32 v33, 0
	s_and_saveexec_b64 s[4:5], vcc
	s_cbranch_execz .LBB201_4
; %bb.3:
	v_add_u32_e32 v4, s28, v2
	v_mov_b32_e32 v5, 0
	v_lshlrev_b64 v[4:5], 1, v[4:5]
	v_mov_b32_e32 v3, s27
	v_add_co_u32_e32 v6, vcc, s26, v4
	v_addc_co_u32_e32 v7, vcc, v3, v5, vcc
	v_mov_b32_e32 v3, s7
	v_add_co_u32_e32 v4, vcc, s6, v4
	v_addc_co_u32_e32 v5, vcc, v3, v5, vcc
	global_load_ushort v31, v[6:7], off
	global_load_ushort v33, v[4:5], off
	v_add_u32_e32 v2, 0x100, v2
.LBB201_4:
	s_or_b64 exec, exec, s[4:5]
	v_cmp_gt_i32_e32 vcc, s29, v2
	v_mov_b32_e32 v32, 0
	v_mov_b32_e32 v34, 0
	;; [unrolled: 1-line block ×3, first 2 shown]
	s_and_saveexec_b64 s[4:5], vcc
	s_cbranch_execz .LBB201_6
; %bb.5:
	v_add_u32_e32 v4, s28, v2
	v_mov_b32_e32 v5, 0
	v_lshlrev_b64 v[4:5], 1, v[4:5]
	v_mov_b32_e32 v3, s27
	v_add_co_u32_e32 v6, vcc, s26, v4
	v_addc_co_u32_e32 v7, vcc, v3, v5, vcc
	v_mov_b32_e32 v3, s7
	v_add_co_u32_e32 v4, vcc, s6, v4
	v_addc_co_u32_e32 v5, vcc, v3, v5, vcc
	global_load_ushort v34, v[6:7], off
	global_load_ushort v35, v[4:5], off
	v_add_u32_e32 v2, 0x100, v2
.LBB201_6:
	s_or_b64 exec, exec, s[4:5]
	v_cmp_gt_i32_e32 vcc, s29, v2
	v_mov_b32_e32 v38, 0
	s_and_saveexec_b64 s[4:5], vcc
	s_cbranch_execz .LBB201_8
; %bb.7:
	v_add_u32_e32 v2, s28, v2
	v_mov_b32_e32 v3, 0
	v_lshlrev_b64 v[2:3], 1, v[2:3]
	v_mov_b32_e32 v5, s27
	v_add_co_u32_e32 v4, vcc, s26, v2
	v_addc_co_u32_e32 v5, vcc, v5, v3, vcc
	v_mov_b32_e32 v6, s7
	v_add_co_u32_e32 v2, vcc, s6, v2
	v_addc_co_u32_e32 v3, vcc, v6, v3, vcc
	global_load_ushort v32, v[4:5], off
	global_load_ushort v38, v[2:3], off
.LBB201_8:
	s_or_b64 exec, exec, s[4:5]
                                        ; implicit-def: $vgpr37
	s_and_saveexec_b64 s[26:27], s[22:23]
	s_cbranch_execz .LBB201_10
; %bb.9:
	s_getpc_b64 s[4:5]
	s_add_u32 s4, s4, _ZZZZN2at6native33launch_standard_gamma_grad_kernelERNS_18TensorIteratorBaseEENKUlvE_clEvENKUlvE1_clEvENKUlN3c104HalfES6_E_clES6_S6_@rel32@lo+4
	s_addc_u32 s5, s5, _ZZZZN2at6native33launch_standard_gamma_grad_kernelERNS_18TensorIteratorBaseEENKUlvE_clEvENKUlvE1_clEvENKUlN3c104HalfES6_E_clES6_S6_@rel32@hi+12
	s_swappc_b64 s[30:31], s[4:5]
	v_mov_b32_e32 v37, v0
.LBB201_10:
	s_or_b64 exec, exec, s[26:27]
	v_or_b32_e32 v39, 0x100, v30
	v_cmp_gt_i32_e32 vcc, s29, v39
                                        ; implicit-def: $vgpr36
	s_and_saveexec_b64 s[26:27], vcc
	s_cbranch_execz .LBB201_12
; %bb.11:
	s_waitcnt vmcnt(1)
	v_mov_b32_e32 v0, v31
	s_waitcnt vmcnt(0)
	v_mov_b32_e32 v1, v33
	s_getpc_b64 s[4:5]
	s_add_u32 s4, s4, _ZZZZN2at6native33launch_standard_gamma_grad_kernelERNS_18TensorIteratorBaseEENKUlvE_clEvENKUlvE1_clEvENKUlN3c104HalfES6_E_clES6_S6_@rel32@lo+4
	s_addc_u32 s5, s5, _ZZZZN2at6native33launch_standard_gamma_grad_kernelERNS_18TensorIteratorBaseEENKUlvE_clEvENKUlvE1_clEvENKUlN3c104HalfES6_E_clES6_S6_@rel32@hi+12
	s_swappc_b64 s[30:31], s[4:5]
	v_mov_b32_e32 v36, v0
.LBB201_12:
	s_or_b64 exec, exec, s[26:27]
	s_waitcnt vmcnt(1)
	v_or_b32_e32 v0, 0x200, v30
	v_cmp_gt_i32_e32 vcc, s29, v0
                                        ; implicit-def: $vgpr31
	s_and_saveexec_b64 s[26:27], vcc
	s_cbranch_execz .LBB201_14
; %bb.13:
	v_mov_b32_e32 v0, v34
	s_waitcnt vmcnt(0)
	v_mov_b32_e32 v1, v35
	s_getpc_b64 s[4:5]
	s_add_u32 s4, s4, _ZZZZN2at6native33launch_standard_gamma_grad_kernelERNS_18TensorIteratorBaseEENKUlvE_clEvENKUlvE1_clEvENKUlN3c104HalfES6_E_clES6_S6_@rel32@lo+4
	s_addc_u32 s5, s5, _ZZZZN2at6native33launch_standard_gamma_grad_kernelERNS_18TensorIteratorBaseEENKUlvE_clEvENKUlvE1_clEvENKUlN3c104HalfES6_E_clES6_S6_@rel32@hi+12
	s_swappc_b64 s[30:31], s[4:5]
	v_mov_b32_e32 v31, v0
.LBB201_14:
	s_or_b64 exec, exec, s[26:27]
	v_or_b32_e32 v0, 0x300, v30
	v_cmp_gt_i32_e32 vcc, s29, v0
                                        ; implicit-def: $vgpr0
	s_and_saveexec_b64 s[26:27], vcc
	s_cbranch_execnz .LBB201_20
; %bb.15:
	s_or_b64 exec, exec, s[26:27]
	s_and_saveexec_b64 s[4:5], s[22:23]
	s_xor_b64 s[4:5], exec, s[4:5]
	s_cbranch_execnz .LBB201_21
.LBB201_16:
	s_or_b64 exec, exec, s[4:5]
	v_cmp_gt_i32_e32 vcc, s29, v30
	s_and_saveexec_b64 s[4:5], vcc
	s_cbranch_execnz .LBB201_22
.LBB201_17:
	s_or_b64 exec, exec, s[4:5]
	v_cmp_gt_i32_e32 vcc, s29, v30
	s_and_saveexec_b64 s[4:5], vcc
	s_cbranch_execnz .LBB201_23
.LBB201_18:
	s_or_b64 exec, exec, s[4:5]
	v_cmp_gt_i32_e32 vcc, s29, v30
	s_and_saveexec_b64 s[4:5], vcc
	s_cbranch_execnz .LBB201_24
.LBB201_19:
	s_endpgm
.LBB201_20:
	v_mov_b32_e32 v0, v32
	s_waitcnt vmcnt(0)
	v_mov_b32_e32 v1, v38
	s_getpc_b64 s[4:5]
	s_add_u32 s4, s4, _ZZZZN2at6native33launch_standard_gamma_grad_kernelERNS_18TensorIteratorBaseEENKUlvE_clEvENKUlvE1_clEvENKUlN3c104HalfES6_E_clES6_S6_@rel32@lo+4
	s_addc_u32 s5, s5, _ZZZZN2at6native33launch_standard_gamma_grad_kernelERNS_18TensorIteratorBaseEENKUlvE_clEvENKUlvE1_clEvENKUlN3c104HalfES6_E_clES6_S6_@rel32@hi+12
	s_swappc_b64 s[30:31], s[4:5]
	s_or_b64 exec, exec, s[26:27]
	s_and_saveexec_b64 s[4:5], s[22:23]
	s_xor_b64 s[4:5], exec, s[4:5]
	s_cbranch_execz .LBB201_16
.LBB201_21:
	v_mov_b32_e32 v41, 0
	v_lshlrev_b64 v[2:3], 1, v[40:41]
	s_waitcnt vmcnt(0)
	v_mov_b32_e32 v1, s25
	v_add_co_u32_e32 v2, vcc, s24, v2
	v_addc_co_u32_e32 v3, vcc, v1, v3, vcc
	v_mov_b32_e32 v30, v39
	global_store_short v[2:3], v37, off
	s_or_b64 exec, exec, s[4:5]
	v_cmp_gt_i32_e32 vcc, s29, v30
	s_and_saveexec_b64 s[4:5], vcc
	s_cbranch_execz .LBB201_17
.LBB201_22:
	v_add_u32_e32 v2, s28, v30
	v_mov_b32_e32 v3, 0
	v_lshlrev_b64 v[2:3], 1, v[2:3]
	s_waitcnt vmcnt(0)
	v_add_u32_e32 v1, 0x100, v30
	v_mov_b32_e32 v4, s25
	v_add_co_u32_e32 v2, vcc, s24, v2
	v_addc_co_u32_e32 v3, vcc, v4, v3, vcc
	v_mov_b32_e32 v30, v1
	global_store_short v[2:3], v36, off
	s_or_b64 exec, exec, s[4:5]
	v_cmp_gt_i32_e32 vcc, s29, v30
	s_and_saveexec_b64 s[4:5], vcc
	s_cbranch_execz .LBB201_18
.LBB201_23:
	v_add_u32_e32 v2, s28, v30
	v_mov_b32_e32 v3, 0
	v_lshlrev_b64 v[2:3], 1, v[2:3]
	s_waitcnt vmcnt(0)
	v_add_u32_e32 v1, 0x100, v30
	v_mov_b32_e32 v4, s25
	v_add_co_u32_e32 v2, vcc, s24, v2
	v_addc_co_u32_e32 v3, vcc, v4, v3, vcc
	v_mov_b32_e32 v30, v1
	global_store_short v[2:3], v31, off
	s_or_b64 exec, exec, s[4:5]
	v_cmp_gt_i32_e32 vcc, s29, v30
	s_and_saveexec_b64 s[4:5], vcc
	s_cbranch_execz .LBB201_19
.LBB201_24:
	v_add_u32_e32 v2, s28, v30
	v_mov_b32_e32 v3, 0
	v_lshlrev_b64 v[2:3], 1, v[2:3]
	s_waitcnt vmcnt(0)
	v_mov_b32_e32 v1, s25
	v_add_co_u32_e32 v2, vcc, s24, v2
	v_addc_co_u32_e32 v3, vcc, v1, v3, vcc
	global_store_short v[2:3], v0, off
	s_endpgm
	.section	.rodata,"a",@progbits
	.p2align	6, 0x0
	.amdhsa_kernel _ZN2at6native27unrolled_elementwise_kernelIZZZNS0_33launch_standard_gamma_grad_kernelERNS_18TensorIteratorBaseEENKUlvE_clEvENKUlvE1_clEvEUlN3c104HalfES7_E_St5arrayIPcLm3EELi4E23TrivialOffsetCalculatorILi2EjESC_ILi1EjENS0_6memory15LoadWithoutCastENSF_16StoreWithoutCastEEEviT_T0_T2_T3_T4_T5_
		.amdhsa_group_segment_fixed_size 0
		.amdhsa_private_segment_fixed_size 0
		.amdhsa_kernarg_size 36
		.amdhsa_user_sgpr_count 8
		.amdhsa_user_sgpr_private_segment_buffer 1
		.amdhsa_user_sgpr_dispatch_ptr 0
		.amdhsa_user_sgpr_queue_ptr 0
		.amdhsa_user_sgpr_kernarg_segment_ptr 1
		.amdhsa_user_sgpr_dispatch_id 0
		.amdhsa_user_sgpr_flat_scratch_init 1
		.amdhsa_user_sgpr_kernarg_preload_length 0
		.amdhsa_user_sgpr_kernarg_preload_offset 0
		.amdhsa_user_sgpr_private_segment_size 0
		.amdhsa_uses_dynamic_stack 0
		.amdhsa_system_sgpr_private_segment_wavefront_offset 0
		.amdhsa_system_sgpr_workgroup_id_x 1
		.amdhsa_system_sgpr_workgroup_id_y 0
		.amdhsa_system_sgpr_workgroup_id_z 0
		.amdhsa_system_sgpr_workgroup_info 0
		.amdhsa_system_vgpr_workitem_id 0
		.amdhsa_next_free_vgpr 42
		.amdhsa_next_free_sgpr 33
		.amdhsa_accum_offset 44
		.amdhsa_reserve_vcc 1
		.amdhsa_reserve_flat_scratch 1
		.amdhsa_float_round_mode_32 0
		.amdhsa_float_round_mode_16_64 0
		.amdhsa_float_denorm_mode_32 3
		.amdhsa_float_denorm_mode_16_64 3
		.amdhsa_dx10_clamp 1
		.amdhsa_ieee_mode 1
		.amdhsa_fp16_overflow 0
		.amdhsa_tg_split 0
		.amdhsa_exception_fp_ieee_invalid_op 0
		.amdhsa_exception_fp_denorm_src 0
		.amdhsa_exception_fp_ieee_div_zero 0
		.amdhsa_exception_fp_ieee_overflow 0
		.amdhsa_exception_fp_ieee_underflow 0
		.amdhsa_exception_fp_ieee_inexact 0
		.amdhsa_exception_int_div_zero 0
	.end_amdhsa_kernel
	.section	.text._ZN2at6native27unrolled_elementwise_kernelIZZZNS0_33launch_standard_gamma_grad_kernelERNS_18TensorIteratorBaseEENKUlvE_clEvENKUlvE1_clEvEUlN3c104HalfES7_E_St5arrayIPcLm3EELi4E23TrivialOffsetCalculatorILi2EjESC_ILi1EjENS0_6memory15LoadWithoutCastENSF_16StoreWithoutCastEEEviT_T0_T2_T3_T4_T5_,"axG",@progbits,_ZN2at6native27unrolled_elementwise_kernelIZZZNS0_33launch_standard_gamma_grad_kernelERNS_18TensorIteratorBaseEENKUlvE_clEvENKUlvE1_clEvEUlN3c104HalfES7_E_St5arrayIPcLm3EELi4E23TrivialOffsetCalculatorILi2EjESC_ILi1EjENS0_6memory15LoadWithoutCastENSF_16StoreWithoutCastEEEviT_T0_T2_T3_T4_T5_,comdat
.Lfunc_end201:
	.size	_ZN2at6native27unrolled_elementwise_kernelIZZZNS0_33launch_standard_gamma_grad_kernelERNS_18TensorIteratorBaseEENKUlvE_clEvENKUlvE1_clEvEUlN3c104HalfES7_E_St5arrayIPcLm3EELi4E23TrivialOffsetCalculatorILi2EjESC_ILi1EjENS0_6memory15LoadWithoutCastENSF_16StoreWithoutCastEEEviT_T0_T2_T3_T4_T5_, .Lfunc_end201-_ZN2at6native27unrolled_elementwise_kernelIZZZNS0_33launch_standard_gamma_grad_kernelERNS_18TensorIteratorBaseEENKUlvE_clEvENKUlvE1_clEvEUlN3c104HalfES7_E_St5arrayIPcLm3EELi4E23TrivialOffsetCalculatorILi2EjESC_ILi1EjENS0_6memory15LoadWithoutCastENSF_16StoreWithoutCastEEEviT_T0_T2_T3_T4_T5_
                                        ; -- End function
	.section	.AMDGPU.csdata,"",@progbits
; Kernel info:
; codeLenInByte = 964
; NumSgprs: 39
; NumVgprs: 42
; NumAgprs: 0
; TotalNumVgprs: 42
; ScratchSize: 0
; MemoryBound: 0
; FloatMode: 240
; IeeeMode: 1
; LDSByteSize: 0 bytes/workgroup (compile time only)
; SGPRBlocks: 4
; VGPRBlocks: 5
; NumSGPRsForWavesPerEU: 39
; NumVGPRsForWavesPerEU: 42
; AccumOffset: 44
; Occupancy: 8
; WaveLimiterHint : 0
; COMPUTE_PGM_RSRC2:SCRATCH_EN: 0
; COMPUTE_PGM_RSRC2:USER_SGPR: 8
; COMPUTE_PGM_RSRC2:TRAP_HANDLER: 0
; COMPUTE_PGM_RSRC2:TGID_X_EN: 1
; COMPUTE_PGM_RSRC2:TGID_Y_EN: 0
; COMPUTE_PGM_RSRC2:TGID_Z_EN: 0
; COMPUTE_PGM_RSRC2:TIDIG_COMP_CNT: 0
; COMPUTE_PGM_RSRC3_GFX90A:ACCUM_OFFSET: 10
; COMPUTE_PGM_RSRC3_GFX90A:TG_SPLIT: 0
	.section	.text._ZN2at6native32elementwise_kernel_manual_unrollILi128ELi8EZNS0_22gpu_kernel_impl_nocastIZZZNS0_33launch_standard_gamma_grad_kernelERNS_18TensorIteratorBaseEENKUlvE_clEvENKUlvE1_clEvEUlN3c104HalfES8_E_EEvS4_RKT_EUlibE_EEviT1_,"axG",@progbits,_ZN2at6native32elementwise_kernel_manual_unrollILi128ELi8EZNS0_22gpu_kernel_impl_nocastIZZZNS0_33launch_standard_gamma_grad_kernelERNS_18TensorIteratorBaseEENKUlvE_clEvENKUlvE1_clEvEUlN3c104HalfES8_E_EEvS4_RKT_EUlibE_EEviT1_,comdat
	.globl	_ZN2at6native32elementwise_kernel_manual_unrollILi128ELi8EZNS0_22gpu_kernel_impl_nocastIZZZNS0_33launch_standard_gamma_grad_kernelERNS_18TensorIteratorBaseEENKUlvE_clEvENKUlvE1_clEvEUlN3c104HalfES8_E_EEvS4_RKT_EUlibE_EEviT1_ ; -- Begin function _ZN2at6native32elementwise_kernel_manual_unrollILi128ELi8EZNS0_22gpu_kernel_impl_nocastIZZZNS0_33launch_standard_gamma_grad_kernelERNS_18TensorIteratorBaseEENKUlvE_clEvENKUlvE1_clEvEUlN3c104HalfES8_E_EEvS4_RKT_EUlibE_EEviT1_
	.p2align	8
	.type	_ZN2at6native32elementwise_kernel_manual_unrollILi128ELi8EZNS0_22gpu_kernel_impl_nocastIZZZNS0_33launch_standard_gamma_grad_kernelERNS_18TensorIteratorBaseEENKUlvE_clEvENKUlvE1_clEvEUlN3c104HalfES8_E_EEvS4_RKT_EUlibE_EEviT1_,@function
_ZN2at6native32elementwise_kernel_manual_unrollILi128ELi8EZNS0_22gpu_kernel_impl_nocastIZZZNS0_33launch_standard_gamma_grad_kernelERNS_18TensorIteratorBaseEENKUlvE_clEvENKUlvE1_clEvEUlN3c104HalfES8_E_EEvS4_RKT_EUlibE_EEviT1_: ; @_ZN2at6native32elementwise_kernel_manual_unrollILi128ELi8EZNS0_22gpu_kernel_impl_nocastIZZZNS0_33launch_standard_gamma_grad_kernelERNS_18TensorIteratorBaseEENKUlvE_clEvENKUlvE1_clEvEUlN3c104HalfES8_E_EEvS4_RKT_EUlibE_EEviT1_
; %bb.0:
	s_load_dword s58, s[4:5], 0x0
	s_load_dword s33, s[4:5], 0x8
	s_add_u32 flat_scratch_lo, s6, s9
	s_addc_u32 flat_scratch_hi, s7, 0
	s_add_u32 s0, s0, s9
	s_mov_b64 s[22:23], s[4:5]
	s_addc_u32 s1, s1, 0
	s_or_b32 s22, s22, 8
	v_lshl_or_b32 v64, s8, 10, v0
	s_waitcnt lgkmcnt(0)
	s_add_i32 s56, s33, -1
	v_or_b32_e32 v0, 0x380, v64
	s_cmp_gt_u32 s56, 1
	v_cmp_le_i32_e32 vcc, s58, v0
	s_cselect_b64 s[28:29], -1, 0
	s_mov_b32 s32, 0
	s_and_saveexec_b64 s[4:5], vcc
	s_xor_b64 s[34:35], exec, s[4:5]
	s_cbranch_execz .LBB202_98
; %bb.1:
	s_load_dwordx4 s[40:43], s[22:23], 0x4
	s_load_dwordx2 s[48:49], s[22:23], 0x14
	s_load_dwordx4 s[36:39], s[22:23], 0xc4
	s_load_dwordx2 s[46:47], s[22:23], 0xd4
	s_load_dwordx2 s[44:45], s[22:23], 0x198
	s_load_dwordx4 s[24:27], s[22:23], 0x188
	s_cmp_lg_u32 s33, 0
	s_cselect_b64 s[52:53], -1, 0
	s_min_u32 s57, s56, 15
	s_cmp_gt_u32 s33, 1
	s_cselect_b64 s[50:51], -1, 0
	v_cmp_gt_i32_e32 vcc, s58, v64
	s_and_saveexec_b64 s[54:55], vcc
	s_cbranch_execnz .LBB202_9
; %bb.2:
	s_or_b64 exec, exec, s[54:55]
	v_cmp_gt_i32_e32 vcc, s58, v64
	s_and_saveexec_b64 s[54:55], vcc
	s_cbranch_execnz .LBB202_20
.LBB202_3:
	s_or_b64 exec, exec, s[54:55]
	v_cmp_gt_i32_e32 vcc, s58, v64
	s_and_saveexec_b64 s[54:55], vcc
	s_cbranch_execnz .LBB202_31
.LBB202_4:
	s_or_b64 exec, exec, s[54:55]
	v_cmp_gt_i32_e32 vcc, s58, v64
	s_and_saveexec_b64 s[54:55], vcc
	s_cbranch_execnz .LBB202_42
.LBB202_5:
	s_or_b64 exec, exec, s[54:55]
	v_cmp_gt_i32_e32 vcc, s58, v64
	s_and_saveexec_b64 s[54:55], vcc
	s_cbranch_execnz .LBB202_53
.LBB202_6:
	s_or_b64 exec, exec, s[54:55]
	v_cmp_gt_i32_e32 vcc, s58, v64
	s_and_saveexec_b64 s[54:55], vcc
	s_cbranch_execnz .LBB202_64
.LBB202_7:
	s_or_b64 exec, exec, s[54:55]
	v_cmp_gt_i32_e32 vcc, s58, v64
	s_and_saveexec_b64 s[54:55], vcc
	s_cbranch_execnz .LBB202_75
.LBB202_8:
	s_or_b64 exec, exec, s[54:55]
	v_cmp_gt_i32_e32 vcc, s58, v64
	s_and_saveexec_b64 s[54:55], vcc
	s_cbranch_execnz .LBB202_86
	s_branch .LBB202_97
.LBB202_9:
	s_andn2_b64 vcc, exec, s[28:29]
	s_cbranch_vccnz .LBB202_16
; %bb.10:
	s_andn2_b64 vcc, exec, s[52:53]
	v_mov_b32_e32 v2, 0
	v_mov_b32_e32 v4, 0
	;; [unrolled: 1-line block ×3, first 2 shown]
	s_cbranch_vccnz .LBB202_15
; %bb.11:
	s_add_i32 s4, s57, 1
	s_and_b32 s6, s4, 30
	s_add_u32 s4, s22, 0xffffffec
	s_addc_u32 s5, s23, -1
	v_mov_b32_e32 v30, 0
	v_mov_b32_e32 v0, v64
	;; [unrolled: 1-line block ×4, first 2 shown]
.LBB202_12:                             ; =>This Inner Loop Header: Depth=1
	s_mov_b64 s[16:17], s[4:5]
	s_load_dwordx4 s[8:11], s[16:17], 0x18
	s_load_dwordx2 s[18:19], s[16:17], 0x28
	s_load_dwordx2 s[20:21], s[16:17], 0xe8
	s_load_dwordx4 s[12:15], s[16:17], 0xd8
	s_add_u32 s4, s16, 24
	s_waitcnt lgkmcnt(0)
	v_mul_hi_u32 v1, s9, v0
	v_add_u32_e32 v1, v0, v1
	v_lshrrev_b32_e32 v1, s10, v1
	v_mul_lo_u32 v3, v1, s8
	v_mul_hi_u32 v5, s18, v1
	v_sub_u32_e32 v0, v0, v3
	v_add_u32_e32 v3, v1, v5
	v_mul_lo_u32 v5, v0, s12
	v_mul_lo_u32 v6, v0, s13
	;; [unrolled: 1-line block ×3, first 2 shown]
	v_lshrrev_b32_e32 v0, s19, v3
	v_mul_lo_u32 v3, v0, s11
	v_sub_u32_e32 v1, v1, v3
	s_addc_u32 s5, s17, 0
	s_add_i32 s6, s6, -2
	v_mul_lo_u32 v3, v1, s15
	v_mul_lo_u32 v8, v1, s20
	;; [unrolled: 1-line block ×3, first 2 shown]
	s_cmp_lg_u32 s6, 0
	v_add3_u32 v30, v5, v30, v3
	v_add3_u32 v2, v7, v2, v1
	;; [unrolled: 1-line block ×3, first 2 shown]
	s_cbranch_scc1 .LBB202_12
; %bb.13:
	s_bitcmp1_b32 s57, 0
	s_cselect_b64 s[6:7], -1, 0
	s_and_b64 vcc, exec, s[6:7]
	s_cbranch_vccnz .LBB202_15
; %bb.14:
	s_load_dwordx2 s[6:7], s[4:5], 0x18
	s_load_dword s10, s[4:5], 0x20
	s_load_dword s11, s[4:5], 0xe0
	s_load_dwordx2 s[8:9], s[4:5], 0xd8
	s_waitcnt lgkmcnt(0)
	v_mul_hi_u32 v1, s7, v0
	v_add_u32_e32 v1, v0, v1
	v_lshrrev_b32_e32 v1, s10, v1
	v_mul_lo_u32 v1, v1, s6
	v_sub_u32_e32 v0, v0, v1
	v_mad_u64_u32 v[30:31], s[4:5], v0, s8, v[30:31]
	v_mad_u64_u32 v[4:5], s[4:5], v0, s9, v[4:5]
	;; [unrolled: 1-line block ×3, first 2 shown]
.LBB202_15:
	s_cbranch_execz .LBB202_17
	s_branch .LBB202_19
.LBB202_16:
                                        ; implicit-def: $vgpr2
                                        ; implicit-def: $vgpr4
                                        ; implicit-def: $vgpr30
.LBB202_17:
	s_waitcnt lgkmcnt(0)
	v_mul_hi_u32 v0, s41, v64
	v_add_u32_e32 v0, v64, v0
	v_lshrrev_b32_e32 v0, s42, v0
	v_mul_lo_u32 v1, v0, s40
	v_sub_u32_e32 v1, v64, v1
	v_mul_lo_u32 v30, v1, s36
	v_mul_lo_u32 v2, v1, s38
	s_andn2_b64 vcc, exec, s[50:51]
	v_mul_lo_u32 v4, v1, s37
	s_cbranch_vccnz .LBB202_19
; %bb.18:
	v_mul_hi_u32 v1, s48, v0
	v_add_u32_e32 v1, v0, v1
	v_lshrrev_b32_e32 v1, s49, v1
	v_mul_lo_u32 v1, v1, s43
	v_sub_u32_e32 v0, v0, v1
	v_mad_u64_u32 v[30:31], s[4:5], v0, s39, v[30:31]
	v_mad_u64_u32 v[4:5], s[4:5], v0, s46, v[4:5]
	;; [unrolled: 1-line block ×3, first 2 shown]
.LBB202_19:
	s_waitcnt lgkmcnt(0)
	global_load_ushort v0, v4, s[26:27]
	global_load_ushort v1, v2, s[44:45]
	s_getpc_b64 s[4:5]
	s_add_u32 s4, s4, _ZZZZN2at6native33launch_standard_gamma_grad_kernelERNS_18TensorIteratorBaseEENKUlvE_clEvENKUlvE1_clEvENKUlN3c104HalfES6_E_clES6_S6_@rel32@lo+4
	s_addc_u32 s5, s5, _ZZZZN2at6native33launch_standard_gamma_grad_kernelERNS_18TensorIteratorBaseEENKUlvE_clEvENKUlvE1_clEvENKUlN3c104HalfES6_E_clES6_S6_@rel32@hi+12
	s_swappc_b64 s[30:31], s[4:5]
	v_add_u32_e32 v64, 0x80, v64
	global_store_short v30, v0, s[24:25]
	s_or_b64 exec, exec, s[54:55]
	v_cmp_gt_i32_e32 vcc, s58, v64
	s_and_saveexec_b64 s[54:55], vcc
	s_cbranch_execz .LBB202_3
.LBB202_20:
	s_andn2_b64 vcc, exec, s[28:29]
	s_cbranch_vccnz .LBB202_27
; %bb.21:
	s_andn2_b64 vcc, exec, s[52:53]
	v_mov_b32_e32 v2, 0
	v_mov_b32_e32 v4, 0
	;; [unrolled: 1-line block ×3, first 2 shown]
	s_cbranch_vccnz .LBB202_26
; %bb.22:
	s_add_i32 s4, s57, 1
	s_and_b32 s6, s4, 30
	s_add_u32 s4, s22, 0xffffffec
	s_addc_u32 s5, s23, -1
	v_mov_b32_e32 v30, 0
	v_mov_b32_e32 v0, v64
	;; [unrolled: 1-line block ×4, first 2 shown]
.LBB202_23:                             ; =>This Inner Loop Header: Depth=1
	s_mov_b64 s[16:17], s[4:5]
	s_load_dwordx4 s[8:11], s[16:17], 0x18
	s_load_dwordx2 s[18:19], s[16:17], 0x28
	s_load_dwordx2 s[20:21], s[16:17], 0xe8
	s_load_dwordx4 s[12:15], s[16:17], 0xd8
	s_add_u32 s4, s16, 24
	s_waitcnt lgkmcnt(0)
	v_mul_hi_u32 v1, s9, v0
	v_add_u32_e32 v1, v0, v1
	v_lshrrev_b32_e32 v1, s10, v1
	v_mul_lo_u32 v3, v1, s8
	v_mul_hi_u32 v5, s18, v1
	v_sub_u32_e32 v0, v0, v3
	v_add_u32_e32 v3, v1, v5
	v_mul_lo_u32 v5, v0, s12
	v_mul_lo_u32 v6, v0, s13
	;; [unrolled: 1-line block ×3, first 2 shown]
	v_lshrrev_b32_e32 v0, s19, v3
	v_mul_lo_u32 v3, v0, s11
	v_sub_u32_e32 v1, v1, v3
	s_addc_u32 s5, s17, 0
	s_add_i32 s6, s6, -2
	v_mul_lo_u32 v3, v1, s15
	v_mul_lo_u32 v8, v1, s20
	;; [unrolled: 1-line block ×3, first 2 shown]
	s_cmp_eq_u32 s6, 0
	v_add3_u32 v30, v5, v30, v3
	v_add3_u32 v2, v7, v2, v1
	;; [unrolled: 1-line block ×3, first 2 shown]
	s_cbranch_scc0 .LBB202_23
; %bb.24:
	s_bitcmp1_b32 s57, 0
	s_cselect_b64 s[6:7], -1, 0
	s_and_b64 vcc, exec, s[6:7]
	s_cbranch_vccnz .LBB202_26
; %bb.25:
	s_load_dwordx2 s[6:7], s[4:5], 0x18
	s_load_dword s10, s[4:5], 0x20
	s_load_dword s11, s[4:5], 0xe0
	s_load_dwordx2 s[8:9], s[4:5], 0xd8
	s_waitcnt lgkmcnt(0)
	v_mul_hi_u32 v1, s7, v0
	v_add_u32_e32 v1, v0, v1
	v_lshrrev_b32_e32 v1, s10, v1
	v_mul_lo_u32 v1, v1, s6
	v_sub_u32_e32 v0, v0, v1
	v_mad_u64_u32 v[30:31], s[4:5], v0, s8, v[30:31]
	v_mad_u64_u32 v[4:5], s[4:5], v0, s9, v[4:5]
	;; [unrolled: 1-line block ×3, first 2 shown]
.LBB202_26:
	s_cbranch_execz .LBB202_28
	s_branch .LBB202_30
.LBB202_27:
                                        ; implicit-def: $vgpr2
                                        ; implicit-def: $vgpr4
                                        ; implicit-def: $vgpr30
.LBB202_28:
	s_waitcnt lgkmcnt(0)
	v_mul_hi_u32 v0, s41, v64
	v_add_u32_e32 v0, v64, v0
	v_lshrrev_b32_e32 v0, s42, v0
	v_mul_lo_u32 v1, v0, s40
	v_sub_u32_e32 v1, v64, v1
	v_mul_lo_u32 v30, v1, s36
	v_mul_lo_u32 v2, v1, s38
	s_andn2_b64 vcc, exec, s[50:51]
	v_mul_lo_u32 v4, v1, s37
	s_cbranch_vccnz .LBB202_30
; %bb.29:
	v_mul_hi_u32 v1, s48, v0
	v_add_u32_e32 v1, v0, v1
	v_lshrrev_b32_e32 v1, s49, v1
	v_mul_lo_u32 v1, v1, s43
	v_sub_u32_e32 v0, v0, v1
	v_mad_u64_u32 v[30:31], s[4:5], v0, s39, v[30:31]
	v_mad_u64_u32 v[4:5], s[4:5], v0, s46, v[4:5]
	;; [unrolled: 1-line block ×3, first 2 shown]
.LBB202_30:
	s_waitcnt lgkmcnt(0)
	global_load_ushort v0, v4, s[26:27]
	global_load_ushort v1, v2, s[44:45]
	s_getpc_b64 s[4:5]
	s_add_u32 s4, s4, _ZZZZN2at6native33launch_standard_gamma_grad_kernelERNS_18TensorIteratorBaseEENKUlvE_clEvENKUlvE1_clEvENKUlN3c104HalfES6_E_clES6_S6_@rel32@lo+4
	s_addc_u32 s5, s5, _ZZZZN2at6native33launch_standard_gamma_grad_kernelERNS_18TensorIteratorBaseEENKUlvE_clEvENKUlvE1_clEvENKUlN3c104HalfES6_E_clES6_S6_@rel32@hi+12
	s_swappc_b64 s[30:31], s[4:5]
	v_add_u32_e32 v64, 0x80, v64
	global_store_short v30, v0, s[24:25]
	s_or_b64 exec, exec, s[54:55]
	v_cmp_gt_i32_e32 vcc, s58, v64
	s_and_saveexec_b64 s[54:55], vcc
	s_cbranch_execz .LBB202_4
.LBB202_31:
	s_andn2_b64 vcc, exec, s[28:29]
	s_cbranch_vccnz .LBB202_38
; %bb.32:
	s_andn2_b64 vcc, exec, s[52:53]
	v_mov_b32_e32 v2, 0
	v_mov_b32_e32 v4, 0
	;; [unrolled: 1-line block ×3, first 2 shown]
	s_cbranch_vccnz .LBB202_37
; %bb.33:
	s_add_i32 s4, s57, 1
	s_and_b32 s6, s4, 30
	s_add_u32 s4, s22, 0xffffffec
	s_addc_u32 s5, s23, -1
	v_mov_b32_e32 v30, 0
	v_mov_b32_e32 v0, v64
	;; [unrolled: 1-line block ×4, first 2 shown]
.LBB202_34:                             ; =>This Inner Loop Header: Depth=1
	s_mov_b64 s[16:17], s[4:5]
	s_load_dwordx4 s[8:11], s[16:17], 0x18
	s_load_dwordx2 s[18:19], s[16:17], 0x28
	s_load_dwordx2 s[20:21], s[16:17], 0xe8
	s_load_dwordx4 s[12:15], s[16:17], 0xd8
	s_add_u32 s4, s16, 24
	s_waitcnt lgkmcnt(0)
	v_mul_hi_u32 v1, s9, v0
	v_add_u32_e32 v1, v0, v1
	v_lshrrev_b32_e32 v1, s10, v1
	v_mul_lo_u32 v3, v1, s8
	v_mul_hi_u32 v5, s18, v1
	v_sub_u32_e32 v0, v0, v3
	v_add_u32_e32 v3, v1, v5
	v_mul_lo_u32 v5, v0, s12
	v_mul_lo_u32 v6, v0, s13
	;; [unrolled: 1-line block ×3, first 2 shown]
	v_lshrrev_b32_e32 v0, s19, v3
	v_mul_lo_u32 v3, v0, s11
	v_sub_u32_e32 v1, v1, v3
	s_addc_u32 s5, s17, 0
	s_add_i32 s6, s6, -2
	v_mul_lo_u32 v3, v1, s15
	v_mul_lo_u32 v8, v1, s20
	;; [unrolled: 1-line block ×3, first 2 shown]
	s_cmp_eq_u32 s6, 0
	v_add3_u32 v30, v5, v30, v3
	v_add3_u32 v2, v7, v2, v1
	;; [unrolled: 1-line block ×3, first 2 shown]
	s_cbranch_scc0 .LBB202_34
; %bb.35:
	s_bitcmp1_b32 s57, 0
	s_cselect_b64 s[6:7], -1, 0
	s_and_b64 vcc, exec, s[6:7]
	s_cbranch_vccnz .LBB202_37
; %bb.36:
	s_load_dwordx2 s[6:7], s[4:5], 0x18
	s_load_dword s10, s[4:5], 0x20
	s_load_dword s11, s[4:5], 0xe0
	s_load_dwordx2 s[8:9], s[4:5], 0xd8
	s_waitcnt lgkmcnt(0)
	v_mul_hi_u32 v1, s7, v0
	v_add_u32_e32 v1, v0, v1
	v_lshrrev_b32_e32 v1, s10, v1
	v_mul_lo_u32 v1, v1, s6
	v_sub_u32_e32 v0, v0, v1
	v_mad_u64_u32 v[30:31], s[4:5], v0, s8, v[30:31]
	v_mad_u64_u32 v[4:5], s[4:5], v0, s9, v[4:5]
	v_mad_u64_u32 v[2:3], s[4:5], v0, s11, v[2:3]
.LBB202_37:
	s_cbranch_execz .LBB202_39
	s_branch .LBB202_41
.LBB202_38:
                                        ; implicit-def: $vgpr2
                                        ; implicit-def: $vgpr4
                                        ; implicit-def: $vgpr30
.LBB202_39:
	s_waitcnt lgkmcnt(0)
	v_mul_hi_u32 v0, s41, v64
	v_add_u32_e32 v0, v64, v0
	v_lshrrev_b32_e32 v0, s42, v0
	v_mul_lo_u32 v1, v0, s40
	v_sub_u32_e32 v1, v64, v1
	v_mul_lo_u32 v30, v1, s36
	v_mul_lo_u32 v2, v1, s38
	s_andn2_b64 vcc, exec, s[50:51]
	v_mul_lo_u32 v4, v1, s37
	s_cbranch_vccnz .LBB202_41
; %bb.40:
	v_mul_hi_u32 v1, s48, v0
	v_add_u32_e32 v1, v0, v1
	v_lshrrev_b32_e32 v1, s49, v1
	v_mul_lo_u32 v1, v1, s43
	v_sub_u32_e32 v0, v0, v1
	v_mad_u64_u32 v[30:31], s[4:5], v0, s39, v[30:31]
	v_mad_u64_u32 v[4:5], s[4:5], v0, s46, v[4:5]
	;; [unrolled: 1-line block ×3, first 2 shown]
.LBB202_41:
	s_waitcnt lgkmcnt(0)
	global_load_ushort v0, v4, s[26:27]
	global_load_ushort v1, v2, s[44:45]
	s_getpc_b64 s[4:5]
	s_add_u32 s4, s4, _ZZZZN2at6native33launch_standard_gamma_grad_kernelERNS_18TensorIteratorBaseEENKUlvE_clEvENKUlvE1_clEvENKUlN3c104HalfES6_E_clES6_S6_@rel32@lo+4
	s_addc_u32 s5, s5, _ZZZZN2at6native33launch_standard_gamma_grad_kernelERNS_18TensorIteratorBaseEENKUlvE_clEvENKUlvE1_clEvENKUlN3c104HalfES6_E_clES6_S6_@rel32@hi+12
	s_swappc_b64 s[30:31], s[4:5]
	v_add_u32_e32 v64, 0x80, v64
	global_store_short v30, v0, s[24:25]
	s_or_b64 exec, exec, s[54:55]
	v_cmp_gt_i32_e32 vcc, s58, v64
	s_and_saveexec_b64 s[54:55], vcc
	s_cbranch_execz .LBB202_5
.LBB202_42:
	s_andn2_b64 vcc, exec, s[28:29]
	s_cbranch_vccnz .LBB202_49
; %bb.43:
	s_andn2_b64 vcc, exec, s[52:53]
	v_mov_b32_e32 v2, 0
	v_mov_b32_e32 v4, 0
	;; [unrolled: 1-line block ×3, first 2 shown]
	s_cbranch_vccnz .LBB202_48
; %bb.44:
	s_add_i32 s4, s57, 1
	s_and_b32 s6, s4, 30
	s_add_u32 s4, s22, 0xffffffec
	s_addc_u32 s5, s23, -1
	v_mov_b32_e32 v30, 0
	v_mov_b32_e32 v0, v64
	v_mov_b32_e32 v4, 0
	v_mov_b32_e32 v2, 0
.LBB202_45:                             ; =>This Inner Loop Header: Depth=1
	s_mov_b64 s[16:17], s[4:5]
	s_load_dwordx4 s[8:11], s[16:17], 0x18
	s_load_dwordx2 s[18:19], s[16:17], 0x28
	s_load_dwordx2 s[20:21], s[16:17], 0xe8
	s_load_dwordx4 s[12:15], s[16:17], 0xd8
	s_add_u32 s4, s16, 24
	s_waitcnt lgkmcnt(0)
	v_mul_hi_u32 v1, s9, v0
	v_add_u32_e32 v1, v0, v1
	v_lshrrev_b32_e32 v1, s10, v1
	v_mul_lo_u32 v3, v1, s8
	v_mul_hi_u32 v5, s18, v1
	v_sub_u32_e32 v0, v0, v3
	v_add_u32_e32 v3, v1, v5
	v_mul_lo_u32 v5, v0, s12
	v_mul_lo_u32 v6, v0, s13
	;; [unrolled: 1-line block ×3, first 2 shown]
	v_lshrrev_b32_e32 v0, s19, v3
	v_mul_lo_u32 v3, v0, s11
	v_sub_u32_e32 v1, v1, v3
	s_addc_u32 s5, s17, 0
	s_add_i32 s6, s6, -2
	v_mul_lo_u32 v3, v1, s15
	v_mul_lo_u32 v8, v1, s20
	;; [unrolled: 1-line block ×3, first 2 shown]
	s_cmp_eq_u32 s6, 0
	v_add3_u32 v30, v5, v30, v3
	v_add3_u32 v2, v7, v2, v1
	;; [unrolled: 1-line block ×3, first 2 shown]
	s_cbranch_scc0 .LBB202_45
; %bb.46:
	s_bitcmp1_b32 s57, 0
	s_cselect_b64 s[6:7], -1, 0
	s_and_b64 vcc, exec, s[6:7]
	s_cbranch_vccnz .LBB202_48
; %bb.47:
	s_load_dwordx2 s[6:7], s[4:5], 0x18
	s_load_dword s10, s[4:5], 0x20
	s_load_dword s11, s[4:5], 0xe0
	s_load_dwordx2 s[8:9], s[4:5], 0xd8
	s_waitcnt lgkmcnt(0)
	v_mul_hi_u32 v1, s7, v0
	v_add_u32_e32 v1, v0, v1
	v_lshrrev_b32_e32 v1, s10, v1
	v_mul_lo_u32 v1, v1, s6
	v_sub_u32_e32 v0, v0, v1
	v_mad_u64_u32 v[30:31], s[4:5], v0, s8, v[30:31]
	v_mad_u64_u32 v[4:5], s[4:5], v0, s9, v[4:5]
	;; [unrolled: 1-line block ×3, first 2 shown]
.LBB202_48:
	s_cbranch_execz .LBB202_50
	s_branch .LBB202_52
.LBB202_49:
                                        ; implicit-def: $vgpr2
                                        ; implicit-def: $vgpr4
                                        ; implicit-def: $vgpr30
.LBB202_50:
	s_waitcnt lgkmcnt(0)
	v_mul_hi_u32 v0, s41, v64
	v_add_u32_e32 v0, v64, v0
	v_lshrrev_b32_e32 v0, s42, v0
	v_mul_lo_u32 v1, v0, s40
	v_sub_u32_e32 v1, v64, v1
	v_mul_lo_u32 v30, v1, s36
	v_mul_lo_u32 v2, v1, s38
	s_andn2_b64 vcc, exec, s[50:51]
	v_mul_lo_u32 v4, v1, s37
	s_cbranch_vccnz .LBB202_52
; %bb.51:
	v_mul_hi_u32 v1, s48, v0
	v_add_u32_e32 v1, v0, v1
	v_lshrrev_b32_e32 v1, s49, v1
	v_mul_lo_u32 v1, v1, s43
	v_sub_u32_e32 v0, v0, v1
	v_mad_u64_u32 v[30:31], s[4:5], v0, s39, v[30:31]
	v_mad_u64_u32 v[4:5], s[4:5], v0, s46, v[4:5]
	;; [unrolled: 1-line block ×3, first 2 shown]
.LBB202_52:
	s_waitcnt lgkmcnt(0)
	global_load_ushort v0, v4, s[26:27]
	global_load_ushort v1, v2, s[44:45]
	s_getpc_b64 s[4:5]
	s_add_u32 s4, s4, _ZZZZN2at6native33launch_standard_gamma_grad_kernelERNS_18TensorIteratorBaseEENKUlvE_clEvENKUlvE1_clEvENKUlN3c104HalfES6_E_clES6_S6_@rel32@lo+4
	s_addc_u32 s5, s5, _ZZZZN2at6native33launch_standard_gamma_grad_kernelERNS_18TensorIteratorBaseEENKUlvE_clEvENKUlvE1_clEvENKUlN3c104HalfES6_E_clES6_S6_@rel32@hi+12
	s_swappc_b64 s[30:31], s[4:5]
	v_add_u32_e32 v64, 0x80, v64
	global_store_short v30, v0, s[24:25]
	s_or_b64 exec, exec, s[54:55]
	v_cmp_gt_i32_e32 vcc, s58, v64
	s_and_saveexec_b64 s[54:55], vcc
	s_cbranch_execz .LBB202_6
.LBB202_53:
	s_andn2_b64 vcc, exec, s[28:29]
	s_cbranch_vccnz .LBB202_60
; %bb.54:
	s_andn2_b64 vcc, exec, s[52:53]
	v_mov_b32_e32 v2, 0
	v_mov_b32_e32 v4, 0
	;; [unrolled: 1-line block ×3, first 2 shown]
	s_cbranch_vccnz .LBB202_59
; %bb.55:
	s_add_i32 s4, s57, 1
	s_and_b32 s6, s4, 30
	s_add_u32 s4, s22, 0xffffffec
	s_addc_u32 s5, s23, -1
	v_mov_b32_e32 v30, 0
	v_mov_b32_e32 v0, v64
	;; [unrolled: 1-line block ×4, first 2 shown]
.LBB202_56:                             ; =>This Inner Loop Header: Depth=1
	s_mov_b64 s[16:17], s[4:5]
	s_load_dwordx4 s[8:11], s[16:17], 0x18
	s_load_dwordx2 s[18:19], s[16:17], 0x28
	s_load_dwordx2 s[20:21], s[16:17], 0xe8
	s_load_dwordx4 s[12:15], s[16:17], 0xd8
	s_add_u32 s4, s16, 24
	s_waitcnt lgkmcnt(0)
	v_mul_hi_u32 v1, s9, v0
	v_add_u32_e32 v1, v0, v1
	v_lshrrev_b32_e32 v1, s10, v1
	v_mul_lo_u32 v3, v1, s8
	v_mul_hi_u32 v5, s18, v1
	v_sub_u32_e32 v0, v0, v3
	v_add_u32_e32 v3, v1, v5
	v_mul_lo_u32 v5, v0, s12
	v_mul_lo_u32 v6, v0, s13
	;; [unrolled: 1-line block ×3, first 2 shown]
	v_lshrrev_b32_e32 v0, s19, v3
	v_mul_lo_u32 v3, v0, s11
	v_sub_u32_e32 v1, v1, v3
	s_addc_u32 s5, s17, 0
	s_add_i32 s6, s6, -2
	v_mul_lo_u32 v3, v1, s15
	v_mul_lo_u32 v8, v1, s20
	;; [unrolled: 1-line block ×3, first 2 shown]
	s_cmp_eq_u32 s6, 0
	v_add3_u32 v30, v5, v30, v3
	v_add3_u32 v2, v7, v2, v1
	v_add3_u32 v4, v6, v4, v8
	s_cbranch_scc0 .LBB202_56
; %bb.57:
	s_bitcmp1_b32 s57, 0
	s_cselect_b64 s[6:7], -1, 0
	s_and_b64 vcc, exec, s[6:7]
	s_cbranch_vccnz .LBB202_59
; %bb.58:
	s_load_dwordx2 s[6:7], s[4:5], 0x18
	s_load_dword s10, s[4:5], 0x20
	s_load_dword s11, s[4:5], 0xe0
	s_load_dwordx2 s[8:9], s[4:5], 0xd8
	s_waitcnt lgkmcnt(0)
	v_mul_hi_u32 v1, s7, v0
	v_add_u32_e32 v1, v0, v1
	v_lshrrev_b32_e32 v1, s10, v1
	v_mul_lo_u32 v1, v1, s6
	v_sub_u32_e32 v0, v0, v1
	v_mad_u64_u32 v[30:31], s[4:5], v0, s8, v[30:31]
	v_mad_u64_u32 v[4:5], s[4:5], v0, s9, v[4:5]
	;; [unrolled: 1-line block ×3, first 2 shown]
.LBB202_59:
	s_cbranch_execz .LBB202_61
	s_branch .LBB202_63
.LBB202_60:
                                        ; implicit-def: $vgpr2
                                        ; implicit-def: $vgpr4
                                        ; implicit-def: $vgpr30
.LBB202_61:
	s_waitcnt lgkmcnt(0)
	v_mul_hi_u32 v0, s41, v64
	v_add_u32_e32 v0, v64, v0
	v_lshrrev_b32_e32 v0, s42, v0
	v_mul_lo_u32 v1, v0, s40
	v_sub_u32_e32 v1, v64, v1
	v_mul_lo_u32 v30, v1, s36
	v_mul_lo_u32 v2, v1, s38
	s_andn2_b64 vcc, exec, s[50:51]
	v_mul_lo_u32 v4, v1, s37
	s_cbranch_vccnz .LBB202_63
; %bb.62:
	v_mul_hi_u32 v1, s48, v0
	v_add_u32_e32 v1, v0, v1
	v_lshrrev_b32_e32 v1, s49, v1
	v_mul_lo_u32 v1, v1, s43
	v_sub_u32_e32 v0, v0, v1
	v_mad_u64_u32 v[30:31], s[4:5], v0, s39, v[30:31]
	v_mad_u64_u32 v[4:5], s[4:5], v0, s46, v[4:5]
	;; [unrolled: 1-line block ×3, first 2 shown]
.LBB202_63:
	s_waitcnt lgkmcnt(0)
	global_load_ushort v0, v4, s[26:27]
	global_load_ushort v1, v2, s[44:45]
	s_getpc_b64 s[4:5]
	s_add_u32 s4, s4, _ZZZZN2at6native33launch_standard_gamma_grad_kernelERNS_18TensorIteratorBaseEENKUlvE_clEvENKUlvE1_clEvENKUlN3c104HalfES6_E_clES6_S6_@rel32@lo+4
	s_addc_u32 s5, s5, _ZZZZN2at6native33launch_standard_gamma_grad_kernelERNS_18TensorIteratorBaseEENKUlvE_clEvENKUlvE1_clEvENKUlN3c104HalfES6_E_clES6_S6_@rel32@hi+12
	s_swappc_b64 s[30:31], s[4:5]
	v_add_u32_e32 v64, 0x80, v64
	global_store_short v30, v0, s[24:25]
	s_or_b64 exec, exec, s[54:55]
	v_cmp_gt_i32_e32 vcc, s58, v64
	s_and_saveexec_b64 s[54:55], vcc
	s_cbranch_execz .LBB202_7
.LBB202_64:
	s_andn2_b64 vcc, exec, s[28:29]
	s_cbranch_vccnz .LBB202_71
; %bb.65:
	s_andn2_b64 vcc, exec, s[52:53]
	v_mov_b32_e32 v2, 0
	v_mov_b32_e32 v4, 0
	;; [unrolled: 1-line block ×3, first 2 shown]
	s_cbranch_vccnz .LBB202_70
; %bb.66:
	s_add_i32 s4, s57, 1
	s_and_b32 s6, s4, 30
	s_add_u32 s4, s22, 0xffffffec
	s_addc_u32 s5, s23, -1
	v_mov_b32_e32 v30, 0
	v_mov_b32_e32 v0, v64
	v_mov_b32_e32 v4, 0
	v_mov_b32_e32 v2, 0
.LBB202_67:                             ; =>This Inner Loop Header: Depth=1
	s_mov_b64 s[16:17], s[4:5]
	s_load_dwordx4 s[8:11], s[16:17], 0x18
	s_load_dwordx2 s[18:19], s[16:17], 0x28
	s_load_dwordx2 s[20:21], s[16:17], 0xe8
	s_load_dwordx4 s[12:15], s[16:17], 0xd8
	s_add_u32 s4, s16, 24
	s_waitcnt lgkmcnt(0)
	v_mul_hi_u32 v1, s9, v0
	v_add_u32_e32 v1, v0, v1
	v_lshrrev_b32_e32 v1, s10, v1
	v_mul_lo_u32 v3, v1, s8
	v_mul_hi_u32 v5, s18, v1
	v_sub_u32_e32 v0, v0, v3
	v_add_u32_e32 v3, v1, v5
	v_mul_lo_u32 v5, v0, s12
	v_mul_lo_u32 v6, v0, s13
	;; [unrolled: 1-line block ×3, first 2 shown]
	v_lshrrev_b32_e32 v0, s19, v3
	v_mul_lo_u32 v3, v0, s11
	v_sub_u32_e32 v1, v1, v3
	s_addc_u32 s5, s17, 0
	s_add_i32 s6, s6, -2
	v_mul_lo_u32 v3, v1, s15
	v_mul_lo_u32 v8, v1, s20
	;; [unrolled: 1-line block ×3, first 2 shown]
	s_cmp_eq_u32 s6, 0
	v_add3_u32 v30, v5, v30, v3
	v_add3_u32 v2, v7, v2, v1
	;; [unrolled: 1-line block ×3, first 2 shown]
	s_cbranch_scc0 .LBB202_67
; %bb.68:
	s_bitcmp1_b32 s57, 0
	s_cselect_b64 s[6:7], -1, 0
	s_and_b64 vcc, exec, s[6:7]
	s_cbranch_vccnz .LBB202_70
; %bb.69:
	s_load_dwordx2 s[6:7], s[4:5], 0x18
	s_load_dword s10, s[4:5], 0x20
	s_load_dword s11, s[4:5], 0xe0
	s_load_dwordx2 s[8:9], s[4:5], 0xd8
	s_waitcnt lgkmcnt(0)
	v_mul_hi_u32 v1, s7, v0
	v_add_u32_e32 v1, v0, v1
	v_lshrrev_b32_e32 v1, s10, v1
	v_mul_lo_u32 v1, v1, s6
	v_sub_u32_e32 v0, v0, v1
	v_mad_u64_u32 v[30:31], s[4:5], v0, s8, v[30:31]
	v_mad_u64_u32 v[4:5], s[4:5], v0, s9, v[4:5]
	;; [unrolled: 1-line block ×3, first 2 shown]
.LBB202_70:
	s_cbranch_execz .LBB202_72
	s_branch .LBB202_74
.LBB202_71:
                                        ; implicit-def: $vgpr2
                                        ; implicit-def: $vgpr4
                                        ; implicit-def: $vgpr30
.LBB202_72:
	s_waitcnt lgkmcnt(0)
	v_mul_hi_u32 v0, s41, v64
	v_add_u32_e32 v0, v64, v0
	v_lshrrev_b32_e32 v0, s42, v0
	v_mul_lo_u32 v1, v0, s40
	v_sub_u32_e32 v1, v64, v1
	v_mul_lo_u32 v30, v1, s36
	v_mul_lo_u32 v2, v1, s38
	s_andn2_b64 vcc, exec, s[50:51]
	v_mul_lo_u32 v4, v1, s37
	s_cbranch_vccnz .LBB202_74
; %bb.73:
	v_mul_hi_u32 v1, s48, v0
	v_add_u32_e32 v1, v0, v1
	v_lshrrev_b32_e32 v1, s49, v1
	v_mul_lo_u32 v1, v1, s43
	v_sub_u32_e32 v0, v0, v1
	v_mad_u64_u32 v[30:31], s[4:5], v0, s39, v[30:31]
	v_mad_u64_u32 v[4:5], s[4:5], v0, s46, v[4:5]
	;; [unrolled: 1-line block ×3, first 2 shown]
.LBB202_74:
	s_waitcnt lgkmcnt(0)
	global_load_ushort v0, v4, s[26:27]
	global_load_ushort v1, v2, s[44:45]
	s_getpc_b64 s[4:5]
	s_add_u32 s4, s4, _ZZZZN2at6native33launch_standard_gamma_grad_kernelERNS_18TensorIteratorBaseEENKUlvE_clEvENKUlvE1_clEvENKUlN3c104HalfES6_E_clES6_S6_@rel32@lo+4
	s_addc_u32 s5, s5, _ZZZZN2at6native33launch_standard_gamma_grad_kernelERNS_18TensorIteratorBaseEENKUlvE_clEvENKUlvE1_clEvENKUlN3c104HalfES6_E_clES6_S6_@rel32@hi+12
	s_swappc_b64 s[30:31], s[4:5]
	v_add_u32_e32 v64, 0x80, v64
	global_store_short v30, v0, s[24:25]
	s_or_b64 exec, exec, s[54:55]
	v_cmp_gt_i32_e32 vcc, s58, v64
	s_and_saveexec_b64 s[54:55], vcc
	s_cbranch_execz .LBB202_8
.LBB202_75:
	s_andn2_b64 vcc, exec, s[28:29]
	s_cbranch_vccnz .LBB202_82
; %bb.76:
	s_andn2_b64 vcc, exec, s[52:53]
	v_mov_b32_e32 v2, 0
	v_mov_b32_e32 v4, 0
	;; [unrolled: 1-line block ×3, first 2 shown]
	s_cbranch_vccnz .LBB202_81
; %bb.77:
	s_add_i32 s4, s57, 1
	s_and_b32 s6, s4, 30
	s_add_u32 s4, s22, 0xffffffec
	s_addc_u32 s5, s23, -1
	v_mov_b32_e32 v30, 0
	v_mov_b32_e32 v0, v64
	;; [unrolled: 1-line block ×4, first 2 shown]
.LBB202_78:                             ; =>This Inner Loop Header: Depth=1
	s_mov_b64 s[16:17], s[4:5]
	s_load_dwordx4 s[8:11], s[16:17], 0x18
	s_load_dwordx2 s[18:19], s[16:17], 0x28
	s_load_dwordx2 s[20:21], s[16:17], 0xe8
	s_load_dwordx4 s[12:15], s[16:17], 0xd8
	s_add_u32 s4, s16, 24
	s_waitcnt lgkmcnt(0)
	v_mul_hi_u32 v1, s9, v0
	v_add_u32_e32 v1, v0, v1
	v_lshrrev_b32_e32 v1, s10, v1
	v_mul_lo_u32 v3, v1, s8
	v_mul_hi_u32 v5, s18, v1
	v_sub_u32_e32 v0, v0, v3
	v_add_u32_e32 v3, v1, v5
	v_mul_lo_u32 v5, v0, s12
	v_mul_lo_u32 v6, v0, s13
	;; [unrolled: 1-line block ×3, first 2 shown]
	v_lshrrev_b32_e32 v0, s19, v3
	v_mul_lo_u32 v3, v0, s11
	v_sub_u32_e32 v1, v1, v3
	s_addc_u32 s5, s17, 0
	s_add_i32 s6, s6, -2
	v_mul_lo_u32 v3, v1, s15
	v_mul_lo_u32 v8, v1, s20
	v_mul_lo_u32 v1, v1, s21
	s_cmp_eq_u32 s6, 0
	v_add3_u32 v30, v5, v30, v3
	v_add3_u32 v2, v7, v2, v1
	;; [unrolled: 1-line block ×3, first 2 shown]
	s_cbranch_scc0 .LBB202_78
; %bb.79:
	s_bitcmp1_b32 s57, 0
	s_cselect_b64 s[6:7], -1, 0
	s_and_b64 vcc, exec, s[6:7]
	s_cbranch_vccnz .LBB202_81
; %bb.80:
	s_load_dwordx2 s[6:7], s[4:5], 0x18
	s_load_dword s10, s[4:5], 0x20
	s_load_dword s11, s[4:5], 0xe0
	s_load_dwordx2 s[8:9], s[4:5], 0xd8
	s_waitcnt lgkmcnt(0)
	v_mul_hi_u32 v1, s7, v0
	v_add_u32_e32 v1, v0, v1
	v_lshrrev_b32_e32 v1, s10, v1
	v_mul_lo_u32 v1, v1, s6
	v_sub_u32_e32 v0, v0, v1
	v_mad_u64_u32 v[30:31], s[4:5], v0, s8, v[30:31]
	v_mad_u64_u32 v[4:5], s[4:5], v0, s9, v[4:5]
	v_mad_u64_u32 v[2:3], s[4:5], v0, s11, v[2:3]
.LBB202_81:
	s_cbranch_execz .LBB202_83
	s_branch .LBB202_85
.LBB202_82:
                                        ; implicit-def: $vgpr2
                                        ; implicit-def: $vgpr4
                                        ; implicit-def: $vgpr30
.LBB202_83:
	s_waitcnt lgkmcnt(0)
	v_mul_hi_u32 v0, s41, v64
	v_add_u32_e32 v0, v64, v0
	v_lshrrev_b32_e32 v0, s42, v0
	v_mul_lo_u32 v1, v0, s40
	v_sub_u32_e32 v1, v64, v1
	v_mul_lo_u32 v30, v1, s36
	v_mul_lo_u32 v2, v1, s38
	s_andn2_b64 vcc, exec, s[50:51]
	v_mul_lo_u32 v4, v1, s37
	s_cbranch_vccnz .LBB202_85
; %bb.84:
	v_mul_hi_u32 v1, s48, v0
	v_add_u32_e32 v1, v0, v1
	v_lshrrev_b32_e32 v1, s49, v1
	v_mul_lo_u32 v1, v1, s43
	v_sub_u32_e32 v0, v0, v1
	v_mad_u64_u32 v[30:31], s[4:5], v0, s39, v[30:31]
	v_mad_u64_u32 v[4:5], s[4:5], v0, s46, v[4:5]
	;; [unrolled: 1-line block ×3, first 2 shown]
.LBB202_85:
	s_waitcnt lgkmcnt(0)
	global_load_ushort v0, v4, s[26:27]
	global_load_ushort v1, v2, s[44:45]
	s_getpc_b64 s[4:5]
	s_add_u32 s4, s4, _ZZZZN2at6native33launch_standard_gamma_grad_kernelERNS_18TensorIteratorBaseEENKUlvE_clEvENKUlvE1_clEvENKUlN3c104HalfES6_E_clES6_S6_@rel32@lo+4
	s_addc_u32 s5, s5, _ZZZZN2at6native33launch_standard_gamma_grad_kernelERNS_18TensorIteratorBaseEENKUlvE_clEvENKUlvE1_clEvENKUlN3c104HalfES6_E_clES6_S6_@rel32@hi+12
	s_swappc_b64 s[30:31], s[4:5]
	v_add_u32_e32 v64, 0x80, v64
	global_store_short v30, v0, s[24:25]
	s_or_b64 exec, exec, s[54:55]
	v_cmp_gt_i32_e32 vcc, s58, v64
	s_and_saveexec_b64 s[54:55], vcc
	s_cbranch_execz .LBB202_97
.LBB202_86:
	s_andn2_b64 vcc, exec, s[28:29]
	s_cbranch_vccnz .LBB202_93
; %bb.87:
	s_andn2_b64 vcc, exec, s[52:53]
	v_mov_b32_e32 v2, 0
	v_mov_b32_e32 v4, 0
	;; [unrolled: 1-line block ×3, first 2 shown]
	s_cbranch_vccnz .LBB202_92
; %bb.88:
	s_add_i32 s4, s57, 1
	s_and_b32 s6, s4, 30
	s_add_u32 s4, s22, 0xffffffec
	s_addc_u32 s5, s23, -1
	v_mov_b32_e32 v30, 0
	v_mov_b32_e32 v0, v64
	v_mov_b32_e32 v4, 0
	v_mov_b32_e32 v2, 0
.LBB202_89:                             ; =>This Inner Loop Header: Depth=1
	s_mov_b64 s[16:17], s[4:5]
	s_load_dwordx4 s[8:11], s[16:17], 0x18
	s_load_dwordx2 s[18:19], s[16:17], 0x28
	s_load_dwordx2 s[20:21], s[16:17], 0xe8
	s_load_dwordx4 s[12:15], s[16:17], 0xd8
	s_add_u32 s4, s16, 24
	s_waitcnt lgkmcnt(0)
	v_mul_hi_u32 v1, s9, v0
	v_add_u32_e32 v1, v0, v1
	v_lshrrev_b32_e32 v1, s10, v1
	v_mul_lo_u32 v3, v1, s8
	v_mul_hi_u32 v5, s18, v1
	v_sub_u32_e32 v0, v0, v3
	v_add_u32_e32 v3, v1, v5
	v_mul_lo_u32 v5, v0, s12
	v_mul_lo_u32 v6, v0, s13
	;; [unrolled: 1-line block ×3, first 2 shown]
	v_lshrrev_b32_e32 v0, s19, v3
	v_mul_lo_u32 v3, v0, s11
	v_sub_u32_e32 v1, v1, v3
	s_addc_u32 s5, s17, 0
	s_add_i32 s6, s6, -2
	v_mul_lo_u32 v3, v1, s15
	v_mul_lo_u32 v8, v1, s20
	;; [unrolled: 1-line block ×3, first 2 shown]
	s_cmp_eq_u32 s6, 0
	v_add3_u32 v30, v5, v30, v3
	v_add3_u32 v2, v7, v2, v1
	;; [unrolled: 1-line block ×3, first 2 shown]
	s_cbranch_scc0 .LBB202_89
; %bb.90:
	s_bitcmp1_b32 s57, 0
	s_cselect_b64 s[6:7], -1, 0
	s_and_b64 vcc, exec, s[6:7]
	s_cbranch_vccnz .LBB202_92
; %bb.91:
	s_load_dwordx2 s[6:7], s[4:5], 0x18
	s_load_dword s10, s[4:5], 0x20
	s_load_dword s11, s[4:5], 0xe0
	s_load_dwordx2 s[8:9], s[4:5], 0xd8
	s_waitcnt lgkmcnt(0)
	v_mul_hi_u32 v1, s7, v0
	v_add_u32_e32 v1, v0, v1
	v_lshrrev_b32_e32 v1, s10, v1
	v_mul_lo_u32 v1, v1, s6
	v_sub_u32_e32 v0, v0, v1
	v_mad_u64_u32 v[30:31], s[4:5], v0, s8, v[30:31]
	v_mad_u64_u32 v[4:5], s[4:5], v0, s9, v[4:5]
	;; [unrolled: 1-line block ×3, first 2 shown]
.LBB202_92:
	s_cbranch_execz .LBB202_94
	s_branch .LBB202_96
.LBB202_93:
                                        ; implicit-def: $vgpr2
                                        ; implicit-def: $vgpr4
                                        ; implicit-def: $vgpr30
.LBB202_94:
	s_waitcnt lgkmcnt(0)
	v_mul_hi_u32 v0, s41, v64
	v_add_u32_e32 v0, v64, v0
	v_lshrrev_b32_e32 v0, s42, v0
	v_mul_lo_u32 v1, v0, s40
	v_sub_u32_e32 v1, v64, v1
	v_mul_lo_u32 v30, v1, s36
	v_mul_lo_u32 v2, v1, s38
	s_andn2_b64 vcc, exec, s[50:51]
	v_mul_lo_u32 v4, v1, s37
	s_cbranch_vccnz .LBB202_96
; %bb.95:
	v_mul_hi_u32 v1, s48, v0
	v_add_u32_e32 v1, v0, v1
	v_lshrrev_b32_e32 v1, s49, v1
	v_mul_lo_u32 v1, v1, s43
	v_sub_u32_e32 v0, v0, v1
	v_mad_u64_u32 v[30:31], s[4:5], v0, s39, v[30:31]
	v_mad_u64_u32 v[4:5], s[4:5], v0, s46, v[4:5]
	;; [unrolled: 1-line block ×3, first 2 shown]
.LBB202_96:
	s_waitcnt lgkmcnt(0)
	global_load_ushort v0, v4, s[26:27]
	global_load_ushort v1, v2, s[44:45]
	s_getpc_b64 s[4:5]
	s_add_u32 s4, s4, _ZZZZN2at6native33launch_standard_gamma_grad_kernelERNS_18TensorIteratorBaseEENKUlvE_clEvENKUlvE1_clEvENKUlN3c104HalfES6_E_clES6_S6_@rel32@lo+4
	s_addc_u32 s5, s5, _ZZZZN2at6native33launch_standard_gamma_grad_kernelERNS_18TensorIteratorBaseEENKUlvE_clEvENKUlvE1_clEvENKUlN3c104HalfES6_E_clES6_S6_@rel32@hi+12
	s_swappc_b64 s[30:31], s[4:5]
	global_store_short v30, v0, s[24:25]
.LBB202_97:
	s_or_b64 exec, exec, s[54:55]
                                        ; implicit-def: $vgpr0
                                        ; implicit-def: $vgpr64
.LBB202_98:
	s_andn2_saveexec_b64 s[4:5], s[34:35]
	s_cbranch_execz .LBB202_105
; %bb.99:
	v_cndmask_b32_e64 v1, 0, 1, s[28:29]
	v_cmp_ne_u32_e64 s[4:5], 1, v1
	s_andn2_b64 vcc, exec, s[28:29]
	s_cbranch_vccnz .LBB202_106
; %bb.100:
	s_cmp_lg_u32 s33, 0
	v_mov_b32_e32 v2, 0
	v_mov_b32_e32 v4, 0
	;; [unrolled: 1-line block ×3, first 2 shown]
	s_cbranch_scc0 .LBB202_107
; %bb.101:
	s_min_u32 s8, s56, 15
	s_add_i32 s6, s8, 1
	s_and_b32 s9, s6, 30
	s_add_u32 s6, s22, 0xffffffec
	s_addc_u32 s7, s23, -1
	v_mov_b32_e32 v38, 0
	v_mov_b32_e32 v1, v64
	;; [unrolled: 1-line block ×4, first 2 shown]
.LBB202_102:                            ; =>This Inner Loop Header: Depth=1
	s_mov_b64 s[10:11], s[6:7]
	s_load_dwordx4 s[12:15], s[10:11], 0x18
	s_load_dwordx2 s[20:21], s[10:11], 0x28
	s_waitcnt lgkmcnt(0)
	s_load_dwordx2 s[24:25], s[10:11], 0xe8
	s_load_dwordx4 s[16:19], s[10:11], 0xd8
	s_add_u32 s6, s10, 24
	v_mul_hi_u32 v3, s13, v1
	v_add_u32_e32 v3, v1, v3
	v_lshrrev_b32_e32 v3, s14, v3
	v_mul_lo_u32 v5, v3, s12
	v_mul_hi_u32 v6, s20, v3
	v_sub_u32_e32 v1, v1, v5
	v_add_u32_e32 v5, v3, v6
	s_waitcnt lgkmcnt(0)
	v_mul_lo_u32 v6, v1, s16
	v_mul_lo_u32 v7, v1, s17
	v_mul_lo_u32 v8, v1, s18
	v_lshrrev_b32_e32 v1, s21, v5
	v_mul_lo_u32 v5, v1, s15
	v_sub_u32_e32 v3, v3, v5
	s_addc_u32 s7, s11, 0
	s_add_i32 s9, s9, -2
	v_mul_lo_u32 v5, v3, s19
	v_mul_lo_u32 v9, v3, s24
	;; [unrolled: 1-line block ×3, first 2 shown]
	s_cmp_lg_u32 s9, 0
	v_add3_u32 v38, v6, v38, v5
	v_add3_u32 v2, v8, v2, v3
	v_add3_u32 v4, v7, v4, v9
	s_cbranch_scc1 .LBB202_102
; %bb.103:
	s_bitcmp1_b32 s8, 0
	s_cselect_b64 s[8:9], -1, 0
	s_and_b64 vcc, exec, s[8:9]
	s_cbranch_vccnz .LBB202_107
; %bb.104:
	s_load_dwordx2 s[8:9], s[6:7], 0x18
	s_load_dword s12, s[6:7], 0x20
	s_load_dword s13, s[6:7], 0xe0
	s_load_dwordx2 s[10:11], s[6:7], 0xd8
	s_waitcnt lgkmcnt(0)
	v_mul_hi_u32 v3, s9, v1
	v_add_u32_e32 v3, v1, v3
	v_lshrrev_b32_e32 v3, s12, v3
	v_mul_lo_u32 v3, v3, s8
	v_sub_u32_e32 v1, v1, v3
	v_mad_u64_u32 v[38:39], s[6:7], v1, s10, v[38:39]
	v_mad_u64_u32 v[4:5], s[6:7], v1, s11, v[4:5]
	v_mad_u64_u32 v[2:3], s[6:7], v1, s13, v[2:3]
	s_cbranch_execz .LBB202_108
	s_branch .LBB202_110
.LBB202_105:
	s_endpgm
.LBB202_106:
                                        ; implicit-def: $vgpr2
                                        ; implicit-def: $vgpr4
                                        ; implicit-def: $vgpr38
	s_branch .LBB202_108
.LBB202_107:
	s_cbranch_execnz .LBB202_110
.LBB202_108:
	s_load_dwordx4 s[8:11], s[22:23], 0x4
	s_load_dwordx4 s[12:15], s[22:23], 0xc4
	s_cmp_lt_u32 s33, 2
	s_waitcnt lgkmcnt(0)
	v_mul_hi_u32 v1, s9, v64
	v_add_u32_e32 v1, v64, v1
	v_lshrrev_b32_e32 v1, s10, v1
	v_mul_lo_u32 v2, v1, s8
	v_sub_u32_e32 v3, v64, v2
	v_mul_lo_u32 v38, v3, s12
	v_mul_lo_u32 v2, v3, s14
	;; [unrolled: 1-line block ×3, first 2 shown]
	s_cbranch_scc1 .LBB202_110
; %bb.109:
	s_load_dwordx4 s[8:11], s[22:23], 0x10
	s_load_dwordx4 s[12:15], s[22:23], 0xd0
	s_waitcnt lgkmcnt(0)
	v_mul_hi_u32 v3, s9, v1
	v_add_u32_e32 v3, v1, v3
	v_lshrrev_b32_e32 v3, s10, v3
	v_mul_lo_u32 v3, v3, s8
	v_sub_u32_e32 v1, v1, v3
	v_mad_u64_u32 v[38:39], s[6:7], v1, s12, v[38:39]
	v_mad_u64_u32 v[4:5], s[6:7], v1, s13, v[4:5]
	;; [unrolled: 1-line block ×3, first 2 shown]
.LBB202_110:
	s_and_b64 vcc, exec, s[4:5]
	v_add_u32_e32 v1, 0x80, v64
	s_cbranch_vccnz .LBB202_116
; %bb.111:
	s_cmp_lg_u32 s33, 0
	v_mov_b32_e32 v32, 0
	v_mov_b32_e32 v34, 0
	;; [unrolled: 1-line block ×3, first 2 shown]
	s_cbranch_scc0 .LBB202_117
; %bb.112:
	s_min_u32 s8, s56, 15
	s_add_i32 s6, s8, 1
	s_and_b32 s9, s6, 30
	s_add_u32 s6, s22, 0xffffffec
	s_addc_u32 s7, s23, -1
	v_mov_b32_e32 v40, 0
	v_mov_b32_e32 v3, v1
	;; [unrolled: 1-line block ×4, first 2 shown]
.LBB202_113:                            ; =>This Inner Loop Header: Depth=1
	s_mov_b64 s[10:11], s[6:7]
	s_load_dwordx4 s[12:15], s[10:11], 0x18
	s_load_dwordx2 s[20:21], s[10:11], 0x28
	s_waitcnt lgkmcnt(0)
	s_load_dwordx2 s[24:25], s[10:11], 0xe8
	s_load_dwordx4 s[16:19], s[10:11], 0xd8
	s_add_u32 s6, s10, 24
	v_mul_hi_u32 v5, s13, v3
	v_add_u32_e32 v5, v3, v5
	v_lshrrev_b32_e32 v5, s14, v5
	v_mul_lo_u32 v6, v5, s12
	v_mul_hi_u32 v7, s20, v5
	v_sub_u32_e32 v3, v3, v6
	v_add_u32_e32 v6, v5, v7
	s_waitcnt lgkmcnt(0)
	v_mul_lo_u32 v7, v3, s16
	v_mul_lo_u32 v8, v3, s17
	v_mul_lo_u32 v9, v3, s18
	v_lshrrev_b32_e32 v3, s21, v6
	v_mul_lo_u32 v6, v3, s15
	v_sub_u32_e32 v5, v5, v6
	s_addc_u32 s7, s11, 0
	s_add_i32 s9, s9, -2
	v_mul_lo_u32 v6, v5, s19
	v_mul_lo_u32 v10, v5, s24
	;; [unrolled: 1-line block ×3, first 2 shown]
	s_cmp_lg_u32 s9, 0
	v_add3_u32 v40, v7, v40, v6
	v_add3_u32 v32, v9, v32, v5
	;; [unrolled: 1-line block ×3, first 2 shown]
	s_cbranch_scc1 .LBB202_113
; %bb.114:
	s_bitcmp1_b32 s8, 0
	s_cselect_b64 s[8:9], -1, 0
	s_and_b64 vcc, exec, s[8:9]
	s_cbranch_vccnz .LBB202_117
; %bb.115:
	s_load_dwordx2 s[8:9], s[6:7], 0x18
	s_load_dword s12, s[6:7], 0x20
	s_load_dword s13, s[6:7], 0xe0
	s_load_dwordx2 s[10:11], s[6:7], 0xd8
	s_waitcnt lgkmcnt(0)
	v_mul_hi_u32 v5, s9, v3
	v_add_u32_e32 v5, v3, v5
	v_lshrrev_b32_e32 v5, s12, v5
	v_mul_lo_u32 v5, v5, s8
	v_sub_u32_e32 v3, v3, v5
	v_mad_u64_u32 v[40:41], s[6:7], v3, s10, v[40:41]
	v_mad_u64_u32 v[34:35], s[6:7], v3, s11, v[34:35]
	;; [unrolled: 1-line block ×3, first 2 shown]
	s_cbranch_execz .LBB202_118
	s_branch .LBB202_120
.LBB202_116:
                                        ; implicit-def: $vgpr32
                                        ; implicit-def: $vgpr34
                                        ; implicit-def: $vgpr40
	s_branch .LBB202_118
.LBB202_117:
	s_cbranch_execnz .LBB202_120
.LBB202_118:
	s_load_dwordx4 s[8:11], s[22:23], 0x4
	s_load_dwordx4 s[12:15], s[22:23], 0xc4
	s_cmp_lt_u32 s33, 2
	s_waitcnt lgkmcnt(0)
	v_mul_hi_u32 v3, s9, v1
	v_add_u32_e32 v3, v1, v3
	v_lshrrev_b32_e32 v3, s10, v3
	v_mul_lo_u32 v5, v3, s8
	v_sub_u32_e32 v1, v1, v5
	v_mul_lo_u32 v40, v1, s12
	v_mul_lo_u32 v32, v1, s14
	;; [unrolled: 1-line block ×3, first 2 shown]
	s_cbranch_scc1 .LBB202_120
; %bb.119:
	s_load_dwordx4 s[8:11], s[22:23], 0x10
	s_load_dwordx4 s[12:15], s[22:23], 0xd0
	s_waitcnt lgkmcnt(0)
	v_mul_hi_u32 v1, s9, v3
	v_add_u32_e32 v1, v3, v1
	v_lshrrev_b32_e32 v1, s10, v1
	v_mul_lo_u32 v1, v1, s8
	v_sub_u32_e32 v1, v3, v1
	v_mad_u64_u32 v[40:41], s[6:7], v1, s12, v[40:41]
	v_mad_u64_u32 v[34:35], s[6:7], v1, s13, v[34:35]
	;; [unrolled: 1-line block ×3, first 2 shown]
.LBB202_120:
	s_and_b64 vcc, exec, s[4:5]
	v_add_u32_e32 v1, 0x100, v64
	s_cbranch_vccnz .LBB202_126
; %bb.121:
	s_cmp_lg_u32 s33, 0
	v_mov_b32_e32 v36, 0
	v_mov_b32_e32 v44, 0
	;; [unrolled: 1-line block ×3, first 2 shown]
	s_cbranch_scc0 .LBB202_127
; %bb.122:
	s_min_u32 s8, s56, 15
	s_add_i32 s6, s8, 1
	s_and_b32 s9, s6, 30
	s_add_u32 s6, s22, 0xffffffec
	s_addc_u32 s7, s23, -1
	v_mov_b32_e32 v42, 0
	v_mov_b32_e32 v3, v1
	;; [unrolled: 1-line block ×4, first 2 shown]
.LBB202_123:                            ; =>This Inner Loop Header: Depth=1
	s_mov_b64 s[10:11], s[6:7]
	s_load_dwordx4 s[12:15], s[10:11], 0x18
	s_load_dwordx2 s[20:21], s[10:11], 0x28
	s_waitcnt lgkmcnt(0)
	s_load_dwordx2 s[24:25], s[10:11], 0xe8
	s_load_dwordx4 s[16:19], s[10:11], 0xd8
	s_add_u32 s6, s10, 24
	v_mul_hi_u32 v5, s13, v3
	v_add_u32_e32 v5, v3, v5
	v_lshrrev_b32_e32 v5, s14, v5
	v_mul_lo_u32 v6, v5, s12
	v_mul_hi_u32 v7, s20, v5
	v_sub_u32_e32 v3, v3, v6
	v_add_u32_e32 v6, v5, v7
	s_waitcnt lgkmcnt(0)
	v_mul_lo_u32 v7, v3, s16
	v_mul_lo_u32 v8, v3, s17
	;; [unrolled: 1-line block ×3, first 2 shown]
	v_lshrrev_b32_e32 v3, s21, v6
	v_mul_lo_u32 v6, v3, s15
	v_sub_u32_e32 v5, v5, v6
	s_addc_u32 s7, s11, 0
	s_add_i32 s9, s9, -2
	v_mul_lo_u32 v6, v5, s19
	v_mul_lo_u32 v10, v5, s24
	;; [unrolled: 1-line block ×3, first 2 shown]
	s_cmp_lg_u32 s9, 0
	v_add3_u32 v42, v7, v42, v6
	v_add3_u32 v36, v9, v36, v5
	;; [unrolled: 1-line block ×3, first 2 shown]
	s_cbranch_scc1 .LBB202_123
; %bb.124:
	s_bitcmp1_b32 s8, 0
	s_cselect_b64 s[8:9], -1, 0
	s_and_b64 vcc, exec, s[8:9]
	s_cbranch_vccnz .LBB202_127
; %bb.125:
	s_load_dwordx2 s[8:9], s[6:7], 0x18
	s_load_dword s12, s[6:7], 0x20
	s_load_dword s13, s[6:7], 0xe0
	s_load_dwordx2 s[10:11], s[6:7], 0xd8
	s_waitcnt lgkmcnt(0)
	v_mul_hi_u32 v5, s9, v3
	v_add_u32_e32 v5, v3, v5
	v_lshrrev_b32_e32 v5, s12, v5
	v_mul_lo_u32 v5, v5, s8
	v_sub_u32_e32 v3, v3, v5
	v_mad_u64_u32 v[42:43], s[6:7], v3, s10, v[42:43]
	v_mad_u64_u32 v[44:45], s[6:7], v3, s11, v[44:45]
	;; [unrolled: 1-line block ×3, first 2 shown]
	s_cbranch_execz .LBB202_128
	s_branch .LBB202_130
.LBB202_126:
                                        ; implicit-def: $vgpr36
                                        ; implicit-def: $vgpr44
                                        ; implicit-def: $vgpr42
	s_branch .LBB202_128
.LBB202_127:
	s_cbranch_execnz .LBB202_130
.LBB202_128:
	s_load_dwordx4 s[8:11], s[22:23], 0x4
	s_load_dwordx4 s[12:15], s[22:23], 0xc4
	s_cmp_lt_u32 s33, 2
	s_waitcnt lgkmcnt(0)
	v_mul_hi_u32 v3, s9, v1
	v_add_u32_e32 v3, v1, v3
	v_lshrrev_b32_e32 v3, s10, v3
	v_mul_lo_u32 v5, v3, s8
	v_sub_u32_e32 v1, v1, v5
	v_mul_lo_u32 v42, v1, s12
	v_mul_lo_u32 v36, v1, s14
	;; [unrolled: 1-line block ×3, first 2 shown]
	s_cbranch_scc1 .LBB202_130
; %bb.129:
	s_load_dwordx4 s[8:11], s[22:23], 0x10
	s_load_dwordx4 s[12:15], s[22:23], 0xd0
	s_waitcnt lgkmcnt(0)
	v_mul_hi_u32 v1, s9, v3
	v_add_u32_e32 v1, v3, v1
	v_lshrrev_b32_e32 v1, s10, v1
	v_mul_lo_u32 v1, v1, s8
	v_sub_u32_e32 v1, v3, v1
	v_mad_u64_u32 v[42:43], s[6:7], v1, s12, v[42:43]
	v_mad_u64_u32 v[44:45], s[6:7], v1, s13, v[44:45]
	;; [unrolled: 1-line block ×3, first 2 shown]
.LBB202_130:
	s_and_b64 vcc, exec, s[4:5]
	v_add_u32_e32 v1, 0x180, v64
	s_cbranch_vccnz .LBB202_136
; %bb.131:
	s_cmp_lg_u32 s33, 0
	v_mov_b32_e32 v48, 0
	v_mov_b32_e32 v50, 0
	;; [unrolled: 1-line block ×3, first 2 shown]
	s_cbranch_scc0 .LBB202_137
; %bb.132:
	s_min_u32 s8, s56, 15
	s_add_i32 s6, s8, 1
	s_and_b32 s9, s6, 30
	s_add_u32 s6, s22, 0xffffffec
	s_addc_u32 s7, s23, -1
	v_mov_b32_e32 v46, 0
	v_mov_b32_e32 v3, v1
	;; [unrolled: 1-line block ×4, first 2 shown]
.LBB202_133:                            ; =>This Inner Loop Header: Depth=1
	s_mov_b64 s[10:11], s[6:7]
	s_load_dwordx4 s[12:15], s[10:11], 0x18
	s_load_dwordx2 s[20:21], s[10:11], 0x28
	s_waitcnt lgkmcnt(0)
	s_load_dwordx2 s[24:25], s[10:11], 0xe8
	s_load_dwordx4 s[16:19], s[10:11], 0xd8
	s_add_u32 s6, s10, 24
	v_mul_hi_u32 v5, s13, v3
	v_add_u32_e32 v5, v3, v5
	v_lshrrev_b32_e32 v5, s14, v5
	v_mul_lo_u32 v6, v5, s12
	v_mul_hi_u32 v7, s20, v5
	v_sub_u32_e32 v3, v3, v6
	v_add_u32_e32 v6, v5, v7
	s_waitcnt lgkmcnt(0)
	v_mul_lo_u32 v7, v3, s16
	v_mul_lo_u32 v8, v3, s17
	;; [unrolled: 1-line block ×3, first 2 shown]
	v_lshrrev_b32_e32 v3, s21, v6
	v_mul_lo_u32 v6, v3, s15
	v_sub_u32_e32 v5, v5, v6
	s_addc_u32 s7, s11, 0
	s_add_i32 s9, s9, -2
	v_mul_lo_u32 v6, v5, s19
	v_mul_lo_u32 v10, v5, s24
	;; [unrolled: 1-line block ×3, first 2 shown]
	s_cmp_lg_u32 s9, 0
	v_add3_u32 v46, v7, v46, v6
	v_add3_u32 v48, v9, v48, v5
	;; [unrolled: 1-line block ×3, first 2 shown]
	s_cbranch_scc1 .LBB202_133
; %bb.134:
	s_bitcmp1_b32 s8, 0
	s_cselect_b64 s[8:9], -1, 0
	s_and_b64 vcc, exec, s[8:9]
	s_cbranch_vccnz .LBB202_137
; %bb.135:
	s_load_dwordx2 s[8:9], s[6:7], 0x18
	s_load_dword s12, s[6:7], 0x20
	s_load_dword s13, s[6:7], 0xe0
	s_load_dwordx2 s[10:11], s[6:7], 0xd8
	s_waitcnt lgkmcnt(0)
	v_mul_hi_u32 v5, s9, v3
	v_add_u32_e32 v5, v3, v5
	v_lshrrev_b32_e32 v5, s12, v5
	v_mul_lo_u32 v5, v5, s8
	v_sub_u32_e32 v3, v3, v5
	v_mad_u64_u32 v[46:47], s[6:7], v3, s10, v[46:47]
	v_mad_u64_u32 v[50:51], s[6:7], v3, s11, v[50:51]
	;; [unrolled: 1-line block ×3, first 2 shown]
	s_cbranch_execz .LBB202_138
	s_branch .LBB202_140
.LBB202_136:
                                        ; implicit-def: $vgpr48
                                        ; implicit-def: $vgpr50
                                        ; implicit-def: $vgpr46
	s_branch .LBB202_138
.LBB202_137:
	s_cbranch_execnz .LBB202_140
.LBB202_138:
	s_load_dwordx4 s[8:11], s[22:23], 0x4
	s_load_dwordx4 s[12:15], s[22:23], 0xc4
	s_cmp_lt_u32 s33, 2
	s_waitcnt lgkmcnt(0)
	v_mul_hi_u32 v3, s9, v1
	v_add_u32_e32 v3, v1, v3
	v_lshrrev_b32_e32 v3, s10, v3
	v_mul_lo_u32 v5, v3, s8
	v_sub_u32_e32 v1, v1, v5
	v_mul_lo_u32 v46, v1, s12
	v_mul_lo_u32 v48, v1, s14
	v_mul_lo_u32 v50, v1, s13
	s_cbranch_scc1 .LBB202_140
; %bb.139:
	s_load_dwordx4 s[8:11], s[22:23], 0x10
	s_load_dwordx4 s[12:15], s[22:23], 0xd0
	s_waitcnt lgkmcnt(0)
	v_mul_hi_u32 v1, s9, v3
	v_add_u32_e32 v1, v3, v1
	v_lshrrev_b32_e32 v1, s10, v1
	v_mul_lo_u32 v1, v1, s8
	v_sub_u32_e32 v1, v3, v1
	v_mad_u64_u32 v[46:47], s[6:7], v1, s12, v[46:47]
	v_mad_u64_u32 v[50:51], s[6:7], v1, s13, v[50:51]
	;; [unrolled: 1-line block ×3, first 2 shown]
.LBB202_140:
	s_and_b64 vcc, exec, s[4:5]
	v_add_u32_e32 v1, 0x200, v64
	s_cbranch_vccnz .LBB202_146
; %bb.141:
	s_cmp_lg_u32 s33, 0
	v_mov_b32_e32 v54, 0
	v_mov_b32_e32 v56, 0
	;; [unrolled: 1-line block ×3, first 2 shown]
	s_cbranch_scc0 .LBB202_147
; %bb.142:
	s_min_u32 s8, s56, 15
	s_add_i32 s6, s8, 1
	s_and_b32 s9, s6, 30
	s_add_u32 s6, s22, 0xffffffec
	s_addc_u32 s7, s23, -1
	v_mov_b32_e32 v52, 0
	v_mov_b32_e32 v3, v1
	;; [unrolled: 1-line block ×4, first 2 shown]
.LBB202_143:                            ; =>This Inner Loop Header: Depth=1
	s_mov_b64 s[10:11], s[6:7]
	s_load_dwordx4 s[12:15], s[10:11], 0x18
	s_load_dwordx2 s[20:21], s[10:11], 0x28
	s_waitcnt lgkmcnt(0)
	s_load_dwordx2 s[24:25], s[10:11], 0xe8
	s_load_dwordx4 s[16:19], s[10:11], 0xd8
	s_add_u32 s6, s10, 24
	v_mul_hi_u32 v5, s13, v3
	v_add_u32_e32 v5, v3, v5
	v_lshrrev_b32_e32 v5, s14, v5
	v_mul_lo_u32 v6, v5, s12
	v_mul_hi_u32 v7, s20, v5
	v_sub_u32_e32 v3, v3, v6
	v_add_u32_e32 v6, v5, v7
	s_waitcnt lgkmcnt(0)
	v_mul_lo_u32 v7, v3, s16
	v_mul_lo_u32 v8, v3, s17
	;; [unrolled: 1-line block ×3, first 2 shown]
	v_lshrrev_b32_e32 v3, s21, v6
	v_mul_lo_u32 v6, v3, s15
	v_sub_u32_e32 v5, v5, v6
	s_addc_u32 s7, s11, 0
	s_add_i32 s9, s9, -2
	v_mul_lo_u32 v6, v5, s19
	v_mul_lo_u32 v10, v5, s24
	;; [unrolled: 1-line block ×3, first 2 shown]
	s_cmp_lg_u32 s9, 0
	v_add3_u32 v52, v7, v52, v6
	v_add3_u32 v54, v9, v54, v5
	;; [unrolled: 1-line block ×3, first 2 shown]
	s_cbranch_scc1 .LBB202_143
; %bb.144:
	s_bitcmp1_b32 s8, 0
	s_cselect_b64 s[8:9], -1, 0
	s_and_b64 vcc, exec, s[8:9]
	s_cbranch_vccnz .LBB202_147
; %bb.145:
	s_load_dwordx2 s[8:9], s[6:7], 0x18
	s_load_dword s12, s[6:7], 0x20
	s_load_dword s13, s[6:7], 0xe0
	s_load_dwordx2 s[10:11], s[6:7], 0xd8
	s_waitcnt lgkmcnt(0)
	v_mul_hi_u32 v5, s9, v3
	v_add_u32_e32 v5, v3, v5
	v_lshrrev_b32_e32 v5, s12, v5
	v_mul_lo_u32 v5, v5, s8
	v_sub_u32_e32 v3, v3, v5
	v_mad_u64_u32 v[52:53], s[6:7], v3, s10, v[52:53]
	v_mad_u64_u32 v[56:57], s[6:7], v3, s11, v[56:57]
	;; [unrolled: 1-line block ×3, first 2 shown]
	s_cbranch_execz .LBB202_148
	s_branch .LBB202_150
.LBB202_146:
                                        ; implicit-def: $vgpr54
                                        ; implicit-def: $vgpr56
                                        ; implicit-def: $vgpr52
	s_branch .LBB202_148
.LBB202_147:
	s_cbranch_execnz .LBB202_150
.LBB202_148:
	s_load_dwordx4 s[8:11], s[22:23], 0x4
	s_load_dwordx4 s[12:15], s[22:23], 0xc4
	s_cmp_lt_u32 s33, 2
	s_waitcnt lgkmcnt(0)
	v_mul_hi_u32 v3, s9, v1
	v_add_u32_e32 v3, v1, v3
	v_lshrrev_b32_e32 v3, s10, v3
	v_mul_lo_u32 v5, v3, s8
	v_sub_u32_e32 v1, v1, v5
	v_mul_lo_u32 v52, v1, s12
	v_mul_lo_u32 v54, v1, s14
	;; [unrolled: 1-line block ×3, first 2 shown]
	s_cbranch_scc1 .LBB202_150
; %bb.149:
	s_load_dwordx4 s[8:11], s[22:23], 0x10
	s_load_dwordx4 s[12:15], s[22:23], 0xd0
	s_waitcnt lgkmcnt(0)
	v_mul_hi_u32 v1, s9, v3
	v_add_u32_e32 v1, v3, v1
	v_lshrrev_b32_e32 v1, s10, v1
	v_mul_lo_u32 v1, v1, s8
	v_sub_u32_e32 v1, v3, v1
	v_mad_u64_u32 v[52:53], s[6:7], v1, s12, v[52:53]
	v_mad_u64_u32 v[56:57], s[6:7], v1, s13, v[56:57]
	;; [unrolled: 1-line block ×3, first 2 shown]
.LBB202_150:
	s_and_b64 vcc, exec, s[4:5]
	v_add_u32_e32 v1, 0x280, v64
	s_cbranch_vccnz .LBB202_156
; %bb.151:
	s_cmp_lg_u32 s33, 0
	v_mov_b32_e32 v60, 0
	v_mov_b32_e32 v62, 0
	;; [unrolled: 1-line block ×3, first 2 shown]
	s_cbranch_scc0 .LBB202_157
; %bb.152:
	s_min_u32 s8, s56, 15
	s_add_i32 s6, s8, 1
	s_and_b32 s9, s6, 30
	s_add_u32 s6, s22, 0xffffffec
	s_addc_u32 s7, s23, -1
	v_mov_b32_e32 v58, 0
	v_mov_b32_e32 v3, v1
	;; [unrolled: 1-line block ×4, first 2 shown]
.LBB202_153:                            ; =>This Inner Loop Header: Depth=1
	s_mov_b64 s[10:11], s[6:7]
	s_load_dwordx4 s[12:15], s[10:11], 0x18
	s_load_dwordx2 s[20:21], s[10:11], 0x28
	s_waitcnt lgkmcnt(0)
	s_load_dwordx2 s[24:25], s[10:11], 0xe8
	s_load_dwordx4 s[16:19], s[10:11], 0xd8
	s_add_u32 s6, s10, 24
	v_mul_hi_u32 v5, s13, v3
	v_add_u32_e32 v5, v3, v5
	v_lshrrev_b32_e32 v5, s14, v5
	v_mul_lo_u32 v6, v5, s12
	v_mul_hi_u32 v7, s20, v5
	v_sub_u32_e32 v3, v3, v6
	v_add_u32_e32 v6, v5, v7
	s_waitcnt lgkmcnt(0)
	v_mul_lo_u32 v7, v3, s16
	v_mul_lo_u32 v8, v3, s17
	;; [unrolled: 1-line block ×3, first 2 shown]
	v_lshrrev_b32_e32 v3, s21, v6
	v_mul_lo_u32 v6, v3, s15
	v_sub_u32_e32 v5, v5, v6
	s_addc_u32 s7, s11, 0
	s_add_i32 s9, s9, -2
	v_mul_lo_u32 v6, v5, s19
	v_mul_lo_u32 v10, v5, s24
	;; [unrolled: 1-line block ×3, first 2 shown]
	s_cmp_lg_u32 s9, 0
	v_add3_u32 v58, v7, v58, v6
	v_add3_u32 v60, v9, v60, v5
	;; [unrolled: 1-line block ×3, first 2 shown]
	s_cbranch_scc1 .LBB202_153
; %bb.154:
	s_bitcmp1_b32 s8, 0
	s_cselect_b64 s[8:9], -1, 0
	s_and_b64 vcc, exec, s[8:9]
	s_cbranch_vccnz .LBB202_157
; %bb.155:
	s_load_dwordx2 s[8:9], s[6:7], 0x18
	s_load_dword s12, s[6:7], 0x20
	s_load_dword s13, s[6:7], 0xe0
	s_load_dwordx2 s[10:11], s[6:7], 0xd8
	s_waitcnt lgkmcnt(0)
	v_mul_hi_u32 v5, s9, v3
	v_add_u32_e32 v5, v3, v5
	v_lshrrev_b32_e32 v5, s12, v5
	v_mul_lo_u32 v5, v5, s8
	v_sub_u32_e32 v3, v3, v5
	v_mad_u64_u32 v[58:59], s[6:7], v3, s10, v[58:59]
	v_mad_u64_u32 v[62:63], s[6:7], v3, s11, v[62:63]
	;; [unrolled: 1-line block ×3, first 2 shown]
	s_cbranch_execz .LBB202_158
	s_branch .LBB202_160
.LBB202_156:
                                        ; implicit-def: $vgpr60
                                        ; implicit-def: $vgpr62
                                        ; implicit-def: $vgpr58
	s_branch .LBB202_158
.LBB202_157:
	s_cbranch_execnz .LBB202_160
.LBB202_158:
	s_load_dwordx4 s[8:11], s[22:23], 0x4
	s_load_dwordx4 s[12:15], s[22:23], 0xc4
	s_cmp_lt_u32 s33, 2
	s_waitcnt lgkmcnt(0)
	v_mul_hi_u32 v3, s9, v1
	v_add_u32_e32 v3, v1, v3
	v_lshrrev_b32_e32 v3, s10, v3
	v_mul_lo_u32 v5, v3, s8
	v_sub_u32_e32 v1, v1, v5
	v_mul_lo_u32 v58, v1, s12
	v_mul_lo_u32 v60, v1, s14
	;; [unrolled: 1-line block ×3, first 2 shown]
	s_cbranch_scc1 .LBB202_160
; %bb.159:
	s_load_dwordx4 s[8:11], s[22:23], 0x10
	s_load_dwordx4 s[12:15], s[22:23], 0xd0
	s_waitcnt lgkmcnt(0)
	v_mul_hi_u32 v1, s9, v3
	v_add_u32_e32 v1, v3, v1
	v_lshrrev_b32_e32 v1, s10, v1
	v_mul_lo_u32 v1, v1, s8
	v_sub_u32_e32 v1, v3, v1
	v_mad_u64_u32 v[58:59], s[6:7], v1, s12, v[58:59]
	v_mad_u64_u32 v[62:63], s[6:7], v1, s13, v[62:63]
	;; [unrolled: 1-line block ×3, first 2 shown]
.LBB202_160:
	s_and_b64 vcc, exec, s[4:5]
	v_add_u32_e32 v1, 0x300, v64
	s_cbranch_vccnz .LBB202_166
; %bb.161:
	s_cmp_lg_u32 s33, 0
	v_mov_b32_e32 v66, 0
	v_mov_b32_e32 v68, 0
	;; [unrolled: 1-line block ×3, first 2 shown]
	s_cbranch_scc0 .LBB202_167
; %bb.162:
	s_min_u32 s8, s56, 15
	s_add_i32 s6, s8, 1
	s_and_b32 s9, s6, 30
	s_add_u32 s6, s22, 0xffffffec
	s_addc_u32 s7, s23, -1
	v_mov_b32_e32 v64, 0
	v_mov_b32_e32 v3, v1
	;; [unrolled: 1-line block ×4, first 2 shown]
.LBB202_163:                            ; =>This Inner Loop Header: Depth=1
	s_mov_b64 s[10:11], s[6:7]
	s_load_dwordx4 s[12:15], s[10:11], 0x18
	s_load_dwordx2 s[20:21], s[10:11], 0x28
	s_waitcnt lgkmcnt(0)
	s_load_dwordx2 s[24:25], s[10:11], 0xe8
	s_load_dwordx4 s[16:19], s[10:11], 0xd8
	s_add_u32 s6, s10, 24
	v_mul_hi_u32 v5, s13, v3
	v_add_u32_e32 v5, v3, v5
	v_lshrrev_b32_e32 v5, s14, v5
	v_mul_lo_u32 v6, v5, s12
	v_mul_hi_u32 v7, s20, v5
	v_sub_u32_e32 v3, v3, v6
	v_add_u32_e32 v6, v5, v7
	s_waitcnt lgkmcnt(0)
	v_mul_lo_u32 v7, v3, s16
	v_mul_lo_u32 v8, v3, s17
	;; [unrolled: 1-line block ×3, first 2 shown]
	v_lshrrev_b32_e32 v3, s21, v6
	v_mul_lo_u32 v6, v3, s15
	v_sub_u32_e32 v5, v5, v6
	s_addc_u32 s7, s11, 0
	s_add_i32 s9, s9, -2
	v_mul_lo_u32 v6, v5, s19
	v_mul_lo_u32 v10, v5, s24
	;; [unrolled: 1-line block ×3, first 2 shown]
	s_cmp_lg_u32 s9, 0
	v_add3_u32 v64, v7, v64, v6
	v_add3_u32 v66, v9, v66, v5
	;; [unrolled: 1-line block ×3, first 2 shown]
	s_cbranch_scc1 .LBB202_163
; %bb.164:
	s_bitcmp1_b32 s8, 0
	s_cselect_b64 s[8:9], -1, 0
	s_and_b64 vcc, exec, s[8:9]
	s_cbranch_vccnz .LBB202_167
; %bb.165:
	s_load_dwordx2 s[8:9], s[6:7], 0x18
	s_load_dword s12, s[6:7], 0x20
	s_load_dword s13, s[6:7], 0xe0
	s_load_dwordx2 s[10:11], s[6:7], 0xd8
	s_waitcnt lgkmcnt(0)
	v_mul_hi_u32 v5, s9, v3
	v_add_u32_e32 v5, v3, v5
	v_lshrrev_b32_e32 v5, s12, v5
	v_mul_lo_u32 v5, v5, s8
	v_sub_u32_e32 v3, v3, v5
	v_mad_u64_u32 v[64:65], s[6:7], v3, s10, v[64:65]
	v_mad_u64_u32 v[68:69], s[6:7], v3, s11, v[68:69]
	;; [unrolled: 1-line block ×3, first 2 shown]
	s_cbranch_execz .LBB202_168
	s_branch .LBB202_170
.LBB202_166:
                                        ; implicit-def: $vgpr66
                                        ; implicit-def: $vgpr68
                                        ; implicit-def: $vgpr64
	s_branch .LBB202_168
.LBB202_167:
	s_cbranch_execnz .LBB202_170
.LBB202_168:
	s_load_dwordx4 s[8:11], s[22:23], 0x4
	s_load_dwordx4 s[12:15], s[22:23], 0xc4
	s_cmp_lt_u32 s33, 2
	s_waitcnt lgkmcnt(0)
	v_mul_hi_u32 v3, s9, v1
	v_add_u32_e32 v3, v1, v3
	v_lshrrev_b32_e32 v3, s10, v3
	v_mul_lo_u32 v5, v3, s8
	v_sub_u32_e32 v1, v1, v5
	v_mul_lo_u32 v64, v1, s12
	v_mul_lo_u32 v66, v1, s14
	;; [unrolled: 1-line block ×3, first 2 shown]
	s_cbranch_scc1 .LBB202_170
; %bb.169:
	s_load_dwordx4 s[8:11], s[22:23], 0x10
	s_load_dwordx4 s[12:15], s[22:23], 0xd0
	s_waitcnt lgkmcnt(0)
	v_mul_hi_u32 v1, s9, v3
	v_add_u32_e32 v1, v3, v1
	v_lshrrev_b32_e32 v1, s10, v1
	v_mul_lo_u32 v1, v1, s8
	v_sub_u32_e32 v1, v3, v1
	v_mad_u64_u32 v[64:65], s[6:7], v1, s12, v[64:65]
	v_mad_u64_u32 v[68:69], s[6:7], v1, s13, v[68:69]
	;; [unrolled: 1-line block ×3, first 2 shown]
.LBB202_170:
	s_and_b64 vcc, exec, s[4:5]
	s_cbranch_vccnz .LBB202_176
; %bb.171:
	s_cmp_lg_u32 s33, 0
	v_mov_b32_e32 v72, 0
	v_mov_b32_e32 v74, 0
	;; [unrolled: 1-line block ×3, first 2 shown]
	s_cbranch_scc0 .LBB202_177
; %bb.172:
	s_min_u32 s6, s56, 15
	s_add_i32 s4, s6, 1
	s_and_b32 s7, s4, 30
	s_add_u32 s4, s22, 0xffffffec
	s_addc_u32 s5, s23, -1
	v_mov_b32_e32 v70, 0
	v_mov_b32_e32 v1, v0
	;; [unrolled: 1-line block ×4, first 2 shown]
.LBB202_173:                            ; =>This Inner Loop Header: Depth=1
	s_mov_b64 s[16:17], s[4:5]
	s_load_dwordx4 s[8:11], s[16:17], 0x18
	s_load_dwordx2 s[18:19], s[16:17], 0x28
	s_load_dwordx2 s[20:21], s[16:17], 0xe8
	s_load_dwordx4 s[12:15], s[16:17], 0xd8
	s_add_u32 s4, s16, 24
	s_waitcnt lgkmcnt(0)
	v_mul_hi_u32 v3, s9, v1
	v_add_u32_e32 v3, v1, v3
	v_lshrrev_b32_e32 v3, s10, v3
	v_mul_lo_u32 v5, v3, s8
	v_mul_hi_u32 v6, s18, v3
	v_sub_u32_e32 v1, v1, v5
	v_add_u32_e32 v5, v3, v6
	v_mul_lo_u32 v6, v1, s12
	v_mul_lo_u32 v7, v1, s13
	;; [unrolled: 1-line block ×3, first 2 shown]
	v_lshrrev_b32_e32 v1, s19, v5
	v_mul_lo_u32 v5, v1, s11
	v_sub_u32_e32 v3, v3, v5
	s_addc_u32 s5, s17, 0
	s_add_i32 s7, s7, -2
	v_mul_lo_u32 v5, v3, s15
	v_mul_lo_u32 v9, v3, s20
	;; [unrolled: 1-line block ×3, first 2 shown]
	s_cmp_lg_u32 s7, 0
	v_add3_u32 v70, v6, v70, v5
	v_add3_u32 v72, v8, v72, v3
	;; [unrolled: 1-line block ×3, first 2 shown]
	s_cbranch_scc1 .LBB202_173
; %bb.174:
	s_bitcmp1_b32 s6, 0
	s_cselect_b64 s[6:7], -1, 0
	s_and_b64 vcc, exec, s[6:7]
	s_cbranch_vccnz .LBB202_177
; %bb.175:
	s_load_dwordx2 s[6:7], s[4:5], 0x18
	s_load_dword s10, s[4:5], 0x20
	s_load_dword s11, s[4:5], 0xe0
	s_load_dwordx2 s[8:9], s[4:5], 0xd8
	s_waitcnt lgkmcnt(0)
	v_mul_hi_u32 v3, s7, v1
	v_add_u32_e32 v3, v1, v3
	v_lshrrev_b32_e32 v3, s10, v3
	v_mul_lo_u32 v3, v3, s6
	v_sub_u32_e32 v1, v1, v3
	v_mad_u64_u32 v[70:71], s[4:5], v1, s8, v[70:71]
	v_mad_u64_u32 v[74:75], s[4:5], v1, s9, v[74:75]
	;; [unrolled: 1-line block ×3, first 2 shown]
	s_cbranch_execz .LBB202_178
	s_branch .LBB202_180
.LBB202_176:
                                        ; implicit-def: $vgpr72
                                        ; implicit-def: $vgpr74
                                        ; implicit-def: $vgpr70
	s_branch .LBB202_178
.LBB202_177:
	s_cbranch_execnz .LBB202_180
.LBB202_178:
	s_load_dwordx4 s[4:7], s[22:23], 0x4
	s_load_dwordx4 s[8:11], s[22:23], 0xc4
	s_cmp_lt_u32 s33, 2
	s_waitcnt lgkmcnt(0)
	v_mul_hi_u32 v1, s5, v0
	v_add_u32_e32 v1, v0, v1
	v_lshrrev_b32_e32 v1, s6, v1
	v_mul_lo_u32 v3, v1, s4
	v_sub_u32_e32 v0, v0, v3
	v_mul_lo_u32 v70, v0, s8
	v_mul_lo_u32 v72, v0, s10
	;; [unrolled: 1-line block ×3, first 2 shown]
	s_cbranch_scc1 .LBB202_180
; %bb.179:
	s_load_dwordx4 s[4:7], s[22:23], 0x10
	s_load_dwordx4 s[8:11], s[22:23], 0xd0
	s_waitcnt lgkmcnt(0)
	v_mul_hi_u32 v0, s5, v1
	v_add_u32_e32 v0, v1, v0
	v_lshrrev_b32_e32 v0, s6, v0
	v_mul_lo_u32 v0, v0, s4
	v_sub_u32_e32 v0, v1, v0
	v_mad_u64_u32 v[70:71], s[4:5], v0, s8, v[70:71]
	v_mad_u64_u32 v[74:75], s[4:5], v0, s9, v[74:75]
	;; [unrolled: 1-line block ×3, first 2 shown]
.LBB202_180:
	s_waitcnt lgkmcnt(0)
	s_load_dwordx4 s[24:27], s[22:23], 0x188
	s_load_dwordx2 s[28:29], s[22:23], 0x198
	s_getpc_b64 s[22:23]
	s_add_u32 s22, s22, _ZZZZN2at6native33launch_standard_gamma_grad_kernelERNS_18TensorIteratorBaseEENKUlvE_clEvENKUlvE1_clEvENKUlN3c104HalfES6_E_clES6_S6_@rel32@lo+4
	s_addc_u32 s23, s23, _ZZZZN2at6native33launch_standard_gamma_grad_kernelERNS_18TensorIteratorBaseEENKUlvE_clEvENKUlvE1_clEvENKUlN3c104HalfES6_E_clES6_S6_@rel32@hi+12
	s_waitcnt lgkmcnt(0)
	global_load_ushort v0, v4, s[26:27]
	global_load_ushort v1, v2, s[28:29]
	s_swappc_b64 s[30:31], s[22:23]
	v_mov_b32_e32 v30, v0
	global_load_ushort v0, v34, s[26:27]
	global_load_ushort v1, v32, s[28:29]
	s_swappc_b64 s[30:31], s[22:23]
	v_mov_b32_e32 v31, v0
	;; [unrolled: 4-line block ×7, first 2 shown]
	global_load_ushort v0, v74, s[26:27]
	global_load_ushort v1, v72, s[28:29]
	s_swappc_b64 s[30:31], s[22:23]
	global_store_short v38, v30, s[24:25]
	global_store_short v40, v31, s[24:25]
	;; [unrolled: 1-line block ×8, first 2 shown]
	s_endpgm
	.section	.rodata,"a",@progbits
	.p2align	6, 0x0
	.amdhsa_kernel _ZN2at6native32elementwise_kernel_manual_unrollILi128ELi8EZNS0_22gpu_kernel_impl_nocastIZZZNS0_33launch_standard_gamma_grad_kernelERNS_18TensorIteratorBaseEENKUlvE_clEvENKUlvE1_clEvEUlN3c104HalfES8_E_EEvS4_RKT_EUlibE_EEviT1_
		.amdhsa_group_segment_fixed_size 0
		.amdhsa_private_segment_fixed_size 0
		.amdhsa_kernarg_size 432
		.amdhsa_user_sgpr_count 8
		.amdhsa_user_sgpr_private_segment_buffer 1
		.amdhsa_user_sgpr_dispatch_ptr 0
		.amdhsa_user_sgpr_queue_ptr 0
		.amdhsa_user_sgpr_kernarg_segment_ptr 1
		.amdhsa_user_sgpr_dispatch_id 0
		.amdhsa_user_sgpr_flat_scratch_init 1
		.amdhsa_user_sgpr_kernarg_preload_length 0
		.amdhsa_user_sgpr_kernarg_preload_offset 0
		.amdhsa_user_sgpr_private_segment_size 0
		.amdhsa_uses_dynamic_stack 0
		.amdhsa_system_sgpr_private_segment_wavefront_offset 0
		.amdhsa_system_sgpr_workgroup_id_x 1
		.amdhsa_system_sgpr_workgroup_id_y 0
		.amdhsa_system_sgpr_workgroup_id_z 0
		.amdhsa_system_sgpr_workgroup_info 0
		.amdhsa_system_vgpr_workitem_id 0
		.amdhsa_next_free_vgpr 76
		.amdhsa_next_free_sgpr 59
		.amdhsa_accum_offset 76
		.amdhsa_reserve_vcc 1
		.amdhsa_reserve_flat_scratch 1
		.amdhsa_float_round_mode_32 0
		.amdhsa_float_round_mode_16_64 0
		.amdhsa_float_denorm_mode_32 3
		.amdhsa_float_denorm_mode_16_64 3
		.amdhsa_dx10_clamp 1
		.amdhsa_ieee_mode 1
		.amdhsa_fp16_overflow 0
		.amdhsa_tg_split 0
		.amdhsa_exception_fp_ieee_invalid_op 0
		.amdhsa_exception_fp_denorm_src 0
		.amdhsa_exception_fp_ieee_div_zero 0
		.amdhsa_exception_fp_ieee_overflow 0
		.amdhsa_exception_fp_ieee_underflow 0
		.amdhsa_exception_fp_ieee_inexact 0
		.amdhsa_exception_int_div_zero 0
	.end_amdhsa_kernel
	.section	.text._ZN2at6native32elementwise_kernel_manual_unrollILi128ELi8EZNS0_22gpu_kernel_impl_nocastIZZZNS0_33launch_standard_gamma_grad_kernelERNS_18TensorIteratorBaseEENKUlvE_clEvENKUlvE1_clEvEUlN3c104HalfES8_E_EEvS4_RKT_EUlibE_EEviT1_,"axG",@progbits,_ZN2at6native32elementwise_kernel_manual_unrollILi128ELi8EZNS0_22gpu_kernel_impl_nocastIZZZNS0_33launch_standard_gamma_grad_kernelERNS_18TensorIteratorBaseEENKUlvE_clEvENKUlvE1_clEvEUlN3c104HalfES8_E_EEvS4_RKT_EUlibE_EEviT1_,comdat
.Lfunc_end202:
	.size	_ZN2at6native32elementwise_kernel_manual_unrollILi128ELi8EZNS0_22gpu_kernel_impl_nocastIZZZNS0_33launch_standard_gamma_grad_kernelERNS_18TensorIteratorBaseEENKUlvE_clEvENKUlvE1_clEvEUlN3c104HalfES8_E_EEvS4_RKT_EUlibE_EEviT1_, .Lfunc_end202-_ZN2at6native32elementwise_kernel_manual_unrollILi128ELi8EZNS0_22gpu_kernel_impl_nocastIZZZNS0_33launch_standard_gamma_grad_kernelERNS_18TensorIteratorBaseEENKUlvE_clEvENKUlvE1_clEvEUlN3c104HalfES8_E_EEvS4_RKT_EUlibE_EEviT1_
                                        ; -- End function
	.section	.AMDGPU.csdata,"",@progbits
; Kernel info:
; codeLenInByte = 9344
; NumSgprs: 65
; NumVgprs: 76
; NumAgprs: 0
; TotalNumVgprs: 76
; ScratchSize: 0
; MemoryBound: 0
; FloatMode: 240
; IeeeMode: 1
; LDSByteSize: 0 bytes/workgroup (compile time only)
; SGPRBlocks: 8
; VGPRBlocks: 9
; NumSGPRsForWavesPerEU: 65
; NumVGPRsForWavesPerEU: 76
; AccumOffset: 76
; Occupancy: 6
; WaveLimiterHint : 1
; COMPUTE_PGM_RSRC2:SCRATCH_EN: 0
; COMPUTE_PGM_RSRC2:USER_SGPR: 8
; COMPUTE_PGM_RSRC2:TRAP_HANDLER: 0
; COMPUTE_PGM_RSRC2:TGID_X_EN: 1
; COMPUTE_PGM_RSRC2:TGID_Y_EN: 0
; COMPUTE_PGM_RSRC2:TGID_Z_EN: 0
; COMPUTE_PGM_RSRC2:TIDIG_COMP_CNT: 0
; COMPUTE_PGM_RSRC3_GFX90A:ACCUM_OFFSET: 18
; COMPUTE_PGM_RSRC3_GFX90A:TG_SPLIT: 0
	.section	.text._ZN2at6native32elementwise_kernel_manual_unrollILi128ELi4EZNS0_15gpu_kernel_implIZZZNS0_33launch_standard_gamma_grad_kernelERNS_18TensorIteratorBaseEENKUlvE_clEvENKUlvE1_clEvEUlN3c104HalfES8_E_EEvS4_RKT_EUlibE_EEviT1_,"axG",@progbits,_ZN2at6native32elementwise_kernel_manual_unrollILi128ELi4EZNS0_15gpu_kernel_implIZZZNS0_33launch_standard_gamma_grad_kernelERNS_18TensorIteratorBaseEENKUlvE_clEvENKUlvE1_clEvEUlN3c104HalfES8_E_EEvS4_RKT_EUlibE_EEviT1_,comdat
	.globl	_ZN2at6native32elementwise_kernel_manual_unrollILi128ELi4EZNS0_15gpu_kernel_implIZZZNS0_33launch_standard_gamma_grad_kernelERNS_18TensorIteratorBaseEENKUlvE_clEvENKUlvE1_clEvEUlN3c104HalfES8_E_EEvS4_RKT_EUlibE_EEviT1_ ; -- Begin function _ZN2at6native32elementwise_kernel_manual_unrollILi128ELi4EZNS0_15gpu_kernel_implIZZZNS0_33launch_standard_gamma_grad_kernelERNS_18TensorIteratorBaseEENKUlvE_clEvENKUlvE1_clEvEUlN3c104HalfES8_E_EEvS4_RKT_EUlibE_EEviT1_
	.p2align	8
	.type	_ZN2at6native32elementwise_kernel_manual_unrollILi128ELi4EZNS0_15gpu_kernel_implIZZZNS0_33launch_standard_gamma_grad_kernelERNS_18TensorIteratorBaseEENKUlvE_clEvENKUlvE1_clEvEUlN3c104HalfES8_E_EEvS4_RKT_EUlibE_EEviT1_,@function
_ZN2at6native32elementwise_kernel_manual_unrollILi128ELi4EZNS0_15gpu_kernel_implIZZZNS0_33launch_standard_gamma_grad_kernelERNS_18TensorIteratorBaseEENKUlvE_clEvENKUlvE1_clEvEUlN3c104HalfES8_E_EEvS4_RKT_EUlibE_EEviT1_: ; @_ZN2at6native32elementwise_kernel_manual_unrollILi128ELi4EZNS0_15gpu_kernel_implIZZZNS0_33launch_standard_gamma_grad_kernelERNS_18TensorIteratorBaseEENKUlvE_clEvENKUlvE1_clEvEUlN3c104HalfES8_E_EEvS4_RKT_EUlibE_EEviT1_
; %bb.0:
	v_mov_b32_e32 v1, 0
	global_load_ushort v36, v1, s[4:5] offset:45
	global_load_sbyte v38, v1, s[4:5] offset:47
	s_add_u32 flat_scratch_lo, s6, s9
	s_addc_u32 flat_scratch_hi, s7, 0
	s_load_dword s33, s[4:5], 0x0
	s_load_dwordx4 s[24:27], s[4:5], 0x8
	s_load_dwordx2 s[22:23], s[4:5], 0x18
	s_load_dwordx4 s[36:39], s[4:5], 0x20
	v_lshl_or_b32 v37, s8, 9, v0
	s_add_u32 s0, s0, s9
	v_or_b32_e32 v0, 0x180, v37
	s_addc_u32 s1, s1, 0
	s_mov_b64 s[28:29], 0
	s_waitcnt lgkmcnt(0)
	v_cmp_le_i32_e32 vcc, s33, v0
	s_mov_b64 s[40:41], 0
	s_mov_b32 s32, 0
	s_waitcnt vmcnt(1)
	v_lshrrev_b32_e32 v35, 8, v36
	s_and_saveexec_b64 s[4:5], vcc
	s_xor_b64 s[34:35], exec, s[4:5]
	s_cbranch_execz .LBB203_1542
; %bb.1:
	v_cmp_gt_i32_e32 vcc, s33, v37
	s_mov_b64 s[4:5], -1
	s_mov_b64 s[50:51], 0
	s_mov_b64 s[44:45], 0
	;; [unrolled: 1-line block ×3, first 2 shown]
	s_and_saveexec_b64 s[46:47], vcc
	s_cbranch_execz .LBB203_381
; %bb.2:
	v_mul_lo_u32 v0, v37, s37
	v_ashrrev_i32_e32 v1, 31, v0
	v_mov_b32_e32 v3, s27
	v_add_co_u32_e32 v2, vcc, s26, v0
	v_mov_b32_e32 v0, 11
	v_addc_co_u32_e32 v3, vcc, v3, v1, vcc
	v_cmp_lt_i16_sdwa s[4:5], v35, v0 src0_sel:BYTE_0 src1_sel:DWORD
	s_and_b64 vcc, exec, s[4:5]
	s_cbranch_vccnz .LBB203_9
; %bb.3:
	v_mov_b32_e32 v0, 25
	v_cmp_gt_i16_sdwa s[4:5], v35, v0 src0_sel:BYTE_0 src1_sel:DWORD
	s_and_b64 vcc, exec, s[4:5]
	s_cbranch_vccz .LBB203_11
; %bb.4:
	v_mov_b32_e32 v0, 28
	v_cmp_gt_i16_sdwa s[4:5], v35, v0 src0_sel:BYTE_0 src1_sel:DWORD
	s_and_b64 vcc, exec, s[4:5]
	s_cbranch_vccz .LBB203_12
	;; [unrolled: 5-line block ×4, first 2 shown]
; %bb.7:
	v_mov_b32_e32 v0, 46
	v_cmp_eq_u16_sdwa s[4:5], v35, v0 src0_sel:BYTE_0 src1_sel:DWORD
	s_mov_b64 s[6:7], 0
	s_and_b64 vcc, exec, s[4:5]
	s_cbranch_vccz .LBB203_15
; %bb.8:
	global_load_dword v0, v[2:3], off
	s_mov_b64 s[4:5], -1
	s_waitcnt vmcnt(0)
	v_lshlrev_b32_e32 v0, 16, v0
	v_cvt_f16_f32_e32 v0, v0
	s_branch .LBB203_17
.LBB203_9:
                                        ; implicit-def: $vgpr0
	s_mov_b64 s[4:5], 0
	s_cbranch_execnz .LBB203_81
.LBB203_10:
	s_andn2_b64 vcc, exec, s[4:5]
	s_cbranch_vccz .LBB203_128
	s_branch .LBB203_378
.LBB203_11:
	s_mov_b64 s[4:5], 0
                                        ; implicit-def: $vgpr0
	s_cbranch_execnz .LBB203_46
	s_branch .LBB203_80
.LBB203_12:
	s_mov_b64 s[6:7], -1
	s_mov_b64 s[4:5], 0
                                        ; implicit-def: $vgpr0
	s_branch .LBB203_27
.LBB203_13:
	s_mov_b64 s[6:7], -1
	s_mov_b64 s[4:5], 0
                                        ; implicit-def: $vgpr0
	s_branch .LBB203_22
.LBB203_14:
	s_mov_b64 s[6:7], -1
	s_branch .LBB203_16
.LBB203_15:
	s_mov_b64 s[44:45], -1
.LBB203_16:
	s_mov_b64 s[4:5], 0
                                        ; implicit-def: $vgpr0
.LBB203_17:
	s_and_b64 vcc, exec, s[6:7]
	s_cbranch_vccz .LBB203_21
; %bb.18:
	v_mov_b32_e32 v0, 44
	v_cmp_eq_u16_sdwa s[6:7], v35, v0 src0_sel:BYTE_0 src1_sel:DWORD
	s_and_b64 vcc, exec, s[6:7]
	s_cbranch_vccz .LBB203_20
; %bb.19:
	global_load_ubyte v0, v[2:3], off
	s_movk_i32 s6, 0xff
	v_mov_b32_e32 v4, 0x7e00
	s_mov_b64 s[4:5], -1
	s_mov_b64 s[44:45], 0
	s_waitcnt vmcnt(0)
	v_lshlrev_b32_e32 v1, 23, v0
	v_cvt_f16_f32_e32 v1, v1
	v_cmp_ne_u32_e32 vcc, s6, v0
	v_cndmask_b32_e32 v1, v4, v1, vcc
	v_cmp_ne_u32_e32 vcc, 0, v0
	v_cndmask_b32_e32 v0, 0, v1, vcc
	s_branch .LBB203_21
.LBB203_20:
	s_mov_b64 s[44:45], -1
                                        ; implicit-def: $vgpr0
.LBB203_21:
	s_mov_b64 s[6:7], 0
.LBB203_22:
	s_and_b64 vcc, exec, s[6:7]
	s_cbranch_vccz .LBB203_26
; %bb.23:
	v_mov_b32_e32 v0, 29
	v_cmp_eq_u16_sdwa s[6:7], v35, v0 src0_sel:BYTE_0 src1_sel:DWORD
	s_and_b64 vcc, exec, s[6:7]
	s_cbranch_vccz .LBB203_25
; %bb.24:
	global_load_dwordx2 v[0:1], v[2:3], off
	s_mov_b64 s[4:5], -1
	s_mov_b64 s[44:45], 0
	s_mov_b64 s[6:7], 0
	s_waitcnt vmcnt(0)
	v_ffbh_u32_e32 v4, v1
	v_min_u32_e32 v4, 32, v4
	v_lshlrev_b64 v[0:1], v4, v[0:1]
	v_min_u32_e32 v0, 1, v0
	v_or_b32_e32 v0, v1, v0
	v_cvt_f32_u32_e32 v0, v0
	v_sub_u32_e32 v1, 32, v4
	v_ldexp_f32 v0, v0, v1
	v_cvt_f16_f32_e32 v0, v0
	s_branch .LBB203_27
.LBB203_25:
	s_mov_b64 s[44:45], -1
                                        ; implicit-def: $vgpr0
.LBB203_26:
	s_mov_b64 s[6:7], 0
.LBB203_27:
	s_and_b64 vcc, exec, s[6:7]
	s_cbranch_vccz .LBB203_45
; %bb.28:
	v_mov_b32_e32 v0, 27
	v_cmp_lt_i16_sdwa s[4:5], v35, v0 src0_sel:BYTE_0 src1_sel:DWORD
	s_and_b64 vcc, exec, s[4:5]
	s_cbranch_vccnz .LBB203_31
; %bb.29:
	v_cmp_gt_i16_sdwa s[4:5], v35, v0 src0_sel:BYTE_0 src1_sel:DWORD
	s_and_b64 vcc, exec, s[4:5]
	s_cbranch_vccz .LBB203_32
; %bb.30:
	global_load_dword v0, v[2:3], off
	s_mov_b64 s[4:5], 0
	s_waitcnt vmcnt(0)
	v_cvt_f32_u32_e32 v0, v0
	v_cvt_f16_f32_e32 v0, v0
	s_branch .LBB203_33
.LBB203_31:
	s_mov_b64 s[4:5], -1
                                        ; implicit-def: $vgpr0
	s_branch .LBB203_36
.LBB203_32:
	s_mov_b64 s[4:5], -1
                                        ; implicit-def: $vgpr0
.LBB203_33:
	s_andn2_b64 vcc, exec, s[4:5]
	s_cbranch_vccnz .LBB203_35
; %bb.34:
	global_load_ushort v0, v[2:3], off
	s_waitcnt vmcnt(0)
	v_cvt_f16_u16_e32 v0, v0
.LBB203_35:
	s_mov_b64 s[4:5], 0
.LBB203_36:
	s_andn2_b64 vcc, exec, s[4:5]
	s_cbranch_vccnz .LBB203_44
; %bb.37:
	global_load_ubyte v1, v[2:3], off
	s_movk_i32 s4, 0x7f
                                        ; implicit-def: $sgpr10
	s_waitcnt vmcnt(0)
	v_cmp_lt_i16_e32 vcc, s4, v1
	s_mov_b64 s[4:5], 0
	s_and_saveexec_b64 s[6:7], vcc
	s_xor_b64 s[6:7], exec, s[6:7]
	s_cbranch_execz .LBB203_57
; %bb.38:
	s_movk_i32 s4, 0x80
	v_cmp_eq_u16_e32 vcc, s4, v1
	s_mov_b64 s[4:5], -1
                                        ; implicit-def: $sgpr10
	s_and_saveexec_b64 s[8:9], vcc
; %bb.39:
	s_movk_i32 s10, 0x7e00
	s_xor_b64 s[4:5], exec, -1
; %bb.40:
	s_or_b64 exec, exec, s[8:9]
	s_and_b64 s[4:5], s[4:5], exec
	s_or_saveexec_b64 s[6:7], s[6:7]
	v_mov_b32_e32 v0, s10
	s_xor_b64 exec, exec, s[6:7]
	s_cbranch_execnz .LBB203_58
.LBB203_41:
	s_or_b64 exec, exec, s[6:7]
	s_and_saveexec_b64 s[6:7], s[4:5]
	s_cbranch_execz .LBB203_43
.LBB203_42:
	v_lshlrev_b32_e32 v0, 24, v1
	v_and_b32_e32 v1, 0xffff, v1
	v_and_b32_e32 v4, 7, v1
	v_ffbh_u32_e32 v6, v4
	v_min_u32_e32 v6, 32, v6
	v_subrev_u32_e32 v7, 28, v6
	v_bfe_u32 v5, v1, 3, 4
	v_lshlrev_b32_e32 v1, v7, v1
	v_sub_u32_e32 v6, 29, v6
	v_and_b32_e32 v1, 7, v1
	v_cmp_eq_u32_e32 vcc, 0, v5
	v_cndmask_b32_e32 v5, v5, v6, vcc
	v_cndmask_b32_e32 v1, v4, v1, vcc
	v_mov_b32_e32 v4, 0x3b800000
	v_lshlrev_b32_e32 v1, 20, v1
	v_and_b32_e32 v0, 0x80000000, v0
	v_lshl_add_u32 v4, v5, 23, v4
	v_or3_b32 v0, v0, v4, v1
	v_cvt_f16_f32_e32 v0, v0
.LBB203_43:
	s_or_b64 exec, exec, s[6:7]
.LBB203_44:
	s_mov_b64 s[4:5], -1
.LBB203_45:
	s_branch .LBB203_80
.LBB203_46:
	v_mov_b32_e32 v0, 22
	v_cmp_gt_i16_sdwa s[6:7], v35, v0 src0_sel:BYTE_0 src1_sel:DWORD
	s_and_b64 vcc, exec, s[6:7]
	s_cbranch_vccz .LBB203_56
; %bb.47:
	v_mov_b32_e32 v0, 24
	v_cmp_lt_i16_sdwa s[4:5], v35, v0 src0_sel:BYTE_0 src1_sel:DWORD
	s_and_b64 vcc, exec, s[4:5]
	s_cbranch_vccnz .LBB203_59
; %bb.48:
	v_cmp_gt_i16_sdwa s[4:5], v35, v0 src0_sel:BYTE_0 src1_sel:DWORD
	s_and_b64 vcc, exec, s[4:5]
	s_cbranch_vccz .LBB203_60
; %bb.49:
	global_load_ubyte v1, v[2:3], off
	s_movk_i32 s4, 0x7f
                                        ; implicit-def: $sgpr10
	s_waitcnt vmcnt(0)
	v_cmp_lt_i16_e32 vcc, s4, v1
	s_mov_b64 s[4:5], 0
	s_and_saveexec_b64 s[6:7], vcc
	s_xor_b64 s[6:7], exec, s[6:7]
	s_cbranch_execz .LBB203_72
; %bb.50:
	s_movk_i32 s4, 0x80
	v_cmp_eq_u16_e32 vcc, s4, v1
	s_mov_b64 s[4:5], -1
                                        ; implicit-def: $sgpr10
	s_and_saveexec_b64 s[8:9], vcc
; %bb.51:
	s_movk_i32 s10, 0x7e00
	s_xor_b64 s[4:5], exec, -1
; %bb.52:
	s_or_b64 exec, exec, s[8:9]
	s_and_b64 s[4:5], s[4:5], exec
	s_or_saveexec_b64 s[6:7], s[6:7]
	v_mov_b32_e32 v0, s10
	s_xor_b64 exec, exec, s[6:7]
	s_cbranch_execnz .LBB203_73
.LBB203_53:
	s_or_b64 exec, exec, s[6:7]
	s_and_saveexec_b64 s[6:7], s[4:5]
	s_cbranch_execz .LBB203_55
.LBB203_54:
	v_lshlrev_b32_e32 v0, 24, v1
	v_and_b32_e32 v1, 0xffff, v1
	v_and_b32_e32 v4, 3, v1
	v_ffbh_u32_e32 v6, v4
	v_min_u32_e32 v6, 32, v6
	v_subrev_u32_e32 v7, 29, v6
	v_bfe_u32 v5, v1, 2, 5
	v_lshlrev_b32_e32 v1, v7, v1
	v_sub_u32_e32 v6, 30, v6
	v_and_b32_e32 v1, 3, v1
	v_cmp_eq_u32_e32 vcc, 0, v5
	v_cndmask_b32_e32 v5, v5, v6, vcc
	v_cndmask_b32_e32 v1, v4, v1, vcc
	v_mov_b32_e32 v4, 0x37800000
	v_lshlrev_b32_e32 v1, 21, v1
	v_and_b32_e32 v0, 0x80000000, v0
	v_lshl_add_u32 v4, v5, 23, v4
	v_or3_b32 v0, v0, v4, v1
	v_cvt_f16_f32_e32 v0, v0
.LBB203_55:
	s_or_b64 exec, exec, s[6:7]
	s_mov_b64 s[4:5], 0
	s_branch .LBB203_61
.LBB203_56:
	s_mov_b64 s[6:7], -1
                                        ; implicit-def: $vgpr0
	s_branch .LBB203_67
.LBB203_57:
	s_or_saveexec_b64 s[6:7], s[6:7]
	v_mov_b32_e32 v0, s10
	s_xor_b64 exec, exec, s[6:7]
	s_cbranch_execz .LBB203_41
.LBB203_58:
	v_cmp_ne_u16_e32 vcc, 0, v1
	s_andn2_b64 s[4:5], s[4:5], exec
	s_and_b64 s[8:9], vcc, exec
	s_or_b64 s[4:5], s[4:5], s[8:9]
	v_mov_b32_e32 v0, v1
	s_or_b64 exec, exec, s[6:7]
	s_and_saveexec_b64 s[6:7], s[4:5]
	s_cbranch_execnz .LBB203_42
	s_branch .LBB203_43
.LBB203_59:
	s_mov_b64 s[4:5], -1
                                        ; implicit-def: $vgpr0
	s_branch .LBB203_64
.LBB203_60:
	s_mov_b64 s[4:5], -1
                                        ; implicit-def: $vgpr0
.LBB203_61:
	s_and_b64 vcc, exec, s[4:5]
	s_cbranch_vccz .LBB203_63
; %bb.62:
	global_load_ubyte v0, v[2:3], off
	s_mov_b32 s4, 0x7f800000
	s_waitcnt vmcnt(0)
	v_lshlrev_b32_e32 v0, 24, v0
	v_and_b32_e32 v1, 0x7f000000, v0
	v_ffbh_u32_e32 v4, v1
	v_min_u32_e32 v4, 32, v4
	v_sub_u32_e64 v4, v4, 4 clamp
	v_lshlrev_b32_e32 v6, v4, v1
	v_lshlrev_b32_e32 v4, 23, v4
	v_lshrrev_b32_e32 v6, 4, v6
	v_add_u32_e32 v5, 0x1000000, v1
	v_sub_u32_e32 v4, v6, v4
	v_ashrrev_i32_e32 v5, 8, v5
	v_add_u32_e32 v4, 0x3c000000, v4
	v_and_or_b32 v4, v5, s4, v4
	v_cmp_ne_u32_e32 vcc, 0, v1
	v_cndmask_b32_e32 v1, 0, v4, vcc
	s_brev_b32 s4, 1
	v_and_or_b32 v0, v0, s4, v1
	v_cvt_f16_f32_e32 v0, v0
.LBB203_63:
	s_mov_b64 s[4:5], 0
.LBB203_64:
	s_andn2_b64 vcc, exec, s[4:5]
	s_cbranch_vccnz .LBB203_66
; %bb.65:
	global_load_ubyte v0, v[2:3], off
	s_movk_i32 s4, 0x7f00
	s_brev_b32 s5, 16
	s_waitcnt vmcnt(0)
	v_lshlrev_b16_e32 v1, 8, v0
	v_lshlrev_b32_e32 v0, 25, v0
	v_lshrrev_b32_e32 v4, 4, v0
	v_and_or_b32 v5, v1, s4, 0.5
	v_or_b32_e32 v4, 0x70000000, v4
	v_add_f32_e32 v5, -0.5, v5
	v_mul_f32_e32 v4, 0x7800000, v4
	v_cmp_gt_u32_e32 vcc, s5, v0
	v_bfe_i32 v1, v1, 0, 16
	v_cndmask_b32_e32 v0, v4, v5, vcc
	s_brev_b32 s4, 1
	v_and_or_b32 v0, v1, s4, v0
	v_cvt_f16_f32_e32 v0, v0
.LBB203_66:
	s_mov_b64 s[6:7], 0
	s_mov_b64 s[4:5], -1
.LBB203_67:
	s_andn2_b64 vcc, exec, s[6:7]
	s_cbranch_vccnz .LBB203_80
; %bb.68:
	v_mov_b32_e32 v0, 14
	v_cmp_gt_i16_sdwa s[6:7], v35, v0 src0_sel:BYTE_0 src1_sel:DWORD
	s_and_b64 vcc, exec, s[6:7]
	s_cbranch_vccz .LBB203_71
; %bb.69:
	v_mov_b32_e32 v0, 15
	v_cmp_eq_u16_sdwa s[6:7], v35, v0 src0_sel:BYTE_0 src1_sel:DWORD
	s_and_b64 vcc, exec, s[6:7]
	s_cbranch_vccz .LBB203_74
; %bb.70:
	global_load_ushort v0, v[2:3], off
	s_mov_b64 s[4:5], -1
	s_mov_b64 s[44:45], 0
	s_waitcnt vmcnt(0)
	v_lshlrev_b32_e32 v0, 16, v0
	v_cvt_f16_f32_e32 v0, v0
	s_branch .LBB203_75
.LBB203_71:
	s_mov_b64 s[6:7], -1
                                        ; implicit-def: $vgpr0
	s_branch .LBB203_76
.LBB203_72:
	s_or_saveexec_b64 s[6:7], s[6:7]
	v_mov_b32_e32 v0, s10
	s_xor_b64 exec, exec, s[6:7]
	s_cbranch_execz .LBB203_53
.LBB203_73:
	v_cmp_ne_u16_e32 vcc, 0, v1
	s_andn2_b64 s[4:5], s[4:5], exec
	s_and_b64 s[8:9], vcc, exec
	s_or_b64 s[4:5], s[4:5], s[8:9]
	v_mov_b32_e32 v0, v1
	s_or_b64 exec, exec, s[6:7]
	s_and_saveexec_b64 s[6:7], s[4:5]
	s_cbranch_execnz .LBB203_54
	s_branch .LBB203_55
.LBB203_74:
	s_mov_b64 s[44:45], -1
                                        ; implicit-def: $vgpr0
.LBB203_75:
	s_mov_b64 s[6:7], 0
.LBB203_76:
	s_and_b64 vcc, exec, s[6:7]
	s_cbranch_vccz .LBB203_80
; %bb.77:
	v_mov_b32_e32 v0, 11
	v_cmp_eq_u16_sdwa s[6:7], v35, v0 src0_sel:BYTE_0 src1_sel:DWORD
	s_and_b64 vcc, exec, s[6:7]
	s_cbranch_vccz .LBB203_79
; %bb.78:
	global_load_ubyte v0, v[2:3], off
	v_mov_b32_e32 v1, 0x3c00
	s_mov_b64 s[4:5], -1
	s_mov_b64 s[44:45], 0
	s_waitcnt vmcnt(0)
	v_cmp_ne_u16_e32 vcc, 0, v0
	v_cndmask_b32_e32 v0, 0, v1, vcc
	s_branch .LBB203_80
.LBB203_79:
	s_mov_b64 s[44:45], -1
                                        ; implicit-def: $vgpr0
.LBB203_80:
	s_branch .LBB203_10
.LBB203_81:
	v_mov_b32_e32 v0, 5
	v_cmp_lt_i16_sdwa s[4:5], v35, v0 src0_sel:BYTE_0 src1_sel:DWORD
	s_and_b64 vcc, exec, s[4:5]
	s_cbranch_vccnz .LBB203_86
; %bb.82:
	v_mov_b32_e32 v0, 8
	v_cmp_lt_i16_sdwa s[4:5], v35, v0 src0_sel:BYTE_0 src1_sel:DWORD
	s_and_b64 vcc, exec, s[4:5]
	s_cbranch_vccnz .LBB203_87
; %bb.83:
	;; [unrolled: 5-line block ×3, first 2 shown]
	v_cmp_gt_i16_sdwa s[4:5], v35, v0 src0_sel:BYTE_0 src1_sel:DWORD
	s_and_b64 vcc, exec, s[4:5]
	s_cbranch_vccz .LBB203_89
; %bb.85:
	global_load_dwordx2 v[0:1], v[2:3], off
	s_mov_b64 s[4:5], 0
	s_waitcnt vmcnt(0)
	v_cvt_f32_f64_e32 v0, v[0:1]
	v_cvt_f16_f32_e32 v0, v0
	s_branch .LBB203_90
.LBB203_86:
                                        ; implicit-def: $vgpr0
	s_branch .LBB203_108
.LBB203_87:
	s_mov_b64 s[4:5], -1
                                        ; implicit-def: $vgpr0
	s_branch .LBB203_96
.LBB203_88:
	s_mov_b64 s[4:5], -1
                                        ; implicit-def: $vgpr0
	s_branch .LBB203_93
.LBB203_89:
	s_mov_b64 s[4:5], -1
                                        ; implicit-def: $vgpr0
.LBB203_90:
	s_andn2_b64 vcc, exec, s[4:5]
	s_cbranch_vccnz .LBB203_92
; %bb.91:
	global_load_dword v0, v[2:3], off
	s_waitcnt vmcnt(0)
	v_cvt_f16_f32_e32 v0, v0
.LBB203_92:
	s_mov_b64 s[4:5], 0
.LBB203_93:
	s_andn2_b64 vcc, exec, s[4:5]
	s_cbranch_vccnz .LBB203_95
; %bb.94:
	global_load_dword v0, v[2:3], off
.LBB203_95:
	s_mov_b64 s[4:5], 0
.LBB203_96:
	s_andn2_b64 vcc, exec, s[4:5]
	s_cbranch_vccnz .LBB203_107
; %bb.97:
	s_waitcnt vmcnt(0)
	v_mov_b32_e32 v0, 6
	v_cmp_lt_i16_sdwa s[4:5], v35, v0 src0_sel:BYTE_0 src1_sel:DWORD
	s_and_b64 vcc, exec, s[4:5]
	s_cbranch_vccnz .LBB203_100
; %bb.98:
	v_cmp_gt_i16_sdwa s[4:5], v35, v0 src0_sel:BYTE_0 src1_sel:DWORD
	s_and_b64 vcc, exec, s[4:5]
	s_cbranch_vccz .LBB203_101
; %bb.99:
	global_load_dwordx2 v[0:1], v[2:3], off
	s_mov_b64 s[4:5], 0
	s_waitcnt vmcnt(0)
	v_cvt_f32_f64_e32 v0, v[0:1]
	v_cvt_f16_f32_e32 v0, v0
	s_branch .LBB203_102
.LBB203_100:
	s_mov_b64 s[4:5], -1
                                        ; implicit-def: $vgpr0
	s_branch .LBB203_105
.LBB203_101:
	s_mov_b64 s[4:5], -1
                                        ; implicit-def: $vgpr0
.LBB203_102:
	s_andn2_b64 vcc, exec, s[4:5]
	s_cbranch_vccnz .LBB203_104
; %bb.103:
	global_load_dword v0, v[2:3], off
	s_waitcnt vmcnt(0)
	v_cvt_f16_f32_e32 v0, v0
.LBB203_104:
	s_mov_b64 s[4:5], 0
.LBB203_105:
	s_andn2_b64 vcc, exec, s[4:5]
	s_cbranch_vccnz .LBB203_107
; %bb.106:
	global_load_ushort v0, v[2:3], off
.LBB203_107:
	s_cbranch_execnz .LBB203_127
.LBB203_108:
	s_waitcnt vmcnt(0)
	v_mov_b32_e32 v0, 2
	v_cmp_lt_i16_sdwa s[4:5], v35, v0 src0_sel:BYTE_0 src1_sel:DWORD
	s_and_b64 vcc, exec, s[4:5]
	s_cbranch_vccnz .LBB203_112
; %bb.109:
	v_mov_b32_e32 v0, 3
	v_cmp_lt_i16_sdwa s[4:5], v35, v0 src0_sel:BYTE_0 src1_sel:DWORD
	s_and_b64 vcc, exec, s[4:5]
	s_cbranch_vccnz .LBB203_113
; %bb.110:
	v_cmp_gt_i16_sdwa s[4:5], v35, v0 src0_sel:BYTE_0 src1_sel:DWORD
	s_and_b64 vcc, exec, s[4:5]
	s_cbranch_vccz .LBB203_114
; %bb.111:
	global_load_dwordx2 v[0:1], v[2:3], off
	s_mov_b64 s[4:5], 0
	s_waitcnt vmcnt(0)
	v_xor_b32_e32 v5, v0, v1
	v_ffbh_i32_e32 v4, v1
	v_ashrrev_i32_e32 v5, 31, v5
	v_add_u32_e32 v4, -1, v4
	v_add_u32_e32 v5, 32, v5
	v_min_u32_e32 v4, v4, v5
	v_lshlrev_b64 v[0:1], v4, v[0:1]
	v_min_u32_e32 v0, 1, v0
	v_or_b32_e32 v0, v1, v0
	v_cvt_f32_i32_e32 v0, v0
	v_sub_u32_e32 v1, 32, v4
	v_ldexp_f32 v0, v0, v1
	v_cvt_f16_f32_e32 v0, v0
	s_branch .LBB203_115
.LBB203_112:
	s_mov_b64 s[4:5], -1
                                        ; implicit-def: $vgpr0
	s_branch .LBB203_121
.LBB203_113:
	s_mov_b64 s[4:5], -1
                                        ; implicit-def: $vgpr0
	s_branch .LBB203_118
.LBB203_114:
	s_mov_b64 s[4:5], -1
                                        ; implicit-def: $vgpr0
.LBB203_115:
	s_andn2_b64 vcc, exec, s[4:5]
	s_cbranch_vccnz .LBB203_117
; %bb.116:
	global_load_dword v0, v[2:3], off
	s_waitcnt vmcnt(0)
	v_cvt_f32_i32_e32 v0, v0
	v_cvt_f16_f32_e32 v0, v0
.LBB203_117:
	s_mov_b64 s[4:5], 0
.LBB203_118:
	s_andn2_b64 vcc, exec, s[4:5]
	s_cbranch_vccnz .LBB203_120
; %bb.119:
	global_load_ushort v0, v[2:3], off
	s_waitcnt vmcnt(0)
	v_cvt_f16_i16_e32 v0, v0
.LBB203_120:
	s_mov_b64 s[4:5], 0
.LBB203_121:
	s_andn2_b64 vcc, exec, s[4:5]
	s_cbranch_vccnz .LBB203_127
; %bb.122:
	v_mov_b32_e32 v0, 0
	v_cmp_gt_i16_sdwa s[4:5], v35, v0 src0_sel:BYTE_0 src1_sel:DWORD
	s_and_b64 vcc, exec, s[4:5]
	s_cbranch_vccz .LBB203_124
; %bb.123:
	global_load_sbyte v0, v[2:3], off
	s_mov_b64 s[4:5], 0
	s_waitcnt vmcnt(0)
	v_cvt_f16_i16_e32 v0, v0
	s_branch .LBB203_125
.LBB203_124:
	s_mov_b64 s[4:5], -1
                                        ; implicit-def: $vgpr0
.LBB203_125:
	s_andn2_b64 vcc, exec, s[4:5]
	s_cbranch_vccnz .LBB203_127
; %bb.126:
	global_load_ubyte v0, v[2:3], off
	s_waitcnt vmcnt(0)
	v_cvt_f16_u16_e32 v0, v0
.LBB203_127:
.LBB203_128:
	v_mul_lo_u32 v1, v37, s38
	v_ashrrev_i32_e32 v3, 31, v1
	v_mov_b32_e32 v4, s23
	v_add_co_u32_e32 v2, vcc, s22, v1
	v_mov_b32_e32 v1, 11
	v_addc_co_u32_e32 v3, vcc, v4, v3, vcc
	s_waitcnt vmcnt(0)
	v_cmp_lt_i16_sdwa s[4:5], v38, v1 src0_sel:BYTE_0 src1_sel:DWORD
	s_and_b64 vcc, exec, s[4:5]
	s_cbranch_vccnz .LBB203_135
; %bb.129:
	v_mov_b32_e32 v1, 25
	v_cmp_gt_i16_sdwa s[4:5], v38, v1 src0_sel:BYTE_0 src1_sel:DWORD
	s_and_b64 vcc, exec, s[4:5]
	s_cbranch_vccz .LBB203_144
; %bb.130:
	v_mov_b32_e32 v1, 28
	v_cmp_gt_i16_sdwa s[4:5], v38, v1 src0_sel:BYTE_0 src1_sel:DWORD
	s_and_b64 vcc, exec, s[4:5]
	s_cbranch_vccz .LBB203_146
	;; [unrolled: 5-line block ×4, first 2 shown]
; %bb.133:
	v_mov_b32_e32 v1, 46
	v_cmp_eq_u16_sdwa s[4:5], v38, v1 src0_sel:BYTE_0 src1_sel:DWORD
	s_mov_b64 s[6:7], 0
	s_and_b64 vcc, exec, s[4:5]
	s_cbranch_vccz .LBB203_152
; %bb.134:
	global_load_dword v1, v[2:3], off
	s_mov_b64 s[4:5], -1
	s_waitcnt vmcnt(0)
	v_lshlrev_b32_e32 v1, 16, v1
	v_cvt_f16_f32_e32 v1, v1
	s_branch .LBB203_154
.LBB203_135:
                                        ; implicit-def: $vgpr1
	s_mov_b64 s[4:5], 0
	s_cbranch_execnz .LBB203_330
.LBB203_136:
	s_andn2_b64 vcc, exec, s[4:5]
	s_cbranch_vccnz .LBB203_378
.LBB203_137:
	s_getpc_b64 s[4:5]
	s_add_u32 s4, s4, _ZZZZN2at6native33launch_standard_gamma_grad_kernelERNS_18TensorIteratorBaseEENKUlvE_clEvENKUlvE1_clEvENKUlN3c104HalfES6_E_clES6_S6_@rel32@lo+4
	s_addc_u32 s5, s5, _ZZZZN2at6native33launch_standard_gamma_grad_kernelERNS_18TensorIteratorBaseEENKUlvE_clEvENKUlvE1_clEvENKUlN3c104HalfES6_E_clES6_S6_@rel32@hi+12
	s_swappc_b64 s[30:31], s[4:5]
	v_mul_lo_u32 v1, v37, s36
	v_ashrrev_i32_e32 v3, 31, v1
	v_mov_b32_e32 v4, s25
	v_add_co_u32_e32 v2, vcc, s24, v1
	v_mov_b32_e32 v1, 11
	v_addc_co_u32_e32 v3, vcc, v4, v3, vcc
	v_cmp_lt_i16_sdwa s[4:5], v36, v1 src0_sel:BYTE_0 src1_sel:DWORD
	s_and_b64 vcc, exec, s[4:5]
	s_cbranch_vccnz .LBB203_145
; %bb.138:
	v_mov_b32_e32 v1, 25
	v_cmp_gt_i16_sdwa s[4:5], v36, v1 src0_sel:BYTE_0 src1_sel:DWORD
	s_and_b64 vcc, exec, s[4:5]
	s_cbranch_vccz .LBB203_147
; %bb.139:
	v_mov_b32_e32 v1, 28
	v_cmp_gt_i16_sdwa s[4:5], v36, v1 src0_sel:BYTE_0 src1_sel:DWORD
	s_and_b64 vcc, exec, s[4:5]
	s_cbranch_vccz .LBB203_149
	;; [unrolled: 5-line block ×4, first 2 shown]
; %bb.142:
	v_mov_b32_e32 v1, 46
	v_cmp_eq_u16_sdwa s[6:7], v36, v1 src0_sel:BYTE_0 src1_sel:DWORD
	s_mov_b64 s[8:9], 0
	s_mov_b64 s[4:5], -1
	s_and_b64 vcc, exec, s[6:7]
	s_mov_b64 s[6:7], 0
	s_cbranch_vccz .LBB203_158
; %bb.143:
	v_cvt_f32_f16_e32 v1, v0
	s_movk_i32 s4, 0x7fff
	v_mov_b32_e32 v4, 0x7fc0
	v_cmp_o_f16_e32 vcc, v0, v0
	v_bfe_u32 v5, v1, 16, 1
	v_add3_u32 v1, v1, v5, s4
	v_lshrrev_b32_e32 v1, 16, v1
	v_cndmask_b32_e32 v1, v4, v1, vcc
	global_store_dword v[2:3], v1, off
	s_mov_b64 s[6:7], -1
	s_mov_b64 s[4:5], 0
	s_branch .LBB203_158
.LBB203_144:
	s_mov_b64 s[6:7], -1
	s_mov_b64 s[4:5], 0
                                        ; implicit-def: $vgpr1
	s_branch .LBB203_294
.LBB203_145:
	s_mov_b64 s[8:9], -1
	s_mov_b64 s[4:5], 0
	s_mov_b64 s[6:7], 0
	s_branch .LBB203_227
.LBB203_146:
	s_mov_b64 s[6:7], -1
	s_mov_b64 s[4:5], 0
                                        ; implicit-def: $vgpr1
	s_branch .LBB203_275
.LBB203_147:
	s_mov_b64 s[8:9], -1
	s_mov_b64 s[4:5], 0
	s_mov_b64 s[6:7], 0
	s_branch .LBB203_185
.LBB203_148:
	s_mov_b64 s[6:7], -1
	s_mov_b64 s[4:5], 0
                                        ; implicit-def: $vgpr1
	s_branch .LBB203_270
.LBB203_149:
	s_mov_b64 s[8:9], -1
	s_mov_b64 s[4:5], 0
	s_mov_b64 s[6:7], 0
	s_branch .LBB203_168
.LBB203_150:
	s_mov_b64 s[6:7], -1
	s_branch .LBB203_153
.LBB203_151:
	s_mov_b64 s[8:9], -1
	s_mov_b64 s[4:5], 0
	s_mov_b64 s[6:7], 0
	s_branch .LBB203_164
.LBB203_152:
	s_mov_b64 s[42:43], -1
.LBB203_153:
	s_mov_b64 s[4:5], 0
                                        ; implicit-def: $vgpr1
.LBB203_154:
	s_and_b64 vcc, exec, s[6:7]
	s_cbranch_vccz .LBB203_269
; %bb.155:
	v_mov_b32_e32 v1, 44
	v_cmp_eq_u16_sdwa s[6:7], v38, v1 src0_sel:BYTE_0 src1_sel:DWORD
	s_and_b64 vcc, exec, s[6:7]
	s_cbranch_vccz .LBB203_268
; %bb.156:
	global_load_ubyte v1, v[2:3], off
	s_movk_i32 s6, 0xff
	v_mov_b32_e32 v5, 0x7e00
	s_mov_b64 s[4:5], -1
	s_mov_b64 s[42:43], 0
	s_waitcnt vmcnt(0)
	v_lshlrev_b32_e32 v4, 23, v1
	v_cvt_f16_f32_e32 v4, v4
	v_cmp_ne_u32_e32 vcc, s6, v1
	v_cndmask_b32_e32 v4, v5, v4, vcc
	v_cmp_ne_u32_e32 vcc, 0, v1
	v_cndmask_b32_e32 v1, 0, v4, vcc
	s_branch .LBB203_269
.LBB203_157:
	s_mov_b64 s[8:9], -1
	s_mov_b64 s[4:5], 0
	s_mov_b64 s[6:7], 0
.LBB203_158:
	s_and_b64 vcc, exec, s[8:9]
	s_cbranch_vccz .LBB203_163
; %bb.159:
	v_mov_b32_e32 v1, 44
	v_cmp_eq_u16_sdwa s[8:9], v36, v1 src0_sel:BYTE_0 src1_sel:DWORD
	s_mov_b64 s[4:5], -1
	s_and_b64 vcc, exec, s[8:9]
	s_cbranch_vccz .LBB203_163
; %bb.160:
	v_cvt_f32_f16_e32 v1, v0
	s_movk_i32 s4, 0xff
	v_mov_b32_e32 v5, 0xff
	v_bfe_u32 v4, v1, 23, 8
	v_cmp_ne_u32_e32 vcc, s4, v4
	s_and_saveexec_b64 s[6:7], vcc
; %bb.161:
	s_mov_b32 s4, 0x3fffff
	v_lshrrev_b32_e32 v5, 23, v1
	v_and_b32_e32 v6, 0x400000, v1
	v_and_or_b32 v1, v1, s4, v4
	v_cmp_ne_u32_e32 vcc, 0, v6
	v_cmp_ne_u32_e64 s[4:5], 0, v1
	s_and_b64 s[4:5], vcc, s[4:5]
	v_cndmask_b32_e64 v1, 0, 1, s[4:5]
	v_add_u32_e32 v5, v5, v1
; %bb.162:
	s_or_b64 exec, exec, s[6:7]
	s_mov_b64 s[6:7], -1
	s_mov_b64 s[4:5], 0
	global_store_byte v[2:3], v5, off
.LBB203_163:
	s_mov_b64 s[8:9], 0
.LBB203_164:
	s_and_b64 vcc, exec, s[8:9]
	s_cbranch_vccz .LBB203_167
; %bb.165:
	v_mov_b32_e32 v1, 29
	v_cmp_eq_u16_sdwa s[8:9], v36, v1 src0_sel:BYTE_0 src1_sel:DWORD
	s_mov_b64 s[4:5], -1
	s_and_b64 vcc, exec, s[8:9]
	s_cbranch_vccz .LBB203_167
; %bb.166:
	v_cvt_f32_f16_e32 v1, v0
	v_mov_b32_e32 v5, 0
	s_mov_b64 s[6:7], -1
	s_mov_b64 s[4:5], 0
	v_cvt_u32_f32_e32 v4, v1
	s_mov_b64 s[8:9], 0
	global_store_dwordx2 v[2:3], v[4:5], off
	s_branch .LBB203_168
.LBB203_167:
	s_mov_b64 s[8:9], 0
.LBB203_168:
	s_and_b64 vcc, exec, s[8:9]
	s_cbranch_vccz .LBB203_184
; %bb.169:
	v_mov_b32_e32 v1, 27
	v_cmp_lt_i16_sdwa s[8:9], v36, v1 src0_sel:BYTE_0 src1_sel:DWORD
	s_mov_b64 s[6:7], -1
	s_and_b64 vcc, exec, s[8:9]
	s_cbranch_vccnz .LBB203_175
; %bb.170:
	v_cmp_gt_i16_sdwa s[8:9], v36, v1 src0_sel:BYTE_0 src1_sel:DWORD
	s_and_b64 vcc, exec, s[8:9]
	s_cbranch_vccz .LBB203_172
; %bb.171:
	v_cvt_f32_f16_e32 v1, v0
	s_mov_b64 s[6:7], 0
	v_cvt_u32_f32_e32 v1, v1
	global_store_dword v[2:3], v1, off
.LBB203_172:
	s_andn2_b64 vcc, exec, s[6:7]
	s_cbranch_vccnz .LBB203_174
; %bb.173:
	v_cvt_u16_f16_e32 v1, v0
	global_store_short v[2:3], v1, off
.LBB203_174:
	s_mov_b64 s[6:7], 0
.LBB203_175:
	s_andn2_b64 vcc, exec, s[6:7]
	s_cbranch_vccnz .LBB203_183
; %bb.176:
	v_cvt_f32_f16_e32 v1, v0
	s_mov_b32 s6, 0x43800000
	v_mov_b32_e32 v5, 0x80
	v_and_b32_e32 v4, 0x7fffffff, v1
	v_cmp_gt_u32_e32 vcc, s6, v4
	s_and_saveexec_b64 s[6:7], vcc
	s_cbranch_execz .LBB203_182
; %bb.177:
	s_mov_b32 s8, 0x3bffffff
	v_cmp_lt_u32_e32 vcc, s8, v4
	s_mov_b64 s[8:9], 0
                                        ; implicit-def: $vgpr4
	s_and_saveexec_b64 s[10:11], vcc
	s_xor_b64 s[10:11], exec, s[10:11]
	s_cbranch_execz .LBB203_410
; %bb.178:
	v_bfe_u32 v4, v1, 20, 1
	s_mov_b32 s12, 0x487ffff
	v_add3_u32 v4, v1, v4, s12
	s_mov_b64 s[8:9], exec
	v_lshrrev_b32_e32 v4, 20, v4
	s_or_saveexec_b64 s[10:11], s[10:11]
                                        ; implicit-def: $sgpr12
	s_xor_b64 exec, exec, s[10:11]
	s_cbranch_execnz .LBB203_411
.LBB203_179:
	s_or_b64 exec, exec, s[10:11]
	v_mov_b32_e32 v5, s12
	s_and_saveexec_b64 s[10:11], s[8:9]
.LBB203_180:
	v_lshrrev_b32_e32 v1, 24, v1
	s_movk_i32 s8, 0x80
	v_and_or_b32 v5, v1, s8, v4
.LBB203_181:
	s_or_b64 exec, exec, s[10:11]
.LBB203_182:
	s_or_b64 exec, exec, s[6:7]
	global_store_byte v[2:3], v5, off
.LBB203_183:
	s_mov_b64 s[6:7], -1
.LBB203_184:
	s_mov_b64 s[8:9], 0
.LBB203_185:
	s_and_b64 vcc, exec, s[8:9]
	s_cbranch_vccz .LBB203_226
; %bb.186:
	v_mov_b32_e32 v1, 22
	v_cmp_gt_i16_sdwa s[10:11], v36, v1 src0_sel:BYTE_0 src1_sel:DWORD
	s_mov_b64 s[8:9], -1
	s_and_b64 vcc, exec, s[10:11]
	s_cbranch_vccz .LBB203_218
; %bb.187:
	v_mov_b32_e32 v1, 24
	v_cmp_lt_i16_sdwa s[8:9], v36, v1 src0_sel:BYTE_0 src1_sel:DWORD
	s_mov_b64 s[6:7], -1
	s_and_b64 vcc, exec, s[8:9]
	s_cbranch_vccnz .LBB203_207
; %bb.188:
	v_cmp_gt_i16_sdwa s[8:9], v36, v1 src0_sel:BYTE_0 src1_sel:DWORD
	s_and_b64 vcc, exec, s[8:9]
	s_cbranch_vccz .LBB203_196
; %bb.189:
	v_cvt_f32_f16_e32 v1, v0
	s_mov_b32 s6, 0x47800000
	v_mov_b32_e32 v5, 0x80
	v_and_b32_e32 v4, 0x7fffffff, v1
	v_cmp_gt_u32_e32 vcc, s6, v4
	s_and_saveexec_b64 s[6:7], vcc
	s_cbranch_execz .LBB203_195
; %bb.190:
	s_mov_b32 s8, 0x37ffffff
	v_cmp_lt_u32_e32 vcc, s8, v4
	s_mov_b64 s[8:9], 0
                                        ; implicit-def: $vgpr4
	s_and_saveexec_b64 s[10:11], vcc
	s_xor_b64 s[10:11], exec, s[10:11]
	s_cbranch_execz .LBB203_529
; %bb.191:
	v_bfe_u32 v4, v1, 21, 1
	s_mov_b32 s12, 0x88fffff
	v_add3_u32 v4, v1, v4, s12
	s_mov_b64 s[8:9], exec
	v_lshrrev_b32_e32 v4, 21, v4
	s_or_saveexec_b64 s[10:11], s[10:11]
                                        ; implicit-def: $sgpr12
	s_xor_b64 exec, exec, s[10:11]
	s_cbranch_execnz .LBB203_530
.LBB203_192:
	s_or_b64 exec, exec, s[10:11]
	v_mov_b32_e32 v5, s12
	s_and_saveexec_b64 s[10:11], s[8:9]
.LBB203_193:
	v_lshrrev_b32_e32 v1, 24, v1
	s_movk_i32 s8, 0x80
	v_and_or_b32 v5, v1, s8, v4
.LBB203_194:
	s_or_b64 exec, exec, s[10:11]
.LBB203_195:
	s_or_b64 exec, exec, s[6:7]
	s_mov_b64 s[6:7], 0
	global_store_byte v[2:3], v5, off
.LBB203_196:
	s_and_b64 vcc, exec, s[6:7]
	s_cbranch_vccz .LBB203_206
; %bb.197:
	v_cvt_f32_f16_e32 v1, v0
	s_mov_b32 s6, 0x43f00000
                                        ; implicit-def: $vgpr4
	v_and_b32_e32 v5, 0x7fffffff, v1
	v_cmp_gt_u32_e32 vcc, s6, v5
	s_and_saveexec_b64 s[6:7], vcc
	s_xor_b64 s[6:7], exec, s[6:7]
	s_cbranch_execz .LBB203_203
; %bb.198:
	s_mov_b32 s8, 0x3c7fffff
	v_cmp_lt_u32_e32 vcc, s8, v5
                                        ; implicit-def: $vgpr4
	s_and_saveexec_b64 s[8:9], vcc
	s_xor_b64 s[8:9], exec, s[8:9]
; %bb.199:
	v_bfe_u32 v4, v1, 20, 1
	s_mov_b32 s10, 0x407ffff
	v_add3_u32 v4, v1, v4, s10
	v_lshrrev_b32_e32 v5, 20, v4
	v_and_b32_e32 v4, 0xff00000, v4
	s_mov_b32 s10, 0x7f00000
	v_mov_b32_e32 v6, 0x7e
	v_cmp_ne_u32_e32 vcc, s10, v4
	v_cndmask_b32_e32 v4, v6, v5, vcc
; %bb.200:
	s_andn2_saveexec_b64 s[8:9], s[8:9]
; %bb.201:
	s_mov_b32 s10, 0x46800000
	v_add_f32_e64 v4, |v1|, s10
; %bb.202:
	s_or_b64 exec, exec, s[8:9]
                                        ; implicit-def: $vgpr5
.LBB203_203:
	s_andn2_saveexec_b64 s[6:7], s[6:7]
; %bb.204:
	s_mov_b32 s8, 0x7f800000
	v_mov_b32_e32 v4, 0x7e
	v_mov_b32_e32 v6, 0x7f
	v_cmp_lt_u32_e32 vcc, s8, v5
	v_cndmask_b32_e32 v4, v4, v6, vcc
; %bb.205:
	s_or_b64 exec, exec, s[6:7]
	v_lshrrev_b32_e32 v1, 24, v1
	s_movk_i32 s6, 0x80
	v_and_or_b32 v1, v1, s6, v4
	global_store_byte v[2:3], v1, off
.LBB203_206:
	s_mov_b64 s[6:7], 0
.LBB203_207:
	s_andn2_b64 vcc, exec, s[6:7]
	s_cbranch_vccnz .LBB203_217
; %bb.208:
	v_cvt_f32_f16_e32 v1, v0
	s_mov_b32 s6, 0x47800000
                                        ; implicit-def: $vgpr4
	v_and_b32_e32 v5, 0x7fffffff, v1
	v_cmp_gt_u32_e32 vcc, s6, v5
	s_and_saveexec_b64 s[6:7], vcc
	s_xor_b64 s[6:7], exec, s[6:7]
	s_cbranch_execz .LBB203_214
; %bb.209:
	s_mov_b32 s8, 0x387fffff
	v_cmp_lt_u32_e32 vcc, s8, v5
                                        ; implicit-def: $vgpr4
	s_and_saveexec_b64 s[8:9], vcc
	s_xor_b64 s[8:9], exec, s[8:9]
; %bb.210:
	v_bfe_u32 v4, v1, 21, 1
	s_mov_b32 s10, 0x80fffff
	v_add3_u32 v4, v1, v4, s10
	v_lshrrev_b32_e32 v4, 21, v4
; %bb.211:
	s_andn2_saveexec_b64 s[8:9], s[8:9]
; %bb.212:
	s_mov_b32 s10, 0x43000000
	v_add_f32_e64 v4, |v1|, s10
; %bb.213:
	s_or_b64 exec, exec, s[8:9]
                                        ; implicit-def: $vgpr5
.LBB203_214:
	s_andn2_saveexec_b64 s[6:7], s[6:7]
; %bb.215:
	s_mov_b32 s8, 0x7f800000
	v_mov_b32_e32 v4, 0x7c
	v_mov_b32_e32 v6, 0x7f
	v_cmp_lt_u32_e32 vcc, s8, v5
	v_cndmask_b32_e32 v4, v4, v6, vcc
; %bb.216:
	s_or_b64 exec, exec, s[6:7]
	v_lshrrev_b32_e32 v1, 24, v1
	s_movk_i32 s6, 0x80
	v_and_or_b32 v1, v1, s6, v4
	global_store_byte v[2:3], v1, off
.LBB203_217:
	s_mov_b64 s[8:9], 0
	s_mov_b64 s[6:7], -1
.LBB203_218:
	s_andn2_b64 vcc, exec, s[8:9]
	s_cbranch_vccnz .LBB203_226
; %bb.219:
	v_mov_b32_e32 v1, 14
	v_cmp_gt_i16_sdwa s[10:11], v36, v1 src0_sel:BYTE_0 src1_sel:DWORD
	s_mov_b64 s[8:9], -1
	s_and_b64 vcc, exec, s[10:11]
	s_cbranch_vccz .LBB203_223
; %bb.220:
	v_mov_b32_e32 v1, 15
	v_cmp_eq_u16_sdwa s[8:9], v36, v1 src0_sel:BYTE_0 src1_sel:DWORD
	s_mov_b64 s[4:5], -1
	s_and_b64 vcc, exec, s[8:9]
	s_cbranch_vccz .LBB203_222
; %bb.221:
	v_cvt_f32_f16_e32 v1, v0
	s_movk_i32 s4, 0x7fff
	v_mov_b32_e32 v4, 0x7fc0
	v_cmp_o_f16_e32 vcc, v0, v0
	v_bfe_u32 v5, v1, 16, 1
	v_add3_u32 v1, v1, v5, s4
	v_lshrrev_b32_e32 v1, 16, v1
	v_cndmask_b32_e32 v1, v4, v1, vcc
	global_store_short v[2:3], v1, off
	s_mov_b64 s[6:7], -1
	s_mov_b64 s[4:5], 0
.LBB203_222:
	s_mov_b64 s[8:9], 0
.LBB203_223:
	s_and_b64 vcc, exec, s[8:9]
	s_cbranch_vccz .LBB203_226
; %bb.224:
	v_mov_b32_e32 v1, 11
	v_cmp_eq_u16_sdwa s[8:9], v36, v1 src0_sel:BYTE_0 src1_sel:DWORD
	s_mov_b64 s[4:5], -1
	s_and_b64 vcc, exec, s[8:9]
	s_cbranch_vccz .LBB203_226
; %bb.225:
	v_and_b32_e32 v1, 0x7fff, v0
	v_cmp_ne_u16_e32 vcc, 0, v1
	v_cndmask_b32_e64 v1, 0, 1, vcc
	s_mov_b64 s[6:7], -1
	s_mov_b64 s[4:5], 0
	global_store_byte v[2:3], v1, off
.LBB203_226:
	s_mov_b64 s[8:9], 0
.LBB203_227:
	s_and_b64 vcc, exec, s[8:9]
	s_cbranch_vccz .LBB203_266
; %bb.228:
	v_mov_b32_e32 v1, 5
	v_cmp_lt_i16_sdwa s[8:9], v36, v1 src0_sel:BYTE_0 src1_sel:DWORD
	s_mov_b64 s[6:7], -1
	s_and_b64 vcc, exec, s[8:9]
	s_cbranch_vccnz .LBB203_249
; %bb.229:
	v_mov_b32_e32 v1, 8
	v_cmp_lt_i16_sdwa s[8:9], v36, v1 src0_sel:BYTE_0 src1_sel:DWORD
	s_and_b64 vcc, exec, s[8:9]
	s_cbranch_vccnz .LBB203_239
; %bb.230:
	v_mov_b32_e32 v1, 9
	v_cmp_lt_i16_sdwa s[8:9], v36, v1 src0_sel:BYTE_0 src1_sel:DWORD
	s_and_b64 vcc, exec, s[8:9]
	s_cbranch_vccnz .LBB203_236
; %bb.231:
	v_cmp_gt_i16_sdwa s[8:9], v36, v1 src0_sel:BYTE_0 src1_sel:DWORD
	s_and_b64 vcc, exec, s[8:9]
	s_cbranch_vccz .LBB203_233
; %bb.232:
	v_cvt_f32_f16_e32 v1, v0
	v_mov_b32_e32 v6, 0
	v_mov_b32_e32 v7, v6
	s_mov_b64 s[6:7], 0
	v_cvt_f64_f32_e32 v[4:5], v1
	global_store_dwordx4 v[2:3], v[4:7], off
.LBB203_233:
	s_andn2_b64 vcc, exec, s[6:7]
	s_cbranch_vccnz .LBB203_235
; %bb.234:
	v_cvt_f32_f16_e32 v4, v0
	v_mov_b32_e32 v5, 0
	global_store_dwordx2 v[2:3], v[4:5], off
.LBB203_235:
	s_mov_b64 s[6:7], 0
.LBB203_236:
	s_andn2_b64 vcc, exec, s[6:7]
	s_cbranch_vccnz .LBB203_238
; %bb.237:
	v_and_b32_e32 v1, 0xffff, v0
	global_store_dword v[2:3], v1, off
.LBB203_238:
	s_mov_b64 s[6:7], 0
.LBB203_239:
	s_andn2_b64 vcc, exec, s[6:7]
	s_cbranch_vccnz .LBB203_248
; %bb.240:
	v_mov_b32_e32 v1, 6
	v_cmp_lt_i16_sdwa s[8:9], v36, v1 src0_sel:BYTE_0 src1_sel:DWORD
	s_mov_b64 s[6:7], -1
	s_and_b64 vcc, exec, s[8:9]
	s_cbranch_vccnz .LBB203_246
; %bb.241:
	v_cmp_gt_i16_sdwa s[8:9], v36, v1 src0_sel:BYTE_0 src1_sel:DWORD
	s_and_b64 vcc, exec, s[8:9]
	s_cbranch_vccz .LBB203_243
; %bb.242:
	v_cvt_f32_f16_e32 v1, v0
	s_mov_b64 s[6:7], 0
	v_cvt_f64_f32_e32 v[4:5], v1
	global_store_dwordx2 v[2:3], v[4:5], off
.LBB203_243:
	s_andn2_b64 vcc, exec, s[6:7]
	s_cbranch_vccnz .LBB203_245
; %bb.244:
	v_cvt_f32_f16_e32 v1, v0
	global_store_dword v[2:3], v1, off
.LBB203_245:
	s_mov_b64 s[6:7], 0
.LBB203_246:
	s_andn2_b64 vcc, exec, s[6:7]
	s_cbranch_vccnz .LBB203_248
; %bb.247:
	global_store_short v[2:3], v0, off
.LBB203_248:
	s_mov_b64 s[6:7], 0
.LBB203_249:
	s_andn2_b64 vcc, exec, s[6:7]
	s_cbranch_vccnz .LBB203_265
; %bb.250:
	v_mov_b32_e32 v1, 2
	v_cmp_lt_i16_sdwa s[8:9], v36, v1 src0_sel:BYTE_0 src1_sel:DWORD
	s_mov_b64 s[6:7], -1
	s_and_b64 vcc, exec, s[8:9]
	s_cbranch_vccnz .LBB203_260
; %bb.251:
	v_mov_b32_e32 v1, 3
	v_cmp_lt_i16_sdwa s[8:9], v36, v1 src0_sel:BYTE_0 src1_sel:DWORD
	s_and_b64 vcc, exec, s[8:9]
	s_cbranch_vccnz .LBB203_257
; %bb.252:
	v_cmp_gt_i16_sdwa s[8:9], v36, v1 src0_sel:BYTE_0 src1_sel:DWORD
	s_and_b64 vcc, exec, s[8:9]
	s_cbranch_vccz .LBB203_254
; %bb.253:
	v_cvt_f32_f16_e32 v1, v0
	s_mov_b64 s[6:7], 0
	v_cvt_i32_f32_e32 v4, v1
	v_ashrrev_i32_e32 v5, 31, v4
	global_store_dwordx2 v[2:3], v[4:5], off
.LBB203_254:
	s_andn2_b64 vcc, exec, s[6:7]
	s_cbranch_vccnz .LBB203_256
; %bb.255:
	v_cvt_f32_f16_e32 v1, v0
	v_cvt_i32_f32_e32 v1, v1
	global_store_dword v[2:3], v1, off
.LBB203_256:
	s_mov_b64 s[6:7], 0
.LBB203_257:
	s_andn2_b64 vcc, exec, s[6:7]
	s_cbranch_vccnz .LBB203_259
; %bb.258:
	v_cvt_i16_f16_e32 v1, v0
	global_store_short v[2:3], v1, off
.LBB203_259:
	s_mov_b64 s[6:7], 0
.LBB203_260:
	s_andn2_b64 vcc, exec, s[6:7]
	s_cbranch_vccnz .LBB203_265
; %bb.261:
	v_mov_b32_e32 v1, 0
	v_cmp_gt_i16_sdwa s[8:9], v36, v1 src0_sel:BYTE_0 src1_sel:DWORD
	s_mov_b64 s[6:7], -1
	s_and_b64 vcc, exec, s[8:9]
	s_cbranch_vccz .LBB203_263
; %bb.262:
	v_cvt_i16_f16_e32 v1, v0
	global_store_byte v[2:3], v1, off
	s_mov_b64 s[6:7], 0
.LBB203_263:
	s_andn2_b64 vcc, exec, s[6:7]
	s_cbranch_vccnz .LBB203_265
; %bb.264:
	v_cvt_f32_f16_e32 v0, v0
	v_cvt_i32_f32_e32 v0, v0
	global_store_byte v[2:3], v0, off
.LBB203_265:
	s_mov_b64 s[6:7], -1
.LBB203_266:
	s_andn2_b64 vcc, exec, s[6:7]
	s_cbranch_vccnz .LBB203_379
; %bb.267:
	v_add_u32_e32 v37, 0x80, v37
	s_mov_b64 s[6:7], -1
	s_branch .LBB203_380
.LBB203_268:
	s_mov_b64 s[42:43], -1
                                        ; implicit-def: $vgpr1
.LBB203_269:
	s_mov_b64 s[6:7], 0
.LBB203_270:
	s_and_b64 vcc, exec, s[6:7]
	s_cbranch_vccz .LBB203_274
; %bb.271:
	v_mov_b32_e32 v1, 29
	v_cmp_eq_u16_sdwa s[6:7], v38, v1 src0_sel:BYTE_0 src1_sel:DWORD
	s_and_b64 vcc, exec, s[6:7]
	s_cbranch_vccz .LBB203_273
; %bb.272:
	global_load_dwordx2 v[4:5], v[2:3], off
	s_mov_b64 s[4:5], -1
	s_mov_b64 s[42:43], 0
	s_mov_b64 s[6:7], 0
	s_waitcnt vmcnt(0)
	v_ffbh_u32_e32 v1, v5
	v_min_u32_e32 v1, 32, v1
	v_lshlrev_b64 v[4:5], v1, v[4:5]
	v_min_u32_e32 v4, 1, v4
	v_or_b32_e32 v4, v5, v4
	v_cvt_f32_u32_e32 v4, v4
	v_sub_u32_e32 v1, 32, v1
	v_ldexp_f32 v1, v4, v1
	v_cvt_f16_f32_e32 v1, v1
	s_branch .LBB203_275
.LBB203_273:
	s_mov_b64 s[42:43], -1
                                        ; implicit-def: $vgpr1
.LBB203_274:
	s_mov_b64 s[6:7], 0
.LBB203_275:
	s_and_b64 vcc, exec, s[6:7]
	s_cbranch_vccz .LBB203_293
; %bb.276:
	v_mov_b32_e32 v1, 27
	v_cmp_lt_i16_sdwa s[4:5], v38, v1 src0_sel:BYTE_0 src1_sel:DWORD
	s_and_b64 vcc, exec, s[4:5]
	s_cbranch_vccnz .LBB203_279
; %bb.277:
	v_cmp_gt_i16_sdwa s[4:5], v38, v1 src0_sel:BYTE_0 src1_sel:DWORD
	s_and_b64 vcc, exec, s[4:5]
	s_cbranch_vccz .LBB203_280
; %bb.278:
	global_load_dword v1, v[2:3], off
	s_mov_b64 s[4:5], 0
	s_waitcnt vmcnt(0)
	v_cvt_f32_u32_e32 v1, v1
	v_cvt_f16_f32_e32 v1, v1
	s_branch .LBB203_281
.LBB203_279:
	s_mov_b64 s[4:5], -1
                                        ; implicit-def: $vgpr1
	s_branch .LBB203_284
.LBB203_280:
	s_mov_b64 s[4:5], -1
                                        ; implicit-def: $vgpr1
.LBB203_281:
	s_andn2_b64 vcc, exec, s[4:5]
	s_cbranch_vccnz .LBB203_283
; %bb.282:
	global_load_ushort v1, v[2:3], off
	s_waitcnt vmcnt(0)
	v_cvt_f16_u16_e32 v1, v1
.LBB203_283:
	s_mov_b64 s[4:5], 0
.LBB203_284:
	s_andn2_b64 vcc, exec, s[4:5]
	s_cbranch_vccnz .LBB203_292
; %bb.285:
	global_load_ubyte v4, v[2:3], off
	s_movk_i32 s4, 0x7f
                                        ; implicit-def: $sgpr10
	s_waitcnt vmcnt(0)
	v_cmp_lt_i16_e32 vcc, s4, v4
	s_mov_b64 s[4:5], 0
	s_and_saveexec_b64 s[6:7], vcc
	s_xor_b64 s[6:7], exec, s[6:7]
	s_cbranch_execz .LBB203_306
; %bb.286:
	s_movk_i32 s4, 0x80
	v_cmp_eq_u16_e32 vcc, s4, v4
	s_mov_b64 s[4:5], -1
                                        ; implicit-def: $sgpr10
	s_and_saveexec_b64 s[8:9], vcc
; %bb.287:
	s_movk_i32 s10, 0x7e00
	s_xor_b64 s[4:5], exec, -1
; %bb.288:
	s_or_b64 exec, exec, s[8:9]
	s_and_b64 s[4:5], s[4:5], exec
	s_or_saveexec_b64 s[6:7], s[6:7]
	v_mov_b32_e32 v1, s10
	s_xor_b64 exec, exec, s[6:7]
	s_cbranch_execnz .LBB203_307
.LBB203_289:
	s_or_b64 exec, exec, s[6:7]
	s_and_saveexec_b64 s[6:7], s[4:5]
	s_cbranch_execz .LBB203_291
.LBB203_290:
	v_lshlrev_b32_e32 v1, 24, v4
	v_and_b32_e32 v4, 0xffff, v4
	v_and_b32_e32 v5, 7, v4
	v_ffbh_u32_e32 v7, v5
	v_min_u32_e32 v7, 32, v7
	v_subrev_u32_e32 v8, 28, v7
	v_bfe_u32 v6, v4, 3, 4
	v_lshlrev_b32_e32 v4, v8, v4
	v_sub_u32_e32 v7, 29, v7
	v_and_b32_e32 v4, 7, v4
	v_cmp_eq_u32_e32 vcc, 0, v6
	v_cndmask_b32_e32 v6, v6, v7, vcc
	v_cndmask_b32_e32 v4, v5, v4, vcc
	v_mov_b32_e32 v5, 0x3b800000
	v_lshlrev_b32_e32 v4, 20, v4
	v_and_b32_e32 v1, 0x80000000, v1
	v_lshl_add_u32 v5, v6, 23, v5
	v_or3_b32 v1, v1, v5, v4
	v_cvt_f16_f32_e32 v1, v1
.LBB203_291:
	s_or_b64 exec, exec, s[6:7]
.LBB203_292:
	s_mov_b64 s[4:5], -1
.LBB203_293:
	s_mov_b64 s[6:7], 0
.LBB203_294:
	s_and_b64 vcc, exec, s[6:7]
	s_cbranch_vccz .LBB203_329
; %bb.295:
	v_mov_b32_e32 v1, 22
	v_cmp_gt_i16_sdwa s[6:7], v38, v1 src0_sel:BYTE_0 src1_sel:DWORD
	s_and_b64 vcc, exec, s[6:7]
	s_cbranch_vccz .LBB203_305
; %bb.296:
	v_mov_b32_e32 v1, 24
	v_cmp_lt_i16_sdwa s[4:5], v38, v1 src0_sel:BYTE_0 src1_sel:DWORD
	s_and_b64 vcc, exec, s[4:5]
	s_cbranch_vccnz .LBB203_308
; %bb.297:
	v_cmp_gt_i16_sdwa s[4:5], v38, v1 src0_sel:BYTE_0 src1_sel:DWORD
	s_and_b64 vcc, exec, s[4:5]
	s_cbranch_vccz .LBB203_309
; %bb.298:
	global_load_ubyte v4, v[2:3], off
	s_movk_i32 s4, 0x7f
                                        ; implicit-def: $sgpr10
	s_waitcnt vmcnt(0)
	v_cmp_lt_i16_e32 vcc, s4, v4
	s_mov_b64 s[4:5], 0
	s_and_saveexec_b64 s[6:7], vcc
	s_xor_b64 s[6:7], exec, s[6:7]
	s_cbranch_execz .LBB203_321
; %bb.299:
	s_movk_i32 s4, 0x80
	v_cmp_eq_u16_e32 vcc, s4, v4
	s_mov_b64 s[4:5], -1
                                        ; implicit-def: $sgpr10
	s_and_saveexec_b64 s[8:9], vcc
; %bb.300:
	s_movk_i32 s10, 0x7e00
	s_xor_b64 s[4:5], exec, -1
; %bb.301:
	s_or_b64 exec, exec, s[8:9]
	s_and_b64 s[4:5], s[4:5], exec
	s_or_saveexec_b64 s[6:7], s[6:7]
	v_mov_b32_e32 v1, s10
	s_xor_b64 exec, exec, s[6:7]
	s_cbranch_execnz .LBB203_322
.LBB203_302:
	s_or_b64 exec, exec, s[6:7]
	s_and_saveexec_b64 s[6:7], s[4:5]
	s_cbranch_execz .LBB203_304
.LBB203_303:
	v_lshlrev_b32_e32 v1, 24, v4
	v_and_b32_e32 v4, 0xffff, v4
	v_and_b32_e32 v5, 3, v4
	v_ffbh_u32_e32 v7, v5
	v_min_u32_e32 v7, 32, v7
	v_subrev_u32_e32 v8, 29, v7
	v_bfe_u32 v6, v4, 2, 5
	v_lshlrev_b32_e32 v4, v8, v4
	v_sub_u32_e32 v7, 30, v7
	v_and_b32_e32 v4, 3, v4
	v_cmp_eq_u32_e32 vcc, 0, v6
	v_cndmask_b32_e32 v6, v6, v7, vcc
	v_cndmask_b32_e32 v4, v5, v4, vcc
	v_mov_b32_e32 v5, 0x37800000
	v_lshlrev_b32_e32 v4, 21, v4
	v_and_b32_e32 v1, 0x80000000, v1
	v_lshl_add_u32 v5, v6, 23, v5
	v_or3_b32 v1, v1, v5, v4
	v_cvt_f16_f32_e32 v1, v1
.LBB203_304:
	s_or_b64 exec, exec, s[6:7]
	s_mov_b64 s[4:5], 0
	s_branch .LBB203_310
.LBB203_305:
	s_mov_b64 s[6:7], -1
                                        ; implicit-def: $vgpr1
	s_branch .LBB203_316
.LBB203_306:
	s_or_saveexec_b64 s[6:7], s[6:7]
	v_mov_b32_e32 v1, s10
	s_xor_b64 exec, exec, s[6:7]
	s_cbranch_execz .LBB203_289
.LBB203_307:
	v_cmp_ne_u16_e32 vcc, 0, v4
	s_andn2_b64 s[4:5], s[4:5], exec
	s_and_b64 s[8:9], vcc, exec
	s_or_b64 s[4:5], s[4:5], s[8:9]
	v_mov_b32_e32 v1, v4
	s_or_b64 exec, exec, s[6:7]
	s_and_saveexec_b64 s[6:7], s[4:5]
	s_cbranch_execnz .LBB203_290
	s_branch .LBB203_291
.LBB203_308:
	s_mov_b64 s[4:5], -1
                                        ; implicit-def: $vgpr1
	s_branch .LBB203_313
.LBB203_309:
	s_mov_b64 s[4:5], -1
                                        ; implicit-def: $vgpr1
.LBB203_310:
	s_and_b64 vcc, exec, s[4:5]
	s_cbranch_vccz .LBB203_312
; %bb.311:
	global_load_ubyte v1, v[2:3], off
	s_mov_b32 s4, 0x7f800000
	s_waitcnt vmcnt(0)
	v_lshlrev_b32_e32 v1, 24, v1
	v_and_b32_e32 v4, 0x7f000000, v1
	v_ffbh_u32_e32 v5, v4
	v_min_u32_e32 v5, 32, v5
	v_sub_u32_e64 v5, v5, 4 clamp
	v_lshlrev_b32_e32 v7, v5, v4
	v_lshlrev_b32_e32 v5, 23, v5
	v_lshrrev_b32_e32 v7, 4, v7
	v_add_u32_e32 v6, 0x1000000, v4
	v_sub_u32_e32 v5, v7, v5
	v_ashrrev_i32_e32 v6, 8, v6
	v_add_u32_e32 v5, 0x3c000000, v5
	v_and_or_b32 v5, v6, s4, v5
	v_cmp_ne_u32_e32 vcc, 0, v4
	v_cndmask_b32_e32 v4, 0, v5, vcc
	s_brev_b32 s4, 1
	v_and_or_b32 v1, v1, s4, v4
	v_cvt_f16_f32_e32 v1, v1
.LBB203_312:
	s_mov_b64 s[4:5], 0
.LBB203_313:
	s_andn2_b64 vcc, exec, s[4:5]
	s_cbranch_vccnz .LBB203_315
; %bb.314:
	global_load_ubyte v1, v[2:3], off
	s_movk_i32 s4, 0x7f00
	s_brev_b32 s5, 16
	s_waitcnt vmcnt(0)
	v_lshlrev_b16_e32 v4, 8, v1
	v_lshlrev_b32_e32 v1, 25, v1
	v_lshrrev_b32_e32 v5, 4, v1
	v_and_or_b32 v6, v4, s4, 0.5
	v_or_b32_e32 v5, 0x70000000, v5
	v_add_f32_e32 v6, -0.5, v6
	v_mul_f32_e32 v5, 0x7800000, v5
	v_cmp_gt_u32_e32 vcc, s5, v1
	v_bfe_i32 v4, v4, 0, 16
	v_cndmask_b32_e32 v1, v5, v6, vcc
	s_brev_b32 s4, 1
	v_and_or_b32 v1, v4, s4, v1
	v_cvt_f16_f32_e32 v1, v1
.LBB203_315:
	s_mov_b64 s[6:7], 0
	s_mov_b64 s[4:5], -1
.LBB203_316:
	s_andn2_b64 vcc, exec, s[6:7]
	s_cbranch_vccnz .LBB203_329
; %bb.317:
	v_mov_b32_e32 v1, 14
	v_cmp_gt_i16_sdwa s[6:7], v38, v1 src0_sel:BYTE_0 src1_sel:DWORD
	s_and_b64 vcc, exec, s[6:7]
	s_cbranch_vccz .LBB203_320
; %bb.318:
	v_mov_b32_e32 v1, 15
	v_cmp_eq_u16_sdwa s[6:7], v38, v1 src0_sel:BYTE_0 src1_sel:DWORD
	s_and_b64 vcc, exec, s[6:7]
	s_cbranch_vccz .LBB203_323
; %bb.319:
	global_load_ushort v1, v[2:3], off
	s_mov_b64 s[4:5], -1
	s_mov_b64 s[42:43], 0
	s_waitcnt vmcnt(0)
	v_lshlrev_b32_e32 v1, 16, v1
	v_cvt_f16_f32_e32 v1, v1
	s_branch .LBB203_324
.LBB203_320:
	s_mov_b64 s[6:7], -1
                                        ; implicit-def: $vgpr1
	s_branch .LBB203_325
.LBB203_321:
	s_or_saveexec_b64 s[6:7], s[6:7]
	v_mov_b32_e32 v1, s10
	s_xor_b64 exec, exec, s[6:7]
	s_cbranch_execz .LBB203_302
.LBB203_322:
	v_cmp_ne_u16_e32 vcc, 0, v4
	s_andn2_b64 s[4:5], s[4:5], exec
	s_and_b64 s[8:9], vcc, exec
	s_or_b64 s[4:5], s[4:5], s[8:9]
	v_mov_b32_e32 v1, v4
	s_or_b64 exec, exec, s[6:7]
	s_and_saveexec_b64 s[6:7], s[4:5]
	s_cbranch_execnz .LBB203_303
	s_branch .LBB203_304
.LBB203_323:
	s_mov_b64 s[42:43], -1
                                        ; implicit-def: $vgpr1
.LBB203_324:
	s_mov_b64 s[6:7], 0
.LBB203_325:
	s_and_b64 vcc, exec, s[6:7]
	s_cbranch_vccz .LBB203_329
; %bb.326:
	v_mov_b32_e32 v1, 11
	v_cmp_eq_u16_sdwa s[6:7], v38, v1 src0_sel:BYTE_0 src1_sel:DWORD
	s_and_b64 vcc, exec, s[6:7]
	s_cbranch_vccz .LBB203_328
; %bb.327:
	global_load_ubyte v1, v[2:3], off
	v_mov_b32_e32 v4, 0x3c00
	s_mov_b64 s[4:5], -1
	s_mov_b64 s[42:43], 0
	s_waitcnt vmcnt(0)
	v_cmp_ne_u16_e32 vcc, 0, v1
	v_cndmask_b32_e32 v1, 0, v4, vcc
	s_branch .LBB203_329
.LBB203_328:
	s_mov_b64 s[42:43], -1
                                        ; implicit-def: $vgpr1
.LBB203_329:
	s_branch .LBB203_136
.LBB203_330:
	v_mov_b32_e32 v1, 5
	v_cmp_lt_i16_sdwa s[4:5], v38, v1 src0_sel:BYTE_0 src1_sel:DWORD
	s_and_b64 vcc, exec, s[4:5]
	s_cbranch_vccnz .LBB203_335
; %bb.331:
	v_mov_b32_e32 v1, 8
	v_cmp_lt_i16_sdwa s[4:5], v38, v1 src0_sel:BYTE_0 src1_sel:DWORD
	s_and_b64 vcc, exec, s[4:5]
	s_cbranch_vccnz .LBB203_336
; %bb.332:
	;; [unrolled: 5-line block ×3, first 2 shown]
	v_cmp_gt_i16_sdwa s[4:5], v38, v1 src0_sel:BYTE_0 src1_sel:DWORD
	s_and_b64 vcc, exec, s[4:5]
	s_cbranch_vccz .LBB203_338
; %bb.334:
	global_load_dwordx2 v[4:5], v[2:3], off
	s_mov_b64 s[4:5], 0
	s_waitcnt vmcnt(0)
	v_cvt_f32_f64_e32 v1, v[4:5]
	v_cvt_f16_f32_e32 v1, v1
	s_branch .LBB203_339
.LBB203_335:
	s_mov_b64 s[4:5], -1
                                        ; implicit-def: $vgpr1
	s_branch .LBB203_357
.LBB203_336:
	s_mov_b64 s[4:5], -1
                                        ; implicit-def: $vgpr1
	s_branch .LBB203_345
.LBB203_337:
	s_mov_b64 s[4:5], -1
                                        ; implicit-def: $vgpr1
	s_branch .LBB203_342
.LBB203_338:
	s_mov_b64 s[4:5], -1
                                        ; implicit-def: $vgpr1
.LBB203_339:
	s_andn2_b64 vcc, exec, s[4:5]
	s_cbranch_vccnz .LBB203_341
; %bb.340:
	global_load_dword v1, v[2:3], off
	s_waitcnt vmcnt(0)
	v_cvt_f16_f32_e32 v1, v1
.LBB203_341:
	s_mov_b64 s[4:5], 0
.LBB203_342:
	s_andn2_b64 vcc, exec, s[4:5]
	s_cbranch_vccnz .LBB203_344
; %bb.343:
	global_load_dword v1, v[2:3], off
.LBB203_344:
	s_mov_b64 s[4:5], 0
.LBB203_345:
	s_andn2_b64 vcc, exec, s[4:5]
	s_cbranch_vccnz .LBB203_356
; %bb.346:
	s_waitcnt vmcnt(0)
	v_mov_b32_e32 v1, 6
	v_cmp_lt_i16_sdwa s[4:5], v38, v1 src0_sel:BYTE_0 src1_sel:DWORD
	s_and_b64 vcc, exec, s[4:5]
	s_cbranch_vccnz .LBB203_349
; %bb.347:
	v_cmp_gt_i16_sdwa s[4:5], v38, v1 src0_sel:BYTE_0 src1_sel:DWORD
	s_and_b64 vcc, exec, s[4:5]
	s_cbranch_vccz .LBB203_350
; %bb.348:
	global_load_dwordx2 v[4:5], v[2:3], off
	s_mov_b64 s[4:5], 0
	s_waitcnt vmcnt(0)
	v_cvt_f32_f64_e32 v1, v[4:5]
	v_cvt_f16_f32_e32 v1, v1
	s_branch .LBB203_351
.LBB203_349:
	s_mov_b64 s[4:5], -1
                                        ; implicit-def: $vgpr1
	s_branch .LBB203_354
.LBB203_350:
	s_mov_b64 s[4:5], -1
                                        ; implicit-def: $vgpr1
.LBB203_351:
	s_andn2_b64 vcc, exec, s[4:5]
	s_cbranch_vccnz .LBB203_353
; %bb.352:
	global_load_dword v1, v[2:3], off
	s_waitcnt vmcnt(0)
	v_cvt_f16_f32_e32 v1, v1
.LBB203_353:
	s_mov_b64 s[4:5], 0
.LBB203_354:
	s_andn2_b64 vcc, exec, s[4:5]
	s_cbranch_vccnz .LBB203_356
; %bb.355:
	global_load_ushort v1, v[2:3], off
.LBB203_356:
	s_mov_b64 s[4:5], 0
.LBB203_357:
	s_andn2_b64 vcc, exec, s[4:5]
	s_cbranch_vccnz .LBB203_377
; %bb.358:
	s_waitcnt vmcnt(0)
	v_mov_b32_e32 v1, 2
	v_cmp_lt_i16_sdwa s[4:5], v38, v1 src0_sel:BYTE_0 src1_sel:DWORD
	s_and_b64 vcc, exec, s[4:5]
	s_cbranch_vccnz .LBB203_362
; %bb.359:
	v_mov_b32_e32 v1, 3
	v_cmp_lt_i16_sdwa s[4:5], v38, v1 src0_sel:BYTE_0 src1_sel:DWORD
	s_and_b64 vcc, exec, s[4:5]
	s_cbranch_vccnz .LBB203_363
; %bb.360:
	v_cmp_gt_i16_sdwa s[4:5], v38, v1 src0_sel:BYTE_0 src1_sel:DWORD
	s_and_b64 vcc, exec, s[4:5]
	s_cbranch_vccz .LBB203_364
; %bb.361:
	global_load_dwordx2 v[4:5], v[2:3], off
	s_mov_b64 s[4:5], 0
	s_waitcnt vmcnt(0)
	v_xor_b32_e32 v6, v4, v5
	v_ffbh_i32_e32 v1, v5
	v_ashrrev_i32_e32 v6, 31, v6
	v_add_u32_e32 v1, -1, v1
	v_add_u32_e32 v6, 32, v6
	v_min_u32_e32 v1, v1, v6
	v_lshlrev_b64 v[4:5], v1, v[4:5]
	v_min_u32_e32 v4, 1, v4
	v_or_b32_e32 v4, v5, v4
	v_cvt_f32_i32_e32 v4, v4
	v_sub_u32_e32 v1, 32, v1
	v_ldexp_f32 v1, v4, v1
	v_cvt_f16_f32_e32 v1, v1
	s_branch .LBB203_365
.LBB203_362:
	s_mov_b64 s[4:5], -1
                                        ; implicit-def: $vgpr1
	s_branch .LBB203_371
.LBB203_363:
	s_mov_b64 s[4:5], -1
                                        ; implicit-def: $vgpr1
	s_branch .LBB203_368
.LBB203_364:
	s_mov_b64 s[4:5], -1
                                        ; implicit-def: $vgpr1
.LBB203_365:
	s_andn2_b64 vcc, exec, s[4:5]
	s_cbranch_vccnz .LBB203_367
; %bb.366:
	global_load_dword v1, v[2:3], off
	s_waitcnt vmcnt(0)
	v_cvt_f32_i32_e32 v1, v1
	v_cvt_f16_f32_e32 v1, v1
.LBB203_367:
	s_mov_b64 s[4:5], 0
.LBB203_368:
	s_andn2_b64 vcc, exec, s[4:5]
	s_cbranch_vccnz .LBB203_370
; %bb.369:
	global_load_ushort v1, v[2:3], off
	s_waitcnt vmcnt(0)
	v_cvt_f16_i16_e32 v1, v1
.LBB203_370:
	s_mov_b64 s[4:5], 0
.LBB203_371:
	s_andn2_b64 vcc, exec, s[4:5]
	s_cbranch_vccnz .LBB203_377
; %bb.372:
	v_mov_b32_e32 v1, 0
	v_cmp_gt_i16_sdwa s[4:5], v38, v1 src0_sel:BYTE_0 src1_sel:DWORD
	s_and_b64 vcc, exec, s[4:5]
	s_cbranch_vccz .LBB203_374
; %bb.373:
	global_load_sbyte v1, v[2:3], off
	s_mov_b64 s[4:5], 0
	s_waitcnt vmcnt(0)
	v_cvt_f16_i16_e32 v1, v1
	s_branch .LBB203_375
.LBB203_374:
	s_mov_b64 s[4:5], -1
                                        ; implicit-def: $vgpr1
.LBB203_375:
	s_andn2_b64 vcc, exec, s[4:5]
	s_cbranch_vccnz .LBB203_377
; %bb.376:
	global_load_ubyte v1, v[2:3], off
	s_waitcnt vmcnt(0)
	v_cvt_f16_u16_e32 v1, v1
.LBB203_377:
	s_branch .LBB203_137
.LBB203_378:
	s_mov_b64 s[4:5], 0
.LBB203_379:
	s_mov_b64 s[6:7], 0
                                        ; implicit-def: $vgpr37
.LBB203_380:
	s_and_b64 s[40:41], s[4:5], exec
	s_and_b64 s[42:43], s[42:43], exec
	;; [unrolled: 1-line block ×3, first 2 shown]
	s_orn2_b64 s[4:5], s[6:7], exec
.LBB203_381:
	s_or_b64 exec, exec, s[46:47]
	s_mov_b64 s[8:9], 0
	s_mov_b64 s[6:7], 0
                                        ; implicit-def: $vgpr1
                                        ; implicit-def: $vgpr2_vgpr3
                                        ; implicit-def: $vgpr0
	s_and_saveexec_b64 s[46:47], s[4:5]
	s_cbranch_execz .LBB203_390
; %bb.382:
	v_cmp_gt_i32_e32 vcc, s33, v37
	s_mov_b64 s[4:5], -1
	s_mov_b64 s[48:49], s[44:45]
	s_mov_b64 s[50:51], s[42:43]
	;; [unrolled: 1-line block ×3, first 2 shown]
	s_and_saveexec_b64 s[54:55], vcc
	s_cbranch_execz .LBB203_771
; %bb.383:
	s_waitcnt vmcnt(0)
	v_mul_lo_u32 v0, v37, s37
	v_ashrrev_i32_e32 v1, 31, v0
	v_mov_b32_e32 v3, s27
	v_add_co_u32_e32 v2, vcc, s26, v0
	v_mov_b32_e32 v0, 11
	v_addc_co_u32_e32 v3, vcc, v3, v1, vcc
	v_cmp_lt_i16_sdwa s[4:5], v35, v0 src0_sel:BYTE_0 src1_sel:DWORD
	s_and_b64 vcc, exec, s[4:5]
	s_cbranch_vccnz .LBB203_393
; %bb.384:
	v_mov_b32_e32 v0, 25
	v_cmp_gt_i16_sdwa s[4:5], v35, v0 src0_sel:BYTE_0 src1_sel:DWORD
	s_and_b64 vcc, exec, s[4:5]
	s_cbranch_vccz .LBB203_402
; %bb.385:
	v_mov_b32_e32 v0, 28
	v_cmp_gt_i16_sdwa s[4:5], v35, v0 src0_sel:BYTE_0 src1_sel:DWORD
	s_and_b64 vcc, exec, s[4:5]
	s_cbranch_vccz .LBB203_404
	;; [unrolled: 5-line block ×4, first 2 shown]
; %bb.388:
	v_mov_b32_e32 v0, 46
	v_cmp_eq_u16_sdwa s[4:5], v35, v0 src0_sel:BYTE_0 src1_sel:DWORD
	s_and_b64 vcc, exec, s[4:5]
	s_cbranch_vccz .LBB203_412
; %bb.389:
	global_load_dword v0, v[2:3], off
	s_mov_b64 s[4:5], -1
	s_mov_b64 s[48:49], 0
	s_waitcnt vmcnt(0)
	v_lshlrev_b32_e32 v0, 16, v0
	v_cvt_f16_f32_e32 v0, v0
	s_branch .LBB203_413
.LBB203_390:
	s_or_b64 exec, exec, s[46:47]
	s_mov_b64 s[46:47], 0
	s_and_saveexec_b64 s[4:5], s[44:45]
	s_cbranch_execnz .LBB203_1246
.LBB203_391:
	s_or_b64 exec, exec, s[4:5]
	s_and_saveexec_b64 s[4:5], s[50:51]
	s_xor_b64 s[4:5], exec, s[4:5]
	s_cbranch_execz .LBB203_1247
.LBB203_392:
	global_load_ubyte v0, v[2:3], off
	v_mov_b32_e32 v4, 0x3c00
	s_or_b64 s[6:7], s[6:7], exec
	s_waitcnt vmcnt(0)
	v_cmp_ne_u16_e32 vcc, 0, v0
	v_cndmask_b32_e32 v0, 0, v4, vcc
	s_or_b64 exec, exec, s[4:5]
	s_and_saveexec_b64 s[4:5], s[8:9]
	s_cbranch_execz .LBB203_1293
	s_branch .LBB203_1248
.LBB203_393:
	s_mov_b64 s[4:5], 0
                                        ; implicit-def: $vgpr0
	s_mov_b64 s[48:49], s[44:45]
	s_cbranch_execnz .LBB203_479
.LBB203_394:
	s_andn2_b64 vcc, exec, s[4:5]
	s_cbranch_vccnz .LBB203_527
.LBB203_395:
	v_mul_lo_u32 v1, v37, s38
	v_ashrrev_i32_e32 v3, 31, v1
	v_mov_b32_e32 v4, s23
	v_add_co_u32_e32 v2, vcc, s22, v1
	v_mov_b32_e32 v1, 11
	v_addc_co_u32_e32 v3, vcc, v4, v3, vcc
	v_cmp_lt_i16_sdwa s[4:5], v38, v1 src0_sel:BYTE_0 src1_sel:DWORD
	s_and_b64 vcc, exec, s[4:5]
	s_cbranch_vccnz .LBB203_403
; %bb.396:
	v_mov_b32_e32 v1, 25
	v_cmp_gt_i16_sdwa s[4:5], v38, v1 src0_sel:BYTE_0 src1_sel:DWORD
	s_and_b64 vcc, exec, s[4:5]
	s_cbranch_vccz .LBB203_405
; %bb.397:
	v_mov_b32_e32 v1, 28
	v_cmp_gt_i16_sdwa s[4:5], v38, v1 src0_sel:BYTE_0 src1_sel:DWORD
	s_and_b64 vcc, exec, s[4:5]
	s_cbranch_vccz .LBB203_407
	;; [unrolled: 5-line block ×4, first 2 shown]
; %bb.400:
	v_mov_b32_e32 v1, 46
	v_cmp_eq_u16_sdwa s[4:5], v38, v1 src0_sel:BYTE_0 src1_sel:DWORD
	s_mov_b64 s[6:7], 0
	s_and_b64 vcc, exec, s[4:5]
	s_cbranch_vccz .LBB203_531
; %bb.401:
	global_load_dword v1, v[2:3], off
	s_mov_b64 s[4:5], -1
	s_mov_b64 s[50:51], 0
	s_waitcnt vmcnt(0)
	v_lshlrev_b32_e32 v1, 16, v1
	v_cvt_f16_f32_e32 v1, v1
	s_branch .LBB203_532
.LBB203_402:
	s_mov_b64 s[6:7], -1
	s_mov_b64 s[4:5], 0
	s_mov_b64 s[48:49], s[44:45]
                                        ; implicit-def: $vgpr0
	s_branch .LBB203_443
.LBB203_403:
	s_mov_b64 s[6:7], -1
	s_mov_b64 s[4:5], 0
                                        ; implicit-def: $vgpr1
	s_mov_b64 s[50:51], s[42:43]
	s_branch .LBB203_597
.LBB203_404:
	s_mov_b64 s[6:7], -1
	s_mov_b64 s[4:5], 0
	s_mov_b64 s[48:49], s[44:45]
                                        ; implicit-def: $vgpr0
	s_branch .LBB203_424
.LBB203_405:
	s_mov_b64 s[6:7], -1
	s_mov_b64 s[4:5], 0
	s_mov_b64 s[50:51], s[42:43]
                                        ; implicit-def: $vgpr1
	s_branch .LBB203_561
.LBB203_406:
	s_mov_b64 s[6:7], -1
	s_mov_b64 s[4:5], 0
	s_mov_b64 s[48:49], s[44:45]
                                        ; implicit-def: $vgpr0
	s_branch .LBB203_419
.LBB203_407:
	s_mov_b64 s[6:7], -1
	s_mov_b64 s[4:5], 0
	s_mov_b64 s[50:51], s[42:43]
                                        ; implicit-def: $vgpr1
	s_branch .LBB203_542
.LBB203_408:
	s_mov_b64 s[6:7], -1
	s_mov_b64 s[4:5], 0
	s_mov_b64 s[48:49], s[44:45]
                                        ; implicit-def: $vgpr0
	s_branch .LBB203_413
.LBB203_409:
	s_mov_b64 s[6:7], -1
	s_mov_b64 s[4:5], 0
	s_mov_b64 s[50:51], s[42:43]
                                        ; implicit-def: $vgpr1
	s_branch .LBB203_537
.LBB203_410:
	s_or_saveexec_b64 s[10:11], s[10:11]
                                        ; implicit-def: $sgpr12
	s_xor_b64 exec, exec, s[10:11]
	s_cbranch_execz .LBB203_179
.LBB203_411:
	s_mov_b32 s12, 0x46000000
	v_add_f32_e64 v4, |v1|, s12
	v_and_b32_e32 v4, 0xff, v4
	v_cmp_ne_u32_e32 vcc, 0, v4
	s_andn2_b64 s[8:9], s[8:9], exec
	s_and_b64 s[14:15], vcc, exec
	s_mov_b32 s12, 0
	s_or_b64 s[8:9], s[8:9], s[14:15]
	s_or_b64 exec, exec, s[10:11]
	v_mov_b32_e32 v5, s12
	s_and_saveexec_b64 s[10:11], s[8:9]
	s_cbranch_execnz .LBB203_180
	s_branch .LBB203_181
.LBB203_412:
	s_mov_b64 s[48:49], -1
                                        ; implicit-def: $vgpr0
	s_mov_b64 s[4:5], 0
.LBB203_413:
	s_and_b64 vcc, exec, s[6:7]
	s_cbranch_vccz .LBB203_418
; %bb.414:
	v_mov_b32_e32 v0, 44
	v_cmp_eq_u16_sdwa s[6:7], v35, v0 src0_sel:BYTE_0 src1_sel:DWORD
	s_and_b64 vcc, exec, s[6:7]
	s_cbranch_vccz .LBB203_417
; %bb.415:
	global_load_ubyte v0, v[2:3], off
	s_movk_i32 s6, 0xff
	v_mov_b32_e32 v4, 0x7e00
	s_mov_b64 s[4:5], -1
	s_mov_b64 s[48:49], 0
	s_waitcnt vmcnt(0)
	v_lshlrev_b32_e32 v1, 23, v0
	v_cvt_f16_f32_e32 v1, v1
	v_cmp_ne_u32_e32 vcc, s6, v0
	v_cndmask_b32_e32 v1, v4, v1, vcc
	v_cmp_ne_u32_e32 vcc, 0, v0
	v_cndmask_b32_e32 v0, 0, v1, vcc
	s_branch .LBB203_418
.LBB203_416:
	s_mov_b64 s[6:7], -1
	s_mov_b64 s[4:5], 0
	s_mov_b64 s[50:51], s[42:43]
                                        ; implicit-def: $vgpr1
	s_branch .LBB203_532
.LBB203_417:
	s_mov_b64 s[48:49], -1
                                        ; implicit-def: $vgpr0
.LBB203_418:
	s_mov_b64 s[6:7], 0
.LBB203_419:
	s_and_b64 vcc, exec, s[6:7]
	s_cbranch_vccz .LBB203_423
; %bb.420:
	v_mov_b32_e32 v0, 29
	v_cmp_eq_u16_sdwa s[6:7], v35, v0 src0_sel:BYTE_0 src1_sel:DWORD
	s_and_b64 vcc, exec, s[6:7]
	s_cbranch_vccz .LBB203_422
; %bb.421:
	global_load_dwordx2 v[0:1], v[2:3], off
	s_mov_b64 s[4:5], -1
	s_mov_b64 s[48:49], 0
	s_mov_b64 s[6:7], 0
	s_waitcnt vmcnt(0)
	v_ffbh_u32_e32 v4, v1
	v_min_u32_e32 v4, 32, v4
	v_lshlrev_b64 v[0:1], v4, v[0:1]
	v_min_u32_e32 v0, 1, v0
	v_or_b32_e32 v0, v1, v0
	v_cvt_f32_u32_e32 v0, v0
	v_sub_u32_e32 v1, 32, v4
	v_ldexp_f32 v0, v0, v1
	v_cvt_f16_f32_e32 v0, v0
	s_branch .LBB203_424
.LBB203_422:
	s_mov_b64 s[48:49], -1
                                        ; implicit-def: $vgpr0
.LBB203_423:
	s_mov_b64 s[6:7], 0
.LBB203_424:
	s_and_b64 vcc, exec, s[6:7]
	s_cbranch_vccz .LBB203_442
; %bb.425:
	v_mov_b32_e32 v0, 27
	v_cmp_lt_i16_sdwa s[4:5], v35, v0 src0_sel:BYTE_0 src1_sel:DWORD
	s_and_b64 vcc, exec, s[4:5]
	s_cbranch_vccnz .LBB203_428
; %bb.426:
	v_cmp_gt_i16_sdwa s[4:5], v35, v0 src0_sel:BYTE_0 src1_sel:DWORD
	s_and_b64 vcc, exec, s[4:5]
	s_cbranch_vccz .LBB203_429
; %bb.427:
	global_load_dword v0, v[2:3], off
	s_mov_b64 s[4:5], 0
	s_waitcnt vmcnt(0)
	v_cvt_f32_u32_e32 v0, v0
	v_cvt_f16_f32_e32 v0, v0
	s_branch .LBB203_430
.LBB203_428:
	s_mov_b64 s[4:5], -1
                                        ; implicit-def: $vgpr0
	s_branch .LBB203_433
.LBB203_429:
	s_mov_b64 s[4:5], -1
                                        ; implicit-def: $vgpr0
.LBB203_430:
	s_andn2_b64 vcc, exec, s[4:5]
	s_cbranch_vccnz .LBB203_432
; %bb.431:
	global_load_ushort v0, v[2:3], off
	s_waitcnt vmcnt(0)
	v_cvt_f16_u16_e32 v0, v0
.LBB203_432:
	s_mov_b64 s[4:5], 0
.LBB203_433:
	s_andn2_b64 vcc, exec, s[4:5]
	s_cbranch_vccnz .LBB203_441
; %bb.434:
	global_load_ubyte v1, v[2:3], off
	s_movk_i32 s4, 0x7f
                                        ; implicit-def: $sgpr10
	s_waitcnt vmcnt(0)
	v_cmp_lt_i16_e32 vcc, s4, v1
	s_mov_b64 s[4:5], 0
	s_and_saveexec_b64 s[6:7], vcc
	s_xor_b64 s[6:7], exec, s[6:7]
	s_cbranch_execz .LBB203_455
; %bb.435:
	s_movk_i32 s4, 0x80
	v_cmp_eq_u16_e32 vcc, s4, v1
	s_mov_b64 s[4:5], -1
                                        ; implicit-def: $sgpr10
	s_and_saveexec_b64 s[8:9], vcc
; %bb.436:
	s_movk_i32 s10, 0x7e00
	s_xor_b64 s[4:5], exec, -1
; %bb.437:
	s_or_b64 exec, exec, s[8:9]
	s_and_b64 s[4:5], s[4:5], exec
	s_or_saveexec_b64 s[6:7], s[6:7]
	v_mov_b32_e32 v0, s10
	s_xor_b64 exec, exec, s[6:7]
	s_cbranch_execnz .LBB203_456
.LBB203_438:
	s_or_b64 exec, exec, s[6:7]
	s_and_saveexec_b64 s[6:7], s[4:5]
	s_cbranch_execz .LBB203_440
.LBB203_439:
	v_lshlrev_b32_e32 v0, 24, v1
	v_and_b32_e32 v1, 0xffff, v1
	v_and_b32_e32 v4, 7, v1
	v_ffbh_u32_e32 v6, v4
	v_min_u32_e32 v6, 32, v6
	v_subrev_u32_e32 v7, 28, v6
	v_bfe_u32 v5, v1, 3, 4
	v_lshlrev_b32_e32 v1, v7, v1
	v_sub_u32_e32 v6, 29, v6
	v_and_b32_e32 v1, 7, v1
	v_cmp_eq_u32_e32 vcc, 0, v5
	v_cndmask_b32_e32 v5, v5, v6, vcc
	v_cndmask_b32_e32 v1, v4, v1, vcc
	v_mov_b32_e32 v4, 0x3b800000
	v_lshlrev_b32_e32 v1, 20, v1
	v_and_b32_e32 v0, 0x80000000, v0
	v_lshl_add_u32 v4, v5, 23, v4
	v_or3_b32 v0, v0, v4, v1
	v_cvt_f16_f32_e32 v0, v0
.LBB203_440:
	s_or_b64 exec, exec, s[6:7]
.LBB203_441:
	s_mov_b64 s[4:5], -1
.LBB203_442:
	s_mov_b64 s[6:7], 0
.LBB203_443:
	s_and_b64 vcc, exec, s[6:7]
	s_cbranch_vccz .LBB203_478
; %bb.444:
	v_mov_b32_e32 v0, 22
	v_cmp_gt_i16_sdwa s[6:7], v35, v0 src0_sel:BYTE_0 src1_sel:DWORD
	s_and_b64 vcc, exec, s[6:7]
	s_cbranch_vccz .LBB203_454
; %bb.445:
	v_mov_b32_e32 v0, 24
	v_cmp_lt_i16_sdwa s[4:5], v35, v0 src0_sel:BYTE_0 src1_sel:DWORD
	s_and_b64 vcc, exec, s[4:5]
	s_cbranch_vccnz .LBB203_457
; %bb.446:
	v_cmp_gt_i16_sdwa s[4:5], v35, v0 src0_sel:BYTE_0 src1_sel:DWORD
	s_and_b64 vcc, exec, s[4:5]
	s_cbranch_vccz .LBB203_458
; %bb.447:
	global_load_ubyte v1, v[2:3], off
	s_movk_i32 s4, 0x7f
                                        ; implicit-def: $sgpr10
	s_waitcnt vmcnt(0)
	v_cmp_lt_i16_e32 vcc, s4, v1
	s_mov_b64 s[4:5], 0
	s_and_saveexec_b64 s[6:7], vcc
	s_xor_b64 s[6:7], exec, s[6:7]
	s_cbranch_execz .LBB203_470
; %bb.448:
	s_movk_i32 s4, 0x80
	v_cmp_eq_u16_e32 vcc, s4, v1
	s_mov_b64 s[4:5], -1
                                        ; implicit-def: $sgpr10
	s_and_saveexec_b64 s[8:9], vcc
; %bb.449:
	s_movk_i32 s10, 0x7e00
	s_xor_b64 s[4:5], exec, -1
; %bb.450:
	s_or_b64 exec, exec, s[8:9]
	s_and_b64 s[4:5], s[4:5], exec
	s_or_saveexec_b64 s[6:7], s[6:7]
	v_mov_b32_e32 v0, s10
	s_xor_b64 exec, exec, s[6:7]
	s_cbranch_execnz .LBB203_471
.LBB203_451:
	s_or_b64 exec, exec, s[6:7]
	s_and_saveexec_b64 s[6:7], s[4:5]
	s_cbranch_execz .LBB203_453
.LBB203_452:
	v_lshlrev_b32_e32 v0, 24, v1
	v_and_b32_e32 v1, 0xffff, v1
	v_and_b32_e32 v4, 3, v1
	v_ffbh_u32_e32 v6, v4
	v_min_u32_e32 v6, 32, v6
	v_subrev_u32_e32 v7, 29, v6
	v_bfe_u32 v5, v1, 2, 5
	v_lshlrev_b32_e32 v1, v7, v1
	v_sub_u32_e32 v6, 30, v6
	v_and_b32_e32 v1, 3, v1
	v_cmp_eq_u32_e32 vcc, 0, v5
	v_cndmask_b32_e32 v5, v5, v6, vcc
	v_cndmask_b32_e32 v1, v4, v1, vcc
	v_mov_b32_e32 v4, 0x37800000
	v_lshlrev_b32_e32 v1, 21, v1
	v_and_b32_e32 v0, 0x80000000, v0
	v_lshl_add_u32 v4, v5, 23, v4
	v_or3_b32 v0, v0, v4, v1
	v_cvt_f16_f32_e32 v0, v0
.LBB203_453:
	s_or_b64 exec, exec, s[6:7]
	s_mov_b64 s[4:5], 0
	s_branch .LBB203_459
.LBB203_454:
	s_mov_b64 s[6:7], -1
                                        ; implicit-def: $vgpr0
	s_branch .LBB203_465
.LBB203_455:
	s_or_saveexec_b64 s[6:7], s[6:7]
	v_mov_b32_e32 v0, s10
	s_xor_b64 exec, exec, s[6:7]
	s_cbranch_execz .LBB203_438
.LBB203_456:
	v_cmp_ne_u16_e32 vcc, 0, v1
	s_andn2_b64 s[4:5], s[4:5], exec
	s_and_b64 s[8:9], vcc, exec
	s_or_b64 s[4:5], s[4:5], s[8:9]
	v_mov_b32_e32 v0, v1
	s_or_b64 exec, exec, s[6:7]
	s_and_saveexec_b64 s[6:7], s[4:5]
	s_cbranch_execnz .LBB203_439
	s_branch .LBB203_440
.LBB203_457:
	s_mov_b64 s[4:5], -1
                                        ; implicit-def: $vgpr0
	s_branch .LBB203_462
.LBB203_458:
	s_mov_b64 s[4:5], -1
                                        ; implicit-def: $vgpr0
.LBB203_459:
	s_and_b64 vcc, exec, s[4:5]
	s_cbranch_vccz .LBB203_461
; %bb.460:
	global_load_ubyte v0, v[2:3], off
	s_mov_b32 s4, 0x7f800000
	s_waitcnt vmcnt(0)
	v_lshlrev_b32_e32 v0, 24, v0
	v_and_b32_e32 v1, 0x7f000000, v0
	v_ffbh_u32_e32 v4, v1
	v_min_u32_e32 v4, 32, v4
	v_sub_u32_e64 v4, v4, 4 clamp
	v_lshlrev_b32_e32 v6, v4, v1
	v_lshlrev_b32_e32 v4, 23, v4
	v_lshrrev_b32_e32 v6, 4, v6
	v_add_u32_e32 v5, 0x1000000, v1
	v_sub_u32_e32 v4, v6, v4
	v_ashrrev_i32_e32 v5, 8, v5
	v_add_u32_e32 v4, 0x3c000000, v4
	v_and_or_b32 v4, v5, s4, v4
	v_cmp_ne_u32_e32 vcc, 0, v1
	v_cndmask_b32_e32 v1, 0, v4, vcc
	s_brev_b32 s4, 1
	v_and_or_b32 v0, v0, s4, v1
	v_cvt_f16_f32_e32 v0, v0
.LBB203_461:
	s_mov_b64 s[4:5], 0
.LBB203_462:
	s_andn2_b64 vcc, exec, s[4:5]
	s_cbranch_vccnz .LBB203_464
; %bb.463:
	global_load_ubyte v0, v[2:3], off
	s_movk_i32 s4, 0x7f00
	s_brev_b32 s5, 16
	s_waitcnt vmcnt(0)
	v_lshlrev_b16_e32 v1, 8, v0
	v_lshlrev_b32_e32 v0, 25, v0
	v_lshrrev_b32_e32 v4, 4, v0
	v_and_or_b32 v5, v1, s4, 0.5
	v_or_b32_e32 v4, 0x70000000, v4
	v_add_f32_e32 v5, -0.5, v5
	v_mul_f32_e32 v4, 0x7800000, v4
	v_cmp_gt_u32_e32 vcc, s5, v0
	v_bfe_i32 v1, v1, 0, 16
	v_cndmask_b32_e32 v0, v4, v5, vcc
	s_brev_b32 s4, 1
	v_and_or_b32 v0, v1, s4, v0
	v_cvt_f16_f32_e32 v0, v0
.LBB203_464:
	s_mov_b64 s[6:7], 0
	s_mov_b64 s[4:5], -1
.LBB203_465:
	s_andn2_b64 vcc, exec, s[6:7]
	s_cbranch_vccnz .LBB203_478
; %bb.466:
	v_mov_b32_e32 v0, 14
	v_cmp_gt_i16_sdwa s[6:7], v35, v0 src0_sel:BYTE_0 src1_sel:DWORD
	s_and_b64 vcc, exec, s[6:7]
	s_cbranch_vccz .LBB203_469
; %bb.467:
	v_mov_b32_e32 v0, 15
	v_cmp_eq_u16_sdwa s[6:7], v35, v0 src0_sel:BYTE_0 src1_sel:DWORD
	s_and_b64 vcc, exec, s[6:7]
	s_cbranch_vccz .LBB203_472
; %bb.468:
	global_load_ushort v0, v[2:3], off
	s_mov_b64 s[4:5], -1
	s_mov_b64 s[48:49], 0
	s_waitcnt vmcnt(0)
	v_lshlrev_b32_e32 v0, 16, v0
	v_cvt_f16_f32_e32 v0, v0
	s_branch .LBB203_473
.LBB203_469:
	s_mov_b64 s[6:7], -1
                                        ; implicit-def: $vgpr0
	s_branch .LBB203_474
.LBB203_470:
	s_or_saveexec_b64 s[6:7], s[6:7]
	v_mov_b32_e32 v0, s10
	s_xor_b64 exec, exec, s[6:7]
	s_cbranch_execz .LBB203_451
.LBB203_471:
	v_cmp_ne_u16_e32 vcc, 0, v1
	s_andn2_b64 s[4:5], s[4:5], exec
	s_and_b64 s[8:9], vcc, exec
	s_or_b64 s[4:5], s[4:5], s[8:9]
	v_mov_b32_e32 v0, v1
	s_or_b64 exec, exec, s[6:7]
	s_and_saveexec_b64 s[6:7], s[4:5]
	s_cbranch_execnz .LBB203_452
	s_branch .LBB203_453
.LBB203_472:
	s_mov_b64 s[48:49], -1
                                        ; implicit-def: $vgpr0
.LBB203_473:
	s_mov_b64 s[6:7], 0
.LBB203_474:
	s_and_b64 vcc, exec, s[6:7]
	s_cbranch_vccz .LBB203_478
; %bb.475:
	v_mov_b32_e32 v0, 11
	v_cmp_eq_u16_sdwa s[6:7], v35, v0 src0_sel:BYTE_0 src1_sel:DWORD
	s_and_b64 vcc, exec, s[6:7]
	s_cbranch_vccz .LBB203_477
; %bb.476:
	global_load_ubyte v0, v[2:3], off
	v_mov_b32_e32 v1, 0x3c00
	s_mov_b64 s[4:5], -1
	s_mov_b64 s[48:49], 0
	s_waitcnt vmcnt(0)
	v_cmp_ne_u16_e32 vcc, 0, v0
	v_cndmask_b32_e32 v0, 0, v1, vcc
	s_branch .LBB203_478
.LBB203_477:
	s_mov_b64 s[48:49], -1
                                        ; implicit-def: $vgpr0
.LBB203_478:
	s_branch .LBB203_394
.LBB203_479:
	v_mov_b32_e32 v0, 5
	v_cmp_lt_i16_sdwa s[4:5], v35, v0 src0_sel:BYTE_0 src1_sel:DWORD
	s_and_b64 vcc, exec, s[4:5]
	s_cbranch_vccnz .LBB203_484
; %bb.480:
	v_mov_b32_e32 v0, 8
	v_cmp_lt_i16_sdwa s[4:5], v35, v0 src0_sel:BYTE_0 src1_sel:DWORD
	s_and_b64 vcc, exec, s[4:5]
	s_cbranch_vccnz .LBB203_485
; %bb.481:
	;; [unrolled: 5-line block ×3, first 2 shown]
	v_cmp_gt_i16_sdwa s[4:5], v35, v0 src0_sel:BYTE_0 src1_sel:DWORD
	s_and_b64 vcc, exec, s[4:5]
	s_cbranch_vccz .LBB203_487
; %bb.483:
	global_load_dwordx2 v[0:1], v[2:3], off
	s_mov_b64 s[4:5], 0
	s_waitcnt vmcnt(0)
	v_cvt_f32_f64_e32 v0, v[0:1]
	v_cvt_f16_f32_e32 v0, v0
	s_branch .LBB203_488
.LBB203_484:
	s_mov_b64 s[4:5], -1
                                        ; implicit-def: $vgpr0
	s_branch .LBB203_506
.LBB203_485:
	s_mov_b64 s[4:5], -1
                                        ; implicit-def: $vgpr0
	s_branch .LBB203_494
.LBB203_486:
	s_mov_b64 s[4:5], -1
                                        ; implicit-def: $vgpr0
	s_branch .LBB203_491
.LBB203_487:
	s_mov_b64 s[4:5], -1
                                        ; implicit-def: $vgpr0
.LBB203_488:
	s_andn2_b64 vcc, exec, s[4:5]
	s_cbranch_vccnz .LBB203_490
; %bb.489:
	global_load_dword v0, v[2:3], off
	s_waitcnt vmcnt(0)
	v_cvt_f16_f32_e32 v0, v0
.LBB203_490:
	s_mov_b64 s[4:5], 0
.LBB203_491:
	s_andn2_b64 vcc, exec, s[4:5]
	s_cbranch_vccnz .LBB203_493
; %bb.492:
	global_load_dword v0, v[2:3], off
.LBB203_493:
	s_mov_b64 s[4:5], 0
.LBB203_494:
	s_andn2_b64 vcc, exec, s[4:5]
	s_cbranch_vccnz .LBB203_505
; %bb.495:
	s_waitcnt vmcnt(0)
	v_mov_b32_e32 v0, 6
	v_cmp_lt_i16_sdwa s[4:5], v35, v0 src0_sel:BYTE_0 src1_sel:DWORD
	s_and_b64 vcc, exec, s[4:5]
	s_cbranch_vccnz .LBB203_498
; %bb.496:
	v_cmp_gt_i16_sdwa s[4:5], v35, v0 src0_sel:BYTE_0 src1_sel:DWORD
	s_and_b64 vcc, exec, s[4:5]
	s_cbranch_vccz .LBB203_499
; %bb.497:
	global_load_dwordx2 v[0:1], v[2:3], off
	s_mov_b64 s[4:5], 0
	s_waitcnt vmcnt(0)
	v_cvt_f32_f64_e32 v0, v[0:1]
	v_cvt_f16_f32_e32 v0, v0
	s_branch .LBB203_500
.LBB203_498:
	s_mov_b64 s[4:5], -1
                                        ; implicit-def: $vgpr0
	s_branch .LBB203_503
.LBB203_499:
	s_mov_b64 s[4:5], -1
                                        ; implicit-def: $vgpr0
.LBB203_500:
	s_andn2_b64 vcc, exec, s[4:5]
	s_cbranch_vccnz .LBB203_502
; %bb.501:
	global_load_dword v0, v[2:3], off
	s_waitcnt vmcnt(0)
	v_cvt_f16_f32_e32 v0, v0
.LBB203_502:
	s_mov_b64 s[4:5], 0
.LBB203_503:
	s_andn2_b64 vcc, exec, s[4:5]
	s_cbranch_vccnz .LBB203_505
; %bb.504:
	global_load_ushort v0, v[2:3], off
.LBB203_505:
	s_mov_b64 s[4:5], 0
.LBB203_506:
	s_andn2_b64 vcc, exec, s[4:5]
	s_cbranch_vccnz .LBB203_526
; %bb.507:
	s_waitcnt vmcnt(0)
	v_mov_b32_e32 v0, 2
	v_cmp_lt_i16_sdwa s[4:5], v35, v0 src0_sel:BYTE_0 src1_sel:DWORD
	s_and_b64 vcc, exec, s[4:5]
	s_cbranch_vccnz .LBB203_511
; %bb.508:
	v_mov_b32_e32 v0, 3
	v_cmp_lt_i16_sdwa s[4:5], v35, v0 src0_sel:BYTE_0 src1_sel:DWORD
	s_and_b64 vcc, exec, s[4:5]
	s_cbranch_vccnz .LBB203_512
; %bb.509:
	v_cmp_gt_i16_sdwa s[4:5], v35, v0 src0_sel:BYTE_0 src1_sel:DWORD
	s_and_b64 vcc, exec, s[4:5]
	s_cbranch_vccz .LBB203_513
; %bb.510:
	global_load_dwordx2 v[0:1], v[2:3], off
	s_mov_b64 s[4:5], 0
	s_waitcnt vmcnt(0)
	v_xor_b32_e32 v5, v0, v1
	v_ffbh_i32_e32 v4, v1
	v_ashrrev_i32_e32 v5, 31, v5
	v_add_u32_e32 v4, -1, v4
	v_add_u32_e32 v5, 32, v5
	v_min_u32_e32 v4, v4, v5
	v_lshlrev_b64 v[0:1], v4, v[0:1]
	v_min_u32_e32 v0, 1, v0
	v_or_b32_e32 v0, v1, v0
	v_cvt_f32_i32_e32 v0, v0
	v_sub_u32_e32 v1, 32, v4
	v_ldexp_f32 v0, v0, v1
	v_cvt_f16_f32_e32 v0, v0
	s_branch .LBB203_514
.LBB203_511:
	s_mov_b64 s[4:5], -1
                                        ; implicit-def: $vgpr0
	s_branch .LBB203_520
.LBB203_512:
	s_mov_b64 s[4:5], -1
                                        ; implicit-def: $vgpr0
	s_branch .LBB203_517
.LBB203_513:
	s_mov_b64 s[4:5], -1
                                        ; implicit-def: $vgpr0
.LBB203_514:
	s_andn2_b64 vcc, exec, s[4:5]
	s_cbranch_vccnz .LBB203_516
; %bb.515:
	global_load_dword v0, v[2:3], off
	s_waitcnt vmcnt(0)
	v_cvt_f32_i32_e32 v0, v0
	v_cvt_f16_f32_e32 v0, v0
.LBB203_516:
	s_mov_b64 s[4:5], 0
.LBB203_517:
	s_andn2_b64 vcc, exec, s[4:5]
	s_cbranch_vccnz .LBB203_519
; %bb.518:
	global_load_ushort v0, v[2:3], off
	s_waitcnt vmcnt(0)
	v_cvt_f16_i16_e32 v0, v0
.LBB203_519:
	s_mov_b64 s[4:5], 0
.LBB203_520:
	s_andn2_b64 vcc, exec, s[4:5]
	s_cbranch_vccnz .LBB203_526
; %bb.521:
	v_mov_b32_e32 v0, 0
	v_cmp_gt_i16_sdwa s[4:5], v35, v0 src0_sel:BYTE_0 src1_sel:DWORD
	s_and_b64 vcc, exec, s[4:5]
	s_cbranch_vccz .LBB203_523
; %bb.522:
	global_load_sbyte v0, v[2:3], off
	s_mov_b64 s[4:5], 0
	s_waitcnt vmcnt(0)
	v_cvt_f16_i16_e32 v0, v0
	s_branch .LBB203_524
.LBB203_523:
	s_mov_b64 s[4:5], -1
                                        ; implicit-def: $vgpr0
.LBB203_524:
	s_andn2_b64 vcc, exec, s[4:5]
	s_cbranch_vccnz .LBB203_526
; %bb.525:
	global_load_ubyte v0, v[2:3], off
	s_waitcnt vmcnt(0)
	v_cvt_f16_u16_e32 v0, v0
.LBB203_526:
	s_branch .LBB203_395
.LBB203_527:
	s_mov_b64 s[6:7], 0
	s_mov_b64 s[4:5], s[40:41]
	;; [unrolled: 1-line block ×3, first 2 shown]
.LBB203_528:
                                        ; implicit-def: $vgpr37
	s_branch .LBB203_770
.LBB203_529:
	s_or_saveexec_b64 s[10:11], s[10:11]
                                        ; implicit-def: $sgpr12
	s_xor_b64 exec, exec, s[10:11]
	s_cbranch_execz .LBB203_192
.LBB203_530:
	s_mov_b32 s12, 0x42800000
	v_add_f32_e64 v4, |v1|, s12
	v_and_b32_e32 v4, 0xff, v4
	v_cmp_ne_u32_e32 vcc, 0, v4
	s_andn2_b64 s[8:9], s[8:9], exec
	s_and_b64 s[14:15], vcc, exec
	s_mov_b32 s12, 0
	s_or_b64 s[8:9], s[8:9], s[14:15]
	s_or_b64 exec, exec, s[10:11]
	v_mov_b32_e32 v5, s12
	s_and_saveexec_b64 s[10:11], s[8:9]
	s_cbranch_execnz .LBB203_193
	s_branch .LBB203_194
.LBB203_531:
	s_mov_b64 s[50:51], -1
                                        ; implicit-def: $vgpr1
	s_mov_b64 s[4:5], 0
.LBB203_532:
	s_and_b64 vcc, exec, s[6:7]
	s_cbranch_vccz .LBB203_536
; %bb.533:
	v_mov_b32_e32 v1, 44
	v_cmp_eq_u16_sdwa s[6:7], v38, v1 src0_sel:BYTE_0 src1_sel:DWORD
	s_and_b64 vcc, exec, s[6:7]
	s_cbranch_vccz .LBB203_535
; %bb.534:
	global_load_ubyte v1, v[2:3], off
	s_movk_i32 s6, 0xff
	v_mov_b32_e32 v5, 0x7e00
	s_mov_b64 s[4:5], -1
	s_mov_b64 s[50:51], 0
	s_waitcnt vmcnt(0)
	v_lshlrev_b32_e32 v4, 23, v1
	v_cvt_f16_f32_e32 v4, v4
	v_cmp_ne_u32_e32 vcc, s6, v1
	v_cndmask_b32_e32 v4, v5, v4, vcc
	v_cmp_ne_u32_e32 vcc, 0, v1
	v_cndmask_b32_e32 v1, 0, v4, vcc
	s_branch .LBB203_536
.LBB203_535:
	s_mov_b64 s[50:51], -1
                                        ; implicit-def: $vgpr1
.LBB203_536:
	s_mov_b64 s[6:7], 0
.LBB203_537:
	s_and_b64 vcc, exec, s[6:7]
	s_cbranch_vccz .LBB203_541
; %bb.538:
	v_mov_b32_e32 v1, 29
	v_cmp_eq_u16_sdwa s[6:7], v38, v1 src0_sel:BYTE_0 src1_sel:DWORD
	s_and_b64 vcc, exec, s[6:7]
	s_cbranch_vccz .LBB203_540
; %bb.539:
	global_load_dwordx2 v[4:5], v[2:3], off
	s_mov_b64 s[4:5], -1
	s_mov_b64 s[50:51], 0
	s_mov_b64 s[6:7], 0
	s_waitcnt vmcnt(0)
	v_ffbh_u32_e32 v1, v5
	v_min_u32_e32 v1, 32, v1
	v_lshlrev_b64 v[4:5], v1, v[4:5]
	v_min_u32_e32 v4, 1, v4
	v_or_b32_e32 v4, v5, v4
	v_cvt_f32_u32_e32 v4, v4
	v_sub_u32_e32 v1, 32, v1
	v_ldexp_f32 v1, v4, v1
	v_cvt_f16_f32_e32 v1, v1
	s_branch .LBB203_542
.LBB203_540:
	s_mov_b64 s[50:51], -1
                                        ; implicit-def: $vgpr1
.LBB203_541:
	s_mov_b64 s[6:7], 0
.LBB203_542:
	s_and_b64 vcc, exec, s[6:7]
	s_cbranch_vccz .LBB203_560
; %bb.543:
	v_mov_b32_e32 v1, 27
	v_cmp_lt_i16_sdwa s[4:5], v38, v1 src0_sel:BYTE_0 src1_sel:DWORD
	s_and_b64 vcc, exec, s[4:5]
	s_cbranch_vccnz .LBB203_546
; %bb.544:
	v_cmp_gt_i16_sdwa s[4:5], v38, v1 src0_sel:BYTE_0 src1_sel:DWORD
	s_and_b64 vcc, exec, s[4:5]
	s_cbranch_vccz .LBB203_547
; %bb.545:
	global_load_dword v1, v[2:3], off
	s_mov_b64 s[4:5], 0
	s_waitcnt vmcnt(0)
	v_cvt_f32_u32_e32 v1, v1
	v_cvt_f16_f32_e32 v1, v1
	s_branch .LBB203_548
.LBB203_546:
	s_mov_b64 s[4:5], -1
                                        ; implicit-def: $vgpr1
	s_branch .LBB203_551
.LBB203_547:
	s_mov_b64 s[4:5], -1
                                        ; implicit-def: $vgpr1
.LBB203_548:
	s_andn2_b64 vcc, exec, s[4:5]
	s_cbranch_vccnz .LBB203_550
; %bb.549:
	global_load_ushort v1, v[2:3], off
	s_waitcnt vmcnt(0)
	v_cvt_f16_u16_e32 v1, v1
.LBB203_550:
	s_mov_b64 s[4:5], 0
.LBB203_551:
	s_andn2_b64 vcc, exec, s[4:5]
	s_cbranch_vccnz .LBB203_559
; %bb.552:
	global_load_ubyte v4, v[2:3], off
	s_movk_i32 s4, 0x7f
                                        ; implicit-def: $sgpr10
	s_waitcnt vmcnt(0)
	v_cmp_lt_i16_e32 vcc, s4, v4
	s_mov_b64 s[4:5], 0
	s_and_saveexec_b64 s[6:7], vcc
	s_xor_b64 s[6:7], exec, s[6:7]
	s_cbranch_execz .LBB203_573
; %bb.553:
	s_movk_i32 s4, 0x80
	v_cmp_eq_u16_e32 vcc, s4, v4
	s_mov_b64 s[4:5], -1
                                        ; implicit-def: $sgpr10
	s_and_saveexec_b64 s[8:9], vcc
; %bb.554:
	s_movk_i32 s10, 0x7e00
	s_xor_b64 s[4:5], exec, -1
; %bb.555:
	s_or_b64 exec, exec, s[8:9]
	s_and_b64 s[4:5], s[4:5], exec
	s_or_saveexec_b64 s[6:7], s[6:7]
	v_mov_b32_e32 v1, s10
	s_xor_b64 exec, exec, s[6:7]
	s_cbranch_execnz .LBB203_574
.LBB203_556:
	s_or_b64 exec, exec, s[6:7]
	s_and_saveexec_b64 s[6:7], s[4:5]
	s_cbranch_execz .LBB203_558
.LBB203_557:
	v_lshlrev_b32_e32 v1, 24, v4
	v_and_b32_e32 v4, 0xffff, v4
	v_and_b32_e32 v5, 7, v4
	v_ffbh_u32_e32 v7, v5
	v_min_u32_e32 v7, 32, v7
	v_subrev_u32_e32 v8, 28, v7
	v_bfe_u32 v6, v4, 3, 4
	v_lshlrev_b32_e32 v4, v8, v4
	v_sub_u32_e32 v7, 29, v7
	v_and_b32_e32 v4, 7, v4
	v_cmp_eq_u32_e32 vcc, 0, v6
	v_cndmask_b32_e32 v6, v6, v7, vcc
	v_cndmask_b32_e32 v4, v5, v4, vcc
	v_mov_b32_e32 v5, 0x3b800000
	v_lshlrev_b32_e32 v4, 20, v4
	v_and_b32_e32 v1, 0x80000000, v1
	v_lshl_add_u32 v5, v6, 23, v5
	v_or3_b32 v1, v1, v5, v4
	v_cvt_f16_f32_e32 v1, v1
.LBB203_558:
	s_or_b64 exec, exec, s[6:7]
.LBB203_559:
	s_mov_b64 s[4:5], -1
.LBB203_560:
	s_mov_b64 s[6:7], 0
.LBB203_561:
	s_and_b64 vcc, exec, s[6:7]
	s_cbranch_vccz .LBB203_596
; %bb.562:
	v_mov_b32_e32 v1, 22
	v_cmp_gt_i16_sdwa s[6:7], v38, v1 src0_sel:BYTE_0 src1_sel:DWORD
	s_and_b64 vcc, exec, s[6:7]
	s_cbranch_vccz .LBB203_572
; %bb.563:
	v_mov_b32_e32 v1, 24
	v_cmp_lt_i16_sdwa s[4:5], v38, v1 src0_sel:BYTE_0 src1_sel:DWORD
	s_and_b64 vcc, exec, s[4:5]
	s_cbranch_vccnz .LBB203_575
; %bb.564:
	v_cmp_gt_i16_sdwa s[4:5], v38, v1 src0_sel:BYTE_0 src1_sel:DWORD
	s_and_b64 vcc, exec, s[4:5]
	s_cbranch_vccz .LBB203_576
; %bb.565:
	global_load_ubyte v4, v[2:3], off
	s_movk_i32 s4, 0x7f
                                        ; implicit-def: $sgpr10
	s_waitcnt vmcnt(0)
	v_cmp_lt_i16_e32 vcc, s4, v4
	s_mov_b64 s[4:5], 0
	s_and_saveexec_b64 s[6:7], vcc
	s_xor_b64 s[6:7], exec, s[6:7]
	s_cbranch_execz .LBB203_588
; %bb.566:
	s_movk_i32 s4, 0x80
	v_cmp_eq_u16_e32 vcc, s4, v4
	s_mov_b64 s[4:5], -1
                                        ; implicit-def: $sgpr10
	s_and_saveexec_b64 s[8:9], vcc
; %bb.567:
	s_movk_i32 s10, 0x7e00
	s_xor_b64 s[4:5], exec, -1
; %bb.568:
	s_or_b64 exec, exec, s[8:9]
	s_and_b64 s[4:5], s[4:5], exec
	s_or_saveexec_b64 s[6:7], s[6:7]
	v_mov_b32_e32 v1, s10
	s_xor_b64 exec, exec, s[6:7]
	s_cbranch_execnz .LBB203_589
.LBB203_569:
	s_or_b64 exec, exec, s[6:7]
	s_and_saveexec_b64 s[6:7], s[4:5]
	s_cbranch_execz .LBB203_571
.LBB203_570:
	v_lshlrev_b32_e32 v1, 24, v4
	v_and_b32_e32 v4, 0xffff, v4
	v_and_b32_e32 v5, 3, v4
	v_ffbh_u32_e32 v7, v5
	v_min_u32_e32 v7, 32, v7
	v_subrev_u32_e32 v8, 29, v7
	v_bfe_u32 v6, v4, 2, 5
	v_lshlrev_b32_e32 v4, v8, v4
	v_sub_u32_e32 v7, 30, v7
	v_and_b32_e32 v4, 3, v4
	v_cmp_eq_u32_e32 vcc, 0, v6
	v_cndmask_b32_e32 v6, v6, v7, vcc
	v_cndmask_b32_e32 v4, v5, v4, vcc
	v_mov_b32_e32 v5, 0x37800000
	v_lshlrev_b32_e32 v4, 21, v4
	v_and_b32_e32 v1, 0x80000000, v1
	v_lshl_add_u32 v5, v6, 23, v5
	v_or3_b32 v1, v1, v5, v4
	v_cvt_f16_f32_e32 v1, v1
.LBB203_571:
	s_or_b64 exec, exec, s[6:7]
	s_mov_b64 s[4:5], 0
	s_branch .LBB203_577
.LBB203_572:
	s_mov_b64 s[6:7], -1
                                        ; implicit-def: $vgpr1
	s_branch .LBB203_583
.LBB203_573:
	s_or_saveexec_b64 s[6:7], s[6:7]
	v_mov_b32_e32 v1, s10
	s_xor_b64 exec, exec, s[6:7]
	s_cbranch_execz .LBB203_556
.LBB203_574:
	v_cmp_ne_u16_e32 vcc, 0, v4
	s_andn2_b64 s[4:5], s[4:5], exec
	s_and_b64 s[8:9], vcc, exec
	s_or_b64 s[4:5], s[4:5], s[8:9]
	v_mov_b32_e32 v1, v4
	s_or_b64 exec, exec, s[6:7]
	s_and_saveexec_b64 s[6:7], s[4:5]
	s_cbranch_execnz .LBB203_557
	s_branch .LBB203_558
.LBB203_575:
	s_mov_b64 s[4:5], -1
                                        ; implicit-def: $vgpr1
	s_branch .LBB203_580
.LBB203_576:
	s_mov_b64 s[4:5], -1
                                        ; implicit-def: $vgpr1
.LBB203_577:
	s_and_b64 vcc, exec, s[4:5]
	s_cbranch_vccz .LBB203_579
; %bb.578:
	global_load_ubyte v1, v[2:3], off
	s_mov_b32 s4, 0x7f800000
	s_waitcnt vmcnt(0)
	v_lshlrev_b32_e32 v1, 24, v1
	v_and_b32_e32 v4, 0x7f000000, v1
	v_ffbh_u32_e32 v5, v4
	v_min_u32_e32 v5, 32, v5
	v_sub_u32_e64 v5, v5, 4 clamp
	v_lshlrev_b32_e32 v7, v5, v4
	v_lshlrev_b32_e32 v5, 23, v5
	v_lshrrev_b32_e32 v7, 4, v7
	v_add_u32_e32 v6, 0x1000000, v4
	v_sub_u32_e32 v5, v7, v5
	v_ashrrev_i32_e32 v6, 8, v6
	v_add_u32_e32 v5, 0x3c000000, v5
	v_and_or_b32 v5, v6, s4, v5
	v_cmp_ne_u32_e32 vcc, 0, v4
	v_cndmask_b32_e32 v4, 0, v5, vcc
	s_brev_b32 s4, 1
	v_and_or_b32 v1, v1, s4, v4
	v_cvt_f16_f32_e32 v1, v1
.LBB203_579:
	s_mov_b64 s[4:5], 0
.LBB203_580:
	s_andn2_b64 vcc, exec, s[4:5]
	s_cbranch_vccnz .LBB203_582
; %bb.581:
	global_load_ubyte v1, v[2:3], off
	s_movk_i32 s4, 0x7f00
	s_brev_b32 s5, 16
	s_waitcnt vmcnt(0)
	v_lshlrev_b16_e32 v4, 8, v1
	v_lshlrev_b32_e32 v1, 25, v1
	v_lshrrev_b32_e32 v5, 4, v1
	v_and_or_b32 v6, v4, s4, 0.5
	v_or_b32_e32 v5, 0x70000000, v5
	v_add_f32_e32 v6, -0.5, v6
	v_mul_f32_e32 v5, 0x7800000, v5
	v_cmp_gt_u32_e32 vcc, s5, v1
	v_bfe_i32 v4, v4, 0, 16
	v_cndmask_b32_e32 v1, v5, v6, vcc
	s_brev_b32 s4, 1
	v_and_or_b32 v1, v4, s4, v1
	v_cvt_f16_f32_e32 v1, v1
.LBB203_582:
	s_mov_b64 s[6:7], 0
	s_mov_b64 s[4:5], -1
.LBB203_583:
	s_andn2_b64 vcc, exec, s[6:7]
	s_cbranch_vccnz .LBB203_596
; %bb.584:
	v_mov_b32_e32 v1, 14
	v_cmp_gt_i16_sdwa s[6:7], v38, v1 src0_sel:BYTE_0 src1_sel:DWORD
	s_and_b64 vcc, exec, s[6:7]
	s_cbranch_vccz .LBB203_587
; %bb.585:
	v_mov_b32_e32 v1, 15
	v_cmp_eq_u16_sdwa s[6:7], v38, v1 src0_sel:BYTE_0 src1_sel:DWORD
	s_and_b64 vcc, exec, s[6:7]
	s_cbranch_vccz .LBB203_590
; %bb.586:
	global_load_ushort v1, v[2:3], off
	s_mov_b64 s[4:5], -1
	s_mov_b64 s[50:51], 0
	s_waitcnt vmcnt(0)
	v_lshlrev_b32_e32 v1, 16, v1
	v_cvt_f16_f32_e32 v1, v1
	s_branch .LBB203_591
.LBB203_587:
	s_mov_b64 s[6:7], -1
                                        ; implicit-def: $vgpr1
	s_branch .LBB203_592
.LBB203_588:
	s_or_saveexec_b64 s[6:7], s[6:7]
	v_mov_b32_e32 v1, s10
	s_xor_b64 exec, exec, s[6:7]
	s_cbranch_execz .LBB203_569
.LBB203_589:
	v_cmp_ne_u16_e32 vcc, 0, v4
	s_andn2_b64 s[4:5], s[4:5], exec
	s_and_b64 s[8:9], vcc, exec
	s_or_b64 s[4:5], s[4:5], s[8:9]
	v_mov_b32_e32 v1, v4
	s_or_b64 exec, exec, s[6:7]
	s_and_saveexec_b64 s[6:7], s[4:5]
	s_cbranch_execnz .LBB203_570
	s_branch .LBB203_571
.LBB203_590:
	s_mov_b64 s[50:51], -1
                                        ; implicit-def: $vgpr1
.LBB203_591:
	s_mov_b64 s[6:7], 0
.LBB203_592:
	s_and_b64 vcc, exec, s[6:7]
	s_cbranch_vccz .LBB203_596
; %bb.593:
	v_mov_b32_e32 v1, 11
	v_cmp_eq_u16_sdwa s[6:7], v38, v1 src0_sel:BYTE_0 src1_sel:DWORD
	s_and_b64 vcc, exec, s[6:7]
	s_cbranch_vccz .LBB203_595
; %bb.594:
	global_load_ubyte v1, v[2:3], off
	v_mov_b32_e32 v4, 0x3c00
	s_mov_b64 s[4:5], -1
	s_mov_b64 s[50:51], 0
	s_waitcnt vmcnt(0)
	v_cmp_ne_u16_e32 vcc, 0, v1
	v_cndmask_b32_e32 v1, 0, v4, vcc
	s_branch .LBB203_596
.LBB203_595:
	s_mov_b64 s[50:51], -1
                                        ; implicit-def: $vgpr1
.LBB203_596:
	s_mov_b64 s[6:7], 0
.LBB203_597:
	s_and_b64 vcc, exec, s[6:7]
	s_cbranch_vccz .LBB203_646
; %bb.598:
	v_mov_b32_e32 v1, 5
	v_cmp_lt_i16_sdwa s[4:5], v38, v1 src0_sel:BYTE_0 src1_sel:DWORD
	s_and_b64 vcc, exec, s[4:5]
	s_cbranch_vccnz .LBB203_603
; %bb.599:
	v_mov_b32_e32 v1, 8
	v_cmp_lt_i16_sdwa s[4:5], v38, v1 src0_sel:BYTE_0 src1_sel:DWORD
	s_and_b64 vcc, exec, s[4:5]
	s_cbranch_vccnz .LBB203_604
	;; [unrolled: 5-line block ×3, first 2 shown]
; %bb.601:
	v_cmp_gt_i16_sdwa s[4:5], v38, v1 src0_sel:BYTE_0 src1_sel:DWORD
	s_and_b64 vcc, exec, s[4:5]
	s_cbranch_vccz .LBB203_606
; %bb.602:
	global_load_dwordx2 v[4:5], v[2:3], off
	s_mov_b64 s[4:5], 0
	s_waitcnt vmcnt(0)
	v_cvt_f32_f64_e32 v1, v[4:5]
	v_cvt_f16_f32_e32 v1, v1
	s_branch .LBB203_607
.LBB203_603:
	s_mov_b64 s[4:5], -1
                                        ; implicit-def: $vgpr1
	s_branch .LBB203_625
.LBB203_604:
	s_mov_b64 s[4:5], -1
                                        ; implicit-def: $vgpr1
	s_branch .LBB203_613
.LBB203_605:
	s_mov_b64 s[4:5], -1
                                        ; implicit-def: $vgpr1
	s_branch .LBB203_610
.LBB203_606:
	s_mov_b64 s[4:5], -1
                                        ; implicit-def: $vgpr1
.LBB203_607:
	s_andn2_b64 vcc, exec, s[4:5]
	s_cbranch_vccnz .LBB203_609
; %bb.608:
	global_load_dword v1, v[2:3], off
	s_waitcnt vmcnt(0)
	v_cvt_f16_f32_e32 v1, v1
.LBB203_609:
	s_mov_b64 s[4:5], 0
.LBB203_610:
	s_andn2_b64 vcc, exec, s[4:5]
	s_cbranch_vccnz .LBB203_612
; %bb.611:
	global_load_dword v1, v[2:3], off
.LBB203_612:
	s_mov_b64 s[4:5], 0
.LBB203_613:
	s_andn2_b64 vcc, exec, s[4:5]
	s_cbranch_vccnz .LBB203_624
; %bb.614:
	s_waitcnt vmcnt(0)
	v_mov_b32_e32 v1, 6
	v_cmp_lt_i16_sdwa s[4:5], v38, v1 src0_sel:BYTE_0 src1_sel:DWORD
	s_and_b64 vcc, exec, s[4:5]
	s_cbranch_vccnz .LBB203_617
; %bb.615:
	v_cmp_gt_i16_sdwa s[4:5], v38, v1 src0_sel:BYTE_0 src1_sel:DWORD
	s_and_b64 vcc, exec, s[4:5]
	s_cbranch_vccz .LBB203_618
; %bb.616:
	global_load_dwordx2 v[4:5], v[2:3], off
	s_mov_b64 s[4:5], 0
	s_waitcnt vmcnt(0)
	v_cvt_f32_f64_e32 v1, v[4:5]
	v_cvt_f16_f32_e32 v1, v1
	s_branch .LBB203_619
.LBB203_617:
	s_mov_b64 s[4:5], -1
                                        ; implicit-def: $vgpr1
	s_branch .LBB203_622
.LBB203_618:
	s_mov_b64 s[4:5], -1
                                        ; implicit-def: $vgpr1
.LBB203_619:
	s_andn2_b64 vcc, exec, s[4:5]
	s_cbranch_vccnz .LBB203_621
; %bb.620:
	global_load_dword v1, v[2:3], off
	s_waitcnt vmcnt(0)
	v_cvt_f16_f32_e32 v1, v1
.LBB203_621:
	s_mov_b64 s[4:5], 0
.LBB203_622:
	s_andn2_b64 vcc, exec, s[4:5]
	s_cbranch_vccnz .LBB203_624
; %bb.623:
	global_load_ushort v1, v[2:3], off
.LBB203_624:
	s_mov_b64 s[4:5], 0
.LBB203_625:
	s_andn2_b64 vcc, exec, s[4:5]
	s_cbranch_vccnz .LBB203_645
; %bb.626:
	s_waitcnt vmcnt(0)
	v_mov_b32_e32 v1, 2
	v_cmp_lt_i16_sdwa s[4:5], v38, v1 src0_sel:BYTE_0 src1_sel:DWORD
	s_and_b64 vcc, exec, s[4:5]
	s_cbranch_vccnz .LBB203_630
; %bb.627:
	v_mov_b32_e32 v1, 3
	v_cmp_lt_i16_sdwa s[4:5], v38, v1 src0_sel:BYTE_0 src1_sel:DWORD
	s_and_b64 vcc, exec, s[4:5]
	s_cbranch_vccnz .LBB203_631
; %bb.628:
	v_cmp_gt_i16_sdwa s[4:5], v38, v1 src0_sel:BYTE_0 src1_sel:DWORD
	s_and_b64 vcc, exec, s[4:5]
	s_cbranch_vccz .LBB203_632
; %bb.629:
	global_load_dwordx2 v[4:5], v[2:3], off
	s_mov_b64 s[4:5], 0
	s_waitcnt vmcnt(0)
	v_xor_b32_e32 v6, v4, v5
	v_ffbh_i32_e32 v1, v5
	v_ashrrev_i32_e32 v6, 31, v6
	v_add_u32_e32 v1, -1, v1
	v_add_u32_e32 v6, 32, v6
	v_min_u32_e32 v1, v1, v6
	v_lshlrev_b64 v[4:5], v1, v[4:5]
	v_min_u32_e32 v4, 1, v4
	v_or_b32_e32 v4, v5, v4
	v_cvt_f32_i32_e32 v4, v4
	v_sub_u32_e32 v1, 32, v1
	v_ldexp_f32 v1, v4, v1
	v_cvt_f16_f32_e32 v1, v1
	s_branch .LBB203_633
.LBB203_630:
	s_mov_b64 s[4:5], -1
                                        ; implicit-def: $vgpr1
	s_branch .LBB203_639
.LBB203_631:
	s_mov_b64 s[4:5], -1
                                        ; implicit-def: $vgpr1
	s_branch .LBB203_636
.LBB203_632:
	s_mov_b64 s[4:5], -1
                                        ; implicit-def: $vgpr1
.LBB203_633:
	s_andn2_b64 vcc, exec, s[4:5]
	s_cbranch_vccnz .LBB203_635
; %bb.634:
	global_load_dword v1, v[2:3], off
	s_waitcnt vmcnt(0)
	v_cvt_f32_i32_e32 v1, v1
	v_cvt_f16_f32_e32 v1, v1
.LBB203_635:
	s_mov_b64 s[4:5], 0
.LBB203_636:
	s_andn2_b64 vcc, exec, s[4:5]
	s_cbranch_vccnz .LBB203_638
; %bb.637:
	global_load_ushort v1, v[2:3], off
	s_waitcnt vmcnt(0)
	v_cvt_f16_i16_e32 v1, v1
.LBB203_638:
	s_mov_b64 s[4:5], 0
.LBB203_639:
	s_andn2_b64 vcc, exec, s[4:5]
	s_cbranch_vccnz .LBB203_645
; %bb.640:
	v_mov_b32_e32 v1, 0
	v_cmp_gt_i16_sdwa s[4:5], v38, v1 src0_sel:BYTE_0 src1_sel:DWORD
	s_and_b64 vcc, exec, s[4:5]
	s_cbranch_vccz .LBB203_642
; %bb.641:
	global_load_sbyte v1, v[2:3], off
	s_mov_b64 s[4:5], 0
	s_waitcnt vmcnt(0)
	v_cvt_f16_i16_e32 v1, v1
	s_branch .LBB203_643
.LBB203_642:
	s_mov_b64 s[4:5], -1
                                        ; implicit-def: $vgpr1
.LBB203_643:
	s_andn2_b64 vcc, exec, s[4:5]
	s_cbranch_vccnz .LBB203_645
; %bb.644:
	global_load_ubyte v1, v[2:3], off
	s_waitcnt vmcnt(0)
	v_cvt_f16_u16_e32 v1, v1
.LBB203_645:
	s_mov_b64 s[4:5], -1
.LBB203_646:
	s_andn2_b64 vcc, exec, s[4:5]
	s_cbranch_vccnz .LBB203_654
; %bb.647:
	s_getpc_b64 s[4:5]
	s_add_u32 s4, s4, _ZZZZN2at6native33launch_standard_gamma_grad_kernelERNS_18TensorIteratorBaseEENKUlvE_clEvENKUlvE1_clEvENKUlN3c104HalfES6_E_clES6_S6_@rel32@lo+4
	s_addc_u32 s5, s5, _ZZZZN2at6native33launch_standard_gamma_grad_kernelERNS_18TensorIteratorBaseEENKUlvE_clEvENKUlvE1_clEvENKUlN3c104HalfES6_E_clES6_S6_@rel32@hi+12
	s_swappc_b64 s[30:31], s[4:5]
	v_mul_lo_u32 v1, v37, s36
	v_ashrrev_i32_e32 v3, 31, v1
	v_mov_b32_e32 v4, s25
	v_add_co_u32_e32 v2, vcc, s24, v1
	v_mov_b32_e32 v1, 11
	v_addc_co_u32_e32 v3, vcc, v4, v3, vcc
	v_cmp_lt_i16_sdwa s[4:5], v36, v1 src0_sel:BYTE_0 src1_sel:DWORD
	s_and_b64 vcc, exec, s[4:5]
	s_cbranch_vccnz .LBB203_655
; %bb.648:
	v_mov_b32_e32 v1, 25
	v_cmp_gt_i16_sdwa s[4:5], v36, v1 src0_sel:BYTE_0 src1_sel:DWORD
	s_and_b64 vcc, exec, s[4:5]
	s_cbranch_vccz .LBB203_656
; %bb.649:
	v_mov_b32_e32 v1, 28
	v_cmp_gt_i16_sdwa s[4:5], v36, v1 src0_sel:BYTE_0 src1_sel:DWORD
	s_and_b64 vcc, exec, s[4:5]
	s_cbranch_vccz .LBB203_657
	;; [unrolled: 5-line block ×4, first 2 shown]
; %bb.652:
	v_mov_b32_e32 v1, 46
	v_cmp_eq_u16_sdwa s[6:7], v36, v1 src0_sel:BYTE_0 src1_sel:DWORD
	s_mov_b64 s[8:9], 0
	s_mov_b64 s[4:5], -1
	s_and_b64 vcc, exec, s[6:7]
	s_mov_b64 s[6:7], 0
	s_cbranch_vccz .LBB203_660
; %bb.653:
	v_cvt_f32_f16_e32 v1, v0
	s_movk_i32 s4, 0x7fff
	v_mov_b32_e32 v4, 0x7fc0
	v_cmp_o_f16_e32 vcc, v0, v0
	v_bfe_u32 v5, v1, 16, 1
	v_add3_u32 v1, v1, v5, s4
	v_lshrrev_b32_e32 v1, 16, v1
	v_cndmask_b32_e32 v1, v4, v1, vcc
	global_store_dword v[2:3], v1, off
	s_mov_b64 s[6:7], -1
	s_mov_b64 s[4:5], 0
	s_branch .LBB203_660
.LBB203_654:
	s_mov_b64 s[6:7], 0
                                        ; implicit-def: $vgpr37
	s_mov_b64 s[4:5], s[40:41]
	s_branch .LBB203_770
.LBB203_655:
	s_mov_b64 s[8:9], -1
	s_mov_b64 s[6:7], 0
	s_mov_b64 s[4:5], s[40:41]
	s_branch .LBB203_729
.LBB203_656:
	s_mov_b64 s[8:9], -1
	s_mov_b64 s[6:7], 0
	s_mov_b64 s[4:5], s[40:41]
	s_branch .LBB203_687
.LBB203_657:
	s_mov_b64 s[8:9], -1
	s_mov_b64 s[6:7], 0
	s_mov_b64 s[4:5], s[40:41]
	s_branch .LBB203_670
.LBB203_658:
	s_mov_b64 s[8:9], -1
	s_mov_b64 s[6:7], 0
	s_mov_b64 s[4:5], s[40:41]
	s_branch .LBB203_666
.LBB203_659:
	s_mov_b64 s[8:9], -1
	s_mov_b64 s[6:7], 0
	s_mov_b64 s[4:5], s[40:41]
.LBB203_660:
	s_and_b64 vcc, exec, s[8:9]
	s_cbranch_vccz .LBB203_665
; %bb.661:
	v_mov_b32_e32 v1, 44
	v_cmp_eq_u16_sdwa s[8:9], v36, v1 src0_sel:BYTE_0 src1_sel:DWORD
	s_mov_b64 s[4:5], -1
	s_and_b64 vcc, exec, s[8:9]
	s_cbranch_vccz .LBB203_665
; %bb.662:
	v_cvt_f32_f16_e32 v1, v0
	s_movk_i32 s4, 0xff
	v_mov_b32_e32 v5, 0xff
	v_bfe_u32 v4, v1, 23, 8
	v_cmp_ne_u32_e32 vcc, s4, v4
	s_and_saveexec_b64 s[6:7], vcc
; %bb.663:
	s_mov_b32 s4, 0x3fffff
	v_lshrrev_b32_e32 v5, 23, v1
	v_and_b32_e32 v6, 0x400000, v1
	v_and_or_b32 v1, v1, s4, v4
	v_cmp_ne_u32_e32 vcc, 0, v6
	v_cmp_ne_u32_e64 s[4:5], 0, v1
	s_and_b64 s[4:5], vcc, s[4:5]
	v_cndmask_b32_e64 v1, 0, 1, s[4:5]
	v_add_u32_e32 v5, v5, v1
; %bb.664:
	s_or_b64 exec, exec, s[6:7]
	s_mov_b64 s[6:7], -1
	s_mov_b64 s[4:5], 0
	global_store_byte v[2:3], v5, off
.LBB203_665:
	s_mov_b64 s[8:9], 0
.LBB203_666:
	s_and_b64 vcc, exec, s[8:9]
	s_cbranch_vccz .LBB203_669
; %bb.667:
	v_mov_b32_e32 v1, 29
	v_cmp_eq_u16_sdwa s[8:9], v36, v1 src0_sel:BYTE_0 src1_sel:DWORD
	s_mov_b64 s[4:5], -1
	s_and_b64 vcc, exec, s[8:9]
	s_cbranch_vccz .LBB203_669
; %bb.668:
	v_cvt_f32_f16_e32 v1, v0
	v_mov_b32_e32 v5, 0
	s_mov_b64 s[6:7], -1
	s_mov_b64 s[4:5], 0
	v_cvt_u32_f32_e32 v4, v1
	s_mov_b64 s[8:9], 0
	global_store_dwordx2 v[2:3], v[4:5], off
	s_branch .LBB203_670
.LBB203_669:
	s_mov_b64 s[8:9], 0
.LBB203_670:
	s_and_b64 vcc, exec, s[8:9]
	s_cbranch_vccz .LBB203_686
; %bb.671:
	v_mov_b32_e32 v1, 27
	v_cmp_lt_i16_sdwa s[8:9], v36, v1 src0_sel:BYTE_0 src1_sel:DWORD
	s_mov_b64 s[6:7], -1
	s_and_b64 vcc, exec, s[8:9]
	s_cbranch_vccnz .LBB203_677
; %bb.672:
	v_cmp_gt_i16_sdwa s[8:9], v36, v1 src0_sel:BYTE_0 src1_sel:DWORD
	s_and_b64 vcc, exec, s[8:9]
	s_cbranch_vccz .LBB203_674
; %bb.673:
	v_cvt_f32_f16_e32 v1, v0
	s_mov_b64 s[6:7], 0
	v_cvt_u32_f32_e32 v1, v1
	global_store_dword v[2:3], v1, off
.LBB203_674:
	s_andn2_b64 vcc, exec, s[6:7]
	s_cbranch_vccnz .LBB203_676
; %bb.675:
	v_cvt_u16_f16_e32 v1, v0
	global_store_short v[2:3], v1, off
.LBB203_676:
	s_mov_b64 s[6:7], 0
.LBB203_677:
	s_andn2_b64 vcc, exec, s[6:7]
	s_cbranch_vccnz .LBB203_685
; %bb.678:
	v_cvt_f32_f16_e32 v1, v0
	s_mov_b32 s6, 0x43800000
	v_mov_b32_e32 v5, 0x80
	v_and_b32_e32 v4, 0x7fffffff, v1
	v_cmp_gt_u32_e32 vcc, s6, v4
	s_and_saveexec_b64 s[6:7], vcc
	s_cbranch_execz .LBB203_684
; %bb.679:
	s_mov_b32 s8, 0x3bffffff
	v_cmp_lt_u32_e32 vcc, s8, v4
	s_mov_b64 s[8:9], 0
                                        ; implicit-def: $vgpr4
	s_and_saveexec_b64 s[10:11], vcc
	s_xor_b64 s[10:11], exec, s[10:11]
	s_cbranch_execz .LBB203_786
; %bb.680:
	v_bfe_u32 v4, v1, 20, 1
	s_mov_b32 s12, 0x487ffff
	v_add3_u32 v4, v1, v4, s12
	s_mov_b64 s[8:9], exec
	v_lshrrev_b32_e32 v4, 20, v4
	s_or_saveexec_b64 s[10:11], s[10:11]
                                        ; implicit-def: $sgpr12
	s_xor_b64 exec, exec, s[10:11]
	s_cbranch_execnz .LBB203_787
.LBB203_681:
	s_or_b64 exec, exec, s[10:11]
	v_mov_b32_e32 v5, s12
	s_and_saveexec_b64 s[10:11], s[8:9]
.LBB203_682:
	v_lshrrev_b32_e32 v1, 24, v1
	s_movk_i32 s8, 0x80
	v_and_or_b32 v5, v1, s8, v4
.LBB203_683:
	s_or_b64 exec, exec, s[10:11]
.LBB203_684:
	s_or_b64 exec, exec, s[6:7]
	global_store_byte v[2:3], v5, off
.LBB203_685:
	s_mov_b64 s[6:7], -1
.LBB203_686:
	s_mov_b64 s[8:9], 0
.LBB203_687:
	s_and_b64 vcc, exec, s[8:9]
	s_cbranch_vccz .LBB203_728
; %bb.688:
	v_mov_b32_e32 v1, 22
	v_cmp_gt_i16_sdwa s[10:11], v36, v1 src0_sel:BYTE_0 src1_sel:DWORD
	s_mov_b64 s[8:9], -1
	s_and_b64 vcc, exec, s[10:11]
	s_cbranch_vccz .LBB203_720
; %bb.689:
	v_mov_b32_e32 v1, 24
	v_cmp_lt_i16_sdwa s[8:9], v36, v1 src0_sel:BYTE_0 src1_sel:DWORD
	s_mov_b64 s[6:7], -1
	s_and_b64 vcc, exec, s[8:9]
	s_cbranch_vccnz .LBB203_709
; %bb.690:
	v_cmp_gt_i16_sdwa s[8:9], v36, v1 src0_sel:BYTE_0 src1_sel:DWORD
	s_and_b64 vcc, exec, s[8:9]
	s_cbranch_vccz .LBB203_698
; %bb.691:
	v_cvt_f32_f16_e32 v1, v0
	s_mov_b32 s6, 0x47800000
	v_mov_b32_e32 v5, 0x80
	v_and_b32_e32 v4, 0x7fffffff, v1
	v_cmp_gt_u32_e32 vcc, s6, v4
	s_and_saveexec_b64 s[6:7], vcc
	s_cbranch_execz .LBB203_697
; %bb.692:
	s_mov_b32 s8, 0x37ffffff
	v_cmp_lt_u32_e32 vcc, s8, v4
	s_mov_b64 s[8:9], 0
                                        ; implicit-def: $vgpr4
	s_and_saveexec_b64 s[10:11], vcc
	s_xor_b64 s[10:11], exec, s[10:11]
	s_cbranch_execz .LBB203_918
; %bb.693:
	v_bfe_u32 v4, v1, 21, 1
	s_mov_b32 s12, 0x88fffff
	v_add3_u32 v4, v1, v4, s12
	s_mov_b64 s[8:9], exec
	v_lshrrev_b32_e32 v4, 21, v4
	s_or_saveexec_b64 s[10:11], s[10:11]
                                        ; implicit-def: $sgpr12
	s_xor_b64 exec, exec, s[10:11]
	s_cbranch_execnz .LBB203_919
.LBB203_694:
	s_or_b64 exec, exec, s[10:11]
	v_mov_b32_e32 v5, s12
	s_and_saveexec_b64 s[10:11], s[8:9]
.LBB203_695:
	v_lshrrev_b32_e32 v1, 24, v1
	s_movk_i32 s8, 0x80
	v_and_or_b32 v5, v1, s8, v4
.LBB203_696:
	s_or_b64 exec, exec, s[10:11]
.LBB203_697:
	s_or_b64 exec, exec, s[6:7]
	s_mov_b64 s[6:7], 0
	global_store_byte v[2:3], v5, off
.LBB203_698:
	s_and_b64 vcc, exec, s[6:7]
	s_cbranch_vccz .LBB203_708
; %bb.699:
	v_cvt_f32_f16_e32 v1, v0
	s_mov_b32 s6, 0x43f00000
                                        ; implicit-def: $vgpr4
	v_and_b32_e32 v5, 0x7fffffff, v1
	v_cmp_gt_u32_e32 vcc, s6, v5
	s_and_saveexec_b64 s[6:7], vcc
	s_xor_b64 s[6:7], exec, s[6:7]
	s_cbranch_execz .LBB203_705
; %bb.700:
	s_mov_b32 s8, 0x3c7fffff
	v_cmp_lt_u32_e32 vcc, s8, v5
                                        ; implicit-def: $vgpr4
	s_and_saveexec_b64 s[8:9], vcc
	s_xor_b64 s[8:9], exec, s[8:9]
; %bb.701:
	v_bfe_u32 v4, v1, 20, 1
	s_mov_b32 s10, 0x407ffff
	v_add3_u32 v4, v1, v4, s10
	v_lshrrev_b32_e32 v5, 20, v4
	v_and_b32_e32 v4, 0xff00000, v4
	s_mov_b32 s10, 0x7f00000
	v_mov_b32_e32 v6, 0x7e
	v_cmp_ne_u32_e32 vcc, s10, v4
	v_cndmask_b32_e32 v4, v6, v5, vcc
; %bb.702:
	s_andn2_saveexec_b64 s[8:9], s[8:9]
; %bb.703:
	s_mov_b32 s10, 0x46800000
	v_add_f32_e64 v4, |v1|, s10
; %bb.704:
	s_or_b64 exec, exec, s[8:9]
                                        ; implicit-def: $vgpr5
.LBB203_705:
	s_andn2_saveexec_b64 s[6:7], s[6:7]
; %bb.706:
	s_mov_b32 s8, 0x7f800000
	v_mov_b32_e32 v4, 0x7e
	v_mov_b32_e32 v6, 0x7f
	v_cmp_lt_u32_e32 vcc, s8, v5
	v_cndmask_b32_e32 v4, v4, v6, vcc
; %bb.707:
	s_or_b64 exec, exec, s[6:7]
	v_lshrrev_b32_e32 v1, 24, v1
	s_movk_i32 s6, 0x80
	v_and_or_b32 v1, v1, s6, v4
	global_store_byte v[2:3], v1, off
.LBB203_708:
	s_mov_b64 s[6:7], 0
.LBB203_709:
	s_andn2_b64 vcc, exec, s[6:7]
	s_cbranch_vccnz .LBB203_719
; %bb.710:
	v_cvt_f32_f16_e32 v1, v0
	s_mov_b32 s6, 0x47800000
                                        ; implicit-def: $vgpr4
	v_and_b32_e32 v5, 0x7fffffff, v1
	v_cmp_gt_u32_e32 vcc, s6, v5
	s_and_saveexec_b64 s[6:7], vcc
	s_xor_b64 s[6:7], exec, s[6:7]
	s_cbranch_execz .LBB203_716
; %bb.711:
	s_mov_b32 s8, 0x387fffff
	v_cmp_lt_u32_e32 vcc, s8, v5
                                        ; implicit-def: $vgpr4
	s_and_saveexec_b64 s[8:9], vcc
	s_xor_b64 s[8:9], exec, s[8:9]
; %bb.712:
	v_bfe_u32 v4, v1, 21, 1
	s_mov_b32 s10, 0x80fffff
	v_add3_u32 v4, v1, v4, s10
	v_lshrrev_b32_e32 v4, 21, v4
; %bb.713:
	s_andn2_saveexec_b64 s[8:9], s[8:9]
; %bb.714:
	s_mov_b32 s10, 0x43000000
	v_add_f32_e64 v4, |v1|, s10
; %bb.715:
	s_or_b64 exec, exec, s[8:9]
                                        ; implicit-def: $vgpr5
.LBB203_716:
	s_andn2_saveexec_b64 s[6:7], s[6:7]
; %bb.717:
	s_mov_b32 s8, 0x7f800000
	v_mov_b32_e32 v4, 0x7c
	v_mov_b32_e32 v6, 0x7f
	v_cmp_lt_u32_e32 vcc, s8, v5
	v_cndmask_b32_e32 v4, v4, v6, vcc
; %bb.718:
	s_or_b64 exec, exec, s[6:7]
	v_lshrrev_b32_e32 v1, 24, v1
	s_movk_i32 s6, 0x80
	v_and_or_b32 v1, v1, s6, v4
	global_store_byte v[2:3], v1, off
.LBB203_719:
	s_mov_b64 s[8:9], 0
	s_mov_b64 s[6:7], -1
.LBB203_720:
	s_andn2_b64 vcc, exec, s[8:9]
	s_cbranch_vccnz .LBB203_728
; %bb.721:
	v_mov_b32_e32 v1, 14
	v_cmp_gt_i16_sdwa s[10:11], v36, v1 src0_sel:BYTE_0 src1_sel:DWORD
	s_mov_b64 s[8:9], -1
	s_and_b64 vcc, exec, s[10:11]
	s_cbranch_vccz .LBB203_725
; %bb.722:
	v_mov_b32_e32 v1, 15
	v_cmp_eq_u16_sdwa s[8:9], v36, v1 src0_sel:BYTE_0 src1_sel:DWORD
	s_mov_b64 s[4:5], -1
	s_and_b64 vcc, exec, s[8:9]
	s_cbranch_vccz .LBB203_724
; %bb.723:
	v_cvt_f32_f16_e32 v1, v0
	s_movk_i32 s4, 0x7fff
	v_mov_b32_e32 v4, 0x7fc0
	v_cmp_o_f16_e32 vcc, v0, v0
	v_bfe_u32 v5, v1, 16, 1
	v_add3_u32 v1, v1, v5, s4
	v_lshrrev_b32_e32 v1, 16, v1
	v_cndmask_b32_e32 v1, v4, v1, vcc
	global_store_short v[2:3], v1, off
	s_mov_b64 s[6:7], -1
	s_mov_b64 s[4:5], 0
.LBB203_724:
	s_mov_b64 s[8:9], 0
.LBB203_725:
	s_and_b64 vcc, exec, s[8:9]
	s_cbranch_vccz .LBB203_728
; %bb.726:
	v_mov_b32_e32 v1, 11
	v_cmp_eq_u16_sdwa s[8:9], v36, v1 src0_sel:BYTE_0 src1_sel:DWORD
	s_mov_b64 s[4:5], -1
	s_and_b64 vcc, exec, s[8:9]
	s_cbranch_vccz .LBB203_728
; %bb.727:
	v_and_b32_e32 v1, 0x7fff, v0
	v_cmp_ne_u16_e32 vcc, 0, v1
	v_cndmask_b32_e64 v1, 0, 1, vcc
	s_mov_b64 s[6:7], -1
	s_mov_b64 s[4:5], 0
	global_store_byte v[2:3], v1, off
.LBB203_728:
	s_mov_b64 s[8:9], 0
.LBB203_729:
	s_and_b64 vcc, exec, s[8:9]
	s_cbranch_vccz .LBB203_768
; %bb.730:
	v_mov_b32_e32 v1, 5
	v_cmp_lt_i16_sdwa s[8:9], v36, v1 src0_sel:BYTE_0 src1_sel:DWORD
	s_mov_b64 s[6:7], -1
	s_and_b64 vcc, exec, s[8:9]
	s_cbranch_vccnz .LBB203_751
; %bb.731:
	v_mov_b32_e32 v1, 8
	v_cmp_lt_i16_sdwa s[8:9], v36, v1 src0_sel:BYTE_0 src1_sel:DWORD
	s_and_b64 vcc, exec, s[8:9]
	s_cbranch_vccnz .LBB203_741
; %bb.732:
	v_mov_b32_e32 v1, 9
	v_cmp_lt_i16_sdwa s[8:9], v36, v1 src0_sel:BYTE_0 src1_sel:DWORD
	s_and_b64 vcc, exec, s[8:9]
	s_cbranch_vccnz .LBB203_738
; %bb.733:
	v_cmp_gt_i16_sdwa s[8:9], v36, v1 src0_sel:BYTE_0 src1_sel:DWORD
	s_and_b64 vcc, exec, s[8:9]
	s_cbranch_vccz .LBB203_735
; %bb.734:
	v_cvt_f32_f16_e32 v1, v0
	v_mov_b32_e32 v6, 0
	v_mov_b32_e32 v7, v6
	s_mov_b64 s[6:7], 0
	v_cvt_f64_f32_e32 v[4:5], v1
	global_store_dwordx4 v[2:3], v[4:7], off
.LBB203_735:
	s_andn2_b64 vcc, exec, s[6:7]
	s_cbranch_vccnz .LBB203_737
; %bb.736:
	v_cvt_f32_f16_e32 v4, v0
	v_mov_b32_e32 v5, 0
	global_store_dwordx2 v[2:3], v[4:5], off
.LBB203_737:
	s_mov_b64 s[6:7], 0
.LBB203_738:
	s_andn2_b64 vcc, exec, s[6:7]
	s_cbranch_vccnz .LBB203_740
; %bb.739:
	v_and_b32_e32 v1, 0xffff, v0
	global_store_dword v[2:3], v1, off
.LBB203_740:
	s_mov_b64 s[6:7], 0
.LBB203_741:
	s_andn2_b64 vcc, exec, s[6:7]
	s_cbranch_vccnz .LBB203_750
; %bb.742:
	v_mov_b32_e32 v1, 6
	v_cmp_lt_i16_sdwa s[8:9], v36, v1 src0_sel:BYTE_0 src1_sel:DWORD
	s_mov_b64 s[6:7], -1
	s_and_b64 vcc, exec, s[8:9]
	s_cbranch_vccnz .LBB203_748
; %bb.743:
	v_cmp_gt_i16_sdwa s[8:9], v36, v1 src0_sel:BYTE_0 src1_sel:DWORD
	s_and_b64 vcc, exec, s[8:9]
	s_cbranch_vccz .LBB203_745
; %bb.744:
	v_cvt_f32_f16_e32 v1, v0
	s_mov_b64 s[6:7], 0
	v_cvt_f64_f32_e32 v[4:5], v1
	global_store_dwordx2 v[2:3], v[4:5], off
.LBB203_745:
	s_andn2_b64 vcc, exec, s[6:7]
	s_cbranch_vccnz .LBB203_747
; %bb.746:
	v_cvt_f32_f16_e32 v1, v0
	global_store_dword v[2:3], v1, off
.LBB203_747:
	s_mov_b64 s[6:7], 0
.LBB203_748:
	s_andn2_b64 vcc, exec, s[6:7]
	s_cbranch_vccnz .LBB203_750
; %bb.749:
	global_store_short v[2:3], v0, off
.LBB203_750:
	s_mov_b64 s[6:7], 0
.LBB203_751:
	s_andn2_b64 vcc, exec, s[6:7]
	s_cbranch_vccnz .LBB203_767
; %bb.752:
	v_mov_b32_e32 v1, 2
	v_cmp_lt_i16_sdwa s[8:9], v36, v1 src0_sel:BYTE_0 src1_sel:DWORD
	s_mov_b64 s[6:7], -1
	s_and_b64 vcc, exec, s[8:9]
	s_cbranch_vccnz .LBB203_762
; %bb.753:
	v_mov_b32_e32 v1, 3
	v_cmp_lt_i16_sdwa s[8:9], v36, v1 src0_sel:BYTE_0 src1_sel:DWORD
	s_and_b64 vcc, exec, s[8:9]
	s_cbranch_vccnz .LBB203_759
; %bb.754:
	v_cmp_gt_i16_sdwa s[8:9], v36, v1 src0_sel:BYTE_0 src1_sel:DWORD
	s_and_b64 vcc, exec, s[8:9]
	s_cbranch_vccz .LBB203_756
; %bb.755:
	v_cvt_f32_f16_e32 v1, v0
	s_mov_b64 s[6:7], 0
	v_cvt_i32_f32_e32 v4, v1
	v_ashrrev_i32_e32 v5, 31, v4
	global_store_dwordx2 v[2:3], v[4:5], off
.LBB203_756:
	s_andn2_b64 vcc, exec, s[6:7]
	s_cbranch_vccnz .LBB203_758
; %bb.757:
	v_cvt_f32_f16_e32 v1, v0
	v_cvt_i32_f32_e32 v1, v1
	global_store_dword v[2:3], v1, off
.LBB203_758:
	s_mov_b64 s[6:7], 0
.LBB203_759:
	s_andn2_b64 vcc, exec, s[6:7]
	s_cbranch_vccnz .LBB203_761
; %bb.760:
	v_cvt_i16_f16_e32 v1, v0
	global_store_short v[2:3], v1, off
.LBB203_761:
	s_mov_b64 s[6:7], 0
.LBB203_762:
	s_andn2_b64 vcc, exec, s[6:7]
	s_cbranch_vccnz .LBB203_767
; %bb.763:
	v_mov_b32_e32 v1, 0
	v_cmp_gt_i16_sdwa s[8:9], v36, v1 src0_sel:BYTE_0 src1_sel:DWORD
	s_mov_b64 s[6:7], -1
	s_and_b64 vcc, exec, s[8:9]
	s_cbranch_vccz .LBB203_765
; %bb.764:
	v_cvt_i16_f16_e32 v1, v0
	s_mov_b64 s[6:7], 0
	global_store_byte v[2:3], v1, off
.LBB203_765:
	s_andn2_b64 vcc, exec, s[6:7]
	s_cbranch_vccnz .LBB203_767
; %bb.766:
	v_cvt_f32_f16_e32 v0, v0
	v_cvt_i32_f32_e32 v0, v0
	global_store_byte v[2:3], v0, off
.LBB203_767:
	s_mov_b64 s[6:7], -1
.LBB203_768:
	s_andn2_b64 vcc, exec, s[6:7]
	s_cbranch_vccnz .LBB203_781
; %bb.769:
	v_add_u32_e32 v37, 0x80, v37
	s_mov_b64 s[6:7], -1
.LBB203_770:
	s_andn2_b64 s[8:9], s[40:41], exec
	s_and_b64 s[4:5], s[4:5], exec
	s_or_b64 s[52:53], s[8:9], s[4:5]
	s_andn2_b64 s[4:5], s[42:43], exec
	s_and_b64 s[8:9], s[50:51], exec
	s_or_b64 s[50:51], s[4:5], s[8:9]
	;; [unrolled: 3-line block ×3, first 2 shown]
	s_orn2_b64 s[4:5], s[6:7], exec
.LBB203_771:
	s_or_b64 exec, exec, s[54:55]
	s_mov_b64 s[10:11], 0
	s_mov_b64 s[8:9], 0
	;; [unrolled: 1-line block ×3, first 2 shown]
                                        ; implicit-def: $vgpr1
                                        ; implicit-def: $vgpr2_vgpr3
                                        ; implicit-def: $vgpr0
	s_and_saveexec_b64 s[54:55], s[4:5]
	s_cbranch_execz .LBB203_1245
; %bb.772:
	v_cmp_gt_i32_e32 vcc, s33, v37
	s_mov_b64 s[18:19], -1
	s_mov_b64 s[4:5], s[48:49]
	s_mov_b64 s[6:7], s[50:51]
	;; [unrolled: 1-line block ×3, first 2 shown]
	s_and_saveexec_b64 s[56:57], vcc
	s_cbranch_execz .LBB203_1160
; %bb.773:
	s_waitcnt vmcnt(0)
	v_mul_lo_u32 v0, v37, s37
	v_ashrrev_i32_e32 v1, 31, v0
	v_mov_b32_e32 v3, s27
	v_add_co_u32_e32 v2, vcc, s26, v0
	v_mov_b32_e32 v0, 11
	v_addc_co_u32_e32 v3, vcc, v3, v1, vcc
	v_cmp_lt_i16_sdwa s[4:5], v35, v0 src0_sel:BYTE_0 src1_sel:DWORD
	s_and_b64 vcc, exec, s[4:5]
	s_cbranch_vccnz .LBB203_780
; %bb.774:
	v_mov_b32_e32 v0, 25
	v_cmp_gt_i16_sdwa s[4:5], v35, v0 src0_sel:BYTE_0 src1_sel:DWORD
	s_and_b64 vcc, exec, s[4:5]
	s_cbranch_vccz .LBB203_782
; %bb.775:
	v_mov_b32_e32 v0, 28
	v_cmp_gt_i16_sdwa s[4:5], v35, v0 src0_sel:BYTE_0 src1_sel:DWORD
	s_and_b64 vcc, exec, s[4:5]
	s_cbranch_vccz .LBB203_783
	;; [unrolled: 5-line block ×4, first 2 shown]
; %bb.778:
	v_mov_b32_e32 v0, 46
	v_cmp_eq_u16_sdwa s[4:5], v35, v0 src0_sel:BYTE_0 src1_sel:DWORD
	s_mov_b64 s[6:7], 0
	s_and_b64 vcc, exec, s[4:5]
	s_cbranch_vccz .LBB203_788
; %bb.779:
	global_load_dword v0, v[2:3], off
	s_mov_b64 s[4:5], -1
	s_mov_b64 s[58:59], 0
	s_waitcnt vmcnt(0)
	v_lshlrev_b32_e32 v0, 16, v0
	v_cvt_f16_f32_e32 v0, v0
	s_branch .LBB203_789
.LBB203_780:
	s_mov_b64 s[6:7], -1
	s_mov_b64 s[4:5], 0
                                        ; implicit-def: $vgpr0
	s_mov_b64 s[58:59], s[48:49]
	s_branch .LBB203_854
.LBB203_781:
	s_mov_b64 s[6:7], 0
	s_branch .LBB203_528
.LBB203_782:
	s_mov_b64 s[6:7], -1
	s_mov_b64 s[4:5], 0
	s_mov_b64 s[58:59], s[48:49]
                                        ; implicit-def: $vgpr0
	s_branch .LBB203_818
.LBB203_783:
	s_mov_b64 s[6:7], -1
	s_mov_b64 s[4:5], 0
	s_mov_b64 s[58:59], s[48:49]
                                        ; implicit-def: $vgpr0
	s_branch .LBB203_799
.LBB203_784:
	s_mov_b64 s[6:7], -1
	s_mov_b64 s[4:5], 0
	s_mov_b64 s[58:59], s[48:49]
                                        ; implicit-def: $vgpr0
	s_branch .LBB203_794
.LBB203_785:
	s_mov_b64 s[6:7], -1
	s_mov_b64 s[4:5], 0
	s_mov_b64 s[58:59], s[48:49]
                                        ; implicit-def: $vgpr0
	s_branch .LBB203_789
.LBB203_786:
	s_or_saveexec_b64 s[10:11], s[10:11]
                                        ; implicit-def: $sgpr12
	s_xor_b64 exec, exec, s[10:11]
	s_cbranch_execz .LBB203_681
.LBB203_787:
	s_mov_b32 s12, 0x46000000
	v_add_f32_e64 v4, |v1|, s12
	v_and_b32_e32 v4, 0xff, v4
	v_cmp_ne_u32_e32 vcc, 0, v4
	s_andn2_b64 s[8:9], s[8:9], exec
	s_and_b64 s[14:15], vcc, exec
	s_mov_b32 s12, 0
	s_or_b64 s[8:9], s[8:9], s[14:15]
	s_or_b64 exec, exec, s[10:11]
	v_mov_b32_e32 v5, s12
	s_and_saveexec_b64 s[10:11], s[8:9]
	s_cbranch_execnz .LBB203_682
	s_branch .LBB203_683
.LBB203_788:
	s_mov_b64 s[58:59], -1
                                        ; implicit-def: $vgpr0
	s_mov_b64 s[4:5], 0
.LBB203_789:
	s_and_b64 vcc, exec, s[6:7]
	s_cbranch_vccz .LBB203_793
; %bb.790:
	v_mov_b32_e32 v0, 44
	v_cmp_eq_u16_sdwa s[6:7], v35, v0 src0_sel:BYTE_0 src1_sel:DWORD
	s_and_b64 vcc, exec, s[6:7]
	s_cbranch_vccz .LBB203_792
; %bb.791:
	global_load_ubyte v0, v[2:3], off
	s_movk_i32 s6, 0xff
	v_mov_b32_e32 v4, 0x7e00
	s_mov_b64 s[4:5], -1
	s_mov_b64 s[58:59], 0
	s_waitcnt vmcnt(0)
	v_lshlrev_b32_e32 v1, 23, v0
	v_cvt_f16_f32_e32 v1, v1
	v_cmp_ne_u32_e32 vcc, s6, v0
	v_cndmask_b32_e32 v1, v4, v1, vcc
	v_cmp_ne_u32_e32 vcc, 0, v0
	v_cndmask_b32_e32 v0, 0, v1, vcc
	s_branch .LBB203_793
.LBB203_792:
	s_mov_b64 s[58:59], -1
                                        ; implicit-def: $vgpr0
.LBB203_793:
	s_mov_b64 s[6:7], 0
.LBB203_794:
	s_and_b64 vcc, exec, s[6:7]
	s_cbranch_vccz .LBB203_798
; %bb.795:
	v_mov_b32_e32 v0, 29
	v_cmp_eq_u16_sdwa s[6:7], v35, v0 src0_sel:BYTE_0 src1_sel:DWORD
	s_and_b64 vcc, exec, s[6:7]
	s_cbranch_vccz .LBB203_797
; %bb.796:
	global_load_dwordx2 v[0:1], v[2:3], off
	s_mov_b64 s[4:5], -1
	s_mov_b64 s[58:59], 0
	s_mov_b64 s[6:7], 0
	s_waitcnt vmcnt(0)
	v_ffbh_u32_e32 v4, v1
	v_min_u32_e32 v4, 32, v4
	v_lshlrev_b64 v[0:1], v4, v[0:1]
	v_min_u32_e32 v0, 1, v0
	v_or_b32_e32 v0, v1, v0
	v_cvt_f32_u32_e32 v0, v0
	v_sub_u32_e32 v1, 32, v4
	v_ldexp_f32 v0, v0, v1
	v_cvt_f16_f32_e32 v0, v0
	s_branch .LBB203_799
.LBB203_797:
	s_mov_b64 s[58:59], -1
                                        ; implicit-def: $vgpr0
.LBB203_798:
	s_mov_b64 s[6:7], 0
.LBB203_799:
	s_and_b64 vcc, exec, s[6:7]
	s_cbranch_vccz .LBB203_817
; %bb.800:
	v_mov_b32_e32 v0, 27
	v_cmp_lt_i16_sdwa s[4:5], v35, v0 src0_sel:BYTE_0 src1_sel:DWORD
	s_and_b64 vcc, exec, s[4:5]
	s_cbranch_vccnz .LBB203_803
; %bb.801:
	v_cmp_gt_i16_sdwa s[4:5], v35, v0 src0_sel:BYTE_0 src1_sel:DWORD
	s_and_b64 vcc, exec, s[4:5]
	s_cbranch_vccz .LBB203_804
; %bb.802:
	global_load_dword v0, v[2:3], off
	s_mov_b64 s[4:5], 0
	s_waitcnt vmcnt(0)
	v_cvt_f32_u32_e32 v0, v0
	v_cvt_f16_f32_e32 v0, v0
	s_branch .LBB203_805
.LBB203_803:
	s_mov_b64 s[4:5], -1
                                        ; implicit-def: $vgpr0
	s_branch .LBB203_808
.LBB203_804:
	s_mov_b64 s[4:5], -1
                                        ; implicit-def: $vgpr0
.LBB203_805:
	s_andn2_b64 vcc, exec, s[4:5]
	s_cbranch_vccnz .LBB203_807
; %bb.806:
	global_load_ushort v0, v[2:3], off
	s_waitcnt vmcnt(0)
	v_cvt_f16_u16_e32 v0, v0
.LBB203_807:
	s_mov_b64 s[4:5], 0
.LBB203_808:
	s_andn2_b64 vcc, exec, s[4:5]
	s_cbranch_vccnz .LBB203_816
; %bb.809:
	global_load_ubyte v1, v[2:3], off
	s_movk_i32 s4, 0x7f
                                        ; implicit-def: $sgpr10
	s_waitcnt vmcnt(0)
	v_cmp_lt_i16_e32 vcc, s4, v1
	s_mov_b64 s[4:5], 0
	s_and_saveexec_b64 s[6:7], vcc
	s_xor_b64 s[6:7], exec, s[6:7]
	s_cbranch_execz .LBB203_830
; %bb.810:
	s_movk_i32 s4, 0x80
	v_cmp_eq_u16_e32 vcc, s4, v1
	s_mov_b64 s[4:5], -1
                                        ; implicit-def: $sgpr10
	s_and_saveexec_b64 s[8:9], vcc
; %bb.811:
	s_movk_i32 s10, 0x7e00
	s_xor_b64 s[4:5], exec, -1
; %bb.812:
	s_or_b64 exec, exec, s[8:9]
	s_and_b64 s[4:5], s[4:5], exec
	s_or_saveexec_b64 s[6:7], s[6:7]
	v_mov_b32_e32 v0, s10
	s_xor_b64 exec, exec, s[6:7]
	s_cbranch_execnz .LBB203_831
.LBB203_813:
	s_or_b64 exec, exec, s[6:7]
	s_and_saveexec_b64 s[6:7], s[4:5]
	s_cbranch_execz .LBB203_815
.LBB203_814:
	v_lshlrev_b32_e32 v0, 24, v1
	v_and_b32_e32 v1, 0xffff, v1
	v_and_b32_e32 v4, 7, v1
	v_ffbh_u32_e32 v6, v4
	v_min_u32_e32 v6, 32, v6
	v_subrev_u32_e32 v7, 28, v6
	v_bfe_u32 v5, v1, 3, 4
	v_lshlrev_b32_e32 v1, v7, v1
	v_sub_u32_e32 v6, 29, v6
	v_and_b32_e32 v1, 7, v1
	v_cmp_eq_u32_e32 vcc, 0, v5
	v_cndmask_b32_e32 v5, v5, v6, vcc
	v_cndmask_b32_e32 v1, v4, v1, vcc
	v_mov_b32_e32 v4, 0x3b800000
	v_lshlrev_b32_e32 v1, 20, v1
	v_and_b32_e32 v0, 0x80000000, v0
	v_lshl_add_u32 v4, v5, 23, v4
	v_or3_b32 v0, v0, v4, v1
	v_cvt_f16_f32_e32 v0, v0
.LBB203_815:
	s_or_b64 exec, exec, s[6:7]
.LBB203_816:
	s_mov_b64 s[4:5], -1
.LBB203_817:
	s_mov_b64 s[6:7], 0
.LBB203_818:
	s_and_b64 vcc, exec, s[6:7]
	s_cbranch_vccz .LBB203_853
; %bb.819:
	v_mov_b32_e32 v0, 22
	v_cmp_gt_i16_sdwa s[6:7], v35, v0 src0_sel:BYTE_0 src1_sel:DWORD
	s_and_b64 vcc, exec, s[6:7]
	s_cbranch_vccz .LBB203_829
; %bb.820:
	v_mov_b32_e32 v0, 24
	v_cmp_lt_i16_sdwa s[4:5], v35, v0 src0_sel:BYTE_0 src1_sel:DWORD
	s_and_b64 vcc, exec, s[4:5]
	s_cbranch_vccnz .LBB203_832
; %bb.821:
	v_cmp_gt_i16_sdwa s[4:5], v35, v0 src0_sel:BYTE_0 src1_sel:DWORD
	s_and_b64 vcc, exec, s[4:5]
	s_cbranch_vccz .LBB203_833
; %bb.822:
	global_load_ubyte v1, v[2:3], off
	s_movk_i32 s4, 0x7f
                                        ; implicit-def: $sgpr10
	s_waitcnt vmcnt(0)
	v_cmp_lt_i16_e32 vcc, s4, v1
	s_mov_b64 s[4:5], 0
	s_and_saveexec_b64 s[6:7], vcc
	s_xor_b64 s[6:7], exec, s[6:7]
	s_cbranch_execz .LBB203_845
; %bb.823:
	s_movk_i32 s4, 0x80
	v_cmp_eq_u16_e32 vcc, s4, v1
	s_mov_b64 s[4:5], -1
                                        ; implicit-def: $sgpr10
	s_and_saveexec_b64 s[8:9], vcc
; %bb.824:
	s_movk_i32 s10, 0x7e00
	s_xor_b64 s[4:5], exec, -1
; %bb.825:
	s_or_b64 exec, exec, s[8:9]
	s_and_b64 s[4:5], s[4:5], exec
	s_or_saveexec_b64 s[6:7], s[6:7]
	v_mov_b32_e32 v0, s10
	s_xor_b64 exec, exec, s[6:7]
	s_cbranch_execnz .LBB203_846
.LBB203_826:
	s_or_b64 exec, exec, s[6:7]
	s_and_saveexec_b64 s[6:7], s[4:5]
	s_cbranch_execz .LBB203_828
.LBB203_827:
	v_lshlrev_b32_e32 v0, 24, v1
	v_and_b32_e32 v1, 0xffff, v1
	v_and_b32_e32 v4, 3, v1
	v_ffbh_u32_e32 v6, v4
	v_min_u32_e32 v6, 32, v6
	v_subrev_u32_e32 v7, 29, v6
	v_bfe_u32 v5, v1, 2, 5
	v_lshlrev_b32_e32 v1, v7, v1
	v_sub_u32_e32 v6, 30, v6
	v_and_b32_e32 v1, 3, v1
	v_cmp_eq_u32_e32 vcc, 0, v5
	v_cndmask_b32_e32 v5, v5, v6, vcc
	v_cndmask_b32_e32 v1, v4, v1, vcc
	v_mov_b32_e32 v4, 0x37800000
	v_lshlrev_b32_e32 v1, 21, v1
	v_and_b32_e32 v0, 0x80000000, v0
	v_lshl_add_u32 v4, v5, 23, v4
	v_or3_b32 v0, v0, v4, v1
	v_cvt_f16_f32_e32 v0, v0
.LBB203_828:
	s_or_b64 exec, exec, s[6:7]
	s_mov_b64 s[4:5], 0
	s_branch .LBB203_834
.LBB203_829:
	s_mov_b64 s[6:7], -1
                                        ; implicit-def: $vgpr0
	s_branch .LBB203_840
.LBB203_830:
	s_or_saveexec_b64 s[6:7], s[6:7]
	v_mov_b32_e32 v0, s10
	s_xor_b64 exec, exec, s[6:7]
	s_cbranch_execz .LBB203_813
.LBB203_831:
	v_cmp_ne_u16_e32 vcc, 0, v1
	s_andn2_b64 s[4:5], s[4:5], exec
	s_and_b64 s[8:9], vcc, exec
	s_or_b64 s[4:5], s[4:5], s[8:9]
	v_mov_b32_e32 v0, v1
	s_or_b64 exec, exec, s[6:7]
	s_and_saveexec_b64 s[6:7], s[4:5]
	s_cbranch_execnz .LBB203_814
	s_branch .LBB203_815
.LBB203_832:
	s_mov_b64 s[4:5], -1
                                        ; implicit-def: $vgpr0
	s_branch .LBB203_837
.LBB203_833:
	s_mov_b64 s[4:5], -1
                                        ; implicit-def: $vgpr0
.LBB203_834:
	s_and_b64 vcc, exec, s[4:5]
	s_cbranch_vccz .LBB203_836
; %bb.835:
	global_load_ubyte v0, v[2:3], off
	s_mov_b32 s4, 0x7f800000
	s_waitcnt vmcnt(0)
	v_lshlrev_b32_e32 v0, 24, v0
	v_and_b32_e32 v1, 0x7f000000, v0
	v_ffbh_u32_e32 v4, v1
	v_min_u32_e32 v4, 32, v4
	v_sub_u32_e64 v4, v4, 4 clamp
	v_lshlrev_b32_e32 v6, v4, v1
	v_lshlrev_b32_e32 v4, 23, v4
	v_lshrrev_b32_e32 v6, 4, v6
	v_add_u32_e32 v5, 0x1000000, v1
	v_sub_u32_e32 v4, v6, v4
	v_ashrrev_i32_e32 v5, 8, v5
	v_add_u32_e32 v4, 0x3c000000, v4
	v_and_or_b32 v4, v5, s4, v4
	v_cmp_ne_u32_e32 vcc, 0, v1
	v_cndmask_b32_e32 v1, 0, v4, vcc
	s_brev_b32 s4, 1
	v_and_or_b32 v0, v0, s4, v1
	v_cvt_f16_f32_e32 v0, v0
.LBB203_836:
	s_mov_b64 s[4:5], 0
.LBB203_837:
	s_andn2_b64 vcc, exec, s[4:5]
	s_cbranch_vccnz .LBB203_839
; %bb.838:
	global_load_ubyte v0, v[2:3], off
	s_movk_i32 s4, 0x7f00
	s_brev_b32 s5, 16
	s_waitcnt vmcnt(0)
	v_lshlrev_b16_e32 v1, 8, v0
	v_lshlrev_b32_e32 v0, 25, v0
	v_lshrrev_b32_e32 v4, 4, v0
	v_and_or_b32 v5, v1, s4, 0.5
	v_or_b32_e32 v4, 0x70000000, v4
	v_add_f32_e32 v5, -0.5, v5
	v_mul_f32_e32 v4, 0x7800000, v4
	v_cmp_gt_u32_e32 vcc, s5, v0
	v_bfe_i32 v1, v1, 0, 16
	v_cndmask_b32_e32 v0, v4, v5, vcc
	s_brev_b32 s4, 1
	v_and_or_b32 v0, v1, s4, v0
	v_cvt_f16_f32_e32 v0, v0
.LBB203_839:
	s_mov_b64 s[6:7], 0
	s_mov_b64 s[4:5], -1
.LBB203_840:
	s_andn2_b64 vcc, exec, s[6:7]
	s_cbranch_vccnz .LBB203_853
; %bb.841:
	v_mov_b32_e32 v0, 14
	v_cmp_gt_i16_sdwa s[6:7], v35, v0 src0_sel:BYTE_0 src1_sel:DWORD
	s_and_b64 vcc, exec, s[6:7]
	s_cbranch_vccz .LBB203_844
; %bb.842:
	v_mov_b32_e32 v0, 15
	v_cmp_eq_u16_sdwa s[6:7], v35, v0 src0_sel:BYTE_0 src1_sel:DWORD
	s_and_b64 vcc, exec, s[6:7]
	s_cbranch_vccz .LBB203_847
; %bb.843:
	global_load_ushort v0, v[2:3], off
	s_mov_b64 s[4:5], -1
	s_mov_b64 s[58:59], 0
	s_waitcnt vmcnt(0)
	v_lshlrev_b32_e32 v0, 16, v0
	v_cvt_f16_f32_e32 v0, v0
	s_branch .LBB203_848
.LBB203_844:
	s_mov_b64 s[6:7], -1
                                        ; implicit-def: $vgpr0
	s_branch .LBB203_849
.LBB203_845:
	s_or_saveexec_b64 s[6:7], s[6:7]
	v_mov_b32_e32 v0, s10
	s_xor_b64 exec, exec, s[6:7]
	s_cbranch_execz .LBB203_826
.LBB203_846:
	v_cmp_ne_u16_e32 vcc, 0, v1
	s_andn2_b64 s[4:5], s[4:5], exec
	s_and_b64 s[8:9], vcc, exec
	s_or_b64 s[4:5], s[4:5], s[8:9]
	v_mov_b32_e32 v0, v1
	s_or_b64 exec, exec, s[6:7]
	s_and_saveexec_b64 s[6:7], s[4:5]
	s_cbranch_execnz .LBB203_827
	s_branch .LBB203_828
.LBB203_847:
	s_mov_b64 s[58:59], -1
                                        ; implicit-def: $vgpr0
.LBB203_848:
	s_mov_b64 s[6:7], 0
.LBB203_849:
	s_and_b64 vcc, exec, s[6:7]
	s_cbranch_vccz .LBB203_853
; %bb.850:
	v_mov_b32_e32 v0, 11
	v_cmp_eq_u16_sdwa s[6:7], v35, v0 src0_sel:BYTE_0 src1_sel:DWORD
	s_and_b64 vcc, exec, s[6:7]
	s_cbranch_vccz .LBB203_852
; %bb.851:
	global_load_ubyte v0, v[2:3], off
	v_mov_b32_e32 v1, 0x3c00
	s_mov_b64 s[4:5], -1
	s_mov_b64 s[58:59], 0
	s_waitcnt vmcnt(0)
	v_cmp_ne_u16_e32 vcc, 0, v0
	v_cndmask_b32_e32 v0, 0, v1, vcc
	s_branch .LBB203_853
.LBB203_852:
	s_mov_b64 s[58:59], -1
                                        ; implicit-def: $vgpr0
.LBB203_853:
	s_mov_b64 s[6:7], 0
.LBB203_854:
	s_and_b64 vcc, exec, s[6:7]
	s_cbranch_vccz .LBB203_903
; %bb.855:
	v_mov_b32_e32 v0, 5
	v_cmp_lt_i16_sdwa s[4:5], v35, v0 src0_sel:BYTE_0 src1_sel:DWORD
	s_and_b64 vcc, exec, s[4:5]
	s_cbranch_vccnz .LBB203_860
; %bb.856:
	v_mov_b32_e32 v0, 8
	v_cmp_lt_i16_sdwa s[4:5], v35, v0 src0_sel:BYTE_0 src1_sel:DWORD
	s_and_b64 vcc, exec, s[4:5]
	s_cbranch_vccnz .LBB203_861
	;; [unrolled: 5-line block ×3, first 2 shown]
; %bb.858:
	v_cmp_gt_i16_sdwa s[4:5], v35, v0 src0_sel:BYTE_0 src1_sel:DWORD
	s_and_b64 vcc, exec, s[4:5]
	s_cbranch_vccz .LBB203_863
; %bb.859:
	global_load_dwordx2 v[0:1], v[2:3], off
	s_mov_b64 s[4:5], 0
	s_waitcnt vmcnt(0)
	v_cvt_f32_f64_e32 v0, v[0:1]
	v_cvt_f16_f32_e32 v0, v0
	s_branch .LBB203_864
.LBB203_860:
	s_mov_b64 s[4:5], -1
                                        ; implicit-def: $vgpr0
	s_branch .LBB203_882
.LBB203_861:
	s_mov_b64 s[4:5], -1
                                        ; implicit-def: $vgpr0
	s_branch .LBB203_870
.LBB203_862:
	s_mov_b64 s[4:5], -1
                                        ; implicit-def: $vgpr0
	s_branch .LBB203_867
.LBB203_863:
	s_mov_b64 s[4:5], -1
                                        ; implicit-def: $vgpr0
.LBB203_864:
	s_andn2_b64 vcc, exec, s[4:5]
	s_cbranch_vccnz .LBB203_866
; %bb.865:
	global_load_dword v0, v[2:3], off
	s_waitcnt vmcnt(0)
	v_cvt_f16_f32_e32 v0, v0
.LBB203_866:
	s_mov_b64 s[4:5], 0
.LBB203_867:
	s_andn2_b64 vcc, exec, s[4:5]
	s_cbranch_vccnz .LBB203_869
; %bb.868:
	global_load_dword v0, v[2:3], off
.LBB203_869:
	s_mov_b64 s[4:5], 0
.LBB203_870:
	s_andn2_b64 vcc, exec, s[4:5]
	s_cbranch_vccnz .LBB203_881
; %bb.871:
	s_waitcnt vmcnt(0)
	v_mov_b32_e32 v0, 6
	v_cmp_lt_i16_sdwa s[4:5], v35, v0 src0_sel:BYTE_0 src1_sel:DWORD
	s_and_b64 vcc, exec, s[4:5]
	s_cbranch_vccnz .LBB203_874
; %bb.872:
	v_cmp_gt_i16_sdwa s[4:5], v35, v0 src0_sel:BYTE_0 src1_sel:DWORD
	s_and_b64 vcc, exec, s[4:5]
	s_cbranch_vccz .LBB203_875
; %bb.873:
	global_load_dwordx2 v[0:1], v[2:3], off
	s_mov_b64 s[4:5], 0
	s_waitcnt vmcnt(0)
	v_cvt_f32_f64_e32 v0, v[0:1]
	v_cvt_f16_f32_e32 v0, v0
	s_branch .LBB203_876
.LBB203_874:
	s_mov_b64 s[4:5], -1
                                        ; implicit-def: $vgpr0
	s_branch .LBB203_879
.LBB203_875:
	s_mov_b64 s[4:5], -1
                                        ; implicit-def: $vgpr0
.LBB203_876:
	s_andn2_b64 vcc, exec, s[4:5]
	s_cbranch_vccnz .LBB203_878
; %bb.877:
	global_load_dword v0, v[2:3], off
	s_waitcnt vmcnt(0)
	v_cvt_f16_f32_e32 v0, v0
.LBB203_878:
	s_mov_b64 s[4:5], 0
.LBB203_879:
	s_andn2_b64 vcc, exec, s[4:5]
	s_cbranch_vccnz .LBB203_881
; %bb.880:
	global_load_ushort v0, v[2:3], off
.LBB203_881:
	s_mov_b64 s[4:5], 0
.LBB203_882:
	s_andn2_b64 vcc, exec, s[4:5]
	s_cbranch_vccnz .LBB203_902
; %bb.883:
	s_waitcnt vmcnt(0)
	v_mov_b32_e32 v0, 2
	v_cmp_lt_i16_sdwa s[4:5], v35, v0 src0_sel:BYTE_0 src1_sel:DWORD
	s_and_b64 vcc, exec, s[4:5]
	s_cbranch_vccnz .LBB203_887
; %bb.884:
	v_mov_b32_e32 v0, 3
	v_cmp_lt_i16_sdwa s[4:5], v35, v0 src0_sel:BYTE_0 src1_sel:DWORD
	s_and_b64 vcc, exec, s[4:5]
	s_cbranch_vccnz .LBB203_888
; %bb.885:
	v_cmp_gt_i16_sdwa s[4:5], v35, v0 src0_sel:BYTE_0 src1_sel:DWORD
	s_and_b64 vcc, exec, s[4:5]
	s_cbranch_vccz .LBB203_889
; %bb.886:
	global_load_dwordx2 v[0:1], v[2:3], off
	s_mov_b64 s[4:5], 0
	s_waitcnt vmcnt(0)
	v_xor_b32_e32 v5, v0, v1
	v_ffbh_i32_e32 v4, v1
	v_ashrrev_i32_e32 v5, 31, v5
	v_add_u32_e32 v4, -1, v4
	v_add_u32_e32 v5, 32, v5
	v_min_u32_e32 v4, v4, v5
	v_lshlrev_b64 v[0:1], v4, v[0:1]
	v_min_u32_e32 v0, 1, v0
	v_or_b32_e32 v0, v1, v0
	v_cvt_f32_i32_e32 v0, v0
	v_sub_u32_e32 v1, 32, v4
	v_ldexp_f32 v0, v0, v1
	v_cvt_f16_f32_e32 v0, v0
	s_branch .LBB203_890
.LBB203_887:
	s_mov_b64 s[4:5], -1
                                        ; implicit-def: $vgpr0
	s_branch .LBB203_896
.LBB203_888:
	s_mov_b64 s[4:5], -1
                                        ; implicit-def: $vgpr0
	s_branch .LBB203_893
.LBB203_889:
	s_mov_b64 s[4:5], -1
                                        ; implicit-def: $vgpr0
.LBB203_890:
	s_andn2_b64 vcc, exec, s[4:5]
	s_cbranch_vccnz .LBB203_892
; %bb.891:
	global_load_dword v0, v[2:3], off
	s_waitcnt vmcnt(0)
	v_cvt_f32_i32_e32 v0, v0
	v_cvt_f16_f32_e32 v0, v0
.LBB203_892:
	s_mov_b64 s[4:5], 0
.LBB203_893:
	s_andn2_b64 vcc, exec, s[4:5]
	s_cbranch_vccnz .LBB203_895
; %bb.894:
	global_load_ushort v0, v[2:3], off
	s_waitcnt vmcnt(0)
	v_cvt_f16_i16_e32 v0, v0
.LBB203_895:
	s_mov_b64 s[4:5], 0
.LBB203_896:
	s_andn2_b64 vcc, exec, s[4:5]
	s_cbranch_vccnz .LBB203_902
; %bb.897:
	v_mov_b32_e32 v0, 0
	v_cmp_gt_i16_sdwa s[4:5], v35, v0 src0_sel:BYTE_0 src1_sel:DWORD
	s_and_b64 vcc, exec, s[4:5]
	s_cbranch_vccz .LBB203_899
; %bb.898:
	global_load_sbyte v0, v[2:3], off
	s_mov_b64 s[4:5], 0
	s_waitcnt vmcnt(0)
	v_cvt_f16_i16_e32 v0, v0
	s_branch .LBB203_900
.LBB203_899:
	s_mov_b64 s[4:5], -1
                                        ; implicit-def: $vgpr0
.LBB203_900:
	s_andn2_b64 vcc, exec, s[4:5]
	s_cbranch_vccnz .LBB203_902
; %bb.901:
	global_load_ubyte v0, v[2:3], off
	s_waitcnt vmcnt(0)
	v_cvt_f16_u16_e32 v0, v0
.LBB203_902:
	s_mov_b64 s[4:5], -1
.LBB203_903:
	s_andn2_b64 vcc, exec, s[4:5]
	s_cbranch_vccnz .LBB203_911
; %bb.904:
	v_mul_lo_u32 v1, v37, s38
	v_ashrrev_i32_e32 v3, 31, v1
	v_mov_b32_e32 v4, s23
	v_add_co_u32_e32 v2, vcc, s22, v1
	v_mov_b32_e32 v1, 11
	v_addc_co_u32_e32 v3, vcc, v4, v3, vcc
	v_cmp_lt_i16_sdwa s[4:5], v38, v1 src0_sel:BYTE_0 src1_sel:DWORD
	s_and_b64 vcc, exec, s[4:5]
	s_cbranch_vccnz .LBB203_913
; %bb.905:
	v_mov_b32_e32 v1, 25
	v_cmp_gt_i16_sdwa s[4:5], v38, v1 src0_sel:BYTE_0 src1_sel:DWORD
	s_and_b64 vcc, exec, s[4:5]
	s_cbranch_vccz .LBB203_914
; %bb.906:
	v_mov_b32_e32 v1, 28
	v_cmp_gt_i16_sdwa s[4:5], v38, v1 src0_sel:BYTE_0 src1_sel:DWORD
	s_and_b64 vcc, exec, s[4:5]
	s_cbranch_vccz .LBB203_915
	;; [unrolled: 5-line block ×4, first 2 shown]
; %bb.909:
	v_mov_b32_e32 v1, 46
	v_cmp_eq_u16_sdwa s[4:5], v38, v1 src0_sel:BYTE_0 src1_sel:DWORD
	s_mov_b64 s[6:7], 0
	s_and_b64 vcc, exec, s[4:5]
	s_cbranch_vccz .LBB203_920
; %bb.910:
	global_load_dword v1, v[2:3], off
	s_mov_b64 s[4:5], -1
	s_mov_b64 s[60:61], 0
	s_waitcnt vmcnt(0)
	v_lshlrev_b32_e32 v1, 16, v1
	v_cvt_f16_f32_e32 v1, v1
	s_branch .LBB203_921
.LBB203_911:
	s_mov_b64 s[10:11], 0
	s_mov_b64 s[4:5], s[52:53]
	;; [unrolled: 1-line block ×3, first 2 shown]
.LBB203_912:
                                        ; implicit-def: $vgpr37
	s_branch .LBB203_1159
.LBB203_913:
	s_mov_b64 s[6:7], -1
	s_mov_b64 s[4:5], 0
                                        ; implicit-def: $vgpr1
	s_mov_b64 s[60:61], s[50:51]
	s_branch .LBB203_986
.LBB203_914:
	s_mov_b64 s[6:7], -1
	s_mov_b64 s[4:5], 0
	s_mov_b64 s[60:61], s[50:51]
                                        ; implicit-def: $vgpr1
	s_branch .LBB203_950
.LBB203_915:
	s_mov_b64 s[6:7], -1
	s_mov_b64 s[4:5], 0
	s_mov_b64 s[60:61], s[50:51]
                                        ; implicit-def: $vgpr1
	s_branch .LBB203_931
.LBB203_916:
	s_mov_b64 s[6:7], -1
	s_mov_b64 s[4:5], 0
	s_mov_b64 s[60:61], s[50:51]
                                        ; implicit-def: $vgpr1
	s_branch .LBB203_926
.LBB203_917:
	s_mov_b64 s[6:7], -1
	s_mov_b64 s[4:5], 0
	s_mov_b64 s[60:61], s[50:51]
                                        ; implicit-def: $vgpr1
	s_branch .LBB203_921
.LBB203_918:
	s_or_saveexec_b64 s[10:11], s[10:11]
                                        ; implicit-def: $sgpr12
	s_xor_b64 exec, exec, s[10:11]
	s_cbranch_execz .LBB203_694
.LBB203_919:
	s_mov_b32 s12, 0x42800000
	v_add_f32_e64 v4, |v1|, s12
	v_and_b32_e32 v4, 0xff, v4
	v_cmp_ne_u32_e32 vcc, 0, v4
	s_andn2_b64 s[8:9], s[8:9], exec
	s_and_b64 s[14:15], vcc, exec
	s_mov_b32 s12, 0
	s_or_b64 s[8:9], s[8:9], s[14:15]
	s_or_b64 exec, exec, s[10:11]
	v_mov_b32_e32 v5, s12
	s_and_saveexec_b64 s[10:11], s[8:9]
	s_cbranch_execnz .LBB203_695
	s_branch .LBB203_696
.LBB203_920:
	s_mov_b64 s[60:61], -1
                                        ; implicit-def: $vgpr1
	s_mov_b64 s[4:5], 0
.LBB203_921:
	s_and_b64 vcc, exec, s[6:7]
	s_cbranch_vccz .LBB203_925
; %bb.922:
	v_mov_b32_e32 v1, 44
	v_cmp_eq_u16_sdwa s[6:7], v38, v1 src0_sel:BYTE_0 src1_sel:DWORD
	s_and_b64 vcc, exec, s[6:7]
	s_cbranch_vccz .LBB203_924
; %bb.923:
	global_load_ubyte v1, v[2:3], off
	s_movk_i32 s6, 0xff
	v_mov_b32_e32 v5, 0x7e00
	s_mov_b64 s[4:5], -1
	s_mov_b64 s[60:61], 0
	s_waitcnt vmcnt(0)
	v_lshlrev_b32_e32 v4, 23, v1
	v_cvt_f16_f32_e32 v4, v4
	v_cmp_ne_u32_e32 vcc, s6, v1
	v_cndmask_b32_e32 v4, v5, v4, vcc
	v_cmp_ne_u32_e32 vcc, 0, v1
	v_cndmask_b32_e32 v1, 0, v4, vcc
	s_branch .LBB203_925
.LBB203_924:
	s_mov_b64 s[60:61], -1
                                        ; implicit-def: $vgpr1
.LBB203_925:
	s_mov_b64 s[6:7], 0
.LBB203_926:
	s_and_b64 vcc, exec, s[6:7]
	s_cbranch_vccz .LBB203_930
; %bb.927:
	v_mov_b32_e32 v1, 29
	v_cmp_eq_u16_sdwa s[6:7], v38, v1 src0_sel:BYTE_0 src1_sel:DWORD
	s_and_b64 vcc, exec, s[6:7]
	s_cbranch_vccz .LBB203_929
; %bb.928:
	global_load_dwordx2 v[4:5], v[2:3], off
	s_mov_b64 s[4:5], -1
	s_mov_b64 s[60:61], 0
	s_mov_b64 s[6:7], 0
	s_waitcnt vmcnt(0)
	v_ffbh_u32_e32 v1, v5
	v_min_u32_e32 v1, 32, v1
	v_lshlrev_b64 v[4:5], v1, v[4:5]
	v_min_u32_e32 v4, 1, v4
	v_or_b32_e32 v4, v5, v4
	v_cvt_f32_u32_e32 v4, v4
	v_sub_u32_e32 v1, 32, v1
	v_ldexp_f32 v1, v4, v1
	v_cvt_f16_f32_e32 v1, v1
	s_branch .LBB203_931
.LBB203_929:
	s_mov_b64 s[60:61], -1
                                        ; implicit-def: $vgpr1
.LBB203_930:
	s_mov_b64 s[6:7], 0
.LBB203_931:
	s_and_b64 vcc, exec, s[6:7]
	s_cbranch_vccz .LBB203_949
; %bb.932:
	v_mov_b32_e32 v1, 27
	v_cmp_lt_i16_sdwa s[4:5], v38, v1 src0_sel:BYTE_0 src1_sel:DWORD
	s_and_b64 vcc, exec, s[4:5]
	s_cbranch_vccnz .LBB203_935
; %bb.933:
	v_cmp_gt_i16_sdwa s[4:5], v38, v1 src0_sel:BYTE_0 src1_sel:DWORD
	s_and_b64 vcc, exec, s[4:5]
	s_cbranch_vccz .LBB203_936
; %bb.934:
	global_load_dword v1, v[2:3], off
	s_mov_b64 s[4:5], 0
	s_waitcnt vmcnt(0)
	v_cvt_f32_u32_e32 v1, v1
	v_cvt_f16_f32_e32 v1, v1
	s_branch .LBB203_937
.LBB203_935:
	s_mov_b64 s[4:5], -1
                                        ; implicit-def: $vgpr1
	s_branch .LBB203_940
.LBB203_936:
	s_mov_b64 s[4:5], -1
                                        ; implicit-def: $vgpr1
.LBB203_937:
	s_andn2_b64 vcc, exec, s[4:5]
	s_cbranch_vccnz .LBB203_939
; %bb.938:
	global_load_ushort v1, v[2:3], off
	s_waitcnt vmcnt(0)
	v_cvt_f16_u16_e32 v1, v1
.LBB203_939:
	s_mov_b64 s[4:5], 0
.LBB203_940:
	s_andn2_b64 vcc, exec, s[4:5]
	s_cbranch_vccnz .LBB203_948
; %bb.941:
	global_load_ubyte v4, v[2:3], off
	s_movk_i32 s4, 0x7f
                                        ; implicit-def: $sgpr10
	s_waitcnt vmcnt(0)
	v_cmp_lt_i16_e32 vcc, s4, v4
	s_mov_b64 s[4:5], 0
	s_and_saveexec_b64 s[6:7], vcc
	s_xor_b64 s[6:7], exec, s[6:7]
	s_cbranch_execz .LBB203_962
; %bb.942:
	s_movk_i32 s4, 0x80
	v_cmp_eq_u16_e32 vcc, s4, v4
	s_mov_b64 s[4:5], -1
                                        ; implicit-def: $sgpr10
	s_and_saveexec_b64 s[8:9], vcc
; %bb.943:
	s_movk_i32 s10, 0x7e00
	s_xor_b64 s[4:5], exec, -1
; %bb.944:
	s_or_b64 exec, exec, s[8:9]
	s_and_b64 s[4:5], s[4:5], exec
	s_or_saveexec_b64 s[6:7], s[6:7]
	v_mov_b32_e32 v1, s10
	s_xor_b64 exec, exec, s[6:7]
	s_cbranch_execnz .LBB203_963
.LBB203_945:
	s_or_b64 exec, exec, s[6:7]
	s_and_saveexec_b64 s[6:7], s[4:5]
	s_cbranch_execz .LBB203_947
.LBB203_946:
	v_lshlrev_b32_e32 v1, 24, v4
	v_and_b32_e32 v4, 0xffff, v4
	v_and_b32_e32 v5, 7, v4
	v_ffbh_u32_e32 v7, v5
	v_min_u32_e32 v7, 32, v7
	v_subrev_u32_e32 v8, 28, v7
	v_bfe_u32 v6, v4, 3, 4
	v_lshlrev_b32_e32 v4, v8, v4
	v_sub_u32_e32 v7, 29, v7
	v_and_b32_e32 v4, 7, v4
	v_cmp_eq_u32_e32 vcc, 0, v6
	v_cndmask_b32_e32 v6, v6, v7, vcc
	v_cndmask_b32_e32 v4, v5, v4, vcc
	v_mov_b32_e32 v5, 0x3b800000
	v_lshlrev_b32_e32 v4, 20, v4
	v_and_b32_e32 v1, 0x80000000, v1
	v_lshl_add_u32 v5, v6, 23, v5
	v_or3_b32 v1, v1, v5, v4
	v_cvt_f16_f32_e32 v1, v1
.LBB203_947:
	s_or_b64 exec, exec, s[6:7]
.LBB203_948:
	s_mov_b64 s[4:5], -1
.LBB203_949:
	s_mov_b64 s[6:7], 0
.LBB203_950:
	s_and_b64 vcc, exec, s[6:7]
	s_cbranch_vccz .LBB203_985
; %bb.951:
	v_mov_b32_e32 v1, 22
	v_cmp_gt_i16_sdwa s[6:7], v38, v1 src0_sel:BYTE_0 src1_sel:DWORD
	s_and_b64 vcc, exec, s[6:7]
	s_cbranch_vccz .LBB203_961
; %bb.952:
	v_mov_b32_e32 v1, 24
	v_cmp_lt_i16_sdwa s[4:5], v38, v1 src0_sel:BYTE_0 src1_sel:DWORD
	s_and_b64 vcc, exec, s[4:5]
	s_cbranch_vccnz .LBB203_964
; %bb.953:
	v_cmp_gt_i16_sdwa s[4:5], v38, v1 src0_sel:BYTE_0 src1_sel:DWORD
	s_and_b64 vcc, exec, s[4:5]
	s_cbranch_vccz .LBB203_965
; %bb.954:
	global_load_ubyte v4, v[2:3], off
	s_movk_i32 s4, 0x7f
                                        ; implicit-def: $sgpr10
	s_waitcnt vmcnt(0)
	v_cmp_lt_i16_e32 vcc, s4, v4
	s_mov_b64 s[4:5], 0
	s_and_saveexec_b64 s[6:7], vcc
	s_xor_b64 s[6:7], exec, s[6:7]
	s_cbranch_execz .LBB203_977
; %bb.955:
	s_movk_i32 s4, 0x80
	v_cmp_eq_u16_e32 vcc, s4, v4
	s_mov_b64 s[4:5], -1
                                        ; implicit-def: $sgpr10
	s_and_saveexec_b64 s[8:9], vcc
; %bb.956:
	s_movk_i32 s10, 0x7e00
	s_xor_b64 s[4:5], exec, -1
; %bb.957:
	s_or_b64 exec, exec, s[8:9]
	s_and_b64 s[4:5], s[4:5], exec
	s_or_saveexec_b64 s[6:7], s[6:7]
	v_mov_b32_e32 v1, s10
	s_xor_b64 exec, exec, s[6:7]
	s_cbranch_execnz .LBB203_978
.LBB203_958:
	s_or_b64 exec, exec, s[6:7]
	s_and_saveexec_b64 s[6:7], s[4:5]
	s_cbranch_execz .LBB203_960
.LBB203_959:
	v_lshlrev_b32_e32 v1, 24, v4
	v_and_b32_e32 v4, 0xffff, v4
	v_and_b32_e32 v5, 3, v4
	v_ffbh_u32_e32 v7, v5
	v_min_u32_e32 v7, 32, v7
	v_subrev_u32_e32 v8, 29, v7
	v_bfe_u32 v6, v4, 2, 5
	v_lshlrev_b32_e32 v4, v8, v4
	v_sub_u32_e32 v7, 30, v7
	v_and_b32_e32 v4, 3, v4
	v_cmp_eq_u32_e32 vcc, 0, v6
	v_cndmask_b32_e32 v6, v6, v7, vcc
	v_cndmask_b32_e32 v4, v5, v4, vcc
	v_mov_b32_e32 v5, 0x37800000
	v_lshlrev_b32_e32 v4, 21, v4
	v_and_b32_e32 v1, 0x80000000, v1
	v_lshl_add_u32 v5, v6, 23, v5
	v_or3_b32 v1, v1, v5, v4
	v_cvt_f16_f32_e32 v1, v1
.LBB203_960:
	s_or_b64 exec, exec, s[6:7]
	s_mov_b64 s[4:5], 0
	s_branch .LBB203_966
.LBB203_961:
	s_mov_b64 s[6:7], -1
                                        ; implicit-def: $vgpr1
	s_branch .LBB203_972
.LBB203_962:
	s_or_saveexec_b64 s[6:7], s[6:7]
	v_mov_b32_e32 v1, s10
	s_xor_b64 exec, exec, s[6:7]
	s_cbranch_execz .LBB203_945
.LBB203_963:
	v_cmp_ne_u16_e32 vcc, 0, v4
	s_andn2_b64 s[4:5], s[4:5], exec
	s_and_b64 s[8:9], vcc, exec
	s_or_b64 s[4:5], s[4:5], s[8:9]
	v_mov_b32_e32 v1, v4
	s_or_b64 exec, exec, s[6:7]
	s_and_saveexec_b64 s[6:7], s[4:5]
	s_cbranch_execnz .LBB203_946
	s_branch .LBB203_947
.LBB203_964:
	s_mov_b64 s[4:5], -1
                                        ; implicit-def: $vgpr1
	s_branch .LBB203_969
.LBB203_965:
	s_mov_b64 s[4:5], -1
                                        ; implicit-def: $vgpr1
.LBB203_966:
	s_and_b64 vcc, exec, s[4:5]
	s_cbranch_vccz .LBB203_968
; %bb.967:
	global_load_ubyte v1, v[2:3], off
	s_mov_b32 s4, 0x7f800000
	s_waitcnt vmcnt(0)
	v_lshlrev_b32_e32 v1, 24, v1
	v_and_b32_e32 v4, 0x7f000000, v1
	v_ffbh_u32_e32 v5, v4
	v_min_u32_e32 v5, 32, v5
	v_sub_u32_e64 v5, v5, 4 clamp
	v_lshlrev_b32_e32 v7, v5, v4
	v_lshlrev_b32_e32 v5, 23, v5
	v_lshrrev_b32_e32 v7, 4, v7
	v_add_u32_e32 v6, 0x1000000, v4
	v_sub_u32_e32 v5, v7, v5
	v_ashrrev_i32_e32 v6, 8, v6
	v_add_u32_e32 v5, 0x3c000000, v5
	v_and_or_b32 v5, v6, s4, v5
	v_cmp_ne_u32_e32 vcc, 0, v4
	v_cndmask_b32_e32 v4, 0, v5, vcc
	s_brev_b32 s4, 1
	v_and_or_b32 v1, v1, s4, v4
	v_cvt_f16_f32_e32 v1, v1
.LBB203_968:
	s_mov_b64 s[4:5], 0
.LBB203_969:
	s_andn2_b64 vcc, exec, s[4:5]
	s_cbranch_vccnz .LBB203_971
; %bb.970:
	global_load_ubyte v1, v[2:3], off
	s_movk_i32 s4, 0x7f00
	s_brev_b32 s5, 16
	s_waitcnt vmcnt(0)
	v_lshlrev_b16_e32 v4, 8, v1
	v_lshlrev_b32_e32 v1, 25, v1
	v_lshrrev_b32_e32 v5, 4, v1
	v_and_or_b32 v6, v4, s4, 0.5
	v_or_b32_e32 v5, 0x70000000, v5
	v_add_f32_e32 v6, -0.5, v6
	v_mul_f32_e32 v5, 0x7800000, v5
	v_cmp_gt_u32_e32 vcc, s5, v1
	v_bfe_i32 v4, v4, 0, 16
	v_cndmask_b32_e32 v1, v5, v6, vcc
	s_brev_b32 s4, 1
	v_and_or_b32 v1, v4, s4, v1
	v_cvt_f16_f32_e32 v1, v1
.LBB203_971:
	s_mov_b64 s[6:7], 0
	s_mov_b64 s[4:5], -1
.LBB203_972:
	s_andn2_b64 vcc, exec, s[6:7]
	s_cbranch_vccnz .LBB203_985
; %bb.973:
	v_mov_b32_e32 v1, 14
	v_cmp_gt_i16_sdwa s[6:7], v38, v1 src0_sel:BYTE_0 src1_sel:DWORD
	s_and_b64 vcc, exec, s[6:7]
	s_cbranch_vccz .LBB203_976
; %bb.974:
	v_mov_b32_e32 v1, 15
	v_cmp_eq_u16_sdwa s[6:7], v38, v1 src0_sel:BYTE_0 src1_sel:DWORD
	s_and_b64 vcc, exec, s[6:7]
	s_cbranch_vccz .LBB203_979
; %bb.975:
	global_load_ushort v1, v[2:3], off
	s_mov_b64 s[4:5], -1
	s_mov_b64 s[60:61], 0
	s_waitcnt vmcnt(0)
	v_lshlrev_b32_e32 v1, 16, v1
	v_cvt_f16_f32_e32 v1, v1
	s_branch .LBB203_980
.LBB203_976:
	s_mov_b64 s[6:7], -1
                                        ; implicit-def: $vgpr1
	s_branch .LBB203_981
.LBB203_977:
	s_or_saveexec_b64 s[6:7], s[6:7]
	v_mov_b32_e32 v1, s10
	s_xor_b64 exec, exec, s[6:7]
	s_cbranch_execz .LBB203_958
.LBB203_978:
	v_cmp_ne_u16_e32 vcc, 0, v4
	s_andn2_b64 s[4:5], s[4:5], exec
	s_and_b64 s[8:9], vcc, exec
	s_or_b64 s[4:5], s[4:5], s[8:9]
	v_mov_b32_e32 v1, v4
	s_or_b64 exec, exec, s[6:7]
	s_and_saveexec_b64 s[6:7], s[4:5]
	s_cbranch_execnz .LBB203_959
	s_branch .LBB203_960
.LBB203_979:
	s_mov_b64 s[60:61], -1
                                        ; implicit-def: $vgpr1
.LBB203_980:
	s_mov_b64 s[6:7], 0
.LBB203_981:
	s_and_b64 vcc, exec, s[6:7]
	s_cbranch_vccz .LBB203_985
; %bb.982:
	v_mov_b32_e32 v1, 11
	v_cmp_eq_u16_sdwa s[6:7], v38, v1 src0_sel:BYTE_0 src1_sel:DWORD
	s_and_b64 vcc, exec, s[6:7]
	s_cbranch_vccz .LBB203_984
; %bb.983:
	global_load_ubyte v1, v[2:3], off
	v_mov_b32_e32 v4, 0x3c00
	s_mov_b64 s[4:5], -1
	s_mov_b64 s[60:61], 0
	s_waitcnt vmcnt(0)
	v_cmp_ne_u16_e32 vcc, 0, v1
	v_cndmask_b32_e32 v1, 0, v4, vcc
	s_branch .LBB203_985
.LBB203_984:
	s_mov_b64 s[60:61], -1
                                        ; implicit-def: $vgpr1
.LBB203_985:
	s_mov_b64 s[6:7], 0
.LBB203_986:
	s_and_b64 vcc, exec, s[6:7]
	s_cbranch_vccz .LBB203_1035
; %bb.987:
	v_mov_b32_e32 v1, 5
	v_cmp_lt_i16_sdwa s[4:5], v38, v1 src0_sel:BYTE_0 src1_sel:DWORD
	s_and_b64 vcc, exec, s[4:5]
	s_cbranch_vccnz .LBB203_992
; %bb.988:
	v_mov_b32_e32 v1, 8
	v_cmp_lt_i16_sdwa s[4:5], v38, v1 src0_sel:BYTE_0 src1_sel:DWORD
	s_and_b64 vcc, exec, s[4:5]
	s_cbranch_vccnz .LBB203_993
	;; [unrolled: 5-line block ×3, first 2 shown]
; %bb.990:
	v_cmp_gt_i16_sdwa s[4:5], v38, v1 src0_sel:BYTE_0 src1_sel:DWORD
	s_and_b64 vcc, exec, s[4:5]
	s_cbranch_vccz .LBB203_995
; %bb.991:
	global_load_dwordx2 v[4:5], v[2:3], off
	s_mov_b64 s[4:5], 0
	s_waitcnt vmcnt(0)
	v_cvt_f32_f64_e32 v1, v[4:5]
	v_cvt_f16_f32_e32 v1, v1
	s_branch .LBB203_996
.LBB203_992:
	s_mov_b64 s[4:5], -1
                                        ; implicit-def: $vgpr1
	s_branch .LBB203_1014
.LBB203_993:
	s_mov_b64 s[4:5], -1
                                        ; implicit-def: $vgpr1
	s_branch .LBB203_1002
.LBB203_994:
	s_mov_b64 s[4:5], -1
                                        ; implicit-def: $vgpr1
	s_branch .LBB203_999
.LBB203_995:
	s_mov_b64 s[4:5], -1
                                        ; implicit-def: $vgpr1
.LBB203_996:
	s_andn2_b64 vcc, exec, s[4:5]
	s_cbranch_vccnz .LBB203_998
; %bb.997:
	global_load_dword v1, v[2:3], off
	s_waitcnt vmcnt(0)
	v_cvt_f16_f32_e32 v1, v1
.LBB203_998:
	s_mov_b64 s[4:5], 0
.LBB203_999:
	s_andn2_b64 vcc, exec, s[4:5]
	s_cbranch_vccnz .LBB203_1001
; %bb.1000:
	global_load_dword v1, v[2:3], off
.LBB203_1001:
	s_mov_b64 s[4:5], 0
.LBB203_1002:
	s_andn2_b64 vcc, exec, s[4:5]
	s_cbranch_vccnz .LBB203_1013
; %bb.1003:
	s_waitcnt vmcnt(0)
	v_mov_b32_e32 v1, 6
	v_cmp_lt_i16_sdwa s[4:5], v38, v1 src0_sel:BYTE_0 src1_sel:DWORD
	s_and_b64 vcc, exec, s[4:5]
	s_cbranch_vccnz .LBB203_1006
; %bb.1004:
	v_cmp_gt_i16_sdwa s[4:5], v38, v1 src0_sel:BYTE_0 src1_sel:DWORD
	s_and_b64 vcc, exec, s[4:5]
	s_cbranch_vccz .LBB203_1007
; %bb.1005:
	global_load_dwordx2 v[4:5], v[2:3], off
	s_mov_b64 s[4:5], 0
	s_waitcnt vmcnt(0)
	v_cvt_f32_f64_e32 v1, v[4:5]
	v_cvt_f16_f32_e32 v1, v1
	s_branch .LBB203_1008
.LBB203_1006:
	s_mov_b64 s[4:5], -1
                                        ; implicit-def: $vgpr1
	s_branch .LBB203_1011
.LBB203_1007:
	s_mov_b64 s[4:5], -1
                                        ; implicit-def: $vgpr1
.LBB203_1008:
	s_andn2_b64 vcc, exec, s[4:5]
	s_cbranch_vccnz .LBB203_1010
; %bb.1009:
	global_load_dword v1, v[2:3], off
	s_waitcnt vmcnt(0)
	v_cvt_f16_f32_e32 v1, v1
.LBB203_1010:
	s_mov_b64 s[4:5], 0
.LBB203_1011:
	s_andn2_b64 vcc, exec, s[4:5]
	s_cbranch_vccnz .LBB203_1013
; %bb.1012:
	global_load_ushort v1, v[2:3], off
.LBB203_1013:
	s_mov_b64 s[4:5], 0
.LBB203_1014:
	s_andn2_b64 vcc, exec, s[4:5]
	s_cbranch_vccnz .LBB203_1034
; %bb.1015:
	s_waitcnt vmcnt(0)
	v_mov_b32_e32 v1, 2
	v_cmp_lt_i16_sdwa s[4:5], v38, v1 src0_sel:BYTE_0 src1_sel:DWORD
	s_and_b64 vcc, exec, s[4:5]
	s_cbranch_vccnz .LBB203_1019
; %bb.1016:
	v_mov_b32_e32 v1, 3
	v_cmp_lt_i16_sdwa s[4:5], v38, v1 src0_sel:BYTE_0 src1_sel:DWORD
	s_and_b64 vcc, exec, s[4:5]
	s_cbranch_vccnz .LBB203_1020
; %bb.1017:
	v_cmp_gt_i16_sdwa s[4:5], v38, v1 src0_sel:BYTE_0 src1_sel:DWORD
	s_and_b64 vcc, exec, s[4:5]
	s_cbranch_vccz .LBB203_1021
; %bb.1018:
	global_load_dwordx2 v[4:5], v[2:3], off
	s_mov_b64 s[4:5], 0
	s_waitcnt vmcnt(0)
	v_xor_b32_e32 v6, v4, v5
	v_ffbh_i32_e32 v1, v5
	v_ashrrev_i32_e32 v6, 31, v6
	v_add_u32_e32 v1, -1, v1
	v_add_u32_e32 v6, 32, v6
	v_min_u32_e32 v1, v1, v6
	v_lshlrev_b64 v[4:5], v1, v[4:5]
	v_min_u32_e32 v4, 1, v4
	v_or_b32_e32 v4, v5, v4
	v_cvt_f32_i32_e32 v4, v4
	v_sub_u32_e32 v1, 32, v1
	v_ldexp_f32 v1, v4, v1
	v_cvt_f16_f32_e32 v1, v1
	s_branch .LBB203_1022
.LBB203_1019:
	s_mov_b64 s[4:5], -1
                                        ; implicit-def: $vgpr1
	s_branch .LBB203_1028
.LBB203_1020:
	s_mov_b64 s[4:5], -1
                                        ; implicit-def: $vgpr1
	s_branch .LBB203_1025
.LBB203_1021:
	s_mov_b64 s[4:5], -1
                                        ; implicit-def: $vgpr1
.LBB203_1022:
	s_andn2_b64 vcc, exec, s[4:5]
	s_cbranch_vccnz .LBB203_1024
; %bb.1023:
	global_load_dword v1, v[2:3], off
	s_waitcnt vmcnt(0)
	v_cvt_f32_i32_e32 v1, v1
	v_cvt_f16_f32_e32 v1, v1
.LBB203_1024:
	s_mov_b64 s[4:5], 0
.LBB203_1025:
	s_andn2_b64 vcc, exec, s[4:5]
	s_cbranch_vccnz .LBB203_1027
; %bb.1026:
	global_load_ushort v1, v[2:3], off
	s_waitcnt vmcnt(0)
	v_cvt_f16_i16_e32 v1, v1
.LBB203_1027:
	s_mov_b64 s[4:5], 0
.LBB203_1028:
	s_andn2_b64 vcc, exec, s[4:5]
	s_cbranch_vccnz .LBB203_1034
; %bb.1029:
	v_mov_b32_e32 v1, 0
	v_cmp_gt_i16_sdwa s[4:5], v38, v1 src0_sel:BYTE_0 src1_sel:DWORD
	s_and_b64 vcc, exec, s[4:5]
	s_cbranch_vccz .LBB203_1031
; %bb.1030:
	global_load_sbyte v1, v[2:3], off
	s_mov_b64 s[4:5], 0
	s_waitcnt vmcnt(0)
	v_cvt_f16_i16_e32 v1, v1
	s_branch .LBB203_1032
.LBB203_1031:
	s_mov_b64 s[4:5], -1
                                        ; implicit-def: $vgpr1
.LBB203_1032:
	s_andn2_b64 vcc, exec, s[4:5]
	s_cbranch_vccnz .LBB203_1034
; %bb.1033:
	global_load_ubyte v1, v[2:3], off
	s_waitcnt vmcnt(0)
	v_cvt_f16_u16_e32 v1, v1
.LBB203_1034:
	s_mov_b64 s[4:5], -1
.LBB203_1035:
	s_andn2_b64 vcc, exec, s[4:5]
	s_cbranch_vccnz .LBB203_1043
; %bb.1036:
	s_getpc_b64 s[4:5]
	s_add_u32 s4, s4, _ZZZZN2at6native33launch_standard_gamma_grad_kernelERNS_18TensorIteratorBaseEENKUlvE_clEvENKUlvE1_clEvENKUlN3c104HalfES6_E_clES6_S6_@rel32@lo+4
	s_addc_u32 s5, s5, _ZZZZN2at6native33launch_standard_gamma_grad_kernelERNS_18TensorIteratorBaseEENKUlvE_clEvENKUlvE1_clEvENKUlN3c104HalfES6_E_clES6_S6_@rel32@hi+12
	s_swappc_b64 s[30:31], s[4:5]
	v_mul_lo_u32 v1, v37, s36
	v_ashrrev_i32_e32 v3, 31, v1
	v_mov_b32_e32 v4, s25
	v_add_co_u32_e32 v2, vcc, s24, v1
	v_mov_b32_e32 v1, 11
	v_addc_co_u32_e32 v3, vcc, v4, v3, vcc
	v_cmp_lt_i16_sdwa s[4:5], v36, v1 src0_sel:BYTE_0 src1_sel:DWORD
	s_and_b64 vcc, exec, s[4:5]
	s_cbranch_vccnz .LBB203_1044
; %bb.1037:
	v_mov_b32_e32 v1, 25
	v_cmp_gt_i16_sdwa s[4:5], v36, v1 src0_sel:BYTE_0 src1_sel:DWORD
	s_and_b64 vcc, exec, s[4:5]
	s_cbranch_vccz .LBB203_1045
; %bb.1038:
	v_mov_b32_e32 v1, 28
	v_cmp_gt_i16_sdwa s[4:5], v36, v1 src0_sel:BYTE_0 src1_sel:DWORD
	s_and_b64 vcc, exec, s[4:5]
	s_cbranch_vccz .LBB203_1046
	;; [unrolled: 5-line block ×4, first 2 shown]
; %bb.1041:
	v_mov_b32_e32 v1, 46
	v_cmp_eq_u16_sdwa s[6:7], v36, v1 src0_sel:BYTE_0 src1_sel:DWORD
	s_mov_b64 s[8:9], 0
	s_mov_b64 s[4:5], -1
	s_and_b64 vcc, exec, s[6:7]
	s_mov_b64 s[6:7], 0
	s_cbranch_vccz .LBB203_1049
; %bb.1042:
	v_cvt_f32_f16_e32 v1, v0
	s_movk_i32 s4, 0x7fff
	v_mov_b32_e32 v4, 0x7fc0
	v_cmp_o_f16_e32 vcc, v0, v0
	v_bfe_u32 v5, v1, 16, 1
	v_add3_u32 v1, v1, v5, s4
	v_lshrrev_b32_e32 v1, 16, v1
	v_cndmask_b32_e32 v1, v4, v1, vcc
	global_store_dword v[2:3], v1, off
	s_mov_b64 s[6:7], -1
	s_mov_b64 s[4:5], 0
	s_branch .LBB203_1049
.LBB203_1043:
	s_mov_b64 s[10:11], 0
                                        ; implicit-def: $vgpr37
	s_mov_b64 s[4:5], s[52:53]
	s_branch .LBB203_1159
.LBB203_1044:
	s_mov_b64 s[8:9], -1
	s_mov_b64 s[6:7], 0
	s_mov_b64 s[4:5], s[52:53]
	s_branch .LBB203_1118
.LBB203_1045:
	s_mov_b64 s[8:9], -1
	s_mov_b64 s[6:7], 0
	s_mov_b64 s[4:5], s[52:53]
	s_branch .LBB203_1076
.LBB203_1046:
	s_mov_b64 s[8:9], -1
	s_mov_b64 s[6:7], 0
	s_mov_b64 s[4:5], s[52:53]
	s_branch .LBB203_1059
.LBB203_1047:
	s_mov_b64 s[8:9], -1
	s_mov_b64 s[6:7], 0
	s_mov_b64 s[4:5], s[52:53]
	s_branch .LBB203_1055
.LBB203_1048:
	s_mov_b64 s[8:9], -1
	s_mov_b64 s[6:7], 0
	s_mov_b64 s[4:5], s[52:53]
.LBB203_1049:
	s_and_b64 vcc, exec, s[8:9]
	s_cbranch_vccz .LBB203_1054
; %bb.1050:
	v_mov_b32_e32 v1, 44
	v_cmp_eq_u16_sdwa s[8:9], v36, v1 src0_sel:BYTE_0 src1_sel:DWORD
	s_mov_b64 s[4:5], -1
	s_and_b64 vcc, exec, s[8:9]
	s_cbranch_vccz .LBB203_1054
; %bb.1051:
	v_cvt_f32_f16_e32 v1, v0
	s_movk_i32 s4, 0xff
	v_mov_b32_e32 v5, 0xff
	v_bfe_u32 v4, v1, 23, 8
	v_cmp_ne_u32_e32 vcc, s4, v4
	s_and_saveexec_b64 s[6:7], vcc
; %bb.1052:
	s_mov_b32 s4, 0x3fffff
	v_lshrrev_b32_e32 v5, 23, v1
	v_and_b32_e32 v6, 0x400000, v1
	v_and_or_b32 v1, v1, s4, v4
	v_cmp_ne_u32_e32 vcc, 0, v6
	v_cmp_ne_u32_e64 s[4:5], 0, v1
	s_and_b64 s[4:5], vcc, s[4:5]
	v_cndmask_b32_e64 v1, 0, 1, s[4:5]
	v_add_u32_e32 v5, v5, v1
; %bb.1053:
	s_or_b64 exec, exec, s[6:7]
	s_mov_b64 s[6:7], -1
	s_mov_b64 s[4:5], 0
	global_store_byte v[2:3], v5, off
.LBB203_1054:
	s_mov_b64 s[8:9], 0
.LBB203_1055:
	s_and_b64 vcc, exec, s[8:9]
	s_cbranch_vccz .LBB203_1058
; %bb.1056:
	v_mov_b32_e32 v1, 29
	v_cmp_eq_u16_sdwa s[8:9], v36, v1 src0_sel:BYTE_0 src1_sel:DWORD
	s_mov_b64 s[4:5], -1
	s_and_b64 vcc, exec, s[8:9]
	s_cbranch_vccz .LBB203_1058
; %bb.1057:
	v_cvt_f32_f16_e32 v1, v0
	v_mov_b32_e32 v5, 0
	s_mov_b64 s[6:7], -1
	s_mov_b64 s[4:5], 0
	v_cvt_u32_f32_e32 v4, v1
	s_mov_b64 s[8:9], 0
	global_store_dwordx2 v[2:3], v[4:5], off
	s_branch .LBB203_1059
.LBB203_1058:
	s_mov_b64 s[8:9], 0
.LBB203_1059:
	s_and_b64 vcc, exec, s[8:9]
	s_cbranch_vccz .LBB203_1075
; %bb.1060:
	v_mov_b32_e32 v1, 27
	v_cmp_lt_i16_sdwa s[8:9], v36, v1 src0_sel:BYTE_0 src1_sel:DWORD
	s_mov_b64 s[6:7], -1
	s_and_b64 vcc, exec, s[8:9]
	s_cbranch_vccnz .LBB203_1066
; %bb.1061:
	v_cmp_gt_i16_sdwa s[8:9], v36, v1 src0_sel:BYTE_0 src1_sel:DWORD
	s_and_b64 vcc, exec, s[8:9]
	s_cbranch_vccz .LBB203_1063
; %bb.1062:
	v_cvt_f32_f16_e32 v1, v0
	s_mov_b64 s[6:7], 0
	v_cvt_u32_f32_e32 v1, v1
	global_store_dword v[2:3], v1, off
.LBB203_1063:
	s_andn2_b64 vcc, exec, s[6:7]
	s_cbranch_vccnz .LBB203_1065
; %bb.1064:
	v_cvt_u16_f16_e32 v1, v0
	global_store_short v[2:3], v1, off
.LBB203_1065:
	s_mov_b64 s[6:7], 0
.LBB203_1066:
	s_andn2_b64 vcc, exec, s[6:7]
	s_cbranch_vccnz .LBB203_1074
; %bb.1067:
	v_cvt_f32_f16_e32 v1, v0
	s_mov_b32 s6, 0x43800000
	v_mov_b32_e32 v5, 0x80
	v_and_b32_e32 v4, 0x7fffffff, v1
	v_cmp_gt_u32_e32 vcc, s6, v4
	s_and_saveexec_b64 s[6:7], vcc
	s_cbranch_execz .LBB203_1073
; %bb.1068:
	s_mov_b32 s8, 0x3bffffff
	v_cmp_lt_u32_e32 vcc, s8, v4
	s_mov_b64 s[8:9], 0
                                        ; implicit-def: $vgpr4
	s_and_saveexec_b64 s[10:11], vcc
	s_xor_b64 s[10:11], exec, s[10:11]
	s_cbranch_execz .LBB203_1175
; %bb.1069:
	v_bfe_u32 v4, v1, 20, 1
	s_mov_b32 s12, 0x487ffff
	v_add3_u32 v4, v1, v4, s12
	s_mov_b64 s[8:9], exec
	v_lshrrev_b32_e32 v4, 20, v4
	s_or_saveexec_b64 s[10:11], s[10:11]
                                        ; implicit-def: $sgpr12
	s_xor_b64 exec, exec, s[10:11]
	s_cbranch_execnz .LBB203_1176
.LBB203_1070:
	s_or_b64 exec, exec, s[10:11]
	v_mov_b32_e32 v5, s12
	s_and_saveexec_b64 s[10:11], s[8:9]
.LBB203_1071:
	v_lshrrev_b32_e32 v1, 24, v1
	s_movk_i32 s8, 0x80
	v_and_or_b32 v5, v1, s8, v4
.LBB203_1072:
	s_or_b64 exec, exec, s[10:11]
.LBB203_1073:
	s_or_b64 exec, exec, s[6:7]
	global_store_byte v[2:3], v5, off
.LBB203_1074:
	s_mov_b64 s[6:7], -1
.LBB203_1075:
	s_mov_b64 s[8:9], 0
.LBB203_1076:
	s_and_b64 vcc, exec, s[8:9]
	s_cbranch_vccz .LBB203_1117
; %bb.1077:
	v_mov_b32_e32 v1, 22
	v_cmp_gt_i16_sdwa s[10:11], v36, v1 src0_sel:BYTE_0 src1_sel:DWORD
	s_mov_b64 s[8:9], -1
	s_and_b64 vcc, exec, s[10:11]
	s_cbranch_vccz .LBB203_1109
; %bb.1078:
	v_mov_b32_e32 v1, 24
	v_cmp_lt_i16_sdwa s[8:9], v36, v1 src0_sel:BYTE_0 src1_sel:DWORD
	s_mov_b64 s[6:7], -1
	s_and_b64 vcc, exec, s[8:9]
	s_cbranch_vccnz .LBB203_1098
; %bb.1079:
	v_cmp_gt_i16_sdwa s[8:9], v36, v1 src0_sel:BYTE_0 src1_sel:DWORD
	s_and_b64 vcc, exec, s[8:9]
	s_cbranch_vccz .LBB203_1087
; %bb.1080:
	v_cvt_f32_f16_e32 v1, v0
	s_mov_b32 s6, 0x47800000
	v_mov_b32_e32 v5, 0x80
	v_and_b32_e32 v4, 0x7fffffff, v1
	v_cmp_gt_u32_e32 vcc, s6, v4
	s_and_saveexec_b64 s[6:7], vcc
	s_cbranch_execz .LBB203_1086
; %bb.1081:
	s_mov_b32 s8, 0x37ffffff
	v_cmp_lt_u32_e32 vcc, s8, v4
	s_mov_b64 s[8:9], 0
                                        ; implicit-def: $vgpr4
	s_and_saveexec_b64 s[10:11], vcc
	s_xor_b64 s[10:11], exec, s[10:11]
	s_cbranch_execz .LBB203_2198
; %bb.1082:
	v_bfe_u32 v4, v1, 21, 1
	s_mov_b32 s12, 0x88fffff
	v_add3_u32 v4, v1, v4, s12
	s_mov_b64 s[8:9], exec
	v_lshrrev_b32_e32 v4, 21, v4
	s_or_saveexec_b64 s[10:11], s[10:11]
                                        ; implicit-def: $sgpr12
	s_xor_b64 exec, exec, s[10:11]
	s_cbranch_execnz .LBB203_2199
.LBB203_1083:
	s_or_b64 exec, exec, s[10:11]
	v_mov_b32_e32 v5, s12
	s_and_saveexec_b64 s[10:11], s[8:9]
.LBB203_1084:
	v_lshrrev_b32_e32 v1, 24, v1
	s_movk_i32 s8, 0x80
	v_and_or_b32 v5, v1, s8, v4
.LBB203_1085:
	s_or_b64 exec, exec, s[10:11]
.LBB203_1086:
	s_or_b64 exec, exec, s[6:7]
	s_mov_b64 s[6:7], 0
	global_store_byte v[2:3], v5, off
.LBB203_1087:
	s_and_b64 vcc, exec, s[6:7]
	s_cbranch_vccz .LBB203_1097
; %bb.1088:
	v_cvt_f32_f16_e32 v1, v0
	s_mov_b32 s6, 0x43f00000
                                        ; implicit-def: $vgpr4
	v_and_b32_e32 v5, 0x7fffffff, v1
	v_cmp_gt_u32_e32 vcc, s6, v5
	s_and_saveexec_b64 s[6:7], vcc
	s_xor_b64 s[6:7], exec, s[6:7]
	s_cbranch_execz .LBB203_1094
; %bb.1089:
	s_mov_b32 s8, 0x3c7fffff
	v_cmp_lt_u32_e32 vcc, s8, v5
                                        ; implicit-def: $vgpr4
	s_and_saveexec_b64 s[8:9], vcc
	s_xor_b64 s[8:9], exec, s[8:9]
; %bb.1090:
	v_bfe_u32 v4, v1, 20, 1
	s_mov_b32 s10, 0x407ffff
	v_add3_u32 v4, v1, v4, s10
	v_lshrrev_b32_e32 v5, 20, v4
	v_and_b32_e32 v4, 0xff00000, v4
	s_mov_b32 s10, 0x7f00000
	v_mov_b32_e32 v6, 0x7e
	v_cmp_ne_u32_e32 vcc, s10, v4
	v_cndmask_b32_e32 v4, v6, v5, vcc
; %bb.1091:
	s_andn2_saveexec_b64 s[8:9], s[8:9]
; %bb.1092:
	s_mov_b32 s10, 0x46800000
	v_add_f32_e64 v4, |v1|, s10
; %bb.1093:
	s_or_b64 exec, exec, s[8:9]
                                        ; implicit-def: $vgpr5
.LBB203_1094:
	s_andn2_saveexec_b64 s[6:7], s[6:7]
; %bb.1095:
	s_mov_b32 s8, 0x7f800000
	v_mov_b32_e32 v4, 0x7e
	v_mov_b32_e32 v6, 0x7f
	v_cmp_lt_u32_e32 vcc, s8, v5
	v_cndmask_b32_e32 v4, v4, v6, vcc
; %bb.1096:
	s_or_b64 exec, exec, s[6:7]
	v_lshrrev_b32_e32 v1, 24, v1
	s_movk_i32 s6, 0x80
	v_and_or_b32 v1, v1, s6, v4
	global_store_byte v[2:3], v1, off
.LBB203_1097:
	s_mov_b64 s[6:7], 0
.LBB203_1098:
	s_andn2_b64 vcc, exec, s[6:7]
	s_cbranch_vccnz .LBB203_1108
; %bb.1099:
	v_cvt_f32_f16_e32 v1, v0
	s_mov_b32 s6, 0x47800000
                                        ; implicit-def: $vgpr4
	v_and_b32_e32 v5, 0x7fffffff, v1
	v_cmp_gt_u32_e32 vcc, s6, v5
	s_and_saveexec_b64 s[6:7], vcc
	s_xor_b64 s[6:7], exec, s[6:7]
	s_cbranch_execz .LBB203_1105
; %bb.1100:
	s_mov_b32 s8, 0x387fffff
	v_cmp_lt_u32_e32 vcc, s8, v5
                                        ; implicit-def: $vgpr4
	s_and_saveexec_b64 s[8:9], vcc
	s_xor_b64 s[8:9], exec, s[8:9]
; %bb.1101:
	v_bfe_u32 v4, v1, 21, 1
	s_mov_b32 s10, 0x80fffff
	v_add3_u32 v4, v1, v4, s10
	v_lshrrev_b32_e32 v4, 21, v4
; %bb.1102:
	s_andn2_saveexec_b64 s[8:9], s[8:9]
; %bb.1103:
	s_mov_b32 s10, 0x43000000
	v_add_f32_e64 v4, |v1|, s10
; %bb.1104:
	s_or_b64 exec, exec, s[8:9]
                                        ; implicit-def: $vgpr5
.LBB203_1105:
	s_andn2_saveexec_b64 s[6:7], s[6:7]
; %bb.1106:
	s_mov_b32 s8, 0x7f800000
	v_mov_b32_e32 v4, 0x7c
	v_mov_b32_e32 v6, 0x7f
	v_cmp_lt_u32_e32 vcc, s8, v5
	v_cndmask_b32_e32 v4, v4, v6, vcc
; %bb.1107:
	s_or_b64 exec, exec, s[6:7]
	v_lshrrev_b32_e32 v1, 24, v1
	s_movk_i32 s6, 0x80
	v_and_or_b32 v1, v1, s6, v4
	global_store_byte v[2:3], v1, off
.LBB203_1108:
	s_mov_b64 s[8:9], 0
	s_mov_b64 s[6:7], -1
.LBB203_1109:
	s_andn2_b64 vcc, exec, s[8:9]
	s_cbranch_vccnz .LBB203_1117
; %bb.1110:
	v_mov_b32_e32 v1, 14
	v_cmp_gt_i16_sdwa s[10:11], v36, v1 src0_sel:BYTE_0 src1_sel:DWORD
	s_mov_b64 s[8:9], -1
	s_and_b64 vcc, exec, s[10:11]
	s_cbranch_vccz .LBB203_1114
; %bb.1111:
	v_mov_b32_e32 v1, 15
	v_cmp_eq_u16_sdwa s[8:9], v36, v1 src0_sel:BYTE_0 src1_sel:DWORD
	s_mov_b64 s[4:5], -1
	s_and_b64 vcc, exec, s[8:9]
	s_cbranch_vccz .LBB203_1113
; %bb.1112:
	v_cvt_f32_f16_e32 v1, v0
	s_movk_i32 s4, 0x7fff
	v_mov_b32_e32 v4, 0x7fc0
	v_cmp_o_f16_e32 vcc, v0, v0
	v_bfe_u32 v5, v1, 16, 1
	v_add3_u32 v1, v1, v5, s4
	v_lshrrev_b32_e32 v1, 16, v1
	v_cndmask_b32_e32 v1, v4, v1, vcc
	global_store_short v[2:3], v1, off
	s_mov_b64 s[6:7], -1
	s_mov_b64 s[4:5], 0
.LBB203_1113:
	s_mov_b64 s[8:9], 0
.LBB203_1114:
	s_and_b64 vcc, exec, s[8:9]
	s_cbranch_vccz .LBB203_1117
; %bb.1115:
	v_mov_b32_e32 v1, 11
	v_cmp_eq_u16_sdwa s[8:9], v36, v1 src0_sel:BYTE_0 src1_sel:DWORD
	s_mov_b64 s[4:5], -1
	s_and_b64 vcc, exec, s[8:9]
	s_cbranch_vccz .LBB203_1117
; %bb.1116:
	v_and_b32_e32 v1, 0x7fff, v0
	v_cmp_ne_u16_e32 vcc, 0, v1
	v_cndmask_b32_e64 v1, 0, 1, vcc
	s_mov_b64 s[6:7], -1
	s_mov_b64 s[4:5], 0
	global_store_byte v[2:3], v1, off
.LBB203_1117:
	s_mov_b64 s[8:9], 0
.LBB203_1118:
	s_and_b64 vcc, exec, s[8:9]
	s_cbranch_vccz .LBB203_1157
; %bb.1119:
	v_mov_b32_e32 v1, 5
	v_cmp_lt_i16_sdwa s[8:9], v36, v1 src0_sel:BYTE_0 src1_sel:DWORD
	s_mov_b64 s[6:7], -1
	s_and_b64 vcc, exec, s[8:9]
	s_cbranch_vccnz .LBB203_1140
; %bb.1120:
	v_mov_b32_e32 v1, 8
	v_cmp_lt_i16_sdwa s[8:9], v36, v1 src0_sel:BYTE_0 src1_sel:DWORD
	s_and_b64 vcc, exec, s[8:9]
	s_cbranch_vccnz .LBB203_1130
; %bb.1121:
	v_mov_b32_e32 v1, 9
	v_cmp_lt_i16_sdwa s[8:9], v36, v1 src0_sel:BYTE_0 src1_sel:DWORD
	s_and_b64 vcc, exec, s[8:9]
	s_cbranch_vccnz .LBB203_1127
; %bb.1122:
	v_cmp_gt_i16_sdwa s[8:9], v36, v1 src0_sel:BYTE_0 src1_sel:DWORD
	s_and_b64 vcc, exec, s[8:9]
	s_cbranch_vccz .LBB203_1124
; %bb.1123:
	v_cvt_f32_f16_e32 v1, v0
	v_mov_b32_e32 v6, 0
	v_mov_b32_e32 v7, v6
	s_mov_b64 s[6:7], 0
	v_cvt_f64_f32_e32 v[4:5], v1
	global_store_dwordx4 v[2:3], v[4:7], off
.LBB203_1124:
	s_andn2_b64 vcc, exec, s[6:7]
	s_cbranch_vccnz .LBB203_1126
; %bb.1125:
	v_cvt_f32_f16_e32 v4, v0
	v_mov_b32_e32 v5, 0
	global_store_dwordx2 v[2:3], v[4:5], off
.LBB203_1126:
	s_mov_b64 s[6:7], 0
.LBB203_1127:
	s_andn2_b64 vcc, exec, s[6:7]
	s_cbranch_vccnz .LBB203_1129
; %bb.1128:
	v_and_b32_e32 v1, 0xffff, v0
	global_store_dword v[2:3], v1, off
.LBB203_1129:
	s_mov_b64 s[6:7], 0
.LBB203_1130:
	s_andn2_b64 vcc, exec, s[6:7]
	s_cbranch_vccnz .LBB203_1139
; %bb.1131:
	v_mov_b32_e32 v1, 6
	v_cmp_lt_i16_sdwa s[8:9], v36, v1 src0_sel:BYTE_0 src1_sel:DWORD
	s_mov_b64 s[6:7], -1
	s_and_b64 vcc, exec, s[8:9]
	s_cbranch_vccnz .LBB203_1137
; %bb.1132:
	v_cmp_gt_i16_sdwa s[8:9], v36, v1 src0_sel:BYTE_0 src1_sel:DWORD
	s_and_b64 vcc, exec, s[8:9]
	s_cbranch_vccz .LBB203_1134
; %bb.1133:
	v_cvt_f32_f16_e32 v1, v0
	s_mov_b64 s[6:7], 0
	v_cvt_f64_f32_e32 v[4:5], v1
	global_store_dwordx2 v[2:3], v[4:5], off
.LBB203_1134:
	s_andn2_b64 vcc, exec, s[6:7]
	s_cbranch_vccnz .LBB203_1136
; %bb.1135:
	v_cvt_f32_f16_e32 v1, v0
	global_store_dword v[2:3], v1, off
.LBB203_1136:
	s_mov_b64 s[6:7], 0
.LBB203_1137:
	s_andn2_b64 vcc, exec, s[6:7]
	s_cbranch_vccnz .LBB203_1139
; %bb.1138:
	global_store_short v[2:3], v0, off
.LBB203_1139:
	s_mov_b64 s[6:7], 0
.LBB203_1140:
	s_andn2_b64 vcc, exec, s[6:7]
	s_cbranch_vccnz .LBB203_1156
; %bb.1141:
	v_mov_b32_e32 v1, 2
	v_cmp_lt_i16_sdwa s[8:9], v36, v1 src0_sel:BYTE_0 src1_sel:DWORD
	s_mov_b64 s[6:7], -1
	s_and_b64 vcc, exec, s[8:9]
	s_cbranch_vccnz .LBB203_1151
; %bb.1142:
	v_mov_b32_e32 v1, 3
	v_cmp_lt_i16_sdwa s[8:9], v36, v1 src0_sel:BYTE_0 src1_sel:DWORD
	s_and_b64 vcc, exec, s[8:9]
	s_cbranch_vccnz .LBB203_1148
; %bb.1143:
	v_cmp_gt_i16_sdwa s[8:9], v36, v1 src0_sel:BYTE_0 src1_sel:DWORD
	s_and_b64 vcc, exec, s[8:9]
	s_cbranch_vccz .LBB203_1145
; %bb.1144:
	v_cvt_f32_f16_e32 v1, v0
	s_mov_b64 s[6:7], 0
	v_cvt_i32_f32_e32 v4, v1
	v_ashrrev_i32_e32 v5, 31, v4
	global_store_dwordx2 v[2:3], v[4:5], off
.LBB203_1145:
	s_andn2_b64 vcc, exec, s[6:7]
	s_cbranch_vccnz .LBB203_1147
; %bb.1146:
	v_cvt_f32_f16_e32 v1, v0
	v_cvt_i32_f32_e32 v1, v1
	global_store_dword v[2:3], v1, off
.LBB203_1147:
	s_mov_b64 s[6:7], 0
.LBB203_1148:
	s_andn2_b64 vcc, exec, s[6:7]
	s_cbranch_vccnz .LBB203_1150
; %bb.1149:
	v_cvt_i16_f16_e32 v1, v0
	global_store_short v[2:3], v1, off
.LBB203_1150:
	s_mov_b64 s[6:7], 0
.LBB203_1151:
	s_andn2_b64 vcc, exec, s[6:7]
	s_cbranch_vccnz .LBB203_1156
; %bb.1152:
	v_mov_b32_e32 v1, 0
	v_cmp_gt_i16_sdwa s[8:9], v36, v1 src0_sel:BYTE_0 src1_sel:DWORD
	s_mov_b64 s[6:7], -1
	s_and_b64 vcc, exec, s[8:9]
	s_cbranch_vccz .LBB203_1154
; %bb.1153:
	v_cvt_i16_f16_e32 v1, v0
	s_mov_b64 s[6:7], 0
	global_store_byte v[2:3], v1, off
.LBB203_1154:
	s_andn2_b64 vcc, exec, s[6:7]
	s_cbranch_vccnz .LBB203_1156
; %bb.1155:
	v_cvt_f32_f16_e32 v0, v0
	v_cvt_i32_f32_e32 v0, v0
	global_store_byte v[2:3], v0, off
.LBB203_1156:
	s_mov_b64 s[6:7], -1
.LBB203_1157:
	s_andn2_b64 vcc, exec, s[6:7]
	s_cbranch_vccnz .LBB203_1170
; %bb.1158:
	v_add_u32_e32 v37, 0x80, v37
	s_mov_b64 s[10:11], -1
.LBB203_1159:
	s_andn2_b64 s[6:7], s[52:53], exec
	s_and_b64 s[4:5], s[4:5], exec
	s_or_b64 s[8:9], s[6:7], s[4:5]
	s_andn2_b64 s[4:5], s[50:51], exec
	s_and_b64 s[6:7], s[60:61], exec
	s_or_b64 s[6:7], s[4:5], s[6:7]
	;; [unrolled: 3-line block ×3, first 2 shown]
	s_orn2_b64 s[18:19], s[10:11], exec
.LBB203_1160:
	s_or_b64 exec, exec, s[56:57]
	s_mov_b64 s[12:13], 0
	s_mov_b64 s[14:15], 0
	;; [unrolled: 1-line block ×3, first 2 shown]
                                        ; implicit-def: $vgpr1
                                        ; implicit-def: $vgpr2_vgpr3
                                        ; implicit-def: $vgpr0
	s_and_saveexec_b64 s[10:11], s[18:19]
	s_cbranch_execz .LBB203_1244
; %bb.1161:
	v_cmp_gt_i32_e32 vcc, s33, v37
	s_mov_b64 s[18:19], 0
	s_mov_b64 s[20:21], s[4:5]
	;; [unrolled: 1-line block ×4, first 2 shown]
                                        ; implicit-def: $vgpr1
                                        ; implicit-def: $vgpr2_vgpr3
                                        ; implicit-def: $vgpr0
	s_and_saveexec_b64 s[12:13], vcc
	s_cbranch_execz .LBB203_1243
; %bb.1162:
	s_waitcnt vmcnt(0)
	v_mul_lo_u32 v0, v37, s37
	v_ashrrev_i32_e32 v1, 31, v0
	v_mov_b32_e32 v3, s27
	v_add_co_u32_e32 v2, vcc, s26, v0
	v_addc_co_u32_e32 v3, vcc, v3, v1, vcc
	v_and_b32_e32 v1, 0xff, v35
	v_cmp_gt_i16_e32 vcc, 11, v1
	s_cbranch_vccnz .LBB203_1169
; %bb.1163:
	v_cmp_lt_i16_e32 vcc, 25, v1
	s_cbranch_vccz .LBB203_1171
; %bb.1164:
	v_cmp_lt_i16_e32 vcc, 28, v1
	s_cbranch_vccz .LBB203_1172
	;; [unrolled: 3-line block ×4, first 2 shown]
; %bb.1167:
	v_cmp_eq_u16_e32 vcc, 46, v1
	s_mov_b64 s[20:21], 0
	s_cbranch_vccz .LBB203_1177
; %bb.1168:
	global_load_dword v0, v[2:3], off
	s_mov_b64 s[18:19], -1
	s_waitcnt vmcnt(0)
	v_lshlrev_b32_e32 v0, 16, v0
	v_cvt_f16_f32_e32 v0, v0
	s_branch .LBB203_1179
.LBB203_1169:
	s_mov_b64 s[20:21], -1
                                        ; implicit-def: $vgpr0
	s_mov_b64 s[14:15], s[4:5]
	s_branch .LBB203_1242
.LBB203_1170:
	s_mov_b64 s[10:11], 0
	s_branch .LBB203_912
.LBB203_1171:
	s_mov_b64 s[20:21], -1
	s_mov_b64 s[14:15], s[4:5]
                                        ; implicit-def: $vgpr0
	s_branch .LBB203_1208
.LBB203_1172:
	s_mov_b64 s[20:21], -1
	s_mov_b64 s[14:15], s[4:5]
                                        ; implicit-def: $vgpr0
	s_branch .LBB203_1189
.LBB203_1173:
	s_mov_b64 s[20:21], -1
	s_mov_b64 s[14:15], s[4:5]
                                        ; implicit-def: $vgpr0
	s_branch .LBB203_1184
.LBB203_1174:
	s_mov_b64 s[20:21], -1
	s_mov_b64 s[14:15], s[4:5]
	s_branch .LBB203_1178
.LBB203_1175:
	s_or_saveexec_b64 s[10:11], s[10:11]
                                        ; implicit-def: $sgpr12
	s_xor_b64 exec, exec, s[10:11]
	s_cbranch_execz .LBB203_1070
.LBB203_1176:
	s_mov_b32 s12, 0x46000000
	v_add_f32_e64 v4, |v1|, s12
	v_and_b32_e32 v4, 0xff, v4
	v_cmp_ne_u32_e32 vcc, 0, v4
	s_andn2_b64 s[8:9], s[8:9], exec
	s_and_b64 s[14:15], vcc, exec
	s_mov_b32 s12, 0
	s_or_b64 s[8:9], s[8:9], s[14:15]
	s_or_b64 exec, exec, s[10:11]
	v_mov_b32_e32 v5, s12
	s_and_saveexec_b64 s[10:11], s[8:9]
	s_cbranch_execnz .LBB203_1071
	s_branch .LBB203_1072
.LBB203_1177:
	s_mov_b64 s[14:15], -1
.LBB203_1178:
                                        ; implicit-def: $vgpr0
.LBB203_1179:
	s_and_b64 vcc, exec, s[20:21]
	s_cbranch_vccz .LBB203_1183
; %bb.1180:
	v_cmp_eq_u16_e32 vcc, 44, v1
	s_cbranch_vccz .LBB203_1182
; %bb.1181:
	global_load_ubyte v0, v[2:3], off
	s_movk_i32 s18, 0xff
	v_mov_b32_e32 v5, 0x7e00
	s_mov_b64 s[14:15], 0
	s_waitcnt vmcnt(0)
	v_lshlrev_b32_e32 v4, 23, v0
	v_cvt_f16_f32_e32 v4, v4
	v_cmp_ne_u32_e32 vcc, s18, v0
	s_mov_b64 s[18:19], -1
	v_cndmask_b32_e32 v4, v5, v4, vcc
	v_cmp_ne_u32_e32 vcc, 0, v0
	v_cndmask_b32_e32 v0, 0, v4, vcc
	s_branch .LBB203_1183
.LBB203_1182:
	s_mov_b64 s[14:15], -1
                                        ; implicit-def: $vgpr0
.LBB203_1183:
	s_mov_b64 s[20:21], 0
.LBB203_1184:
	s_and_b64 vcc, exec, s[20:21]
	s_cbranch_vccz .LBB203_1188
; %bb.1185:
	v_cmp_eq_u16_e32 vcc, 29, v1
	s_cbranch_vccz .LBB203_1187
; %bb.1186:
	global_load_dwordx2 v[4:5], v[2:3], off
	s_mov_b64 s[14:15], 0
	s_mov_b64 s[18:19], -1
	s_mov_b64 s[20:21], 0
	s_waitcnt vmcnt(0)
	v_ffbh_u32_e32 v0, v5
	v_min_u32_e32 v0, 32, v0
	v_lshlrev_b64 v[4:5], v0, v[4:5]
	v_min_u32_e32 v4, 1, v4
	v_or_b32_e32 v4, v5, v4
	v_cvt_f32_u32_e32 v4, v4
	v_sub_u32_e32 v0, 32, v0
	v_ldexp_f32 v0, v4, v0
	v_cvt_f16_f32_e32 v0, v0
	s_branch .LBB203_1189
.LBB203_1187:
	s_mov_b64 s[14:15], -1
                                        ; implicit-def: $vgpr0
.LBB203_1188:
	s_mov_b64 s[20:21], 0
.LBB203_1189:
	s_and_b64 vcc, exec, s[20:21]
	s_cbranch_vccz .LBB203_1207
; %bb.1190:
	v_cmp_gt_i16_e32 vcc, 27, v1
	s_cbranch_vccnz .LBB203_1193
; %bb.1191:
	v_cmp_lt_i16_e32 vcc, 27, v1
	s_cbranch_vccz .LBB203_1194
; %bb.1192:
	global_load_dword v0, v[2:3], off
	s_mov_b64 s[18:19], 0
	s_waitcnt vmcnt(0)
	v_cvt_f32_u32_e32 v0, v0
	v_cvt_f16_f32_e32 v0, v0
	s_branch .LBB203_1195
.LBB203_1193:
	s_mov_b64 s[18:19], -1
                                        ; implicit-def: $vgpr0
	s_branch .LBB203_1198
.LBB203_1194:
	s_mov_b64 s[18:19], -1
                                        ; implicit-def: $vgpr0
.LBB203_1195:
	s_andn2_b64 vcc, exec, s[18:19]
	s_cbranch_vccnz .LBB203_1197
; %bb.1196:
	global_load_ushort v0, v[2:3], off
	s_waitcnt vmcnt(0)
	v_cvt_f16_u16_e32 v0, v0
.LBB203_1197:
	s_mov_b64 s[18:19], 0
.LBB203_1198:
	s_andn2_b64 vcc, exec, s[18:19]
	s_cbranch_vccnz .LBB203_1206
; %bb.1199:
	global_load_ubyte v4, v[2:3], off
	s_movk_i32 s18, 0x7f
                                        ; implicit-def: $sgpr33
	s_waitcnt vmcnt(0)
	v_cmp_lt_i16_e32 vcc, s18, v4
	s_mov_b64 s[18:19], 0
	s_and_saveexec_b64 s[20:21], vcc
	s_xor_b64 s[20:21], exec, s[20:21]
	s_cbranch_execz .LBB203_1220
; %bb.1200:
	s_movk_i32 s18, 0x80
	v_cmp_eq_u16_e32 vcc, s18, v4
	s_mov_b64 s[18:19], -1
                                        ; implicit-def: $sgpr33
	s_and_saveexec_b64 s[30:31], vcc
; %bb.1201:
	s_movk_i32 s33, 0x7e00
	s_xor_b64 s[18:19], exec, -1
; %bb.1202:
	s_or_b64 exec, exec, s[30:31]
	s_and_b64 s[18:19], s[18:19], exec
	s_or_saveexec_b64 s[20:21], s[20:21]
	v_mov_b32_e32 v0, s33
	s_xor_b64 exec, exec, s[20:21]
	s_cbranch_execnz .LBB203_1221
.LBB203_1203:
	s_or_b64 exec, exec, s[20:21]
	s_and_saveexec_b64 s[20:21], s[18:19]
	s_cbranch_execz .LBB203_1205
.LBB203_1204:
	v_lshlrev_b32_e32 v0, 24, v4
	v_and_b32_e32 v4, 0xffff, v4
	v_and_b32_e32 v5, 7, v4
	v_ffbh_u32_e32 v7, v5
	v_min_u32_e32 v7, 32, v7
	v_subrev_u32_e32 v8, 28, v7
	v_bfe_u32 v6, v4, 3, 4
	v_lshlrev_b32_e32 v4, v8, v4
	v_sub_u32_e32 v7, 29, v7
	v_and_b32_e32 v4, 7, v4
	v_cmp_eq_u32_e32 vcc, 0, v6
	v_cndmask_b32_e32 v6, v6, v7, vcc
	v_cndmask_b32_e32 v4, v5, v4, vcc
	v_mov_b32_e32 v5, 0x3b800000
	v_lshlrev_b32_e32 v4, 20, v4
	v_and_b32_e32 v0, 0x80000000, v0
	v_lshl_add_u32 v5, v6, 23, v5
	v_or3_b32 v0, v0, v5, v4
	v_cvt_f16_f32_e32 v0, v0
.LBB203_1205:
	s_or_b64 exec, exec, s[20:21]
.LBB203_1206:
	s_mov_b64 s[18:19], -1
.LBB203_1207:
	s_mov_b64 s[20:21], 0
.LBB203_1208:
	s_and_b64 vcc, exec, s[20:21]
	s_cbranch_vccz .LBB203_1241
; %bb.1209:
	v_cmp_lt_i16_e32 vcc, 22, v1
	s_cbranch_vccz .LBB203_1219
; %bb.1210:
	v_cmp_gt_i16_e32 vcc, 24, v1
	s_cbranch_vccnz .LBB203_1222
; %bb.1211:
	v_cmp_lt_i16_e32 vcc, 24, v1
	s_cbranch_vccz .LBB203_1223
; %bb.1212:
	global_load_ubyte v4, v[2:3], off
	s_movk_i32 s16, 0x7f
                                        ; implicit-def: $sgpr30
	s_waitcnt vmcnt(0)
	v_cmp_lt_i16_e32 vcc, s16, v4
	s_mov_b64 s[16:17], 0
	s_and_saveexec_b64 s[18:19], vcc
	s_xor_b64 s[18:19], exec, s[18:19]
	s_cbranch_execz .LBB203_1235
; %bb.1213:
	s_movk_i32 s16, 0x80
	v_cmp_eq_u16_e32 vcc, s16, v4
	s_mov_b64 s[16:17], -1
                                        ; implicit-def: $sgpr30
	s_and_saveexec_b64 s[20:21], vcc
; %bb.1214:
	s_movk_i32 s30, 0x7e00
	s_xor_b64 s[16:17], exec, -1
; %bb.1215:
	s_or_b64 exec, exec, s[20:21]
	s_and_b64 s[16:17], s[16:17], exec
	s_or_saveexec_b64 s[18:19], s[18:19]
	v_mov_b32_e32 v0, s30
	s_xor_b64 exec, exec, s[18:19]
	s_cbranch_execnz .LBB203_1236
.LBB203_1216:
	s_or_b64 exec, exec, s[18:19]
	s_and_saveexec_b64 s[18:19], s[16:17]
	s_cbranch_execz .LBB203_1218
.LBB203_1217:
	v_lshlrev_b32_e32 v0, 24, v4
	v_and_b32_e32 v4, 0xffff, v4
	v_and_b32_e32 v5, 3, v4
	v_ffbh_u32_e32 v7, v5
	v_min_u32_e32 v7, 32, v7
	v_subrev_u32_e32 v8, 29, v7
	v_bfe_u32 v6, v4, 2, 5
	v_lshlrev_b32_e32 v4, v8, v4
	v_sub_u32_e32 v7, 30, v7
	v_and_b32_e32 v4, 3, v4
	v_cmp_eq_u32_e32 vcc, 0, v6
	v_cndmask_b32_e32 v6, v6, v7, vcc
	v_cndmask_b32_e32 v4, v5, v4, vcc
	v_mov_b32_e32 v5, 0x37800000
	v_lshlrev_b32_e32 v4, 21, v4
	v_and_b32_e32 v0, 0x80000000, v0
	v_lshl_add_u32 v5, v6, 23, v5
	v_or3_b32 v0, v0, v5, v4
	v_cvt_f16_f32_e32 v0, v0
.LBB203_1218:
	s_or_b64 exec, exec, s[18:19]
	s_mov_b64 s[16:17], 0
	s_branch .LBB203_1224
.LBB203_1219:
	s_mov_b64 s[16:17], -1
                                        ; implicit-def: $vgpr0
	s_branch .LBB203_1230
.LBB203_1220:
	s_or_saveexec_b64 s[20:21], s[20:21]
	v_mov_b32_e32 v0, s33
	s_xor_b64 exec, exec, s[20:21]
	s_cbranch_execz .LBB203_1203
.LBB203_1221:
	v_cmp_ne_u16_e32 vcc, 0, v4
	s_andn2_b64 s[18:19], s[18:19], exec
	s_and_b64 s[30:31], vcc, exec
	s_or_b64 s[18:19], s[18:19], s[30:31]
	v_mov_b32_e32 v0, v4
	s_or_b64 exec, exec, s[20:21]
	s_and_saveexec_b64 s[20:21], s[18:19]
	s_cbranch_execnz .LBB203_1204
	s_branch .LBB203_1205
.LBB203_1222:
	s_mov_b64 s[16:17], -1
                                        ; implicit-def: $vgpr0
	s_branch .LBB203_1227
.LBB203_1223:
	s_mov_b64 s[16:17], -1
                                        ; implicit-def: $vgpr0
.LBB203_1224:
	s_and_b64 vcc, exec, s[16:17]
	s_cbranch_vccz .LBB203_1226
; %bb.1225:
	global_load_ubyte v0, v[2:3], off
	s_mov_b32 s16, 0x7f800000
	s_waitcnt vmcnt(0)
	v_lshlrev_b32_e32 v0, 24, v0
	v_and_b32_e32 v4, 0x7f000000, v0
	v_ffbh_u32_e32 v5, v4
	v_min_u32_e32 v5, 32, v5
	v_sub_u32_e64 v5, v5, 4 clamp
	v_lshlrev_b32_e32 v7, v5, v4
	v_lshlrev_b32_e32 v5, 23, v5
	v_lshrrev_b32_e32 v7, 4, v7
	v_add_u32_e32 v6, 0x1000000, v4
	v_sub_u32_e32 v5, v7, v5
	v_ashrrev_i32_e32 v6, 8, v6
	v_add_u32_e32 v5, 0x3c000000, v5
	v_and_or_b32 v5, v6, s16, v5
	v_cmp_ne_u32_e32 vcc, 0, v4
	v_cndmask_b32_e32 v4, 0, v5, vcc
	s_brev_b32 s16, 1
	v_and_or_b32 v0, v0, s16, v4
	v_cvt_f16_f32_e32 v0, v0
.LBB203_1226:
	s_mov_b64 s[16:17], 0
.LBB203_1227:
	s_andn2_b64 vcc, exec, s[16:17]
	s_cbranch_vccnz .LBB203_1229
; %bb.1228:
	global_load_ubyte v0, v[2:3], off
	s_movk_i32 s16, 0x7f00
	s_brev_b32 s17, 16
	s_waitcnt vmcnt(0)
	v_lshlrev_b16_e32 v4, 8, v0
	v_lshlrev_b32_e32 v0, 25, v0
	v_lshrrev_b32_e32 v5, 4, v0
	v_and_or_b32 v6, v4, s16, 0.5
	v_or_b32_e32 v5, 0x70000000, v5
	v_add_f32_e32 v6, -0.5, v6
	v_mul_f32_e32 v5, 0x7800000, v5
	v_cmp_gt_u32_e32 vcc, s17, v0
	v_bfe_i32 v4, v4, 0, 16
	v_cndmask_b32_e32 v0, v5, v6, vcc
	s_brev_b32 s16, 1
	v_and_or_b32 v0, v4, s16, v0
	v_cvt_f16_f32_e32 v0, v0
.LBB203_1229:
	s_mov_b64 s[16:17], 0
	s_mov_b64 s[18:19], -1
.LBB203_1230:
	s_andn2_b64 vcc, exec, s[16:17]
	s_mov_b64 s[16:17], 0
	s_cbranch_vccnz .LBB203_1241
; %bb.1231:
	v_cmp_lt_i16_e32 vcc, 14, v1
	s_cbranch_vccz .LBB203_1234
; %bb.1232:
	v_cmp_eq_u16_e32 vcc, 15, v1
	s_cbranch_vccz .LBB203_1237
; %bb.1233:
	global_load_ushort v0, v[2:3], off
	s_mov_b64 s[14:15], 0
	s_mov_b64 s[18:19], -1
	s_waitcnt vmcnt(0)
	v_lshlrev_b32_e32 v0, 16, v0
	v_cvt_f16_f32_e32 v0, v0
	s_branch .LBB203_1238
.LBB203_1234:
	s_mov_b64 s[20:21], -1
                                        ; implicit-def: $vgpr0
	s_branch .LBB203_1239
.LBB203_1235:
	s_or_saveexec_b64 s[18:19], s[18:19]
	v_mov_b32_e32 v0, s30
	s_xor_b64 exec, exec, s[18:19]
	s_cbranch_execz .LBB203_1216
.LBB203_1236:
	v_cmp_ne_u16_e32 vcc, 0, v4
	s_andn2_b64 s[16:17], s[16:17], exec
	s_and_b64 s[20:21], vcc, exec
	s_or_b64 s[16:17], s[16:17], s[20:21]
	v_mov_b32_e32 v0, v4
	s_or_b64 exec, exec, s[18:19]
	s_and_saveexec_b64 s[18:19], s[16:17]
	s_cbranch_execnz .LBB203_1217
	s_branch .LBB203_1218
.LBB203_1237:
	s_mov_b64 s[14:15], -1
                                        ; implicit-def: $vgpr0
.LBB203_1238:
	s_mov_b64 s[20:21], 0
.LBB203_1239:
	s_and_b64 vcc, exec, s[20:21]
	s_cbranch_vccz .LBB203_1241
; %bb.1240:
	v_cmp_ne_u16_e32 vcc, 11, v1
	s_andn2_b64 s[14:15], s[14:15], exec
	s_and_b64 s[20:21], vcc, exec
	s_mov_b64 s[16:17], -1
	s_or_b64 s[14:15], s[14:15], s[20:21]
                                        ; implicit-def: $vgpr0
.LBB203_1241:
	s_mov_b64 s[20:21], 0
.LBB203_1242:
	s_and_b64 s[56:57], s[18:19], exec
	s_and_b64 s[18:19], s[16:17], exec
	s_andn2_b64 s[16:17], s[4:5], exec
	s_and_b64 s[14:15], s[14:15], exec
	s_and_b64 s[30:31], s[20:21], exec
	s_or_b64 s[20:21], s[16:17], s[14:15]
.LBB203_1243:
	s_or_b64 exec, exec, s[12:13]
	s_and_b64 s[12:13], s[18:19], exec
	s_andn2_b64 s[4:5], s[4:5], exec
	s_and_b64 s[18:19], s[20:21], exec
	s_and_b64 s[16:17], s[56:57], exec
	;; [unrolled: 1-line block ×3, first 2 shown]
	s_or_b64 s[4:5], s[4:5], s[18:19]
.LBB203_1244:
	s_or_b64 exec, exec, s[10:11]
	s_andn2_b64 s[10:11], s[52:53], exec
	s_and_b64 s[8:9], s[8:9], exec
	s_or_b64 s[52:53], s[10:11], s[8:9]
	s_andn2_b64 s[8:9], s[50:51], exec
	s_and_b64 s[6:7], s[6:7], exec
	s_and_b64 s[10:11], s[12:13], exec
	s_andn2_b64 s[12:13], s[48:49], exec
	s_and_b64 s[4:5], s[4:5], exec
	s_or_b64 s[50:51], s[8:9], s[6:7]
	s_and_b64 s[6:7], s[16:17], exec
	s_and_b64 s[8:9], s[14:15], exec
	s_or_b64 s[48:49], s[12:13], s[4:5]
.LBB203_1245:
	s_or_b64 exec, exec, s[54:55]
	s_andn2_b64 s[4:5], s[40:41], exec
	s_and_b64 s[12:13], s[52:53], exec
	s_or_b64 s[40:41], s[4:5], s[12:13]
	s_andn2_b64 s[4:5], s[42:43], exec
	s_and_b64 s[12:13], s[50:51], exec
	s_or_b64 s[42:43], s[4:5], s[12:13]
	s_and_b64 s[50:51], s[10:11], exec
	s_andn2_b64 s[4:5], s[44:45], exec
	s_and_b64 s[10:11], s[48:49], exec
	s_and_b64 s[6:7], s[6:7], exec
	;; [unrolled: 1-line block ×3, first 2 shown]
	s_or_b64 s[44:45], s[4:5], s[10:11]
	s_or_b64 exec, exec, s[46:47]
	s_mov_b64 s[46:47], 0
	s_and_saveexec_b64 s[4:5], s[44:45]
	s_cbranch_execz .LBB203_391
.LBB203_1246:
	s_mov_b64 s[46:47], exec
	s_andn2_b64 s[50:51], s[50:51], exec
	s_trap 2
                                        ; implicit-def: $vgpr0
	s_or_b64 exec, exec, s[4:5]
	s_and_saveexec_b64 s[4:5], s[50:51]
	s_xor_b64 s[4:5], exec, s[4:5]
	s_cbranch_execnz .LBB203_392
.LBB203_1247:
	s_or_b64 exec, exec, s[4:5]
	s_and_saveexec_b64 s[4:5], s[8:9]
	s_cbranch_execz .LBB203_1293
.LBB203_1248:
	s_waitcnt vmcnt(0)
	v_cmp_gt_i16_e32 vcc, 5, v1
	s_cbranch_vccnz .LBB203_1253
; %bb.1249:
	v_cmp_gt_i16_e32 vcc, 8, v1
	s_cbranch_vccnz .LBB203_1254
; %bb.1250:
	;; [unrolled: 3-line block ×3, first 2 shown]
	v_cmp_lt_i16_e32 vcc, 9, v1
	s_cbranch_vccz .LBB203_1256
; %bb.1252:
	global_load_dwordx2 v[4:5], v[2:3], off
	s_mov_b64 s[8:9], 0
	s_waitcnt vmcnt(0)
	v_cvt_f32_f64_e32 v0, v[4:5]
	v_cvt_f16_f32_e32 v0, v0
	s_branch .LBB203_1257
.LBB203_1253:
                                        ; implicit-def: $vgpr0
	s_branch .LBB203_1274
.LBB203_1254:
                                        ; implicit-def: $vgpr0
	s_branch .LBB203_1263
.LBB203_1255:
	s_mov_b64 s[8:9], -1
                                        ; implicit-def: $vgpr0
	s_branch .LBB203_1260
.LBB203_1256:
	s_mov_b64 s[8:9], -1
                                        ; implicit-def: $vgpr0
.LBB203_1257:
	s_andn2_b64 vcc, exec, s[8:9]
	s_cbranch_vccnz .LBB203_1259
; %bb.1258:
	global_load_dword v0, v[2:3], off
	s_waitcnt vmcnt(0)
	v_cvt_f16_f32_e32 v0, v0
.LBB203_1259:
	s_mov_b64 s[8:9], 0
.LBB203_1260:
	s_andn2_b64 vcc, exec, s[8:9]
	s_cbranch_vccnz .LBB203_1262
; %bb.1261:
	global_load_dword v0, v[2:3], off
.LBB203_1262:
	s_cbranch_execnz .LBB203_1273
.LBB203_1263:
	v_cmp_gt_i16_e32 vcc, 6, v1
	s_cbranch_vccnz .LBB203_1266
; %bb.1264:
	v_cmp_lt_i16_e32 vcc, 6, v1
	s_cbranch_vccz .LBB203_1267
; %bb.1265:
	global_load_dwordx2 v[4:5], v[2:3], off
	s_mov_b64 s[8:9], 0
	s_waitcnt vmcnt(0)
	v_cvt_f32_f64_e32 v0, v[4:5]
	v_cvt_f16_f32_e32 v0, v0
	s_branch .LBB203_1268
.LBB203_1266:
	s_mov_b64 s[8:9], -1
                                        ; implicit-def: $vgpr0
	s_branch .LBB203_1271
.LBB203_1267:
	s_mov_b64 s[8:9], -1
                                        ; implicit-def: $vgpr0
.LBB203_1268:
	s_andn2_b64 vcc, exec, s[8:9]
	s_cbranch_vccnz .LBB203_1270
; %bb.1269:
	global_load_dword v0, v[2:3], off
	s_waitcnt vmcnt(0)
	v_cvt_f16_f32_e32 v0, v0
.LBB203_1270:
	s_mov_b64 s[8:9], 0
.LBB203_1271:
	s_andn2_b64 vcc, exec, s[8:9]
	s_cbranch_vccnz .LBB203_1273
; %bb.1272:
	global_load_ushort v0, v[2:3], off
.LBB203_1273:
	s_cbranch_execnz .LBB203_1292
.LBB203_1274:
	v_cmp_gt_i16_e32 vcc, 2, v1
	s_cbranch_vccnz .LBB203_1278
; %bb.1275:
	v_cmp_gt_i16_e32 vcc, 3, v1
	s_cbranch_vccnz .LBB203_1279
; %bb.1276:
	v_cmp_lt_i16_e32 vcc, 3, v1
	s_cbranch_vccz .LBB203_1280
; %bb.1277:
	global_load_dwordx2 v[4:5], v[2:3], off
	s_mov_b64 s[8:9], 0
	s_waitcnt vmcnt(0)
	v_xor_b32_e32 v6, v4, v5
	v_ffbh_i32_e32 v0, v5
	v_ashrrev_i32_e32 v6, 31, v6
	v_add_u32_e32 v0, -1, v0
	v_add_u32_e32 v6, 32, v6
	v_min_u32_e32 v0, v0, v6
	v_lshlrev_b64 v[4:5], v0, v[4:5]
	v_min_u32_e32 v4, 1, v4
	v_or_b32_e32 v4, v5, v4
	v_cvt_f32_i32_e32 v4, v4
	v_sub_u32_e32 v0, 32, v0
	v_ldexp_f32 v0, v4, v0
	v_cvt_f16_f32_e32 v0, v0
	s_branch .LBB203_1281
.LBB203_1278:
                                        ; implicit-def: $vgpr0
	s_branch .LBB203_1287
.LBB203_1279:
	s_mov_b64 s[8:9], -1
                                        ; implicit-def: $vgpr0
	s_branch .LBB203_1284
.LBB203_1280:
	s_mov_b64 s[8:9], -1
                                        ; implicit-def: $vgpr0
.LBB203_1281:
	s_andn2_b64 vcc, exec, s[8:9]
	s_cbranch_vccnz .LBB203_1283
; %bb.1282:
	global_load_dword v0, v[2:3], off
	s_waitcnt vmcnt(0)
	v_cvt_f32_i32_e32 v0, v0
	v_cvt_f16_f32_e32 v0, v0
.LBB203_1283:
	s_mov_b64 s[8:9], 0
.LBB203_1284:
	s_andn2_b64 vcc, exec, s[8:9]
	s_cbranch_vccnz .LBB203_1286
; %bb.1285:
	global_load_ushort v0, v[2:3], off
	s_waitcnt vmcnt(0)
	v_cvt_f16_i16_e32 v0, v0
.LBB203_1286:
	s_cbranch_execnz .LBB203_1292
.LBB203_1287:
	v_cmp_lt_i16_e32 vcc, 0, v1
	s_cbranch_vccz .LBB203_1289
; %bb.1288:
	global_load_sbyte v0, v[2:3], off
	s_mov_b64 s[8:9], 0
	s_waitcnt vmcnt(0)
	v_cvt_f16_i16_e32 v0, v0
	s_branch .LBB203_1290
.LBB203_1289:
	s_mov_b64 s[8:9], -1
                                        ; implicit-def: $vgpr0
.LBB203_1290:
	s_andn2_b64 vcc, exec, s[8:9]
	s_cbranch_vccnz .LBB203_1292
; %bb.1291:
	global_load_ubyte v0, v[2:3], off
	s_waitcnt vmcnt(0)
	v_cvt_f16_u16_e32 v0, v0
.LBB203_1292:
	s_or_b64 s[6:7], s[6:7], exec
.LBB203_1293:
	s_or_b64 exec, exec, s[4:5]
	s_mov_b64 s[8:9], 0
	s_mov_b64 s[12:13], 0
	;; [unrolled: 1-line block ×3, first 2 shown]
                                        ; implicit-def: $vgpr4
                                        ; implicit-def: $vgpr2_vgpr3
                                        ; implicit-def: $vgpr1
	s_and_saveexec_b64 s[4:5], s[6:7]
	s_cbranch_execz .LBB203_1301
; %bb.1294:
	s_waitcnt vmcnt(0)
	v_mul_lo_u32 v1, v37, s38
	v_ashrrev_i32_e32 v3, 31, v1
	v_mov_b32_e32 v4, s23
	v_add_co_u32_e32 v2, vcc, s22, v1
	v_addc_co_u32_e32 v3, vcc, v4, v3, vcc
	v_and_b32_e32 v4, 0xff, v38
	v_cmp_gt_i16_e32 vcc, 11, v4
	s_cbranch_vccnz .LBB203_1304
; %bb.1295:
	v_cmp_lt_i16_e32 vcc, 25, v4
	s_cbranch_vccz .LBB203_1305
; %bb.1296:
	v_cmp_lt_i16_e32 vcc, 28, v4
	s_cbranch_vccz .LBB203_1306
	;; [unrolled: 3-line block ×4, first 2 shown]
; %bb.1299:
	v_cmp_eq_u16_e32 vcc, 46, v4
	s_cbranch_vccz .LBB203_1309
; %bb.1300:
	global_load_dword v1, v[2:3], off
	s_mov_b64 s[6:7], 0
	s_mov_b64 s[10:11], -1
	s_waitcnt vmcnt(0)
	v_lshlrev_b32_e32 v1, 16, v1
	v_cvt_f16_f32_e32 v1, v1
	s_branch .LBB203_1311
.LBB203_1301:
	s_or_b64 exec, exec, s[4:5]
	s_and_saveexec_b64 s[4:5], s[42:43]
	s_cbranch_execnz .LBB203_1374
.LBB203_1302:
	s_or_b64 exec, exec, s[4:5]
	s_and_saveexec_b64 s[4:5], s[8:9]
	s_xor_b64 s[4:5], exec, s[4:5]
	s_cbranch_execz .LBB203_1375
.LBB203_1303:
	global_load_ubyte v1, v[2:3], off
	v_mov_b32_e32 v5, 0x3c00
	s_or_b64 s[10:11], s[10:11], exec
	s_waitcnt vmcnt(0)
	v_cmp_ne_u16_e32 vcc, 0, v1
	v_cndmask_b32_e32 v1, 0, v5, vcc
	s_or_b64 exec, exec, s[4:5]
	s_and_saveexec_b64 s[4:5], s[12:13]
	s_cbranch_execz .LBB203_1421
	s_branch .LBB203_1376
.LBB203_1304:
	s_mov_b64 s[12:13], -1
                                        ; implicit-def: $vgpr1
	s_mov_b64 s[6:7], s[42:43]
	s_branch .LBB203_1373
.LBB203_1305:
	s_mov_b64 s[6:7], s[42:43]
                                        ; implicit-def: $vgpr1
	s_cbranch_execnz .LBB203_1340
	s_branch .LBB203_1372
.LBB203_1306:
	s_mov_b64 s[12:13], -1
	s_mov_b64 s[6:7], s[42:43]
                                        ; implicit-def: $vgpr1
	s_branch .LBB203_1321
.LBB203_1307:
	s_mov_b64 s[12:13], -1
	s_mov_b64 s[6:7], s[42:43]
                                        ; implicit-def: $vgpr1
	s_branch .LBB203_1316
.LBB203_1308:
	s_mov_b64 s[12:13], -1
	s_mov_b64 s[6:7], s[42:43]
	s_branch .LBB203_1310
.LBB203_1309:
	s_mov_b64 s[6:7], -1
.LBB203_1310:
                                        ; implicit-def: $vgpr1
.LBB203_1311:
	s_and_b64 vcc, exec, s[12:13]
	s_cbranch_vccz .LBB203_1315
; %bb.1312:
	v_cmp_eq_u16_e32 vcc, 44, v4
	s_cbranch_vccz .LBB203_1314
; %bb.1313:
	global_load_ubyte v1, v[2:3], off
	s_movk_i32 s10, 0xff
	v_mov_b32_e32 v6, 0x7e00
	s_mov_b64 s[6:7], 0
	s_waitcnt vmcnt(0)
	v_lshlrev_b32_e32 v5, 23, v1
	v_cvt_f16_f32_e32 v5, v5
	v_cmp_ne_u32_e32 vcc, s10, v1
	s_mov_b64 s[10:11], -1
	v_cndmask_b32_e32 v5, v6, v5, vcc
	v_cmp_ne_u32_e32 vcc, 0, v1
	v_cndmask_b32_e32 v1, 0, v5, vcc
	s_branch .LBB203_1315
.LBB203_1314:
	s_mov_b64 s[6:7], -1
                                        ; implicit-def: $vgpr1
.LBB203_1315:
	s_mov_b64 s[12:13], 0
.LBB203_1316:
	s_and_b64 vcc, exec, s[12:13]
	s_cbranch_vccz .LBB203_1320
; %bb.1317:
	v_cmp_eq_u16_e32 vcc, 29, v4
	s_cbranch_vccz .LBB203_1319
; %bb.1318:
	global_load_dwordx2 v[6:7], v[2:3], off
	s_mov_b64 s[6:7], 0
	s_mov_b64 s[10:11], -1
	s_mov_b64 s[12:13], 0
	s_waitcnt vmcnt(0)
	v_ffbh_u32_e32 v1, v7
	v_min_u32_e32 v1, 32, v1
	v_lshlrev_b64 v[6:7], v1, v[6:7]
	v_min_u32_e32 v5, 1, v6
	v_or_b32_e32 v5, v7, v5
	v_cvt_f32_u32_e32 v5, v5
	v_sub_u32_e32 v1, 32, v1
	v_ldexp_f32 v1, v5, v1
	v_cvt_f16_f32_e32 v1, v1
	s_branch .LBB203_1321
.LBB203_1319:
	s_mov_b64 s[6:7], -1
                                        ; implicit-def: $vgpr1
.LBB203_1320:
	s_mov_b64 s[12:13], 0
.LBB203_1321:
	s_and_b64 vcc, exec, s[12:13]
	s_cbranch_vccz .LBB203_1339
; %bb.1322:
	v_cmp_gt_i16_e32 vcc, 27, v4
	s_cbranch_vccnz .LBB203_1325
; %bb.1323:
	v_cmp_lt_i16_e32 vcc, 27, v4
	s_cbranch_vccz .LBB203_1326
; %bb.1324:
	global_load_dword v1, v[2:3], off
	s_mov_b64 s[10:11], 0
	s_waitcnt vmcnt(0)
	v_cvt_f32_u32_e32 v1, v1
	v_cvt_f16_f32_e32 v1, v1
	s_branch .LBB203_1327
.LBB203_1325:
	s_mov_b64 s[10:11], -1
                                        ; implicit-def: $vgpr1
	s_branch .LBB203_1330
.LBB203_1326:
	s_mov_b64 s[10:11], -1
                                        ; implicit-def: $vgpr1
.LBB203_1327:
	s_andn2_b64 vcc, exec, s[10:11]
	s_cbranch_vccnz .LBB203_1329
; %bb.1328:
	global_load_ushort v1, v[2:3], off
	s_waitcnt vmcnt(0)
	v_cvt_f16_u16_e32 v1, v1
.LBB203_1329:
	s_mov_b64 s[10:11], 0
.LBB203_1330:
	s_andn2_b64 vcc, exec, s[10:11]
	s_cbranch_vccnz .LBB203_1338
; %bb.1331:
	global_load_ubyte v5, v[2:3], off
	s_movk_i32 s10, 0x7f
                                        ; implicit-def: $sgpr16
	s_waitcnt vmcnt(0)
	v_cmp_lt_i16_e32 vcc, s10, v5
	s_mov_b64 s[10:11], 0
	s_and_saveexec_b64 s[12:13], vcc
	s_xor_b64 s[12:13], exec, s[12:13]
	s_cbranch_execz .LBB203_1351
; %bb.1332:
	s_movk_i32 s10, 0x80
	v_cmp_eq_u16_e32 vcc, s10, v5
	s_mov_b64 s[10:11], -1
                                        ; implicit-def: $sgpr16
	s_and_saveexec_b64 s[14:15], vcc
; %bb.1333:
	s_movk_i32 s16, 0x7e00
	s_xor_b64 s[10:11], exec, -1
; %bb.1334:
	s_or_b64 exec, exec, s[14:15]
	s_and_b64 s[10:11], s[10:11], exec
	s_or_saveexec_b64 s[12:13], s[12:13]
	v_mov_b32_e32 v1, s16
	s_xor_b64 exec, exec, s[12:13]
	s_cbranch_execnz .LBB203_1352
.LBB203_1335:
	s_or_b64 exec, exec, s[12:13]
	s_and_saveexec_b64 s[12:13], s[10:11]
	s_cbranch_execz .LBB203_1337
.LBB203_1336:
	v_lshlrev_b32_e32 v1, 24, v5
	v_and_b32_e32 v5, 0xffff, v5
	v_and_b32_e32 v6, 7, v5
	v_ffbh_u32_e32 v8, v6
	v_min_u32_e32 v8, 32, v8
	v_subrev_u32_e32 v9, 28, v8
	v_bfe_u32 v7, v5, 3, 4
	v_lshlrev_b32_e32 v5, v9, v5
	v_sub_u32_e32 v8, 29, v8
	v_and_b32_e32 v5, 7, v5
	v_cmp_eq_u32_e32 vcc, 0, v7
	v_cndmask_b32_e32 v7, v7, v8, vcc
	v_cndmask_b32_e32 v5, v6, v5, vcc
	v_mov_b32_e32 v6, 0x3b800000
	v_lshlrev_b32_e32 v5, 20, v5
	v_and_b32_e32 v1, 0x80000000, v1
	v_lshl_add_u32 v6, v7, 23, v6
	v_or3_b32 v1, v1, v6, v5
	v_cvt_f16_f32_e32 v1, v1
.LBB203_1337:
	s_or_b64 exec, exec, s[12:13]
.LBB203_1338:
	s_mov_b64 s[10:11], -1
.LBB203_1339:
	s_branch .LBB203_1372
.LBB203_1340:
	v_cmp_lt_i16_e32 vcc, 22, v4
	s_cbranch_vccz .LBB203_1350
; %bb.1341:
	v_cmp_gt_i16_e32 vcc, 24, v4
	s_cbranch_vccnz .LBB203_1353
; %bb.1342:
	v_cmp_lt_i16_e32 vcc, 24, v4
	s_cbranch_vccz .LBB203_1354
; %bb.1343:
	global_load_ubyte v5, v[2:3], off
	s_movk_i32 s8, 0x7f
                                        ; implicit-def: $sgpr14
	s_waitcnt vmcnt(0)
	v_cmp_lt_i16_e32 vcc, s8, v5
	s_mov_b64 s[8:9], 0
	s_and_saveexec_b64 s[10:11], vcc
	s_xor_b64 s[10:11], exec, s[10:11]
	s_cbranch_execz .LBB203_1366
; %bb.1344:
	s_movk_i32 s8, 0x80
	v_cmp_eq_u16_e32 vcc, s8, v5
	s_mov_b64 s[8:9], -1
                                        ; implicit-def: $sgpr14
	s_and_saveexec_b64 s[12:13], vcc
; %bb.1345:
	s_movk_i32 s14, 0x7e00
	s_xor_b64 s[8:9], exec, -1
; %bb.1346:
	s_or_b64 exec, exec, s[12:13]
	s_and_b64 s[8:9], s[8:9], exec
	s_or_saveexec_b64 s[10:11], s[10:11]
	v_mov_b32_e32 v1, s14
	s_xor_b64 exec, exec, s[10:11]
	s_cbranch_execnz .LBB203_1367
.LBB203_1347:
	s_or_b64 exec, exec, s[10:11]
	s_and_saveexec_b64 s[10:11], s[8:9]
	s_cbranch_execz .LBB203_1349
.LBB203_1348:
	v_lshlrev_b32_e32 v1, 24, v5
	v_and_b32_e32 v5, 0xffff, v5
	v_and_b32_e32 v6, 3, v5
	v_ffbh_u32_e32 v8, v6
	v_min_u32_e32 v8, 32, v8
	v_subrev_u32_e32 v9, 29, v8
	v_bfe_u32 v7, v5, 2, 5
	v_lshlrev_b32_e32 v5, v9, v5
	v_sub_u32_e32 v8, 30, v8
	v_and_b32_e32 v5, 3, v5
	v_cmp_eq_u32_e32 vcc, 0, v7
	v_cndmask_b32_e32 v7, v7, v8, vcc
	v_cndmask_b32_e32 v5, v6, v5, vcc
	v_mov_b32_e32 v6, 0x37800000
	v_lshlrev_b32_e32 v5, 21, v5
	v_and_b32_e32 v1, 0x80000000, v1
	v_lshl_add_u32 v6, v7, 23, v6
	v_or3_b32 v1, v1, v6, v5
	v_cvt_f16_f32_e32 v1, v1
.LBB203_1349:
	s_or_b64 exec, exec, s[10:11]
	s_mov_b64 s[8:9], 0
	s_branch .LBB203_1355
.LBB203_1350:
	s_mov_b64 s[8:9], -1
                                        ; implicit-def: $vgpr1
	s_branch .LBB203_1361
.LBB203_1351:
	s_or_saveexec_b64 s[12:13], s[12:13]
	v_mov_b32_e32 v1, s16
	s_xor_b64 exec, exec, s[12:13]
	s_cbranch_execz .LBB203_1335
.LBB203_1352:
	v_cmp_ne_u16_e32 vcc, 0, v5
	s_andn2_b64 s[10:11], s[10:11], exec
	s_and_b64 s[14:15], vcc, exec
	s_or_b64 s[10:11], s[10:11], s[14:15]
	v_mov_b32_e32 v1, v5
	s_or_b64 exec, exec, s[12:13]
	s_and_saveexec_b64 s[12:13], s[10:11]
	s_cbranch_execnz .LBB203_1336
	s_branch .LBB203_1337
.LBB203_1353:
	s_mov_b64 s[8:9], -1
                                        ; implicit-def: $vgpr1
	s_branch .LBB203_1358
.LBB203_1354:
	s_mov_b64 s[8:9], -1
                                        ; implicit-def: $vgpr1
.LBB203_1355:
	s_and_b64 vcc, exec, s[8:9]
	s_cbranch_vccz .LBB203_1357
; %bb.1356:
	global_load_ubyte v1, v[2:3], off
	s_mov_b32 s8, 0x7f800000
	s_waitcnt vmcnt(0)
	v_lshlrev_b32_e32 v1, 24, v1
	v_and_b32_e32 v5, 0x7f000000, v1
	v_ffbh_u32_e32 v6, v5
	v_min_u32_e32 v6, 32, v6
	v_sub_u32_e64 v6, v6, 4 clamp
	v_lshlrev_b32_e32 v8, v6, v5
	v_lshlrev_b32_e32 v6, 23, v6
	v_lshrrev_b32_e32 v8, 4, v8
	v_add_u32_e32 v7, 0x1000000, v5
	v_sub_u32_e32 v6, v8, v6
	v_ashrrev_i32_e32 v7, 8, v7
	v_add_u32_e32 v6, 0x3c000000, v6
	v_and_or_b32 v6, v7, s8, v6
	v_cmp_ne_u32_e32 vcc, 0, v5
	v_cndmask_b32_e32 v5, 0, v6, vcc
	s_brev_b32 s8, 1
	v_and_or_b32 v1, v1, s8, v5
	v_cvt_f16_f32_e32 v1, v1
.LBB203_1357:
	s_mov_b64 s[8:9], 0
.LBB203_1358:
	s_andn2_b64 vcc, exec, s[8:9]
	s_cbranch_vccnz .LBB203_1360
; %bb.1359:
	global_load_ubyte v1, v[2:3], off
	s_movk_i32 s8, 0x7f00
	s_brev_b32 s9, 16
	s_waitcnt vmcnt(0)
	v_lshlrev_b16_e32 v5, 8, v1
	v_lshlrev_b32_e32 v1, 25, v1
	v_lshrrev_b32_e32 v6, 4, v1
	v_and_or_b32 v7, v5, s8, 0.5
	v_or_b32_e32 v6, 0x70000000, v6
	v_add_f32_e32 v7, -0.5, v7
	v_mul_f32_e32 v6, 0x7800000, v6
	v_cmp_gt_u32_e32 vcc, s9, v1
	v_bfe_i32 v5, v5, 0, 16
	v_cndmask_b32_e32 v1, v6, v7, vcc
	s_brev_b32 s8, 1
	v_and_or_b32 v1, v5, s8, v1
	v_cvt_f16_f32_e32 v1, v1
.LBB203_1360:
	s_mov_b64 s[8:9], 0
	s_mov_b64 s[10:11], -1
.LBB203_1361:
	s_andn2_b64 vcc, exec, s[8:9]
	s_mov_b64 s[8:9], 0
	s_cbranch_vccnz .LBB203_1372
; %bb.1362:
	v_cmp_lt_i16_e32 vcc, 14, v4
	s_cbranch_vccz .LBB203_1365
; %bb.1363:
	v_cmp_eq_u16_e32 vcc, 15, v4
	s_cbranch_vccz .LBB203_1368
; %bb.1364:
	global_load_ushort v1, v[2:3], off
	s_mov_b64 s[6:7], 0
	s_mov_b64 s[10:11], -1
	s_waitcnt vmcnt(0)
	v_lshlrev_b32_e32 v1, 16, v1
	v_cvt_f16_f32_e32 v1, v1
	s_branch .LBB203_1369
.LBB203_1365:
	s_mov_b64 s[12:13], -1
                                        ; implicit-def: $vgpr1
	s_branch .LBB203_1370
.LBB203_1366:
	s_or_saveexec_b64 s[10:11], s[10:11]
	v_mov_b32_e32 v1, s14
	s_xor_b64 exec, exec, s[10:11]
	s_cbranch_execz .LBB203_1347
.LBB203_1367:
	v_cmp_ne_u16_e32 vcc, 0, v5
	s_andn2_b64 s[8:9], s[8:9], exec
	s_and_b64 s[12:13], vcc, exec
	s_or_b64 s[8:9], s[8:9], s[12:13]
	v_mov_b32_e32 v1, v5
	s_or_b64 exec, exec, s[10:11]
	s_and_saveexec_b64 s[10:11], s[8:9]
	s_cbranch_execnz .LBB203_1348
	s_branch .LBB203_1349
.LBB203_1368:
	s_mov_b64 s[6:7], -1
                                        ; implicit-def: $vgpr1
.LBB203_1369:
	s_mov_b64 s[12:13], 0
.LBB203_1370:
	s_and_b64 vcc, exec, s[12:13]
	s_cbranch_vccz .LBB203_1372
; %bb.1371:
	v_cmp_ne_u16_e32 vcc, 11, v4
	s_andn2_b64 s[6:7], s[6:7], exec
	s_and_b64 s[12:13], vcc, exec
	s_mov_b64 s[8:9], -1
	s_or_b64 s[6:7], s[6:7], s[12:13]
                                        ; implicit-def: $vgpr1
.LBB203_1372:
	s_mov_b64 s[12:13], 0
.LBB203_1373:
	s_andn2_b64 s[14:15], s[42:43], exec
	s_and_b64 s[6:7], s[6:7], exec
	s_and_b64 s[10:11], s[10:11], exec
	;; [unrolled: 1-line block ×4, first 2 shown]
	s_or_b64 s[42:43], s[14:15], s[6:7]
	s_or_b64 exec, exec, s[4:5]
	s_and_saveexec_b64 s[4:5], s[42:43]
	s_cbranch_execz .LBB203_1302
.LBB203_1374:
	s_or_b64 s[46:47], s[46:47], exec
	s_andn2_b64 s[8:9], s[8:9], exec
	s_trap 2
                                        ; implicit-def: $vgpr1
	s_or_b64 exec, exec, s[4:5]
	s_and_saveexec_b64 s[4:5], s[8:9]
	s_xor_b64 s[4:5], exec, s[4:5]
	s_cbranch_execnz .LBB203_1303
.LBB203_1375:
	s_or_b64 exec, exec, s[4:5]
	s_and_saveexec_b64 s[4:5], s[12:13]
	s_cbranch_execz .LBB203_1421
.LBB203_1376:
	v_cmp_gt_i16_e32 vcc, 5, v4
	s_cbranch_vccnz .LBB203_1381
; %bb.1377:
	v_cmp_gt_i16_e32 vcc, 8, v4
	s_cbranch_vccnz .LBB203_1382
; %bb.1378:
	;; [unrolled: 3-line block ×3, first 2 shown]
	v_cmp_lt_i16_e32 vcc, 9, v4
	s_cbranch_vccz .LBB203_1384
; %bb.1380:
	global_load_dwordx2 v[6:7], v[2:3], off
	s_mov_b64 s[6:7], 0
	s_waitcnt vmcnt(0)
	v_cvt_f32_f64_e32 v1, v[6:7]
	v_cvt_f16_f32_e32 v1, v1
	s_branch .LBB203_1385
.LBB203_1381:
                                        ; implicit-def: $vgpr1
	s_branch .LBB203_1402
.LBB203_1382:
                                        ; implicit-def: $vgpr1
	s_branch .LBB203_1391
.LBB203_1383:
	s_mov_b64 s[6:7], -1
                                        ; implicit-def: $vgpr1
	s_branch .LBB203_1388
.LBB203_1384:
	s_mov_b64 s[6:7], -1
                                        ; implicit-def: $vgpr1
.LBB203_1385:
	s_andn2_b64 vcc, exec, s[6:7]
	s_cbranch_vccnz .LBB203_1387
; %bb.1386:
	global_load_dword v1, v[2:3], off
	s_waitcnt vmcnt(0)
	v_cvt_f16_f32_e32 v1, v1
.LBB203_1387:
	s_mov_b64 s[6:7], 0
.LBB203_1388:
	s_andn2_b64 vcc, exec, s[6:7]
	s_cbranch_vccnz .LBB203_1390
; %bb.1389:
	global_load_dword v1, v[2:3], off
.LBB203_1390:
	s_cbranch_execnz .LBB203_1401
.LBB203_1391:
	v_cmp_gt_i16_e32 vcc, 6, v4
	s_cbranch_vccnz .LBB203_1394
; %bb.1392:
	v_cmp_lt_i16_e32 vcc, 6, v4
	s_cbranch_vccz .LBB203_1395
; %bb.1393:
	global_load_dwordx2 v[6:7], v[2:3], off
	s_mov_b64 s[6:7], 0
	s_waitcnt vmcnt(0)
	v_cvt_f32_f64_e32 v1, v[6:7]
	v_cvt_f16_f32_e32 v1, v1
	s_branch .LBB203_1396
.LBB203_1394:
	s_mov_b64 s[6:7], -1
                                        ; implicit-def: $vgpr1
	s_branch .LBB203_1399
.LBB203_1395:
	s_mov_b64 s[6:7], -1
                                        ; implicit-def: $vgpr1
.LBB203_1396:
	s_andn2_b64 vcc, exec, s[6:7]
	s_cbranch_vccnz .LBB203_1398
; %bb.1397:
	global_load_dword v1, v[2:3], off
	s_waitcnt vmcnt(0)
	v_cvt_f16_f32_e32 v1, v1
.LBB203_1398:
	s_mov_b64 s[6:7], 0
.LBB203_1399:
	s_andn2_b64 vcc, exec, s[6:7]
	s_cbranch_vccnz .LBB203_1401
; %bb.1400:
	global_load_ushort v1, v[2:3], off
.LBB203_1401:
	s_cbranch_execnz .LBB203_1420
.LBB203_1402:
	v_cmp_gt_i16_e32 vcc, 2, v4
	s_cbranch_vccnz .LBB203_1406
; %bb.1403:
	v_cmp_gt_i16_e32 vcc, 3, v4
	s_cbranch_vccnz .LBB203_1407
; %bb.1404:
	v_cmp_lt_i16_e32 vcc, 3, v4
	s_cbranch_vccz .LBB203_1408
; %bb.1405:
	global_load_dwordx2 v[6:7], v[2:3], off
	s_mov_b64 s[6:7], 0
	s_waitcnt vmcnt(0)
	v_xor_b32_e32 v5, v6, v7
	v_ffbh_i32_e32 v1, v7
	v_ashrrev_i32_e32 v5, 31, v5
	v_add_u32_e32 v1, -1, v1
	v_add_u32_e32 v5, 32, v5
	v_min_u32_e32 v1, v1, v5
	v_lshlrev_b64 v[6:7], v1, v[6:7]
	v_min_u32_e32 v5, 1, v6
	v_or_b32_e32 v5, v7, v5
	v_cvt_f32_i32_e32 v5, v5
	v_sub_u32_e32 v1, 32, v1
	v_ldexp_f32 v1, v5, v1
	v_cvt_f16_f32_e32 v1, v1
	s_branch .LBB203_1409
.LBB203_1406:
                                        ; implicit-def: $vgpr1
	s_branch .LBB203_1415
.LBB203_1407:
	s_mov_b64 s[6:7], -1
                                        ; implicit-def: $vgpr1
	s_branch .LBB203_1412
.LBB203_1408:
	s_mov_b64 s[6:7], -1
                                        ; implicit-def: $vgpr1
.LBB203_1409:
	s_andn2_b64 vcc, exec, s[6:7]
	s_cbranch_vccnz .LBB203_1411
; %bb.1410:
	global_load_dword v1, v[2:3], off
	s_waitcnt vmcnt(0)
	v_cvt_f32_i32_e32 v1, v1
	v_cvt_f16_f32_e32 v1, v1
.LBB203_1411:
	s_mov_b64 s[6:7], 0
.LBB203_1412:
	s_andn2_b64 vcc, exec, s[6:7]
	s_cbranch_vccnz .LBB203_1414
; %bb.1413:
	global_load_ushort v1, v[2:3], off
	s_waitcnt vmcnt(0)
	v_cvt_f16_i16_e32 v1, v1
.LBB203_1414:
	s_cbranch_execnz .LBB203_1420
.LBB203_1415:
	v_cmp_lt_i16_e32 vcc, 0, v4
	s_cbranch_vccz .LBB203_1417
; %bb.1416:
	global_load_sbyte v1, v[2:3], off
	s_mov_b64 s[6:7], 0
	s_waitcnt vmcnt(0)
	v_cvt_f16_i16_e32 v1, v1
	s_branch .LBB203_1418
.LBB203_1417:
	s_mov_b64 s[6:7], -1
                                        ; implicit-def: $vgpr1
.LBB203_1418:
	s_andn2_b64 vcc, exec, s[6:7]
	s_cbranch_vccnz .LBB203_1420
; %bb.1419:
	global_load_ubyte v1, v[2:3], off
	s_waitcnt vmcnt(0)
	v_cvt_f16_u16_e32 v1, v1
.LBB203_1420:
	s_or_b64 s[10:11], s[10:11], exec
.LBB203_1421:
	s_or_b64 exec, exec, s[4:5]
	s_mov_b64 s[8:9], 0
	s_mov_b64 s[6:7], 0
                                        ; implicit-def: $vgpr3
                                        ; implicit-def: $vgpr4_vgpr5
                                        ; implicit-def: $vgpr2
	s_and_saveexec_b64 s[42:43], s[10:11]
	s_cbranch_execz .LBB203_1439
; %bb.1422:
	s_getpc_b64 s[4:5]
	s_add_u32 s4, s4, _ZZZZN2at6native33launch_standard_gamma_grad_kernelERNS_18TensorIteratorBaseEENKUlvE_clEvENKUlvE1_clEvENKUlN3c104HalfES6_E_clES6_S6_@rel32@lo+4
	s_addc_u32 s5, s5, _ZZZZN2at6native33launch_standard_gamma_grad_kernelERNS_18TensorIteratorBaseEENKUlvE_clEvENKUlvE1_clEvENKUlN3c104HalfES6_E_clES6_S6_@rel32@hi+12
	s_swappc_b64 s[30:31], s[4:5]
	v_mov_b32_e32 v2, v0
	v_mul_lo_u32 v0, v37, s36
	v_ashrrev_i32_e32 v1, 31, v0
	v_mov_b32_e32 v3, s25
	v_add_co_u32_e32 v4, vcc, s24, v0
	v_addc_co_u32_e32 v5, vcc, v3, v1, vcc
	v_and_b32_e32 v3, 0xff, v36
	v_cmp_gt_i16_e32 vcc, 11, v3
	s_cbranch_vccnz .LBB203_1442
; %bb.1423:
	v_cmp_lt_i16_e32 vcc, 25, v3
	s_mov_b64 s[8:9], -1
	s_mov_b64 s[4:5], s[40:41]
	s_cbranch_vccz .LBB203_1460
; %bb.1424:
	v_cmp_lt_i16_e32 vcc, 28, v3
	s_mov_b64 s[6:7], -1
	s_mov_b64 s[4:5], s[40:41]
	s_cbranch_vccz .LBB203_1444
; %bb.1425:
	v_cmp_lt_i16_e32 vcc, 43, v3
	s_mov_b64 s[4:5], s[40:41]
	s_cbranch_vccz .LBB203_1436
; %bb.1426:
	v_cmp_lt_i16_e32 vcc, 45, v3
	s_mov_b64 s[4:5], s[40:41]
	s_cbranch_vccz .LBB203_1430
; %bb.1427:
	v_cmp_eq_u16_e32 vcc, 46, v3
	s_mov_b64 s[4:5], -1
	s_cbranch_vccz .LBB203_1429
; %bb.1428:
	v_cvt_f32_f16_e32 v0, v2
	s_movk_i32 s4, 0x7fff
	v_mov_b32_e32 v1, 0x7fc0
	v_cmp_o_f16_e32 vcc, v2, v2
	v_bfe_u32 v6, v0, 16, 1
	v_add3_u32 v0, v0, v6, s4
	v_lshrrev_b32_e32 v0, 16, v0
	v_cndmask_b32_e32 v0, v1, v0, vcc
	global_store_dword v[4:5], v0, off
	s_mov_b64 s[4:5], 0
.LBB203_1429:
	s_mov_b64 s[6:7], 0
.LBB203_1430:
	s_and_b64 vcc, exec, s[6:7]
	s_cbranch_vccz .LBB203_1435
; %bb.1431:
	v_cmp_eq_u16_e32 vcc, 44, v3
	s_mov_b64 s[4:5], -1
	s_cbranch_vccz .LBB203_1435
; %bb.1432:
	v_cvt_f32_f16_e32 v0, v2
	s_movk_i32 s4, 0xff
	v_mov_b32_e32 v6, 0xff
	v_bfe_u32 v1, v0, 23, 8
	v_cmp_ne_u32_e32 vcc, s4, v1
	s_and_saveexec_b64 s[6:7], vcc
; %bb.1433:
	s_mov_b32 s4, 0x3fffff
	v_lshrrev_b32_e32 v6, 23, v0
	v_and_b32_e32 v7, 0x400000, v0
	v_and_or_b32 v0, v0, s4, v1
	v_cmp_ne_u32_e32 vcc, 0, v7
	v_cmp_ne_u32_e64 s[4:5], 0, v0
	s_and_b64 s[4:5], vcc, s[4:5]
	v_cndmask_b32_e64 v0, 0, 1, s[4:5]
	v_add_u32_e32 v6, v6, v0
; %bb.1434:
	s_or_b64 exec, exec, s[6:7]
	s_mov_b64 s[4:5], 0
	global_store_byte v[4:5], v6, off
.LBB203_1435:
	s_mov_b64 s[6:7], 0
.LBB203_1436:
	s_and_b64 vcc, exec, s[6:7]
	s_cbranch_vccz .LBB203_1443
; %bb.1437:
	v_cmp_eq_u16_e32 vcc, 29, v3
	s_mov_b64 s[4:5], -1
	s_cbranch_vccz .LBB203_1443
; %bb.1438:
	v_cvt_f32_f16_e32 v0, v2
	v_mov_b32_e32 v1, 0
	s_mov_b64 s[4:5], 0
	s_mov_b64 s[6:7], 0
	v_cvt_u32_f32_e32 v0, v0
	global_store_dwordx2 v[4:5], v[0:1], off
	s_branch .LBB203_1444
.LBB203_1439:
	s_or_b64 exec, exec, s[42:43]
	s_and_saveexec_b64 s[4:5], s[40:41]
	s_cbranch_execnz .LBB203_1502
.LBB203_1440:
	s_or_b64 exec, exec, s[4:5]
	s_and_saveexec_b64 s[4:5], s[8:9]
	s_xor_b64 s[4:5], exec, s[4:5]
	s_cbranch_execz .LBB203_1503
.LBB203_1441:
	s_waitcnt vmcnt(0)
	v_and_b32_e32 v0, 0x7fff, v2
	v_cmp_ne_u16_e32 vcc, 0, v0
	v_cndmask_b32_e64 v0, 0, 1, vcc
	global_store_byte v[4:5], v0, off
	s_or_b64 exec, exec, s[4:5]
	s_and_saveexec_b64 s[4:5], s[6:7]
	s_xor_b64 s[4:5], exec, s[4:5]
	s_cbranch_execz .LBB203_1541
	s_branch .LBB203_1504
.LBB203_1442:
	s_mov_b64 s[8:9], 0
	s_mov_b64 s[6:7], -1
	s_mov_b64 s[4:5], s[40:41]
	s_branch .LBB203_1501
.LBB203_1443:
	s_mov_b64 s[6:7], 0
.LBB203_1444:
	s_and_b64 vcc, exec, s[6:7]
	s_cbranch_vccz .LBB203_1459
; %bb.1445:
	v_cmp_gt_i16_e32 vcc, 27, v3
	s_mov_b64 s[6:7], -1
	s_cbranch_vccnz .LBB203_1451
; %bb.1446:
	v_cmp_lt_i16_e32 vcc, 27, v3
	s_cbranch_vccz .LBB203_1448
; %bb.1447:
	v_cvt_f32_f16_e32 v0, v2
	s_mov_b64 s[6:7], 0
	v_cvt_u32_f32_e32 v0, v0
	global_store_dword v[4:5], v0, off
.LBB203_1448:
	s_andn2_b64 vcc, exec, s[6:7]
	s_cbranch_vccnz .LBB203_1450
; %bb.1449:
	v_cvt_u16_f16_e32 v0, v2
	global_store_short v[4:5], v0, off
.LBB203_1450:
	s_mov_b64 s[6:7], 0
.LBB203_1451:
	s_andn2_b64 vcc, exec, s[6:7]
	s_cbranch_vccnz .LBB203_1459
; %bb.1452:
	v_cvt_f32_f16_e32 v0, v2
	s_mov_b32 s6, 0x43800000
	v_mov_b32_e32 v6, 0x80
	v_and_b32_e32 v1, 0x7fffffff, v0
	v_cmp_gt_u32_e32 vcc, s6, v1
	s_and_saveexec_b64 s[6:7], vcc
	s_cbranch_execz .LBB203_1458
; %bb.1453:
	s_mov_b32 s8, 0x3bffffff
	v_cmp_lt_u32_e32 vcc, s8, v1
	s_mov_b64 s[8:9], 0
                                        ; implicit-def: $vgpr1
	s_and_saveexec_b64 s[10:11], vcc
	s_xor_b64 s[10:11], exec, s[10:11]
	s_cbranch_execz .LBB203_1556
; %bb.1454:
	v_bfe_u32 v1, v0, 20, 1
	s_mov_b32 s12, 0x487ffff
	v_add3_u32 v1, v0, v1, s12
	s_mov_b64 s[8:9], exec
	v_lshrrev_b32_e32 v1, 20, v1
	s_or_saveexec_b64 s[10:11], s[10:11]
                                        ; implicit-def: $sgpr12
	s_xor_b64 exec, exec, s[10:11]
	s_cbranch_execnz .LBB203_1557
.LBB203_1455:
	s_or_b64 exec, exec, s[10:11]
	v_mov_b32_e32 v6, s12
	s_and_saveexec_b64 s[10:11], s[8:9]
.LBB203_1456:
	v_lshrrev_b32_e32 v0, 24, v0
	s_movk_i32 s8, 0x80
	v_and_or_b32 v6, v0, s8, v1
.LBB203_1457:
	s_or_b64 exec, exec, s[10:11]
.LBB203_1458:
	s_or_b64 exec, exec, s[6:7]
	global_store_byte v[4:5], v6, off
.LBB203_1459:
	s_mov_b64 s[8:9], 0
.LBB203_1460:
	s_mov_b64 s[6:7], 0
	s_and_b64 vcc, exec, s[8:9]
	s_cbranch_vccz .LBB203_1500
; %bb.1461:
	v_cmp_lt_i16_e32 vcc, 22, v3
	s_mov_b64 s[8:9], -1
	s_cbranch_vccz .LBB203_1493
; %bb.1462:
	v_cmp_gt_i16_e32 vcc, 24, v3
	s_cbranch_vccnz .LBB203_1482
; %bb.1463:
	v_cmp_lt_i16_e32 vcc, 24, v3
	s_cbranch_vccz .LBB203_1471
; %bb.1464:
	v_cvt_f32_f16_e32 v0, v2
	s_mov_b32 s8, 0x47800000
	v_mov_b32_e32 v6, 0x80
	v_and_b32_e32 v1, 0x7fffffff, v0
	v_cmp_gt_u32_e32 vcc, s8, v1
	s_and_saveexec_b64 s[8:9], vcc
	s_cbranch_execz .LBB203_1470
; %bb.1465:
	s_mov_b32 s10, 0x37ffffff
	v_cmp_lt_u32_e32 vcc, s10, v1
	s_mov_b64 s[10:11], 0
                                        ; implicit-def: $vgpr1
	s_and_saveexec_b64 s[12:13], vcc
	s_xor_b64 s[12:13], exec, s[12:13]
	s_cbranch_execz .LBB203_1681
; %bb.1466:
	v_bfe_u32 v1, v0, 21, 1
	s_mov_b32 s14, 0x88fffff
	v_add3_u32 v1, v0, v1, s14
	s_mov_b64 s[10:11], exec
	v_lshrrev_b32_e32 v1, 21, v1
	s_or_saveexec_b64 s[12:13], s[12:13]
                                        ; implicit-def: $sgpr14
	s_xor_b64 exec, exec, s[12:13]
	s_cbranch_execnz .LBB203_1682
.LBB203_1467:
	s_or_b64 exec, exec, s[12:13]
	v_mov_b32_e32 v6, s14
	s_and_saveexec_b64 s[12:13], s[10:11]
.LBB203_1468:
	v_lshrrev_b32_e32 v0, 24, v0
	s_movk_i32 s10, 0x80
	v_and_or_b32 v6, v0, s10, v1
.LBB203_1469:
	s_or_b64 exec, exec, s[12:13]
.LBB203_1470:
	s_or_b64 exec, exec, s[8:9]
	s_mov_b64 s[8:9], 0
	global_store_byte v[4:5], v6, off
.LBB203_1471:
	s_and_b64 vcc, exec, s[8:9]
	s_cbranch_vccz .LBB203_1481
; %bb.1472:
	v_cvt_f32_f16_e32 v0, v2
	s_mov_b32 s8, 0x43f00000
                                        ; implicit-def: $vgpr1
	v_and_b32_e32 v6, 0x7fffffff, v0
	v_cmp_gt_u32_e32 vcc, s8, v6
	s_and_saveexec_b64 s[8:9], vcc
	s_xor_b64 s[8:9], exec, s[8:9]
	s_cbranch_execz .LBB203_1478
; %bb.1473:
	s_mov_b32 s10, 0x3c7fffff
	v_cmp_lt_u32_e32 vcc, s10, v6
                                        ; implicit-def: $vgpr1
	s_and_saveexec_b64 s[10:11], vcc
	s_xor_b64 s[10:11], exec, s[10:11]
; %bb.1474:
	v_bfe_u32 v1, v0, 20, 1
	s_mov_b32 s12, 0x407ffff
	v_add3_u32 v1, v0, v1, s12
	v_lshrrev_b32_e32 v6, 20, v1
	v_and_b32_e32 v1, 0xff00000, v1
	s_mov_b32 s12, 0x7f00000
	v_mov_b32_e32 v7, 0x7e
	v_cmp_ne_u32_e32 vcc, s12, v1
	v_cndmask_b32_e32 v1, v7, v6, vcc
; %bb.1475:
	s_andn2_saveexec_b64 s[10:11], s[10:11]
; %bb.1476:
	s_mov_b32 s12, 0x46800000
	v_add_f32_e64 v1, |v0|, s12
; %bb.1477:
	s_or_b64 exec, exec, s[10:11]
                                        ; implicit-def: $vgpr6
.LBB203_1478:
	s_andn2_saveexec_b64 s[8:9], s[8:9]
; %bb.1479:
	s_mov_b32 s10, 0x7f800000
	v_mov_b32_e32 v1, 0x7e
	v_mov_b32_e32 v7, 0x7f
	v_cmp_lt_u32_e32 vcc, s10, v6
	v_cndmask_b32_e32 v1, v1, v7, vcc
; %bb.1480:
	s_or_b64 exec, exec, s[8:9]
	v_lshrrev_b32_e32 v0, 24, v0
	s_movk_i32 s8, 0x80
	v_and_or_b32 v0, v0, s8, v1
	global_store_byte v[4:5], v0, off
.LBB203_1481:
	s_mov_b64 s[8:9], 0
.LBB203_1482:
	s_andn2_b64 vcc, exec, s[8:9]
	s_cbranch_vccnz .LBB203_1492
; %bb.1483:
	v_cvt_f32_f16_e32 v0, v2
	s_mov_b32 s8, 0x47800000
                                        ; implicit-def: $vgpr1
	v_and_b32_e32 v6, 0x7fffffff, v0
	v_cmp_gt_u32_e32 vcc, s8, v6
	s_and_saveexec_b64 s[8:9], vcc
	s_xor_b64 s[8:9], exec, s[8:9]
	s_cbranch_execz .LBB203_1489
; %bb.1484:
	s_mov_b32 s10, 0x387fffff
	v_cmp_lt_u32_e32 vcc, s10, v6
                                        ; implicit-def: $vgpr1
	s_and_saveexec_b64 s[10:11], vcc
	s_xor_b64 s[10:11], exec, s[10:11]
; %bb.1485:
	v_bfe_u32 v1, v0, 21, 1
	s_mov_b32 s12, 0x80fffff
	v_add3_u32 v1, v0, v1, s12
	v_lshrrev_b32_e32 v1, 21, v1
; %bb.1486:
	s_andn2_saveexec_b64 s[10:11], s[10:11]
; %bb.1487:
	s_mov_b32 s12, 0x43000000
	v_add_f32_e64 v1, |v0|, s12
; %bb.1488:
	s_or_b64 exec, exec, s[10:11]
                                        ; implicit-def: $vgpr6
.LBB203_1489:
	s_andn2_saveexec_b64 s[8:9], s[8:9]
; %bb.1490:
	s_mov_b32 s10, 0x7f800000
	v_mov_b32_e32 v1, 0x7c
	v_mov_b32_e32 v7, 0x7f
	v_cmp_lt_u32_e32 vcc, s10, v6
	v_cndmask_b32_e32 v1, v1, v7, vcc
; %bb.1491:
	s_or_b64 exec, exec, s[8:9]
	v_lshrrev_b32_e32 v0, 24, v0
	s_movk_i32 s8, 0x80
	v_and_or_b32 v0, v0, s8, v1
	global_store_byte v[4:5], v0, off
.LBB203_1492:
	s_mov_b64 s[8:9], 0
.LBB203_1493:
	s_andn2_b64 vcc, exec, s[8:9]
	s_mov_b64 s[8:9], 0
	s_cbranch_vccnz .LBB203_1501
; %bb.1494:
	v_cmp_lt_i16_e32 vcc, 14, v3
	s_mov_b64 s[10:11], -1
	s_cbranch_vccz .LBB203_1498
; %bb.1495:
	v_cmp_eq_u16_e32 vcc, 15, v3
	s_mov_b64 s[4:5], -1
	s_cbranch_vccz .LBB203_1497
; %bb.1496:
	v_cvt_f32_f16_e32 v0, v2
	s_movk_i32 s4, 0x7fff
	v_mov_b32_e32 v1, 0x7fc0
	v_cmp_o_f16_e32 vcc, v2, v2
	v_bfe_u32 v6, v0, 16, 1
	v_add3_u32 v0, v0, v6, s4
	v_lshrrev_b32_e32 v0, 16, v0
	v_cndmask_b32_e32 v0, v1, v0, vcc
	global_store_short v[4:5], v0, off
	s_mov_b64 s[4:5], 0
.LBB203_1497:
	s_mov_b64 s[10:11], 0
.LBB203_1498:
	s_and_b64 vcc, exec, s[10:11]
	s_cbranch_vccz .LBB203_1501
; %bb.1499:
	v_cmp_ne_u16_e32 vcc, 11, v3
	s_andn2_b64 s[4:5], s[4:5], exec
	s_and_b64 s[10:11], vcc, exec
	s_mov_b64 s[8:9], -1
	s_or_b64 s[4:5], s[4:5], s[10:11]
	s_branch .LBB203_1501
.LBB203_1500:
	s_mov_b64 s[8:9], 0
.LBB203_1501:
	s_andn2_b64 s[10:11], s[40:41], exec
	s_and_b64 s[4:5], s[4:5], exec
	s_and_b64 s[6:7], s[6:7], exec
	;; [unrolled: 1-line block ×3, first 2 shown]
	s_or_b64 s[40:41], s[10:11], s[4:5]
	s_or_b64 exec, exec, s[42:43]
	s_and_saveexec_b64 s[4:5], s[40:41]
	s_cbranch_execz .LBB203_1440
.LBB203_1502:
	s_or_b64 s[46:47], s[46:47], exec
	s_andn2_b64 s[8:9], s[8:9], exec
	s_trap 2
	s_or_b64 exec, exec, s[4:5]
	s_and_saveexec_b64 s[4:5], s[8:9]
	s_xor_b64 s[4:5], exec, s[4:5]
	s_cbranch_execnz .LBB203_1441
.LBB203_1503:
	s_or_b64 exec, exec, s[4:5]
	s_and_saveexec_b64 s[4:5], s[6:7]
	s_xor_b64 s[4:5], exec, s[4:5]
	s_cbranch_execz .LBB203_1541
.LBB203_1504:
	v_cmp_gt_i16_e32 vcc, 5, v3
	s_mov_b64 s[6:7], -1
	s_cbranch_vccnz .LBB203_1525
; %bb.1505:
	v_cmp_gt_i16_e32 vcc, 8, v3
	s_cbranch_vccnz .LBB203_1515
; %bb.1506:
	v_cmp_gt_i16_e32 vcc, 9, v3
	s_cbranch_vccnz .LBB203_1512
; %bb.1507:
	v_cmp_lt_i16_e32 vcc, 9, v3
	s_cbranch_vccz .LBB203_1509
; %bb.1508:
	s_waitcnt vmcnt(0)
	v_cvt_f32_f16_e32 v0, v2
	v_mov_b32_e32 v8, 0
	v_mov_b32_e32 v9, v8
	s_mov_b64 s[6:7], 0
	v_cvt_f64_f32_e32 v[6:7], v0
	global_store_dwordx4 v[4:5], v[6:9], off
.LBB203_1509:
	s_andn2_b64 vcc, exec, s[6:7]
	s_cbranch_vccnz .LBB203_1511
; %bb.1510:
	s_waitcnt vmcnt(0)
	v_cvt_f32_f16_e32 v0, v2
	v_mov_b32_e32 v1, 0
	global_store_dwordx2 v[4:5], v[0:1], off
.LBB203_1511:
	s_mov_b64 s[6:7], 0
.LBB203_1512:
	s_andn2_b64 vcc, exec, s[6:7]
	s_cbranch_vccnz .LBB203_1514
; %bb.1513:
	s_waitcnt vmcnt(0)
	v_and_b32_e32 v0, 0xffff, v2
	global_store_dword v[4:5], v0, off
.LBB203_1514:
	s_mov_b64 s[6:7], 0
.LBB203_1515:
	s_andn2_b64 vcc, exec, s[6:7]
	s_cbranch_vccnz .LBB203_1524
; %bb.1516:
	v_cmp_gt_i16_e32 vcc, 6, v3
	s_mov_b64 s[6:7], -1
	s_cbranch_vccnz .LBB203_1522
; %bb.1517:
	v_cmp_lt_i16_e32 vcc, 6, v3
	s_cbranch_vccz .LBB203_1519
; %bb.1518:
	s_waitcnt vmcnt(0)
	v_cvt_f32_f16_e32 v0, v2
	s_mov_b64 s[6:7], 0
	v_cvt_f64_f32_e32 v[0:1], v0
	global_store_dwordx2 v[4:5], v[0:1], off
.LBB203_1519:
	s_andn2_b64 vcc, exec, s[6:7]
	s_cbranch_vccnz .LBB203_1521
; %bb.1520:
	s_waitcnt vmcnt(0)
	v_cvt_f32_f16_e32 v0, v2
	global_store_dword v[4:5], v0, off
.LBB203_1521:
	s_mov_b64 s[6:7], 0
.LBB203_1522:
	s_andn2_b64 vcc, exec, s[6:7]
	s_cbranch_vccnz .LBB203_1524
; %bb.1523:
	global_store_short v[4:5], v2, off
.LBB203_1524:
	s_mov_b64 s[6:7], 0
.LBB203_1525:
	s_andn2_b64 vcc, exec, s[6:7]
	s_cbranch_vccnz .LBB203_1541
; %bb.1526:
	v_cmp_gt_i16_e32 vcc, 2, v3
	s_mov_b64 s[6:7], -1
	s_cbranch_vccnz .LBB203_1536
; %bb.1527:
	v_cmp_gt_i16_e32 vcc, 3, v3
	s_cbranch_vccnz .LBB203_1533
; %bb.1528:
	v_cmp_lt_i16_e32 vcc, 3, v3
	s_cbranch_vccz .LBB203_1530
; %bb.1529:
	s_waitcnt vmcnt(0)
	v_cvt_f32_f16_e32 v0, v2
	s_mov_b64 s[6:7], 0
	v_cvt_i32_f32_e32 v0, v0
	v_ashrrev_i32_e32 v1, 31, v0
	global_store_dwordx2 v[4:5], v[0:1], off
.LBB203_1530:
	s_andn2_b64 vcc, exec, s[6:7]
	s_cbranch_vccnz .LBB203_1532
; %bb.1531:
	s_waitcnt vmcnt(0)
	v_cvt_f32_f16_e32 v0, v2
	v_cvt_i32_f32_e32 v0, v0
	global_store_dword v[4:5], v0, off
.LBB203_1532:
	s_mov_b64 s[6:7], 0
.LBB203_1533:
	s_andn2_b64 vcc, exec, s[6:7]
	s_cbranch_vccnz .LBB203_1535
; %bb.1534:
	s_waitcnt vmcnt(0)
	v_cvt_i16_f16_e32 v0, v2
	global_store_short v[4:5], v0, off
.LBB203_1535:
	s_mov_b64 s[6:7], 0
.LBB203_1536:
	s_andn2_b64 vcc, exec, s[6:7]
	s_cbranch_vccnz .LBB203_1541
; %bb.1537:
	v_cmp_lt_i16_e32 vcc, 0, v3
	s_mov_b64 s[6:7], -1
	s_cbranch_vccz .LBB203_1539
; %bb.1538:
	s_waitcnt vmcnt(0)
	v_cvt_i16_f16_e32 v0, v2
	s_mov_b64 s[6:7], 0
	global_store_byte v[4:5], v0, off
.LBB203_1539:
	s_andn2_b64 vcc, exec, s[6:7]
	s_cbranch_vccnz .LBB203_1541
; %bb.1540:
	s_waitcnt vmcnt(0)
	v_cvt_f32_f16_e32 v0, v2
	v_cvt_i32_f32_e32 v0, v0
	global_store_byte v[4:5], v0, off
.LBB203_1541:
	s_or_b64 exec, exec, s[4:5]
	s_and_b64 s[40:41], s[46:47], exec
                                        ; implicit-def: $vgpr37
                                        ; implicit-def: $vgpr35
                                        ; implicit-def: $vgpr38
                                        ; implicit-def: $vgpr36
.LBB203_1542:
	s_or_saveexec_b64 s[34:35], s[34:35]
	s_mov_b64 s[4:5], 0
                                        ; implicit-def: $vgpr1
                                        ; implicit-def: $vgpr2_vgpr3
                                        ; implicit-def: $vgpr0
	s_xor_b64 exec, exec, s[34:35]
	s_cbranch_execz .LBB203_3032
; %bb.1543:
	v_mul_lo_u32 v5, s37, v37
	s_waitcnt vmcnt(0)
	v_ashrrev_i32_e32 v0, 31, v5
	v_mov_b32_e32 v1, s27
	v_add_co_u32_e32 v2, vcc, s26, v5
	v_addc_co_u32_e32 v3, vcc, v1, v0, vcc
	v_mov_b32_e32 v0, 11
	v_cmp_lt_i16_sdwa s[4:5], v35, v0 src0_sel:BYTE_0 src1_sel:DWORD
	s_and_b64 vcc, exec, s[4:5]
	s_cbranch_vccnz .LBB203_1550
; %bb.1544:
	v_mov_b32_e32 v0, 25
	v_cmp_gt_i16_sdwa s[4:5], v35, v0 src0_sel:BYTE_0 src1_sel:DWORD
	s_mov_b64 s[6:7], 0
	s_and_b64 vcc, exec, s[4:5]
	s_cbranch_vccz .LBB203_1552
; %bb.1545:
	v_mov_b32_e32 v0, 28
	v_cmp_gt_i16_sdwa s[4:5], v35, v0 src0_sel:BYTE_0 src1_sel:DWORD
	s_and_b64 vcc, exec, s[4:5]
	s_cbranch_vccz .LBB203_1553
; %bb.1546:
	v_mov_b32_e32 v0, 43
	v_cmp_gt_i16_sdwa s[4:5], v35, v0 src0_sel:BYTE_0 src1_sel:DWORD
	;; [unrolled: 5-line block ×3, first 2 shown]
	s_and_b64 vcc, exec, s[4:5]
	s_cbranch_vccz .LBB203_1555
; %bb.1548:
	v_mov_b32_e32 v0, 46
	v_cmp_eq_u16_sdwa s[4:5], v35, v0 src0_sel:BYTE_0 src1_sel:DWORD
	s_mov_b64 s[10:11], 0
	s_and_b64 vcc, exec, s[4:5]
	s_cbranch_vccz .LBB203_1558
; %bb.1549:
	global_load_dword v0, v[2:3], off
	s_mov_b64 s[4:5], 0
	s_mov_b64 s[8:9], -1
	s_waitcnt vmcnt(0)
	v_lshlrev_b32_e32 v0, 16, v0
	v_cvt_f16_f32_e32 v0, v0
	s_branch .LBB203_1559
.LBB203_1550:
	s_mov_b64 s[8:9], 0
                                        ; implicit-def: $vgpr0
	s_mov_b64 s[42:43], s[40:41]
	s_cbranch_execnz .LBB203_1622
.LBB203_1551:
	s_andn2_b64 vcc, exec, s[8:9]
	s_cbranch_vccz .LBB203_1667
	s_branch .LBB203_3030
.LBB203_1552:
	s_mov_b64 s[8:9], 0
	s_mov_b64 s[4:5], 0
                                        ; implicit-def: $vgpr0
	s_cbranch_execnz .LBB203_1587
	s_branch .LBB203_1618
.LBB203_1553:
	s_mov_b64 s[10:11], -1
	s_mov_b64 s[8:9], 0
	s_mov_b64 s[4:5], 0
                                        ; implicit-def: $vgpr0
	s_branch .LBB203_1568
.LBB203_1554:
	s_mov_b64 s[8:9], 0
	s_mov_b64 s[4:5], 0
                                        ; implicit-def: $vgpr0
	s_cbranch_execnz .LBB203_1564
	s_branch .LBB203_1567
.LBB203_1555:
	s_mov_b64 s[10:11], -1
	s_mov_b64 s[8:9], 0
	s_mov_b64 s[4:5], 0
                                        ; implicit-def: $vgpr0
	s_branch .LBB203_1559
.LBB203_1556:
	s_or_saveexec_b64 s[10:11], s[10:11]
                                        ; implicit-def: $sgpr12
	s_xor_b64 exec, exec, s[10:11]
	s_cbranch_execz .LBB203_1455
.LBB203_1557:
	s_mov_b32 s12, 0x46000000
	v_add_f32_e64 v1, |v0|, s12
	v_and_b32_e32 v1, 0xff, v1
	v_cmp_ne_u32_e32 vcc, 0, v1
	s_andn2_b64 s[8:9], s[8:9], exec
	s_and_b64 s[14:15], vcc, exec
	s_mov_b32 s12, 0
	s_or_b64 s[8:9], s[8:9], s[14:15]
	s_or_b64 exec, exec, s[10:11]
	v_mov_b32_e32 v6, s12
	s_and_saveexec_b64 s[10:11], s[8:9]
	s_cbranch_execnz .LBB203_1456
	s_branch .LBB203_1457
.LBB203_1558:
	s_mov_b64 s[4:5], -1
                                        ; implicit-def: $vgpr0
	s_mov_b64 s[8:9], 0
.LBB203_1559:
	s_and_b64 vcc, exec, s[10:11]
	s_cbranch_vccz .LBB203_1562
; %bb.1560:
	v_mov_b32_e32 v0, 44
	v_cmp_eq_u16_sdwa s[4:5], v35, v0 src0_sel:BYTE_0 src1_sel:DWORD
	s_and_b64 vcc, exec, s[4:5]
	s_cbranch_vccz .LBB203_1563
; %bb.1561:
	global_load_ubyte v0, v[2:3], off
	s_movk_i32 s8, 0xff
	v_mov_b32_e32 v4, 0x7e00
	s_mov_b64 s[4:5], 0
	s_waitcnt vmcnt(0)
	v_lshlrev_b32_e32 v1, 23, v0
	v_cvt_f16_f32_e32 v1, v1
	v_cmp_ne_u32_e32 vcc, s8, v0
	s_mov_b64 s[8:9], -1
	v_cndmask_b32_e32 v1, v4, v1, vcc
	v_cmp_ne_u32_e32 vcc, 0, v0
	v_cndmask_b32_e32 v0, 0, v1, vcc
.LBB203_1562:
	s_branch .LBB203_1567
.LBB203_1563:
	s_mov_b64 s[4:5], -1
                                        ; implicit-def: $vgpr0
	s_branch .LBB203_1567
.LBB203_1564:
	v_mov_b32_e32 v0, 29
	v_cmp_eq_u16_sdwa s[4:5], v35, v0 src0_sel:BYTE_0 src1_sel:DWORD
	s_and_b64 vcc, exec, s[4:5]
	s_cbranch_vccz .LBB203_1566
; %bb.1565:
	global_load_dwordx2 v[0:1], v[2:3], off
	s_mov_b64 s[4:5], 0
	s_mov_b64 s[8:9], -1
	s_mov_b64 s[10:11], 0
	s_waitcnt vmcnt(0)
	v_ffbh_u32_e32 v4, v1
	v_min_u32_e32 v4, 32, v4
	v_lshlrev_b64 v[0:1], v4, v[0:1]
	v_min_u32_e32 v0, 1, v0
	v_or_b32_e32 v0, v1, v0
	v_cvt_f32_u32_e32 v0, v0
	v_sub_u32_e32 v1, 32, v4
	v_ldexp_f32 v0, v0, v1
	v_cvt_f16_f32_e32 v0, v0
	s_branch .LBB203_1568
.LBB203_1566:
	s_mov_b64 s[4:5], -1
                                        ; implicit-def: $vgpr0
.LBB203_1567:
	s_mov_b64 s[10:11], 0
.LBB203_1568:
	s_and_b64 vcc, exec, s[10:11]
	s_cbranch_vccz .LBB203_1586
; %bb.1569:
	v_mov_b32_e32 v0, 27
	v_cmp_lt_i16_sdwa s[8:9], v35, v0 src0_sel:BYTE_0 src1_sel:DWORD
	s_and_b64 vcc, exec, s[8:9]
	s_cbranch_vccnz .LBB203_1572
; %bb.1570:
	v_cmp_gt_i16_sdwa s[8:9], v35, v0 src0_sel:BYTE_0 src1_sel:DWORD
	s_and_b64 vcc, exec, s[8:9]
	s_cbranch_vccz .LBB203_1573
; %bb.1571:
	global_load_dword v0, v[2:3], off
	s_mov_b64 s[8:9], 0
	s_waitcnt vmcnt(0)
	v_cvt_f32_u32_e32 v0, v0
	v_cvt_f16_f32_e32 v0, v0
	s_branch .LBB203_1574
.LBB203_1572:
	s_mov_b64 s[8:9], -1
                                        ; implicit-def: $vgpr0
	s_branch .LBB203_1577
.LBB203_1573:
	s_mov_b64 s[8:9], -1
                                        ; implicit-def: $vgpr0
.LBB203_1574:
	s_andn2_b64 vcc, exec, s[8:9]
	s_cbranch_vccnz .LBB203_1576
; %bb.1575:
	global_load_ushort v0, v[2:3], off
	s_waitcnt vmcnt(0)
	v_cvt_f16_u16_e32 v0, v0
.LBB203_1576:
	s_mov_b64 s[8:9], 0
.LBB203_1577:
	s_andn2_b64 vcc, exec, s[8:9]
	s_cbranch_vccnz .LBB203_1585
; %bb.1578:
	global_load_ubyte v1, v[2:3], off
	s_movk_i32 s8, 0x7f
                                        ; implicit-def: $sgpr14
	s_waitcnt vmcnt(0)
	v_cmp_lt_i16_e32 vcc, s8, v1
	s_mov_b64 s[8:9], 0
	s_and_saveexec_b64 s[10:11], vcc
	s_xor_b64 s[10:11], exec, s[10:11]
	s_cbranch_execz .LBB203_1598
; %bb.1579:
	s_movk_i32 s8, 0x80
	v_cmp_eq_u16_e32 vcc, s8, v1
	s_mov_b64 s[8:9], -1
                                        ; implicit-def: $sgpr14
	s_and_saveexec_b64 s[12:13], vcc
; %bb.1580:
	s_movk_i32 s14, 0x7e00
	s_xor_b64 s[8:9], exec, -1
; %bb.1581:
	s_or_b64 exec, exec, s[12:13]
	s_and_b64 s[8:9], s[8:9], exec
	s_or_saveexec_b64 s[10:11], s[10:11]
	v_mov_b32_e32 v0, s14
	s_xor_b64 exec, exec, s[10:11]
	s_cbranch_execnz .LBB203_1599
.LBB203_1582:
	s_or_b64 exec, exec, s[10:11]
	s_and_saveexec_b64 s[10:11], s[8:9]
	s_cbranch_execz .LBB203_1584
.LBB203_1583:
	v_lshlrev_b32_e32 v0, 24, v1
	v_and_b32_e32 v1, 0xffff, v1
	v_and_b32_e32 v4, 7, v1
	v_ffbh_u32_e32 v7, v4
	v_min_u32_e32 v7, 32, v7
	v_subrev_u32_e32 v8, 28, v7
	v_bfe_u32 v6, v1, 3, 4
	v_lshlrev_b32_e32 v1, v8, v1
	v_sub_u32_e32 v7, 29, v7
	v_and_b32_e32 v1, 7, v1
	v_cmp_eq_u32_e32 vcc, 0, v6
	v_cndmask_b32_e32 v6, v6, v7, vcc
	v_cndmask_b32_e32 v1, v4, v1, vcc
	v_mov_b32_e32 v4, 0x3b800000
	v_lshlrev_b32_e32 v1, 20, v1
	v_and_b32_e32 v0, 0x80000000, v0
	v_lshl_add_u32 v4, v6, 23, v4
	v_or3_b32 v0, v0, v4, v1
	v_cvt_f16_f32_e32 v0, v0
.LBB203_1584:
	s_or_b64 exec, exec, s[10:11]
.LBB203_1585:
	s_mov_b64 s[8:9], -1
.LBB203_1586:
	s_branch .LBB203_1618
.LBB203_1587:
	v_mov_b32_e32 v0, 22
	v_cmp_gt_i16_sdwa s[6:7], v35, v0 src0_sel:BYTE_0 src1_sel:DWORD
	s_and_b64 vcc, exec, s[6:7]
	s_cbranch_vccz .LBB203_1597
; %bb.1588:
	v_mov_b32_e32 v0, 24
	v_cmp_lt_i16_sdwa s[6:7], v35, v0 src0_sel:BYTE_0 src1_sel:DWORD
	s_and_b64 vcc, exec, s[6:7]
	s_cbranch_vccnz .LBB203_1600
; %bb.1589:
	v_cmp_gt_i16_sdwa s[6:7], v35, v0 src0_sel:BYTE_0 src1_sel:DWORD
	s_and_b64 vcc, exec, s[6:7]
	s_cbranch_vccz .LBB203_1601
; %bb.1590:
	global_load_ubyte v1, v[2:3], off
	s_movk_i32 s6, 0x7f
                                        ; implicit-def: $sgpr12
	s_waitcnt vmcnt(0)
	v_cmp_lt_i16_e32 vcc, s6, v1
	s_mov_b64 s[6:7], 0
	s_and_saveexec_b64 s[8:9], vcc
	s_xor_b64 s[8:9], exec, s[8:9]
	s_cbranch_execz .LBB203_1612
; %bb.1591:
	s_movk_i32 s6, 0x80
	v_cmp_eq_u16_e32 vcc, s6, v1
	s_mov_b64 s[6:7], -1
                                        ; implicit-def: $sgpr12
	s_and_saveexec_b64 s[10:11], vcc
; %bb.1592:
	s_movk_i32 s12, 0x7e00
	s_xor_b64 s[6:7], exec, -1
; %bb.1593:
	s_or_b64 exec, exec, s[10:11]
	s_and_b64 s[6:7], s[6:7], exec
	s_or_saveexec_b64 s[8:9], s[8:9]
	v_mov_b32_e32 v0, s12
	s_xor_b64 exec, exec, s[8:9]
	s_cbranch_execnz .LBB203_1613
.LBB203_1594:
	s_or_b64 exec, exec, s[8:9]
	s_and_saveexec_b64 s[8:9], s[6:7]
	s_cbranch_execz .LBB203_1596
.LBB203_1595:
	v_lshlrev_b32_e32 v0, 24, v1
	v_and_b32_e32 v1, 0xffff, v1
	v_and_b32_e32 v4, 3, v1
	v_ffbh_u32_e32 v7, v4
	v_min_u32_e32 v7, 32, v7
	v_subrev_u32_e32 v8, 29, v7
	v_bfe_u32 v6, v1, 2, 5
	v_lshlrev_b32_e32 v1, v8, v1
	v_sub_u32_e32 v7, 30, v7
	v_and_b32_e32 v1, 3, v1
	v_cmp_eq_u32_e32 vcc, 0, v6
	v_cndmask_b32_e32 v6, v6, v7, vcc
	v_cndmask_b32_e32 v1, v4, v1, vcc
	v_mov_b32_e32 v4, 0x37800000
	v_lshlrev_b32_e32 v1, 21, v1
	v_and_b32_e32 v0, 0x80000000, v0
	v_lshl_add_u32 v4, v6, 23, v4
	v_or3_b32 v0, v0, v4, v1
	v_cvt_f16_f32_e32 v0, v0
.LBB203_1596:
	s_or_b64 exec, exec, s[8:9]
	s_mov_b64 s[6:7], 0
	s_branch .LBB203_1602
.LBB203_1597:
                                        ; implicit-def: $vgpr0
	s_mov_b64 s[6:7], 0
	s_branch .LBB203_1608
.LBB203_1598:
	s_or_saveexec_b64 s[10:11], s[10:11]
	v_mov_b32_e32 v0, s14
	s_xor_b64 exec, exec, s[10:11]
	s_cbranch_execz .LBB203_1582
.LBB203_1599:
	v_cmp_ne_u16_e32 vcc, 0, v1
	s_andn2_b64 s[8:9], s[8:9], exec
	s_and_b64 s[12:13], vcc, exec
	s_or_b64 s[8:9], s[8:9], s[12:13]
	v_mov_b32_e32 v0, v1
	s_or_b64 exec, exec, s[10:11]
	s_and_saveexec_b64 s[10:11], s[8:9]
	s_cbranch_execnz .LBB203_1583
	s_branch .LBB203_1584
.LBB203_1600:
	s_mov_b64 s[6:7], -1
                                        ; implicit-def: $vgpr0
	s_branch .LBB203_1605
.LBB203_1601:
	s_mov_b64 s[6:7], -1
                                        ; implicit-def: $vgpr0
.LBB203_1602:
	s_and_b64 vcc, exec, s[6:7]
	s_cbranch_vccz .LBB203_1604
; %bb.1603:
	global_load_ubyte v0, v[2:3], off
	s_mov_b32 s6, 0x7f800000
	s_waitcnt vmcnt(0)
	v_lshlrev_b32_e32 v0, 24, v0
	v_and_b32_e32 v1, 0x7f000000, v0
	v_ffbh_u32_e32 v4, v1
	v_min_u32_e32 v4, 32, v4
	v_sub_u32_e64 v4, v4, 4 clamp
	v_lshlrev_b32_e32 v7, v4, v1
	v_lshlrev_b32_e32 v4, 23, v4
	v_lshrrev_b32_e32 v7, 4, v7
	v_add_u32_e32 v6, 0x1000000, v1
	v_sub_u32_e32 v4, v7, v4
	v_ashrrev_i32_e32 v6, 8, v6
	v_add_u32_e32 v4, 0x3c000000, v4
	v_and_or_b32 v4, v6, s6, v4
	v_cmp_ne_u32_e32 vcc, 0, v1
	v_cndmask_b32_e32 v1, 0, v4, vcc
	s_brev_b32 s6, 1
	v_and_or_b32 v0, v0, s6, v1
	v_cvt_f16_f32_e32 v0, v0
.LBB203_1604:
	s_mov_b64 s[6:7], 0
.LBB203_1605:
	s_andn2_b64 vcc, exec, s[6:7]
	s_cbranch_vccnz .LBB203_1607
; %bb.1606:
	global_load_ubyte v0, v[2:3], off
	s_movk_i32 s6, 0x7f00
	s_brev_b32 s7, 16
	s_waitcnt vmcnt(0)
	v_lshlrev_b16_e32 v1, 8, v0
	v_lshlrev_b32_e32 v0, 25, v0
	v_lshrrev_b32_e32 v4, 4, v0
	v_and_or_b32 v6, v1, s6, 0.5
	v_or_b32_e32 v4, 0x70000000, v4
	v_add_f32_e32 v6, -0.5, v6
	v_mul_f32_e32 v4, 0x7800000, v4
	v_cmp_gt_u32_e32 vcc, s7, v0
	v_bfe_i32 v1, v1, 0, 16
	v_cndmask_b32_e32 v0, v4, v6, vcc
	s_brev_b32 s6, 1
	v_and_or_b32 v0, v1, s6, v0
	v_cvt_f16_f32_e32 v0, v0
.LBB203_1607:
	s_mov_b64 s[8:9], -1
	s_mov_b64 s[6:7], 0
	s_cbranch_execnz .LBB203_1618
.LBB203_1608:
	v_mov_b32_e32 v0, 14
	v_cmp_gt_i16_sdwa s[6:7], v35, v0 src0_sel:BYTE_0 src1_sel:DWORD
	s_and_b64 vcc, exec, s[6:7]
	s_cbranch_vccz .LBB203_1611
; %bb.1609:
	v_mov_b32_e32 v0, 15
	v_cmp_eq_u16_sdwa s[4:5], v35, v0 src0_sel:BYTE_0 src1_sel:DWORD
	s_and_b64 vcc, exec, s[4:5]
	s_cbranch_vccz .LBB203_1614
; %bb.1610:
	global_load_ushort v0, v[2:3], off
	s_mov_b64 s[4:5], 0
	s_mov_b64 s[8:9], -1
	s_waitcnt vmcnt(0)
	v_lshlrev_b32_e32 v0, 16, v0
	v_cvt_f16_f32_e32 v0, v0
	s_branch .LBB203_1615
.LBB203_1611:
	s_mov_b64 s[10:11], -1
                                        ; implicit-def: $vgpr0
	s_branch .LBB203_1616
.LBB203_1612:
	s_or_saveexec_b64 s[8:9], s[8:9]
	v_mov_b32_e32 v0, s12
	s_xor_b64 exec, exec, s[8:9]
	s_cbranch_execz .LBB203_1594
.LBB203_1613:
	v_cmp_ne_u16_e32 vcc, 0, v1
	s_andn2_b64 s[6:7], s[6:7], exec
	s_and_b64 s[10:11], vcc, exec
	s_or_b64 s[6:7], s[6:7], s[10:11]
	v_mov_b32_e32 v0, v1
	s_or_b64 exec, exec, s[8:9]
	s_and_saveexec_b64 s[8:9], s[6:7]
	s_cbranch_execnz .LBB203_1595
	s_branch .LBB203_1596
.LBB203_1614:
	s_mov_b64 s[4:5], -1
                                        ; implicit-def: $vgpr0
.LBB203_1615:
	s_mov_b64 s[10:11], 0
.LBB203_1616:
	s_mov_b64 s[6:7], 0
	s_and_b64 vcc, exec, s[10:11]
	s_cbranch_vccz .LBB203_1618
; %bb.1617:
	v_mov_b32_e32 v0, 11
	v_cmp_ne_u16_sdwa s[4:5], v35, v0 src0_sel:BYTE_0 src1_sel:DWORD
	s_mov_b64 s[6:7], -1
                                        ; implicit-def: $vgpr0
.LBB203_1618:
	s_and_b64 vcc, exec, s[4:5]
	s_mov_b64 s[42:43], s[40:41]
	s_cbranch_vccnz .LBB203_1679
; %bb.1619:
	s_andn2_b64 vcc, exec, s[6:7]
	s_cbranch_vccnz .LBB203_1621
.LBB203_1620:
	global_load_ubyte v0, v[2:3], off
	v_mov_b32_e32 v1, 0x3c00
	s_mov_b64 s[8:9], -1
	s_waitcnt vmcnt(0)
	v_cmp_ne_u16_e32 vcc, 0, v0
	v_cndmask_b32_e32 v0, 0, v1, vcc
.LBB203_1621:
	s_branch .LBB203_1551
.LBB203_1622:
	v_mov_b32_e32 v0, 5
	v_cmp_lt_i16_sdwa s[4:5], v35, v0 src0_sel:BYTE_0 src1_sel:DWORD
	s_and_b64 vcc, exec, s[4:5]
	s_cbranch_vccnz .LBB203_1627
; %bb.1623:
	v_mov_b32_e32 v0, 8
	v_cmp_lt_i16_sdwa s[4:5], v35, v0 src0_sel:BYTE_0 src1_sel:DWORD
	s_and_b64 vcc, exec, s[4:5]
	s_cbranch_vccnz .LBB203_1628
; %bb.1624:
	;; [unrolled: 5-line block ×3, first 2 shown]
	v_cmp_gt_i16_sdwa s[4:5], v35, v0 src0_sel:BYTE_0 src1_sel:DWORD
	s_and_b64 vcc, exec, s[4:5]
	s_cbranch_vccz .LBB203_1630
; %bb.1626:
	global_load_dwordx2 v[0:1], v[2:3], off
	s_mov_b64 s[4:5], 0
	s_waitcnt vmcnt(0)
	v_cvt_f32_f64_e32 v0, v[0:1]
	v_cvt_f16_f32_e32 v0, v0
	s_branch .LBB203_1631
.LBB203_1627:
                                        ; implicit-def: $vgpr0
	s_branch .LBB203_1648
.LBB203_1628:
                                        ; implicit-def: $vgpr0
	s_branch .LBB203_1637
.LBB203_1629:
	s_mov_b64 s[4:5], -1
                                        ; implicit-def: $vgpr0
	s_branch .LBB203_1634
.LBB203_1630:
	s_mov_b64 s[4:5], -1
                                        ; implicit-def: $vgpr0
.LBB203_1631:
	s_andn2_b64 vcc, exec, s[4:5]
	s_cbranch_vccnz .LBB203_1633
; %bb.1632:
	global_load_dword v0, v[2:3], off
	s_waitcnt vmcnt(0)
	v_cvt_f16_f32_e32 v0, v0
.LBB203_1633:
	s_mov_b64 s[4:5], 0
.LBB203_1634:
	s_andn2_b64 vcc, exec, s[4:5]
	s_cbranch_vccnz .LBB203_1636
; %bb.1635:
	global_load_dword v0, v[2:3], off
.LBB203_1636:
	s_cbranch_execnz .LBB203_1647
.LBB203_1637:
	s_waitcnt vmcnt(0)
	v_mov_b32_e32 v0, 6
	v_cmp_lt_i16_sdwa s[4:5], v35, v0 src0_sel:BYTE_0 src1_sel:DWORD
	s_and_b64 vcc, exec, s[4:5]
	s_cbranch_vccnz .LBB203_1640
; %bb.1638:
	v_cmp_gt_i16_sdwa s[4:5], v35, v0 src0_sel:BYTE_0 src1_sel:DWORD
	s_and_b64 vcc, exec, s[4:5]
	s_cbranch_vccz .LBB203_1641
; %bb.1639:
	global_load_dwordx2 v[0:1], v[2:3], off
	s_mov_b64 s[4:5], 0
	s_waitcnt vmcnt(0)
	v_cvt_f32_f64_e32 v0, v[0:1]
	v_cvt_f16_f32_e32 v0, v0
	s_branch .LBB203_1642
.LBB203_1640:
	s_mov_b64 s[4:5], -1
                                        ; implicit-def: $vgpr0
	s_branch .LBB203_1645
.LBB203_1641:
	s_mov_b64 s[4:5], -1
                                        ; implicit-def: $vgpr0
.LBB203_1642:
	s_andn2_b64 vcc, exec, s[4:5]
	s_cbranch_vccnz .LBB203_1644
; %bb.1643:
	global_load_dword v0, v[2:3], off
	s_waitcnt vmcnt(0)
	v_cvt_f16_f32_e32 v0, v0
.LBB203_1644:
	s_mov_b64 s[4:5], 0
.LBB203_1645:
	s_andn2_b64 vcc, exec, s[4:5]
	s_cbranch_vccnz .LBB203_1647
; %bb.1646:
	global_load_ushort v0, v[2:3], off
.LBB203_1647:
	s_cbranch_execnz .LBB203_1666
.LBB203_1648:
	s_waitcnt vmcnt(0)
	v_mov_b32_e32 v0, 2
	v_cmp_lt_i16_sdwa s[4:5], v35, v0 src0_sel:BYTE_0 src1_sel:DWORD
	s_and_b64 vcc, exec, s[4:5]
	s_cbranch_vccnz .LBB203_1652
; %bb.1649:
	v_mov_b32_e32 v0, 3
	v_cmp_lt_i16_sdwa s[4:5], v35, v0 src0_sel:BYTE_0 src1_sel:DWORD
	s_and_b64 vcc, exec, s[4:5]
	s_cbranch_vccnz .LBB203_1653
; %bb.1650:
	v_cmp_gt_i16_sdwa s[4:5], v35, v0 src0_sel:BYTE_0 src1_sel:DWORD
	s_and_b64 vcc, exec, s[4:5]
	s_cbranch_vccz .LBB203_1654
; %bb.1651:
	global_load_dwordx2 v[0:1], v[2:3], off
	s_mov_b64 s[4:5], 0
	s_waitcnt vmcnt(0)
	v_xor_b32_e32 v6, v0, v1
	v_ffbh_i32_e32 v4, v1
	v_ashrrev_i32_e32 v6, 31, v6
	v_add_u32_e32 v4, -1, v4
	v_add_u32_e32 v6, 32, v6
	v_min_u32_e32 v4, v4, v6
	v_lshlrev_b64 v[0:1], v4, v[0:1]
	v_min_u32_e32 v0, 1, v0
	v_or_b32_e32 v0, v1, v0
	v_cvt_f32_i32_e32 v0, v0
	v_sub_u32_e32 v1, 32, v4
	v_ldexp_f32 v0, v0, v1
	v_cvt_f16_f32_e32 v0, v0
	s_branch .LBB203_1655
.LBB203_1652:
                                        ; implicit-def: $vgpr0
	s_branch .LBB203_1661
.LBB203_1653:
	s_mov_b64 s[4:5], -1
                                        ; implicit-def: $vgpr0
	s_branch .LBB203_1658
.LBB203_1654:
	s_mov_b64 s[4:5], -1
                                        ; implicit-def: $vgpr0
.LBB203_1655:
	s_andn2_b64 vcc, exec, s[4:5]
	s_cbranch_vccnz .LBB203_1657
; %bb.1656:
	global_load_dword v0, v[2:3], off
	s_waitcnt vmcnt(0)
	v_cvt_f32_i32_e32 v0, v0
	v_cvt_f16_f32_e32 v0, v0
.LBB203_1657:
	s_mov_b64 s[4:5], 0
.LBB203_1658:
	s_andn2_b64 vcc, exec, s[4:5]
	s_cbranch_vccnz .LBB203_1660
; %bb.1659:
	global_load_ushort v0, v[2:3], off
	s_waitcnt vmcnt(0)
	v_cvt_f16_i16_e32 v0, v0
.LBB203_1660:
	s_cbranch_execnz .LBB203_1666
.LBB203_1661:
	v_mov_b32_e32 v0, 0
	v_cmp_gt_i16_sdwa s[4:5], v35, v0 src0_sel:BYTE_0 src1_sel:DWORD
	s_and_b64 vcc, exec, s[4:5]
	s_cbranch_vccz .LBB203_1663
; %bb.1662:
	global_load_sbyte v0, v[2:3], off
	s_mov_b64 s[4:5], 0
	s_waitcnt vmcnt(0)
	v_cvt_f16_i16_e32 v0, v0
	s_branch .LBB203_1664
.LBB203_1663:
	s_mov_b64 s[4:5], -1
                                        ; implicit-def: $vgpr0
.LBB203_1664:
	s_andn2_b64 vcc, exec, s[4:5]
	s_cbranch_vccnz .LBB203_1666
; %bb.1665:
	global_load_ubyte v0, v[2:3], off
	s_waitcnt vmcnt(0)
	v_cvt_f16_u16_e32 v0, v0
.LBB203_1666:
.LBB203_1667:
	v_mul_lo_u32 v4, s38, v37
	v_ashrrev_i32_e32 v1, 31, v4
	v_mov_b32_e32 v3, s23
	v_add_co_u32_e32 v2, vcc, s22, v4
	v_addc_co_u32_e32 v3, vcc, v3, v1, vcc
	v_mov_b32_e32 v1, 11
	v_cmp_lt_i16_sdwa s[4:5], v38, v1 src0_sel:BYTE_0 src1_sel:DWORD
	s_and_b64 vcc, exec, s[4:5]
	s_cbranch_vccnz .LBB203_1674
; %bb.1668:
	v_mov_b32_e32 v1, 25
	v_cmp_gt_i16_sdwa s[4:5], v38, v1 src0_sel:BYTE_0 src1_sel:DWORD
	s_mov_b64 s[6:7], 0
	s_and_b64 vcc, exec, s[4:5]
	s_cbranch_vccz .LBB203_1676
; %bb.1669:
	v_mov_b32_e32 v1, 28
	v_cmp_gt_i16_sdwa s[4:5], v38, v1 src0_sel:BYTE_0 src1_sel:DWORD
	s_and_b64 vcc, exec, s[4:5]
	s_cbranch_vccz .LBB203_1677
; %bb.1670:
	v_mov_b32_e32 v1, 43
	v_cmp_gt_i16_sdwa s[4:5], v38, v1 src0_sel:BYTE_0 src1_sel:DWORD
	;; [unrolled: 5-line block ×3, first 2 shown]
	s_and_b64 vcc, exec, s[4:5]
	s_cbranch_vccz .LBB203_1680
; %bb.1672:
	v_mov_b32_e32 v1, 46
	v_cmp_eq_u16_sdwa s[4:5], v38, v1 src0_sel:BYTE_0 src1_sel:DWORD
	s_mov_b64 s[10:11], 0
	s_and_b64 vcc, exec, s[4:5]
	s_cbranch_vccz .LBB203_1683
; %bb.1673:
	global_load_dword v1, v[2:3], off
	s_mov_b64 s[4:5], 0
	s_mov_b64 s[8:9], -1
	s_waitcnt vmcnt(0)
	v_lshlrev_b32_e32 v1, 16, v1
	v_cvt_f16_f32_e32 v1, v1
	s_branch .LBB203_1684
.LBB203_1674:
	s_mov_b64 s[8:9], 0
                                        ; implicit-def: $vgpr1
	s_cbranch_execnz .LBB203_1749
.LBB203_1675:
	s_andn2_b64 vcc, exec, s[8:9]
	s_cbranch_vccnz .LBB203_3030
	s_branch .LBB203_1796
.LBB203_1676:
	s_mov_b64 s[8:9], 0
	s_mov_b64 s[4:5], 0
                                        ; implicit-def: $vgpr1
	s_cbranch_execnz .LBB203_1713
	s_branch .LBB203_1745
.LBB203_1677:
	s_mov_b64 s[10:11], -1
	s_mov_b64 s[8:9], 0
	s_mov_b64 s[4:5], 0
                                        ; implicit-def: $vgpr1
	s_branch .LBB203_1694
.LBB203_1678:
	s_mov_b64 s[10:11], -1
	s_mov_b64 s[8:9], 0
	s_mov_b64 s[4:5], 0
                                        ; implicit-def: $vgpr1
	s_branch .LBB203_1689
.LBB203_1679:
	s_or_b64 s[42:43], s[40:41], exec
	s_trap 2
                                        ; implicit-def: $vgpr0
	s_cbranch_execz .LBB203_1620
	s_branch .LBB203_1621
.LBB203_1680:
	s_mov_b64 s[10:11], -1
	s_mov_b64 s[8:9], 0
	s_mov_b64 s[4:5], 0
                                        ; implicit-def: $vgpr1
	s_branch .LBB203_1684
.LBB203_1681:
	s_or_saveexec_b64 s[12:13], s[12:13]
                                        ; implicit-def: $sgpr14
	s_xor_b64 exec, exec, s[12:13]
	s_cbranch_execz .LBB203_1467
.LBB203_1682:
	s_mov_b32 s14, 0x42800000
	v_add_f32_e64 v1, |v0|, s14
	v_and_b32_e32 v1, 0xff, v1
	v_cmp_ne_u32_e32 vcc, 0, v1
	s_andn2_b64 s[10:11], s[10:11], exec
	s_and_b64 s[16:17], vcc, exec
	s_mov_b32 s14, 0
	s_or_b64 s[10:11], s[10:11], s[16:17]
	s_or_b64 exec, exec, s[12:13]
	v_mov_b32_e32 v6, s14
	s_and_saveexec_b64 s[12:13], s[10:11]
	s_cbranch_execnz .LBB203_1468
	s_branch .LBB203_1469
.LBB203_1683:
	s_mov_b64 s[4:5], -1
                                        ; implicit-def: $vgpr1
	s_mov_b64 s[8:9], 0
.LBB203_1684:
	s_and_b64 vcc, exec, s[10:11]
	s_cbranch_vccz .LBB203_1688
; %bb.1685:
	v_mov_b32_e32 v1, 44
	v_cmp_eq_u16_sdwa s[4:5], v38, v1 src0_sel:BYTE_0 src1_sel:DWORD
	s_and_b64 vcc, exec, s[4:5]
	s_cbranch_vccz .LBB203_1687
; %bb.1686:
	global_load_ubyte v1, v[2:3], off
	s_movk_i32 s8, 0xff
	v_mov_b32_e32 v7, 0x7e00
	s_mov_b64 s[4:5], 0
	s_waitcnt vmcnt(0)
	v_lshlrev_b32_e32 v6, 23, v1
	v_cvt_f16_f32_e32 v6, v6
	v_cmp_ne_u32_e32 vcc, s8, v1
	s_mov_b64 s[8:9], -1
	v_cndmask_b32_e32 v6, v7, v6, vcc
	v_cmp_ne_u32_e32 vcc, 0, v1
	v_cndmask_b32_e32 v1, 0, v6, vcc
	s_branch .LBB203_1688
.LBB203_1687:
	s_mov_b64 s[4:5], -1
                                        ; implicit-def: $vgpr1
.LBB203_1688:
	s_mov_b64 s[10:11], 0
.LBB203_1689:
	s_and_b64 vcc, exec, s[10:11]
	s_cbranch_vccz .LBB203_1693
; %bb.1690:
	v_mov_b32_e32 v1, 29
	v_cmp_eq_u16_sdwa s[4:5], v38, v1 src0_sel:BYTE_0 src1_sel:DWORD
	s_and_b64 vcc, exec, s[4:5]
	s_cbranch_vccz .LBB203_1692
; %bb.1691:
	global_load_dwordx2 v[6:7], v[2:3], off
	s_mov_b64 s[4:5], 0
	s_mov_b64 s[8:9], -1
	s_mov_b64 s[10:11], 0
	s_waitcnt vmcnt(0)
	v_ffbh_u32_e32 v1, v7
	v_min_u32_e32 v1, 32, v1
	v_lshlrev_b64 v[6:7], v1, v[6:7]
	v_min_u32_e32 v6, 1, v6
	v_or_b32_e32 v6, v7, v6
	v_cvt_f32_u32_e32 v6, v6
	v_sub_u32_e32 v1, 32, v1
	v_ldexp_f32 v1, v6, v1
	v_cvt_f16_f32_e32 v1, v1
	s_branch .LBB203_1694
.LBB203_1692:
	s_mov_b64 s[4:5], -1
                                        ; implicit-def: $vgpr1
.LBB203_1693:
	s_mov_b64 s[10:11], 0
.LBB203_1694:
	s_and_b64 vcc, exec, s[10:11]
	s_cbranch_vccz .LBB203_1712
; %bb.1695:
	v_mov_b32_e32 v1, 27
	v_cmp_lt_i16_sdwa s[8:9], v38, v1 src0_sel:BYTE_0 src1_sel:DWORD
	s_and_b64 vcc, exec, s[8:9]
	s_cbranch_vccnz .LBB203_1698
; %bb.1696:
	v_cmp_gt_i16_sdwa s[8:9], v38, v1 src0_sel:BYTE_0 src1_sel:DWORD
	s_and_b64 vcc, exec, s[8:9]
	s_cbranch_vccz .LBB203_1699
; %bb.1697:
	global_load_dword v1, v[2:3], off
	s_mov_b64 s[8:9], 0
	s_waitcnt vmcnt(0)
	v_cvt_f32_u32_e32 v1, v1
	v_cvt_f16_f32_e32 v1, v1
	s_branch .LBB203_1700
.LBB203_1698:
	s_mov_b64 s[8:9], -1
                                        ; implicit-def: $vgpr1
	s_branch .LBB203_1703
.LBB203_1699:
	s_mov_b64 s[8:9], -1
                                        ; implicit-def: $vgpr1
.LBB203_1700:
	s_andn2_b64 vcc, exec, s[8:9]
	s_cbranch_vccnz .LBB203_1702
; %bb.1701:
	global_load_ushort v1, v[2:3], off
	s_waitcnt vmcnt(0)
	v_cvt_f16_u16_e32 v1, v1
.LBB203_1702:
	s_mov_b64 s[8:9], 0
.LBB203_1703:
	s_andn2_b64 vcc, exec, s[8:9]
	s_cbranch_vccnz .LBB203_1711
; %bb.1704:
	global_load_ubyte v6, v[2:3], off
	s_movk_i32 s8, 0x7f
                                        ; implicit-def: $sgpr14
	s_waitcnt vmcnt(0)
	v_cmp_lt_i16_e32 vcc, s8, v6
	s_mov_b64 s[8:9], 0
	s_and_saveexec_b64 s[10:11], vcc
	s_xor_b64 s[10:11], exec, s[10:11]
	s_cbranch_execz .LBB203_1724
; %bb.1705:
	s_movk_i32 s8, 0x80
	v_cmp_eq_u16_e32 vcc, s8, v6
	s_mov_b64 s[8:9], -1
                                        ; implicit-def: $sgpr14
	s_and_saveexec_b64 s[12:13], vcc
; %bb.1706:
	s_movk_i32 s14, 0x7e00
	s_xor_b64 s[8:9], exec, -1
; %bb.1707:
	s_or_b64 exec, exec, s[12:13]
	s_and_b64 s[8:9], s[8:9], exec
	s_or_saveexec_b64 s[10:11], s[10:11]
	v_mov_b32_e32 v1, s14
	s_xor_b64 exec, exec, s[10:11]
	s_cbranch_execnz .LBB203_1725
.LBB203_1708:
	s_or_b64 exec, exec, s[10:11]
	s_and_saveexec_b64 s[10:11], s[8:9]
	s_cbranch_execz .LBB203_1710
.LBB203_1709:
	v_lshlrev_b32_e32 v1, 24, v6
	v_and_b32_e32 v6, 0xffff, v6
	v_and_b32_e32 v7, 7, v6
	v_ffbh_u32_e32 v9, v7
	v_min_u32_e32 v9, 32, v9
	v_subrev_u32_e32 v10, 28, v9
	v_bfe_u32 v8, v6, 3, 4
	v_lshlrev_b32_e32 v6, v10, v6
	v_sub_u32_e32 v9, 29, v9
	v_and_b32_e32 v6, 7, v6
	v_cmp_eq_u32_e32 vcc, 0, v8
	v_cndmask_b32_e32 v8, v8, v9, vcc
	v_cndmask_b32_e32 v6, v7, v6, vcc
	v_mov_b32_e32 v7, 0x3b800000
	v_lshlrev_b32_e32 v6, 20, v6
	v_and_b32_e32 v1, 0x80000000, v1
	v_lshl_add_u32 v7, v8, 23, v7
	v_or3_b32 v1, v1, v7, v6
	v_cvt_f16_f32_e32 v1, v1
.LBB203_1710:
	s_or_b64 exec, exec, s[10:11]
.LBB203_1711:
	s_mov_b64 s[8:9], -1
.LBB203_1712:
	s_branch .LBB203_1745
.LBB203_1713:
	v_mov_b32_e32 v1, 22
	v_cmp_gt_i16_sdwa s[6:7], v38, v1 src0_sel:BYTE_0 src1_sel:DWORD
	s_and_b64 vcc, exec, s[6:7]
	s_cbranch_vccz .LBB203_1723
; %bb.1714:
	v_mov_b32_e32 v1, 24
	v_cmp_lt_i16_sdwa s[6:7], v38, v1 src0_sel:BYTE_0 src1_sel:DWORD
	s_and_b64 vcc, exec, s[6:7]
	s_cbranch_vccnz .LBB203_1726
; %bb.1715:
	v_cmp_gt_i16_sdwa s[6:7], v38, v1 src0_sel:BYTE_0 src1_sel:DWORD
	s_and_b64 vcc, exec, s[6:7]
	s_cbranch_vccz .LBB203_1727
; %bb.1716:
	global_load_ubyte v6, v[2:3], off
	s_movk_i32 s6, 0x7f
                                        ; implicit-def: $sgpr12
	s_waitcnt vmcnt(0)
	v_cmp_lt_i16_e32 vcc, s6, v6
	s_mov_b64 s[6:7], 0
	s_and_saveexec_b64 s[8:9], vcc
	s_xor_b64 s[8:9], exec, s[8:9]
	s_cbranch_execz .LBB203_1739
; %bb.1717:
	s_movk_i32 s6, 0x80
	v_cmp_eq_u16_e32 vcc, s6, v6
	s_mov_b64 s[6:7], -1
                                        ; implicit-def: $sgpr12
	s_and_saveexec_b64 s[10:11], vcc
; %bb.1718:
	s_movk_i32 s12, 0x7e00
	s_xor_b64 s[6:7], exec, -1
; %bb.1719:
	s_or_b64 exec, exec, s[10:11]
	s_and_b64 s[6:7], s[6:7], exec
	s_or_saveexec_b64 s[8:9], s[8:9]
	v_mov_b32_e32 v1, s12
	s_xor_b64 exec, exec, s[8:9]
	s_cbranch_execnz .LBB203_1740
.LBB203_1720:
	s_or_b64 exec, exec, s[8:9]
	s_and_saveexec_b64 s[8:9], s[6:7]
	s_cbranch_execz .LBB203_1722
.LBB203_1721:
	v_lshlrev_b32_e32 v1, 24, v6
	v_and_b32_e32 v6, 0xffff, v6
	v_and_b32_e32 v7, 3, v6
	v_ffbh_u32_e32 v9, v7
	v_min_u32_e32 v9, 32, v9
	v_subrev_u32_e32 v10, 29, v9
	v_bfe_u32 v8, v6, 2, 5
	v_lshlrev_b32_e32 v6, v10, v6
	v_sub_u32_e32 v9, 30, v9
	v_and_b32_e32 v6, 3, v6
	v_cmp_eq_u32_e32 vcc, 0, v8
	v_cndmask_b32_e32 v8, v8, v9, vcc
	v_cndmask_b32_e32 v6, v7, v6, vcc
	v_mov_b32_e32 v7, 0x37800000
	v_lshlrev_b32_e32 v6, 21, v6
	v_and_b32_e32 v1, 0x80000000, v1
	v_lshl_add_u32 v7, v8, 23, v7
	v_or3_b32 v1, v1, v7, v6
	v_cvt_f16_f32_e32 v1, v1
.LBB203_1722:
	s_or_b64 exec, exec, s[8:9]
	s_mov_b64 s[6:7], 0
	s_branch .LBB203_1728
.LBB203_1723:
	s_mov_b64 s[6:7], -1
                                        ; implicit-def: $vgpr1
	s_branch .LBB203_1734
.LBB203_1724:
	s_or_saveexec_b64 s[10:11], s[10:11]
	v_mov_b32_e32 v1, s14
	s_xor_b64 exec, exec, s[10:11]
	s_cbranch_execz .LBB203_1708
.LBB203_1725:
	v_cmp_ne_u16_e32 vcc, 0, v6
	s_andn2_b64 s[8:9], s[8:9], exec
	s_and_b64 s[12:13], vcc, exec
	s_or_b64 s[8:9], s[8:9], s[12:13]
	v_mov_b32_e32 v1, v6
	s_or_b64 exec, exec, s[10:11]
	s_and_saveexec_b64 s[10:11], s[8:9]
	s_cbranch_execnz .LBB203_1709
	s_branch .LBB203_1710
.LBB203_1726:
	s_mov_b64 s[6:7], -1
                                        ; implicit-def: $vgpr1
	s_branch .LBB203_1731
.LBB203_1727:
	s_mov_b64 s[6:7], -1
                                        ; implicit-def: $vgpr1
.LBB203_1728:
	s_and_b64 vcc, exec, s[6:7]
	s_cbranch_vccz .LBB203_1730
; %bb.1729:
	global_load_ubyte v1, v[2:3], off
	s_mov_b32 s6, 0x7f800000
	s_waitcnt vmcnt(0)
	v_lshlrev_b32_e32 v1, 24, v1
	v_and_b32_e32 v6, 0x7f000000, v1
	v_ffbh_u32_e32 v7, v6
	v_min_u32_e32 v7, 32, v7
	v_sub_u32_e64 v7, v7, 4 clamp
	v_lshlrev_b32_e32 v9, v7, v6
	v_lshlrev_b32_e32 v7, 23, v7
	v_lshrrev_b32_e32 v9, 4, v9
	v_add_u32_e32 v8, 0x1000000, v6
	v_sub_u32_e32 v7, v9, v7
	v_ashrrev_i32_e32 v8, 8, v8
	v_add_u32_e32 v7, 0x3c000000, v7
	v_and_or_b32 v7, v8, s6, v7
	v_cmp_ne_u32_e32 vcc, 0, v6
	v_cndmask_b32_e32 v6, 0, v7, vcc
	s_brev_b32 s6, 1
	v_and_or_b32 v1, v1, s6, v6
	v_cvt_f16_f32_e32 v1, v1
.LBB203_1730:
	s_mov_b64 s[6:7], 0
.LBB203_1731:
	s_andn2_b64 vcc, exec, s[6:7]
	s_cbranch_vccnz .LBB203_1733
; %bb.1732:
	global_load_ubyte v1, v[2:3], off
	s_movk_i32 s6, 0x7f00
	s_brev_b32 s7, 16
	s_waitcnt vmcnt(0)
	v_lshlrev_b16_e32 v6, 8, v1
	v_lshlrev_b32_e32 v1, 25, v1
	v_lshrrev_b32_e32 v7, 4, v1
	v_and_or_b32 v8, v6, s6, 0.5
	v_or_b32_e32 v7, 0x70000000, v7
	v_add_f32_e32 v8, -0.5, v8
	v_mul_f32_e32 v7, 0x7800000, v7
	v_cmp_gt_u32_e32 vcc, s7, v1
	v_bfe_i32 v6, v6, 0, 16
	v_cndmask_b32_e32 v1, v7, v8, vcc
	s_brev_b32 s6, 1
	v_and_or_b32 v1, v6, s6, v1
	v_cvt_f16_f32_e32 v1, v1
.LBB203_1733:
	s_mov_b64 s[6:7], 0
	s_mov_b64 s[8:9], -1
.LBB203_1734:
	s_andn2_b64 vcc, exec, s[6:7]
	s_mov_b64 s[6:7], 0
	s_cbranch_vccnz .LBB203_1745
; %bb.1735:
	v_mov_b32_e32 v1, 14
	v_cmp_gt_i16_sdwa s[6:7], v38, v1 src0_sel:BYTE_0 src1_sel:DWORD
	s_and_b64 vcc, exec, s[6:7]
	s_cbranch_vccz .LBB203_1738
; %bb.1736:
	v_mov_b32_e32 v1, 15
	v_cmp_eq_u16_sdwa s[4:5], v38, v1 src0_sel:BYTE_0 src1_sel:DWORD
	s_and_b64 vcc, exec, s[4:5]
	s_cbranch_vccz .LBB203_1741
; %bb.1737:
	global_load_ushort v1, v[2:3], off
	s_mov_b64 s[4:5], 0
	s_mov_b64 s[8:9], -1
	s_waitcnt vmcnt(0)
	v_lshlrev_b32_e32 v1, 16, v1
	v_cvt_f16_f32_e32 v1, v1
	s_branch .LBB203_1742
.LBB203_1738:
	s_mov_b64 s[10:11], -1
                                        ; implicit-def: $vgpr1
	s_branch .LBB203_1743
.LBB203_1739:
	s_or_saveexec_b64 s[8:9], s[8:9]
	v_mov_b32_e32 v1, s12
	s_xor_b64 exec, exec, s[8:9]
	s_cbranch_execz .LBB203_1720
.LBB203_1740:
	v_cmp_ne_u16_e32 vcc, 0, v6
	s_andn2_b64 s[6:7], s[6:7], exec
	s_and_b64 s[10:11], vcc, exec
	s_or_b64 s[6:7], s[6:7], s[10:11]
	v_mov_b32_e32 v1, v6
	s_or_b64 exec, exec, s[8:9]
	s_and_saveexec_b64 s[8:9], s[6:7]
	s_cbranch_execnz .LBB203_1721
	s_branch .LBB203_1722
.LBB203_1741:
	s_mov_b64 s[4:5], -1
                                        ; implicit-def: $vgpr1
.LBB203_1742:
	s_mov_b64 s[10:11], 0
.LBB203_1743:
	s_mov_b64 s[6:7], 0
	s_and_b64 vcc, exec, s[10:11]
	s_cbranch_vccz .LBB203_1745
; %bb.1744:
	v_mov_b32_e32 v1, 11
	v_cmp_ne_u16_sdwa s[4:5], v38, v1 src0_sel:BYTE_0 src1_sel:DWORD
	s_mov_b64 s[6:7], -1
                                        ; implicit-def: $vgpr1
.LBB203_1745:
	s_and_b64 vcc, exec, s[4:5]
	s_cbranch_vccnz .LBB203_1808
; %bb.1746:
	s_andn2_b64 vcc, exec, s[6:7]
	s_cbranch_vccnz .LBB203_1748
.LBB203_1747:
	global_load_ubyte v1, v[2:3], off
	v_mov_b32_e32 v6, 0x3c00
	s_mov_b64 s[8:9], -1
	s_waitcnt vmcnt(0)
	v_cmp_ne_u16_e32 vcc, 0, v1
	v_cndmask_b32_e32 v1, 0, v6, vcc
.LBB203_1748:
	s_branch .LBB203_1675
.LBB203_1749:
	v_mov_b32_e32 v1, 5
	v_cmp_lt_i16_sdwa s[4:5], v38, v1 src0_sel:BYTE_0 src1_sel:DWORD
	s_and_b64 vcc, exec, s[4:5]
	s_cbranch_vccnz .LBB203_1754
; %bb.1750:
	v_mov_b32_e32 v1, 8
	v_cmp_lt_i16_sdwa s[4:5], v38, v1 src0_sel:BYTE_0 src1_sel:DWORD
	s_and_b64 vcc, exec, s[4:5]
	s_cbranch_vccnz .LBB203_1755
; %bb.1751:
	;; [unrolled: 5-line block ×3, first 2 shown]
	v_cmp_gt_i16_sdwa s[4:5], v38, v1 src0_sel:BYTE_0 src1_sel:DWORD
	s_and_b64 vcc, exec, s[4:5]
	s_cbranch_vccz .LBB203_1757
; %bb.1753:
	global_load_dwordx2 v[6:7], v[2:3], off
	s_mov_b64 s[4:5], 0
	s_waitcnt vmcnt(0)
	v_cvt_f32_f64_e32 v1, v[6:7]
	v_cvt_f16_f32_e32 v1, v1
	s_branch .LBB203_1758
.LBB203_1754:
                                        ; implicit-def: $vgpr1
	s_branch .LBB203_1776
.LBB203_1755:
	s_mov_b64 s[4:5], -1
                                        ; implicit-def: $vgpr1
	s_branch .LBB203_1764
.LBB203_1756:
	s_mov_b64 s[4:5], -1
                                        ; implicit-def: $vgpr1
	s_branch .LBB203_1761
.LBB203_1757:
	s_mov_b64 s[4:5], -1
                                        ; implicit-def: $vgpr1
.LBB203_1758:
	s_andn2_b64 vcc, exec, s[4:5]
	s_cbranch_vccnz .LBB203_1760
; %bb.1759:
	global_load_dword v1, v[2:3], off
	s_waitcnt vmcnt(0)
	v_cvt_f16_f32_e32 v1, v1
.LBB203_1760:
	s_mov_b64 s[4:5], 0
.LBB203_1761:
	s_andn2_b64 vcc, exec, s[4:5]
	s_cbranch_vccnz .LBB203_1763
; %bb.1762:
	global_load_dword v1, v[2:3], off
.LBB203_1763:
	s_mov_b64 s[4:5], 0
.LBB203_1764:
	s_andn2_b64 vcc, exec, s[4:5]
	s_cbranch_vccnz .LBB203_1775
; %bb.1765:
	s_waitcnt vmcnt(0)
	v_mov_b32_e32 v1, 6
	v_cmp_lt_i16_sdwa s[4:5], v38, v1 src0_sel:BYTE_0 src1_sel:DWORD
	s_and_b64 vcc, exec, s[4:5]
	s_cbranch_vccnz .LBB203_1768
; %bb.1766:
	v_cmp_gt_i16_sdwa s[4:5], v38, v1 src0_sel:BYTE_0 src1_sel:DWORD
	s_and_b64 vcc, exec, s[4:5]
	s_cbranch_vccz .LBB203_1769
; %bb.1767:
	global_load_dwordx2 v[6:7], v[2:3], off
	s_mov_b64 s[4:5], 0
	s_waitcnt vmcnt(0)
	v_cvt_f32_f64_e32 v1, v[6:7]
	v_cvt_f16_f32_e32 v1, v1
	s_branch .LBB203_1770
.LBB203_1768:
	s_mov_b64 s[4:5], -1
                                        ; implicit-def: $vgpr1
	s_branch .LBB203_1773
.LBB203_1769:
	s_mov_b64 s[4:5], -1
                                        ; implicit-def: $vgpr1
.LBB203_1770:
	s_andn2_b64 vcc, exec, s[4:5]
	s_cbranch_vccnz .LBB203_1772
; %bb.1771:
	global_load_dword v1, v[2:3], off
	s_waitcnt vmcnt(0)
	v_cvt_f16_f32_e32 v1, v1
.LBB203_1772:
	s_mov_b64 s[4:5], 0
.LBB203_1773:
	s_andn2_b64 vcc, exec, s[4:5]
	s_cbranch_vccnz .LBB203_1775
; %bb.1774:
	global_load_ushort v1, v[2:3], off
.LBB203_1775:
	s_cbranch_execnz .LBB203_1795
.LBB203_1776:
	s_waitcnt vmcnt(0)
	v_mov_b32_e32 v1, 2
	v_cmp_lt_i16_sdwa s[4:5], v38, v1 src0_sel:BYTE_0 src1_sel:DWORD
	s_and_b64 vcc, exec, s[4:5]
	s_cbranch_vccnz .LBB203_1780
; %bb.1777:
	v_mov_b32_e32 v1, 3
	v_cmp_lt_i16_sdwa s[4:5], v38, v1 src0_sel:BYTE_0 src1_sel:DWORD
	s_and_b64 vcc, exec, s[4:5]
	s_cbranch_vccnz .LBB203_1781
; %bb.1778:
	v_cmp_gt_i16_sdwa s[4:5], v38, v1 src0_sel:BYTE_0 src1_sel:DWORD
	s_and_b64 vcc, exec, s[4:5]
	s_cbranch_vccz .LBB203_1782
; %bb.1779:
	global_load_dwordx2 v[6:7], v[2:3], off
	s_mov_b64 s[4:5], 0
	s_waitcnt vmcnt(0)
	v_xor_b32_e32 v8, v6, v7
	v_ffbh_i32_e32 v1, v7
	v_ashrrev_i32_e32 v8, 31, v8
	v_add_u32_e32 v1, -1, v1
	v_add_u32_e32 v8, 32, v8
	v_min_u32_e32 v1, v1, v8
	v_lshlrev_b64 v[6:7], v1, v[6:7]
	v_min_u32_e32 v6, 1, v6
	v_or_b32_e32 v6, v7, v6
	v_cvt_f32_i32_e32 v6, v6
	v_sub_u32_e32 v1, 32, v1
	v_ldexp_f32 v1, v6, v1
	v_cvt_f16_f32_e32 v1, v1
	s_branch .LBB203_1783
.LBB203_1780:
	s_mov_b64 s[4:5], -1
                                        ; implicit-def: $vgpr1
	s_branch .LBB203_1789
.LBB203_1781:
	s_mov_b64 s[4:5], -1
                                        ; implicit-def: $vgpr1
	s_branch .LBB203_1786
.LBB203_1782:
	s_mov_b64 s[4:5], -1
                                        ; implicit-def: $vgpr1
.LBB203_1783:
	s_andn2_b64 vcc, exec, s[4:5]
	s_cbranch_vccnz .LBB203_1785
; %bb.1784:
	global_load_dword v1, v[2:3], off
	s_waitcnt vmcnt(0)
	v_cvt_f32_i32_e32 v1, v1
	v_cvt_f16_f32_e32 v1, v1
.LBB203_1785:
	s_mov_b64 s[4:5], 0
.LBB203_1786:
	s_andn2_b64 vcc, exec, s[4:5]
	s_cbranch_vccnz .LBB203_1788
; %bb.1787:
	global_load_ushort v1, v[2:3], off
	s_waitcnt vmcnt(0)
	v_cvt_f16_i16_e32 v1, v1
.LBB203_1788:
	s_mov_b64 s[4:5], 0
.LBB203_1789:
	s_andn2_b64 vcc, exec, s[4:5]
	s_cbranch_vccnz .LBB203_1795
; %bb.1790:
	v_mov_b32_e32 v1, 0
	v_cmp_gt_i16_sdwa s[4:5], v38, v1 src0_sel:BYTE_0 src1_sel:DWORD
	s_and_b64 vcc, exec, s[4:5]
	s_cbranch_vccz .LBB203_1792
; %bb.1791:
	global_load_sbyte v1, v[2:3], off
	s_mov_b64 s[4:5], 0
	s_waitcnt vmcnt(0)
	v_cvt_f16_i16_e32 v1, v1
	s_branch .LBB203_1793
.LBB203_1792:
	s_mov_b64 s[4:5], -1
                                        ; implicit-def: $vgpr1
.LBB203_1793:
	s_andn2_b64 vcc, exec, s[4:5]
	s_cbranch_vccnz .LBB203_1795
; %bb.1794:
	global_load_ubyte v1, v[2:3], off
	s_waitcnt vmcnt(0)
	v_cvt_f16_u16_e32 v1, v1
.LBB203_1795:
.LBB203_1796:
	s_lshl_b32 s14, s37, 7
	v_add_u32_e32 v5, s14, v5
	v_ashrrev_i32_e32 v3, 31, v5
	v_mov_b32_e32 v6, s27
	v_add_co_u32_e32 v2, vcc, s26, v5
	v_addc_co_u32_e32 v3, vcc, v6, v3, vcc
	v_mov_b32_e32 v6, 11
	v_cmp_lt_i16_sdwa s[4:5], v35, v6 src0_sel:BYTE_0 src1_sel:DWORD
	s_and_b64 vcc, exec, s[4:5]
	s_cbranch_vccnz .LBB203_1803
; %bb.1797:
	v_mov_b32_e32 v6, 25
	v_cmp_gt_i16_sdwa s[4:5], v35, v6 src0_sel:BYTE_0 src1_sel:DWORD
	s_mov_b64 s[6:7], 0
	s_and_b64 vcc, exec, s[4:5]
	s_cbranch_vccz .LBB203_1805
; %bb.1798:
	v_mov_b32_e32 v6, 28
	v_cmp_gt_i16_sdwa s[4:5], v35, v6 src0_sel:BYTE_0 src1_sel:DWORD
	s_and_b64 vcc, exec, s[4:5]
	s_cbranch_vccz .LBB203_1806
; %bb.1799:
	v_mov_b32_e32 v6, 43
	v_cmp_gt_i16_sdwa s[4:5], v35, v6 src0_sel:BYTE_0 src1_sel:DWORD
	;; [unrolled: 5-line block ×3, first 2 shown]
	s_and_b64 vcc, exec, s[4:5]
	s_cbranch_vccz .LBB203_1809
; %bb.1801:
	v_mov_b32_e32 v6, 46
	v_cmp_eq_u16_sdwa s[4:5], v35, v6 src0_sel:BYTE_0 src1_sel:DWORD
	s_mov_b64 s[10:11], 0
	s_and_b64 vcc, exec, s[4:5]
	s_cbranch_vccz .LBB203_1810
; %bb.1802:
	global_load_dword v6, v[2:3], off
	s_mov_b64 s[4:5], 0
	s_mov_b64 s[8:9], -1
	s_waitcnt vmcnt(0)
	v_lshlrev_b32_e32 v6, 16, v6
	v_cvt_f16_f32_e32 v30, v6
	s_branch .LBB203_1811
.LBB203_1803:
	s_mov_b64 s[8:9], 0
                                        ; implicit-def: $vgpr30
	s_cbranch_execnz .LBB203_1877
.LBB203_1804:
	s_andn2_b64 vcc, exec, s[8:9]
	s_cbranch_vccnz .LBB203_3030
	s_branch .LBB203_1925
.LBB203_1805:
	s_mov_b64 s[10:11], -1
	s_mov_b64 s[8:9], 0
	s_mov_b64 s[4:5], 0
                                        ; implicit-def: $vgpr30
	s_branch .LBB203_1840
.LBB203_1806:
	s_mov_b64 s[10:11], -1
	s_mov_b64 s[8:9], 0
	s_mov_b64 s[4:5], 0
                                        ; implicit-def: $vgpr30
	s_branch .LBB203_1821
.LBB203_1807:
	s_mov_b64 s[10:11], -1
	s_mov_b64 s[8:9], 0
	s_mov_b64 s[4:5], 0
                                        ; implicit-def: $vgpr30
	s_branch .LBB203_1816
.LBB203_1808:
	s_trap 2
	s_or_b64 s[42:43], s[42:43], exec
                                        ; implicit-def: $vgpr1
	s_cbranch_execz .LBB203_1747
	s_branch .LBB203_1748
.LBB203_1809:
	s_mov_b64 s[10:11], -1
	s_mov_b64 s[8:9], 0
	s_mov_b64 s[4:5], 0
                                        ; implicit-def: $vgpr30
	s_branch .LBB203_1811
.LBB203_1810:
	s_mov_b64 s[4:5], -1
                                        ; implicit-def: $vgpr30
	s_mov_b64 s[8:9], 0
.LBB203_1811:
	s_and_b64 vcc, exec, s[10:11]
	s_cbranch_vccz .LBB203_1815
; %bb.1812:
	v_mov_b32_e32 v6, 44
	v_cmp_eq_u16_sdwa s[4:5], v35, v6 src0_sel:BYTE_0 src1_sel:DWORD
	s_and_b64 vcc, exec, s[4:5]
	s_cbranch_vccz .LBB203_1814
; %bb.1813:
	global_load_ubyte v6, v[2:3], off
	s_movk_i32 s8, 0xff
	v_mov_b32_e32 v8, 0x7e00
	s_mov_b64 s[4:5], 0
	s_waitcnt vmcnt(0)
	v_lshlrev_b32_e32 v7, 23, v6
	v_cvt_f16_f32_e32 v7, v7
	v_cmp_ne_u32_e32 vcc, s8, v6
	s_mov_b64 s[8:9], -1
	v_cndmask_b32_e32 v7, v8, v7, vcc
	v_cmp_ne_u32_e32 vcc, 0, v6
	v_cndmask_b32_e32 v30, 0, v7, vcc
	s_branch .LBB203_1815
.LBB203_1814:
	s_mov_b64 s[4:5], -1
                                        ; implicit-def: $vgpr30
.LBB203_1815:
	s_mov_b64 s[10:11], 0
.LBB203_1816:
	s_and_b64 vcc, exec, s[10:11]
	s_cbranch_vccz .LBB203_1820
; %bb.1817:
	v_mov_b32_e32 v6, 29
	v_cmp_eq_u16_sdwa s[4:5], v35, v6 src0_sel:BYTE_0 src1_sel:DWORD
	s_and_b64 vcc, exec, s[4:5]
	s_cbranch_vccz .LBB203_1819
; %bb.1818:
	global_load_dwordx2 v[6:7], v[2:3], off
	s_mov_b64 s[4:5], 0
	s_mov_b64 s[8:9], -1
	s_mov_b64 s[10:11], 0
	s_waitcnt vmcnt(0)
	v_ffbh_u32_e32 v8, v7
	v_min_u32_e32 v8, 32, v8
	v_lshlrev_b64 v[6:7], v8, v[6:7]
	v_min_u32_e32 v6, 1, v6
	v_or_b32_e32 v6, v7, v6
	v_cvt_f32_u32_e32 v6, v6
	v_sub_u32_e32 v7, 32, v8
	v_ldexp_f32 v6, v6, v7
	v_cvt_f16_f32_e32 v30, v6
	s_branch .LBB203_1821
.LBB203_1819:
	s_mov_b64 s[4:5], -1
                                        ; implicit-def: $vgpr30
.LBB203_1820:
	s_mov_b64 s[10:11], 0
.LBB203_1821:
	s_and_b64 vcc, exec, s[10:11]
	s_cbranch_vccz .LBB203_1839
; %bb.1822:
	v_mov_b32_e32 v6, 27
	v_cmp_lt_i16_sdwa s[8:9], v35, v6 src0_sel:BYTE_0 src1_sel:DWORD
	s_and_b64 vcc, exec, s[8:9]
	s_cbranch_vccnz .LBB203_1825
; %bb.1823:
	v_cmp_gt_i16_sdwa s[8:9], v35, v6 src0_sel:BYTE_0 src1_sel:DWORD
	s_and_b64 vcc, exec, s[8:9]
	s_cbranch_vccz .LBB203_1826
; %bb.1824:
	global_load_dword v6, v[2:3], off
	s_mov_b64 s[8:9], 0
	s_waitcnt vmcnt(0)
	v_cvt_f32_u32_e32 v6, v6
	v_cvt_f16_f32_e32 v30, v6
	s_branch .LBB203_1827
.LBB203_1825:
	s_mov_b64 s[8:9], -1
                                        ; implicit-def: $vgpr30
	s_branch .LBB203_1830
.LBB203_1826:
	s_mov_b64 s[8:9], -1
                                        ; implicit-def: $vgpr30
.LBB203_1827:
	s_andn2_b64 vcc, exec, s[8:9]
	s_cbranch_vccnz .LBB203_1829
; %bb.1828:
	global_load_ushort v6, v[2:3], off
	s_waitcnt vmcnt(0)
	v_cvt_f16_u16_e32 v30, v6
.LBB203_1829:
	s_mov_b64 s[8:9], 0
.LBB203_1830:
	s_andn2_b64 vcc, exec, s[8:9]
	s_cbranch_vccnz .LBB203_1838
; %bb.1831:
	global_load_ubyte v6, v[2:3], off
	s_movk_i32 s8, 0x7f
                                        ; implicit-def: $sgpr15
	s_waitcnt vmcnt(0)
	v_cmp_lt_i16_e32 vcc, s8, v6
	s_mov_b64 s[8:9], 0
	s_and_saveexec_b64 s[10:11], vcc
	s_xor_b64 s[10:11], exec, s[10:11]
	s_cbranch_execz .LBB203_1852
; %bb.1832:
	s_movk_i32 s8, 0x80
	v_cmp_eq_u16_e32 vcc, s8, v6
	s_mov_b64 s[8:9], -1
                                        ; implicit-def: $sgpr15
	s_and_saveexec_b64 s[12:13], vcc
; %bb.1833:
	s_movk_i32 s15, 0x7e00
	s_xor_b64 s[8:9], exec, -1
; %bb.1834:
	s_or_b64 exec, exec, s[12:13]
	s_and_b64 s[8:9], s[8:9], exec
	s_or_saveexec_b64 s[10:11], s[10:11]
	v_mov_b32_e32 v30, s15
	s_xor_b64 exec, exec, s[10:11]
	s_cbranch_execnz .LBB203_1853
.LBB203_1835:
	s_or_b64 exec, exec, s[10:11]
	s_and_saveexec_b64 s[10:11], s[8:9]
	s_cbranch_execz .LBB203_1837
.LBB203_1836:
	v_lshlrev_b32_e32 v7, 24, v6
	v_and_b32_e32 v6, 0xffff, v6
	v_and_b32_e32 v8, 7, v6
	v_ffbh_u32_e32 v10, v8
	v_min_u32_e32 v10, 32, v10
	v_subrev_u32_e32 v11, 28, v10
	v_bfe_u32 v9, v6, 3, 4
	v_lshlrev_b32_e32 v6, v11, v6
	v_sub_u32_e32 v10, 29, v10
	v_and_b32_e32 v6, 7, v6
	v_cmp_eq_u32_e32 vcc, 0, v9
	v_cndmask_b32_e32 v9, v9, v10, vcc
	v_cndmask_b32_e32 v6, v8, v6, vcc
	v_mov_b32_e32 v8, 0x3b800000
	v_lshlrev_b32_e32 v6, 20, v6
	v_and_b32_e32 v7, 0x80000000, v7
	v_lshl_add_u32 v8, v9, 23, v8
	v_or3_b32 v6, v7, v8, v6
	v_cvt_f16_f32_e32 v30, v6
.LBB203_1837:
	s_or_b64 exec, exec, s[10:11]
.LBB203_1838:
	s_mov_b64 s[8:9], -1
.LBB203_1839:
	s_mov_b64 s[10:11], 0
.LBB203_1840:
	s_and_b64 vcc, exec, s[10:11]
	s_cbranch_vccz .LBB203_1873
; %bb.1841:
	v_mov_b32_e32 v6, 22
	v_cmp_gt_i16_sdwa s[6:7], v35, v6 src0_sel:BYTE_0 src1_sel:DWORD
	s_and_b64 vcc, exec, s[6:7]
	s_cbranch_vccz .LBB203_1851
; %bb.1842:
	v_mov_b32_e32 v6, 24
	v_cmp_lt_i16_sdwa s[6:7], v35, v6 src0_sel:BYTE_0 src1_sel:DWORD
	s_and_b64 vcc, exec, s[6:7]
	s_cbranch_vccnz .LBB203_1854
; %bb.1843:
	v_cmp_gt_i16_sdwa s[6:7], v35, v6 src0_sel:BYTE_0 src1_sel:DWORD
	s_and_b64 vcc, exec, s[6:7]
	s_cbranch_vccz .LBB203_1855
; %bb.1844:
	global_load_ubyte v6, v[2:3], off
	s_movk_i32 s6, 0x7f
                                        ; implicit-def: $sgpr12
	s_waitcnt vmcnt(0)
	v_cmp_lt_i16_e32 vcc, s6, v6
	s_mov_b64 s[6:7], 0
	s_and_saveexec_b64 s[8:9], vcc
	s_xor_b64 s[8:9], exec, s[8:9]
	s_cbranch_execz .LBB203_1867
; %bb.1845:
	s_movk_i32 s6, 0x80
	v_cmp_eq_u16_e32 vcc, s6, v6
	s_mov_b64 s[6:7], -1
                                        ; implicit-def: $sgpr12
	s_and_saveexec_b64 s[10:11], vcc
; %bb.1846:
	s_movk_i32 s12, 0x7e00
	s_xor_b64 s[6:7], exec, -1
; %bb.1847:
	s_or_b64 exec, exec, s[10:11]
	s_and_b64 s[6:7], s[6:7], exec
	s_or_saveexec_b64 s[8:9], s[8:9]
	v_mov_b32_e32 v30, s12
	s_xor_b64 exec, exec, s[8:9]
	s_cbranch_execnz .LBB203_1868
.LBB203_1848:
	s_or_b64 exec, exec, s[8:9]
	s_and_saveexec_b64 s[8:9], s[6:7]
	s_cbranch_execz .LBB203_1850
.LBB203_1849:
	v_lshlrev_b32_e32 v7, 24, v6
	v_and_b32_e32 v6, 0xffff, v6
	v_and_b32_e32 v8, 3, v6
	v_ffbh_u32_e32 v10, v8
	v_min_u32_e32 v10, 32, v10
	v_subrev_u32_e32 v11, 29, v10
	v_bfe_u32 v9, v6, 2, 5
	v_lshlrev_b32_e32 v6, v11, v6
	v_sub_u32_e32 v10, 30, v10
	v_and_b32_e32 v6, 3, v6
	v_cmp_eq_u32_e32 vcc, 0, v9
	v_cndmask_b32_e32 v9, v9, v10, vcc
	v_cndmask_b32_e32 v6, v8, v6, vcc
	v_mov_b32_e32 v8, 0x37800000
	v_lshlrev_b32_e32 v6, 21, v6
	v_and_b32_e32 v7, 0x80000000, v7
	v_lshl_add_u32 v8, v9, 23, v8
	v_or3_b32 v6, v7, v8, v6
	v_cvt_f16_f32_e32 v30, v6
.LBB203_1850:
	s_or_b64 exec, exec, s[8:9]
	s_mov_b64 s[6:7], 0
	s_branch .LBB203_1856
.LBB203_1851:
	s_mov_b64 s[6:7], -1
                                        ; implicit-def: $vgpr30
	s_branch .LBB203_1862
.LBB203_1852:
	s_or_saveexec_b64 s[10:11], s[10:11]
	v_mov_b32_e32 v30, s15
	s_xor_b64 exec, exec, s[10:11]
	s_cbranch_execz .LBB203_1835
.LBB203_1853:
	v_cmp_ne_u16_e32 vcc, 0, v6
	s_andn2_b64 s[8:9], s[8:9], exec
	s_and_b64 s[12:13], vcc, exec
	s_or_b64 s[8:9], s[8:9], s[12:13]
	v_mov_b32_e32 v30, v6
	s_or_b64 exec, exec, s[10:11]
	s_and_saveexec_b64 s[10:11], s[8:9]
	s_cbranch_execnz .LBB203_1836
	s_branch .LBB203_1837
.LBB203_1854:
	s_mov_b64 s[6:7], -1
                                        ; implicit-def: $vgpr30
	s_branch .LBB203_1859
.LBB203_1855:
	s_mov_b64 s[6:7], -1
                                        ; implicit-def: $vgpr30
.LBB203_1856:
	s_and_b64 vcc, exec, s[6:7]
	s_cbranch_vccz .LBB203_1858
; %bb.1857:
	global_load_ubyte v6, v[2:3], off
	s_mov_b32 s6, 0x7f800000
	s_waitcnt vmcnt(0)
	v_lshlrev_b32_e32 v6, 24, v6
	v_and_b32_e32 v7, 0x7f000000, v6
	v_ffbh_u32_e32 v8, v7
	v_min_u32_e32 v8, 32, v8
	v_sub_u32_e64 v8, v8, 4 clamp
	v_lshlrev_b32_e32 v10, v8, v7
	v_lshlrev_b32_e32 v8, 23, v8
	v_lshrrev_b32_e32 v10, 4, v10
	v_add_u32_e32 v9, 0x1000000, v7
	v_sub_u32_e32 v8, v10, v8
	v_ashrrev_i32_e32 v9, 8, v9
	v_add_u32_e32 v8, 0x3c000000, v8
	v_and_or_b32 v8, v9, s6, v8
	v_cmp_ne_u32_e32 vcc, 0, v7
	v_cndmask_b32_e32 v7, 0, v8, vcc
	s_brev_b32 s6, 1
	v_and_or_b32 v6, v6, s6, v7
	v_cvt_f16_f32_e32 v30, v6
.LBB203_1858:
	s_mov_b64 s[6:7], 0
.LBB203_1859:
	s_andn2_b64 vcc, exec, s[6:7]
	s_cbranch_vccnz .LBB203_1861
; %bb.1860:
	global_load_ubyte v6, v[2:3], off
	s_movk_i32 s6, 0x7f00
	s_brev_b32 s7, 16
	s_waitcnt vmcnt(0)
	v_lshlrev_b16_e32 v7, 8, v6
	v_lshlrev_b32_e32 v6, 25, v6
	v_lshrrev_b32_e32 v8, 4, v6
	v_and_or_b32 v9, v7, s6, 0.5
	v_or_b32_e32 v8, 0x70000000, v8
	v_add_f32_e32 v9, -0.5, v9
	v_mul_f32_e32 v8, 0x7800000, v8
	v_cmp_gt_u32_e32 vcc, s7, v6
	v_bfe_i32 v7, v7, 0, 16
	v_cndmask_b32_e32 v6, v8, v9, vcc
	s_brev_b32 s6, 1
	v_and_or_b32 v6, v7, s6, v6
	v_cvt_f16_f32_e32 v30, v6
.LBB203_1861:
	s_mov_b64 s[6:7], 0
	s_mov_b64 s[8:9], -1
.LBB203_1862:
	s_andn2_b64 vcc, exec, s[6:7]
	s_mov_b64 s[6:7], 0
	s_cbranch_vccnz .LBB203_1873
; %bb.1863:
	v_mov_b32_e32 v6, 14
	v_cmp_gt_i16_sdwa s[6:7], v35, v6 src0_sel:BYTE_0 src1_sel:DWORD
	s_and_b64 vcc, exec, s[6:7]
	s_cbranch_vccz .LBB203_1866
; %bb.1864:
	v_mov_b32_e32 v6, 15
	v_cmp_eq_u16_sdwa s[4:5], v35, v6 src0_sel:BYTE_0 src1_sel:DWORD
	s_and_b64 vcc, exec, s[4:5]
	s_cbranch_vccz .LBB203_1869
; %bb.1865:
	global_load_ushort v6, v[2:3], off
	s_mov_b64 s[4:5], 0
	s_mov_b64 s[8:9], -1
	s_waitcnt vmcnt(0)
	v_lshlrev_b32_e32 v6, 16, v6
	v_cvt_f16_f32_e32 v30, v6
	s_branch .LBB203_1870
.LBB203_1866:
	s_mov_b64 s[10:11], -1
                                        ; implicit-def: $vgpr30
	s_branch .LBB203_1871
.LBB203_1867:
	s_or_saveexec_b64 s[8:9], s[8:9]
	v_mov_b32_e32 v30, s12
	s_xor_b64 exec, exec, s[8:9]
	s_cbranch_execz .LBB203_1848
.LBB203_1868:
	v_cmp_ne_u16_e32 vcc, 0, v6
	s_andn2_b64 s[6:7], s[6:7], exec
	s_and_b64 s[10:11], vcc, exec
	s_or_b64 s[6:7], s[6:7], s[10:11]
	v_mov_b32_e32 v30, v6
	s_or_b64 exec, exec, s[8:9]
	s_and_saveexec_b64 s[8:9], s[6:7]
	s_cbranch_execnz .LBB203_1849
	s_branch .LBB203_1850
.LBB203_1869:
	s_mov_b64 s[4:5], -1
                                        ; implicit-def: $vgpr30
.LBB203_1870:
	s_mov_b64 s[10:11], 0
.LBB203_1871:
	s_mov_b64 s[6:7], 0
	s_and_b64 vcc, exec, s[10:11]
	s_cbranch_vccz .LBB203_1873
; %bb.1872:
	v_mov_b32_e32 v6, 11
	v_cmp_ne_u16_sdwa s[4:5], v35, v6 src0_sel:BYTE_0 src1_sel:DWORD
	s_mov_b64 s[6:7], -1
                                        ; implicit-def: $vgpr30
.LBB203_1873:
	s_and_b64 vcc, exec, s[4:5]
	s_cbranch_vccnz .LBB203_1936
; %bb.1874:
	s_andn2_b64 vcc, exec, s[6:7]
	s_cbranch_vccnz .LBB203_1876
.LBB203_1875:
	global_load_ubyte v6, v[2:3], off
	v_mov_b32_e32 v7, 0x3c00
	s_mov_b64 s[8:9], -1
	s_waitcnt vmcnt(0)
	v_cmp_ne_u16_e32 vcc, 0, v6
	v_cndmask_b32_e32 v30, 0, v7, vcc
.LBB203_1876:
	s_branch .LBB203_1804
.LBB203_1877:
	v_mov_b32_e32 v6, 5
	v_cmp_lt_i16_sdwa s[4:5], v35, v6 src0_sel:BYTE_0 src1_sel:DWORD
	s_and_b64 vcc, exec, s[4:5]
	s_cbranch_vccnz .LBB203_1882
; %bb.1878:
	v_mov_b32_e32 v6, 8
	v_cmp_lt_i16_sdwa s[4:5], v35, v6 src0_sel:BYTE_0 src1_sel:DWORD
	s_and_b64 vcc, exec, s[4:5]
	s_cbranch_vccnz .LBB203_1883
; %bb.1879:
	;; [unrolled: 5-line block ×3, first 2 shown]
	v_cmp_gt_i16_sdwa s[4:5], v35, v6 src0_sel:BYTE_0 src1_sel:DWORD
	s_and_b64 vcc, exec, s[4:5]
	s_cbranch_vccz .LBB203_1885
; %bb.1881:
	global_load_dwordx2 v[6:7], v[2:3], off
	s_mov_b64 s[4:5], 0
	s_waitcnt vmcnt(0)
	v_cvt_f32_f64_e32 v6, v[6:7]
	v_cvt_f16_f32_e32 v30, v6
	s_branch .LBB203_1886
.LBB203_1882:
	s_mov_b64 s[4:5], -1
                                        ; implicit-def: $vgpr30
	s_branch .LBB203_1904
.LBB203_1883:
	s_mov_b64 s[4:5], -1
                                        ; implicit-def: $vgpr30
	s_branch .LBB203_1892
.LBB203_1884:
	s_mov_b64 s[4:5], -1
                                        ; implicit-def: $vgpr30
	s_branch .LBB203_1889
.LBB203_1885:
	s_mov_b64 s[4:5], -1
                                        ; implicit-def: $vgpr30
.LBB203_1886:
	s_andn2_b64 vcc, exec, s[4:5]
	s_cbranch_vccnz .LBB203_1888
; %bb.1887:
	global_load_dword v6, v[2:3], off
	s_waitcnt vmcnt(0)
	v_cvt_f16_f32_e32 v30, v6
.LBB203_1888:
	s_mov_b64 s[4:5], 0
.LBB203_1889:
	s_andn2_b64 vcc, exec, s[4:5]
	s_cbranch_vccnz .LBB203_1891
; %bb.1890:
	global_load_dword v30, v[2:3], off
.LBB203_1891:
	s_mov_b64 s[4:5], 0
.LBB203_1892:
	s_andn2_b64 vcc, exec, s[4:5]
	s_cbranch_vccnz .LBB203_1903
; %bb.1893:
	v_mov_b32_e32 v6, 6
	v_cmp_lt_i16_sdwa s[4:5], v35, v6 src0_sel:BYTE_0 src1_sel:DWORD
	s_and_b64 vcc, exec, s[4:5]
	s_cbranch_vccnz .LBB203_1896
; %bb.1894:
	v_cmp_gt_i16_sdwa s[4:5], v35, v6 src0_sel:BYTE_0 src1_sel:DWORD
	s_and_b64 vcc, exec, s[4:5]
	s_cbranch_vccz .LBB203_1897
; %bb.1895:
	global_load_dwordx2 v[6:7], v[2:3], off
	s_mov_b64 s[4:5], 0
	s_waitcnt vmcnt(0)
	v_cvt_f32_f64_e32 v6, v[6:7]
	v_cvt_f16_f32_e32 v30, v6
	s_branch .LBB203_1898
.LBB203_1896:
	s_mov_b64 s[4:5], -1
                                        ; implicit-def: $vgpr30
	s_branch .LBB203_1901
.LBB203_1897:
	s_mov_b64 s[4:5], -1
                                        ; implicit-def: $vgpr30
.LBB203_1898:
	s_andn2_b64 vcc, exec, s[4:5]
	s_cbranch_vccnz .LBB203_1900
; %bb.1899:
	global_load_dword v6, v[2:3], off
	s_waitcnt vmcnt(0)
	v_cvt_f16_f32_e32 v30, v6
.LBB203_1900:
	s_mov_b64 s[4:5], 0
.LBB203_1901:
	s_andn2_b64 vcc, exec, s[4:5]
	s_cbranch_vccnz .LBB203_1903
; %bb.1902:
	global_load_ushort v30, v[2:3], off
.LBB203_1903:
	s_mov_b64 s[4:5], 0
.LBB203_1904:
	s_andn2_b64 vcc, exec, s[4:5]
	s_cbranch_vccnz .LBB203_1924
; %bb.1905:
	v_mov_b32_e32 v6, 2
	v_cmp_lt_i16_sdwa s[4:5], v35, v6 src0_sel:BYTE_0 src1_sel:DWORD
	s_and_b64 vcc, exec, s[4:5]
	s_cbranch_vccnz .LBB203_1909
; %bb.1906:
	v_mov_b32_e32 v6, 3
	v_cmp_lt_i16_sdwa s[4:5], v35, v6 src0_sel:BYTE_0 src1_sel:DWORD
	s_and_b64 vcc, exec, s[4:5]
	s_cbranch_vccnz .LBB203_1910
; %bb.1907:
	v_cmp_gt_i16_sdwa s[4:5], v35, v6 src0_sel:BYTE_0 src1_sel:DWORD
	s_and_b64 vcc, exec, s[4:5]
	s_cbranch_vccz .LBB203_1911
; %bb.1908:
	global_load_dwordx2 v[6:7], v[2:3], off
	s_mov_b64 s[4:5], 0
	s_waitcnt vmcnt(0)
	v_xor_b32_e32 v9, v6, v7
	v_ffbh_i32_e32 v8, v7
	v_ashrrev_i32_e32 v9, 31, v9
	v_add_u32_e32 v8, -1, v8
	v_add_u32_e32 v9, 32, v9
	v_min_u32_e32 v8, v8, v9
	v_lshlrev_b64 v[6:7], v8, v[6:7]
	v_min_u32_e32 v6, 1, v6
	v_or_b32_e32 v6, v7, v6
	v_cvt_f32_i32_e32 v6, v6
	v_sub_u32_e32 v7, 32, v8
	v_ldexp_f32 v6, v6, v7
	v_cvt_f16_f32_e32 v30, v6
	s_branch .LBB203_1912
.LBB203_1909:
	s_mov_b64 s[4:5], -1
                                        ; implicit-def: $vgpr30
	s_branch .LBB203_1918
.LBB203_1910:
	s_mov_b64 s[4:5], -1
                                        ; implicit-def: $vgpr30
	s_branch .LBB203_1915
.LBB203_1911:
	s_mov_b64 s[4:5], -1
                                        ; implicit-def: $vgpr30
.LBB203_1912:
	s_andn2_b64 vcc, exec, s[4:5]
	s_cbranch_vccnz .LBB203_1914
; %bb.1913:
	global_load_dword v6, v[2:3], off
	s_waitcnt vmcnt(0)
	v_cvt_f32_i32_e32 v6, v6
	v_cvt_f16_f32_e32 v30, v6
.LBB203_1914:
	s_mov_b64 s[4:5], 0
.LBB203_1915:
	s_andn2_b64 vcc, exec, s[4:5]
	s_cbranch_vccnz .LBB203_1917
; %bb.1916:
	global_load_ushort v6, v[2:3], off
	s_waitcnt vmcnt(0)
	v_cvt_f16_i16_e32 v30, v6
.LBB203_1917:
	s_mov_b64 s[4:5], 0
.LBB203_1918:
	s_andn2_b64 vcc, exec, s[4:5]
	s_cbranch_vccnz .LBB203_1924
; %bb.1919:
	v_mov_b32_e32 v6, 0
	v_cmp_gt_i16_sdwa s[4:5], v35, v6 src0_sel:BYTE_0 src1_sel:DWORD
	s_and_b64 vcc, exec, s[4:5]
	s_cbranch_vccz .LBB203_1921
; %bb.1920:
	global_load_sbyte v6, v[2:3], off
	s_mov_b64 s[4:5], 0
	s_waitcnt vmcnt(0)
	v_cvt_f16_i16_e32 v30, v6
	s_branch .LBB203_1922
.LBB203_1921:
	s_mov_b64 s[4:5], -1
                                        ; implicit-def: $vgpr30
.LBB203_1922:
	s_andn2_b64 vcc, exec, s[4:5]
	s_cbranch_vccnz .LBB203_1924
; %bb.1923:
	global_load_ubyte v2, v[2:3], off
	s_waitcnt vmcnt(0)
	v_cvt_f16_u16_e32 v30, v2
.LBB203_1924:
.LBB203_1925:
	s_lshl_b32 s15, s38, 7
	v_add_u32_e32 v4, s15, v4
	v_ashrrev_i32_e32 v3, 31, v4
	v_mov_b32_e32 v6, s23
	v_add_co_u32_e32 v2, vcc, s22, v4
	v_addc_co_u32_e32 v3, vcc, v6, v3, vcc
	v_mov_b32_e32 v6, 11
	v_cmp_lt_i16_sdwa s[4:5], v38, v6 src0_sel:BYTE_0 src1_sel:DWORD
	s_and_b64 vcc, exec, s[4:5]
	s_cbranch_vccnz .LBB203_1932
; %bb.1926:
	v_mov_b32_e32 v6, 25
	v_cmp_gt_i16_sdwa s[4:5], v38, v6 src0_sel:BYTE_0 src1_sel:DWORD
	s_mov_b64 s[6:7], 0
	s_and_b64 vcc, exec, s[4:5]
	s_cbranch_vccz .LBB203_1933
; %bb.1927:
	v_mov_b32_e32 v6, 28
	v_cmp_gt_i16_sdwa s[4:5], v38, v6 src0_sel:BYTE_0 src1_sel:DWORD
	s_and_b64 vcc, exec, s[4:5]
	s_cbranch_vccz .LBB203_1934
; %bb.1928:
	v_mov_b32_e32 v6, 43
	v_cmp_gt_i16_sdwa s[4:5], v38, v6 src0_sel:BYTE_0 src1_sel:DWORD
	;; [unrolled: 5-line block ×3, first 2 shown]
	s_and_b64 vcc, exec, s[4:5]
	s_cbranch_vccz .LBB203_1937
; %bb.1930:
	v_mov_b32_e32 v6, 46
	v_cmp_eq_u16_sdwa s[4:5], v38, v6 src0_sel:BYTE_0 src1_sel:DWORD
	s_mov_b64 s[10:11], 0
	s_and_b64 vcc, exec, s[4:5]
	s_cbranch_vccz .LBB203_1938
; %bb.1931:
	global_load_dword v6, v[2:3], off
	s_mov_b64 s[4:5], 0
	s_mov_b64 s[8:9], -1
	s_waitcnt vmcnt(0)
	v_lshlrev_b32_e32 v6, 16, v6
	v_cvt_f16_f32_e32 v31, v6
	s_branch .LBB203_1939
.LBB203_1932:
	s_mov_b64 s[4:5], -1
	s_mov_b64 s[8:9], 0
                                        ; implicit-def: $vgpr31
	s_branch .LBB203_2005
.LBB203_1933:
	s_mov_b64 s[10:11], -1
	s_mov_b64 s[8:9], 0
	s_mov_b64 s[4:5], 0
                                        ; implicit-def: $vgpr31
	s_branch .LBB203_1968
.LBB203_1934:
	s_mov_b64 s[10:11], -1
	s_mov_b64 s[8:9], 0
	s_mov_b64 s[4:5], 0
                                        ; implicit-def: $vgpr31
	s_branch .LBB203_1949
.LBB203_1935:
	s_mov_b64 s[10:11], -1
	s_mov_b64 s[8:9], 0
	s_mov_b64 s[4:5], 0
                                        ; implicit-def: $vgpr31
	s_branch .LBB203_1944
.LBB203_1936:
	s_trap 2
	s_or_b64 s[42:43], s[42:43], exec
                                        ; implicit-def: $vgpr30
	s_cbranch_execz .LBB203_1875
	s_branch .LBB203_1876
.LBB203_1937:
	s_mov_b64 s[10:11], -1
	s_mov_b64 s[8:9], 0
	s_mov_b64 s[4:5], 0
                                        ; implicit-def: $vgpr31
	s_branch .LBB203_1939
.LBB203_1938:
	s_mov_b64 s[4:5], -1
                                        ; implicit-def: $vgpr31
	s_mov_b64 s[8:9], 0
.LBB203_1939:
	s_and_b64 vcc, exec, s[10:11]
	s_cbranch_vccz .LBB203_1943
; %bb.1940:
	v_mov_b32_e32 v6, 44
	v_cmp_eq_u16_sdwa s[4:5], v38, v6 src0_sel:BYTE_0 src1_sel:DWORD
	s_and_b64 vcc, exec, s[4:5]
	s_cbranch_vccz .LBB203_1942
; %bb.1941:
	global_load_ubyte v6, v[2:3], off
	s_movk_i32 s8, 0xff
	v_mov_b32_e32 v8, 0x7e00
	s_mov_b64 s[4:5], 0
	s_waitcnt vmcnt(0)
	v_lshlrev_b32_e32 v7, 23, v6
	v_cvt_f16_f32_e32 v7, v7
	v_cmp_ne_u32_e32 vcc, s8, v6
	s_mov_b64 s[8:9], -1
	v_cndmask_b32_e32 v7, v8, v7, vcc
	v_cmp_ne_u32_e32 vcc, 0, v6
	v_cndmask_b32_e32 v31, 0, v7, vcc
	s_branch .LBB203_1943
.LBB203_1942:
	s_mov_b64 s[4:5], -1
                                        ; implicit-def: $vgpr31
.LBB203_1943:
	s_mov_b64 s[10:11], 0
.LBB203_1944:
	s_and_b64 vcc, exec, s[10:11]
	s_cbranch_vccz .LBB203_1948
; %bb.1945:
	v_mov_b32_e32 v6, 29
	v_cmp_eq_u16_sdwa s[4:5], v38, v6 src0_sel:BYTE_0 src1_sel:DWORD
	s_and_b64 vcc, exec, s[4:5]
	s_cbranch_vccz .LBB203_1947
; %bb.1946:
	global_load_dwordx2 v[6:7], v[2:3], off
	s_mov_b64 s[4:5], 0
	s_mov_b64 s[8:9], -1
	s_mov_b64 s[10:11], 0
	s_waitcnt vmcnt(0)
	v_ffbh_u32_e32 v8, v7
	v_min_u32_e32 v8, 32, v8
	v_lshlrev_b64 v[6:7], v8, v[6:7]
	v_min_u32_e32 v6, 1, v6
	v_or_b32_e32 v6, v7, v6
	v_cvt_f32_u32_e32 v6, v6
	v_sub_u32_e32 v7, 32, v8
	v_ldexp_f32 v6, v6, v7
	v_cvt_f16_f32_e32 v31, v6
	s_branch .LBB203_1949
.LBB203_1947:
	s_mov_b64 s[4:5], -1
                                        ; implicit-def: $vgpr31
.LBB203_1948:
	s_mov_b64 s[10:11], 0
.LBB203_1949:
	s_and_b64 vcc, exec, s[10:11]
	s_cbranch_vccz .LBB203_1967
; %bb.1950:
	v_mov_b32_e32 v6, 27
	v_cmp_lt_i16_sdwa s[8:9], v38, v6 src0_sel:BYTE_0 src1_sel:DWORD
	s_and_b64 vcc, exec, s[8:9]
	s_cbranch_vccnz .LBB203_1953
; %bb.1951:
	v_cmp_gt_i16_sdwa s[8:9], v38, v6 src0_sel:BYTE_0 src1_sel:DWORD
	s_and_b64 vcc, exec, s[8:9]
	s_cbranch_vccz .LBB203_1954
; %bb.1952:
	global_load_dword v6, v[2:3], off
	s_mov_b64 s[8:9], 0
	s_waitcnt vmcnt(0)
	v_cvt_f32_u32_e32 v6, v6
	v_cvt_f16_f32_e32 v31, v6
	s_branch .LBB203_1955
.LBB203_1953:
	s_mov_b64 s[8:9], -1
                                        ; implicit-def: $vgpr31
	s_branch .LBB203_1958
.LBB203_1954:
	s_mov_b64 s[8:9], -1
                                        ; implicit-def: $vgpr31
.LBB203_1955:
	s_andn2_b64 vcc, exec, s[8:9]
	s_cbranch_vccnz .LBB203_1957
; %bb.1956:
	global_load_ushort v6, v[2:3], off
	s_waitcnt vmcnt(0)
	v_cvt_f16_u16_e32 v31, v6
.LBB203_1957:
	s_mov_b64 s[8:9], 0
.LBB203_1958:
	s_andn2_b64 vcc, exec, s[8:9]
	s_cbranch_vccnz .LBB203_1966
; %bb.1959:
	global_load_ubyte v6, v[2:3], off
	s_movk_i32 s8, 0x7f
                                        ; implicit-def: $sgpr16
	s_waitcnt vmcnt(0)
	v_cmp_lt_i16_e32 vcc, s8, v6
	s_mov_b64 s[8:9], 0
	s_and_saveexec_b64 s[10:11], vcc
	s_xor_b64 s[10:11], exec, s[10:11]
	s_cbranch_execz .LBB203_1980
; %bb.1960:
	s_movk_i32 s8, 0x80
	v_cmp_eq_u16_e32 vcc, s8, v6
	s_mov_b64 s[8:9], -1
                                        ; implicit-def: $sgpr16
	s_and_saveexec_b64 s[12:13], vcc
; %bb.1961:
	s_movk_i32 s16, 0x7e00
	s_xor_b64 s[8:9], exec, -1
; %bb.1962:
	s_or_b64 exec, exec, s[12:13]
	s_and_b64 s[8:9], s[8:9], exec
	s_or_saveexec_b64 s[10:11], s[10:11]
	v_mov_b32_e32 v31, s16
	s_xor_b64 exec, exec, s[10:11]
	s_cbranch_execnz .LBB203_1981
.LBB203_1963:
	s_or_b64 exec, exec, s[10:11]
	s_and_saveexec_b64 s[10:11], s[8:9]
	s_cbranch_execz .LBB203_1965
.LBB203_1964:
	v_lshlrev_b32_e32 v7, 24, v6
	v_and_b32_e32 v6, 0xffff, v6
	v_and_b32_e32 v8, 7, v6
	v_ffbh_u32_e32 v10, v8
	v_min_u32_e32 v10, 32, v10
	v_subrev_u32_e32 v11, 28, v10
	v_bfe_u32 v9, v6, 3, 4
	v_lshlrev_b32_e32 v6, v11, v6
	v_sub_u32_e32 v10, 29, v10
	v_and_b32_e32 v6, 7, v6
	v_cmp_eq_u32_e32 vcc, 0, v9
	v_cndmask_b32_e32 v9, v9, v10, vcc
	v_cndmask_b32_e32 v6, v8, v6, vcc
	v_mov_b32_e32 v8, 0x3b800000
	v_lshlrev_b32_e32 v6, 20, v6
	v_and_b32_e32 v7, 0x80000000, v7
	v_lshl_add_u32 v8, v9, 23, v8
	v_or3_b32 v6, v7, v8, v6
	v_cvt_f16_f32_e32 v31, v6
.LBB203_1965:
	s_or_b64 exec, exec, s[10:11]
.LBB203_1966:
	s_mov_b64 s[8:9], -1
.LBB203_1967:
	s_mov_b64 s[10:11], 0
.LBB203_1968:
	s_and_b64 vcc, exec, s[10:11]
	s_cbranch_vccz .LBB203_2001
; %bb.1969:
	v_mov_b32_e32 v6, 22
	v_cmp_gt_i16_sdwa s[6:7], v38, v6 src0_sel:BYTE_0 src1_sel:DWORD
	s_and_b64 vcc, exec, s[6:7]
	s_cbranch_vccz .LBB203_1979
; %bb.1970:
	v_mov_b32_e32 v6, 24
	v_cmp_lt_i16_sdwa s[6:7], v38, v6 src0_sel:BYTE_0 src1_sel:DWORD
	s_and_b64 vcc, exec, s[6:7]
	s_cbranch_vccnz .LBB203_1982
; %bb.1971:
	v_cmp_gt_i16_sdwa s[6:7], v38, v6 src0_sel:BYTE_0 src1_sel:DWORD
	s_and_b64 vcc, exec, s[6:7]
	s_cbranch_vccz .LBB203_1983
; %bb.1972:
	global_load_ubyte v6, v[2:3], off
	s_movk_i32 s6, 0x7f
                                        ; implicit-def: $sgpr12
	s_waitcnt vmcnt(0)
	v_cmp_lt_i16_e32 vcc, s6, v6
	s_mov_b64 s[6:7], 0
	s_and_saveexec_b64 s[8:9], vcc
	s_xor_b64 s[8:9], exec, s[8:9]
	s_cbranch_execz .LBB203_1995
; %bb.1973:
	s_movk_i32 s6, 0x80
	v_cmp_eq_u16_e32 vcc, s6, v6
	s_mov_b64 s[6:7], -1
                                        ; implicit-def: $sgpr12
	s_and_saveexec_b64 s[10:11], vcc
; %bb.1974:
	s_movk_i32 s12, 0x7e00
	s_xor_b64 s[6:7], exec, -1
; %bb.1975:
	s_or_b64 exec, exec, s[10:11]
	s_and_b64 s[6:7], s[6:7], exec
	s_or_saveexec_b64 s[8:9], s[8:9]
	v_mov_b32_e32 v31, s12
	s_xor_b64 exec, exec, s[8:9]
	s_cbranch_execnz .LBB203_1996
.LBB203_1976:
	s_or_b64 exec, exec, s[8:9]
	s_and_saveexec_b64 s[8:9], s[6:7]
	s_cbranch_execz .LBB203_1978
.LBB203_1977:
	v_lshlrev_b32_e32 v7, 24, v6
	v_and_b32_e32 v6, 0xffff, v6
	v_and_b32_e32 v8, 3, v6
	v_ffbh_u32_e32 v10, v8
	v_min_u32_e32 v10, 32, v10
	v_subrev_u32_e32 v11, 29, v10
	v_bfe_u32 v9, v6, 2, 5
	v_lshlrev_b32_e32 v6, v11, v6
	v_sub_u32_e32 v10, 30, v10
	v_and_b32_e32 v6, 3, v6
	v_cmp_eq_u32_e32 vcc, 0, v9
	v_cndmask_b32_e32 v9, v9, v10, vcc
	v_cndmask_b32_e32 v6, v8, v6, vcc
	v_mov_b32_e32 v8, 0x37800000
	v_lshlrev_b32_e32 v6, 21, v6
	v_and_b32_e32 v7, 0x80000000, v7
	v_lshl_add_u32 v8, v9, 23, v8
	v_or3_b32 v6, v7, v8, v6
	v_cvt_f16_f32_e32 v31, v6
.LBB203_1978:
	s_or_b64 exec, exec, s[8:9]
	s_mov_b64 s[6:7], 0
	s_branch .LBB203_1984
.LBB203_1979:
	s_mov_b64 s[6:7], -1
                                        ; implicit-def: $vgpr31
	s_branch .LBB203_1990
.LBB203_1980:
	s_or_saveexec_b64 s[10:11], s[10:11]
	v_mov_b32_e32 v31, s16
	s_xor_b64 exec, exec, s[10:11]
	s_cbranch_execz .LBB203_1963
.LBB203_1981:
	v_cmp_ne_u16_e32 vcc, 0, v6
	s_andn2_b64 s[8:9], s[8:9], exec
	s_and_b64 s[12:13], vcc, exec
	s_or_b64 s[8:9], s[8:9], s[12:13]
	v_mov_b32_e32 v31, v6
	s_or_b64 exec, exec, s[10:11]
	s_and_saveexec_b64 s[10:11], s[8:9]
	s_cbranch_execnz .LBB203_1964
	s_branch .LBB203_1965
.LBB203_1982:
	s_mov_b64 s[6:7], -1
                                        ; implicit-def: $vgpr31
	s_branch .LBB203_1987
.LBB203_1983:
	s_mov_b64 s[6:7], -1
                                        ; implicit-def: $vgpr31
.LBB203_1984:
	s_and_b64 vcc, exec, s[6:7]
	s_cbranch_vccz .LBB203_1986
; %bb.1985:
	global_load_ubyte v6, v[2:3], off
	s_mov_b32 s6, 0x7f800000
	s_waitcnt vmcnt(0)
	v_lshlrev_b32_e32 v6, 24, v6
	v_and_b32_e32 v7, 0x7f000000, v6
	v_ffbh_u32_e32 v8, v7
	v_min_u32_e32 v8, 32, v8
	v_sub_u32_e64 v8, v8, 4 clamp
	v_lshlrev_b32_e32 v10, v8, v7
	v_lshlrev_b32_e32 v8, 23, v8
	v_lshrrev_b32_e32 v10, 4, v10
	v_add_u32_e32 v9, 0x1000000, v7
	v_sub_u32_e32 v8, v10, v8
	v_ashrrev_i32_e32 v9, 8, v9
	v_add_u32_e32 v8, 0x3c000000, v8
	v_and_or_b32 v8, v9, s6, v8
	v_cmp_ne_u32_e32 vcc, 0, v7
	v_cndmask_b32_e32 v7, 0, v8, vcc
	s_brev_b32 s6, 1
	v_and_or_b32 v6, v6, s6, v7
	v_cvt_f16_f32_e32 v31, v6
.LBB203_1986:
	s_mov_b64 s[6:7], 0
.LBB203_1987:
	s_andn2_b64 vcc, exec, s[6:7]
	s_cbranch_vccnz .LBB203_1989
; %bb.1988:
	global_load_ubyte v6, v[2:3], off
	s_movk_i32 s6, 0x7f00
	s_brev_b32 s7, 16
	s_waitcnt vmcnt(0)
	v_lshlrev_b16_e32 v7, 8, v6
	v_lshlrev_b32_e32 v6, 25, v6
	v_lshrrev_b32_e32 v8, 4, v6
	v_and_or_b32 v9, v7, s6, 0.5
	v_or_b32_e32 v8, 0x70000000, v8
	v_add_f32_e32 v9, -0.5, v9
	v_mul_f32_e32 v8, 0x7800000, v8
	v_cmp_gt_u32_e32 vcc, s7, v6
	v_bfe_i32 v7, v7, 0, 16
	v_cndmask_b32_e32 v6, v8, v9, vcc
	s_brev_b32 s6, 1
	v_and_or_b32 v6, v7, s6, v6
	v_cvt_f16_f32_e32 v31, v6
.LBB203_1989:
	s_mov_b64 s[6:7], 0
	s_mov_b64 s[8:9], -1
.LBB203_1990:
	s_andn2_b64 vcc, exec, s[6:7]
	s_mov_b64 s[6:7], 0
	s_cbranch_vccnz .LBB203_2001
; %bb.1991:
	v_mov_b32_e32 v6, 14
	v_cmp_gt_i16_sdwa s[6:7], v38, v6 src0_sel:BYTE_0 src1_sel:DWORD
	s_and_b64 vcc, exec, s[6:7]
	s_cbranch_vccz .LBB203_1994
; %bb.1992:
	v_mov_b32_e32 v6, 15
	v_cmp_eq_u16_sdwa s[4:5], v38, v6 src0_sel:BYTE_0 src1_sel:DWORD
	s_and_b64 vcc, exec, s[4:5]
	s_cbranch_vccz .LBB203_1997
; %bb.1993:
	global_load_ushort v6, v[2:3], off
	s_mov_b64 s[4:5], 0
	s_mov_b64 s[8:9], -1
	s_waitcnt vmcnt(0)
	v_lshlrev_b32_e32 v6, 16, v6
	v_cvt_f16_f32_e32 v31, v6
	s_branch .LBB203_1998
.LBB203_1994:
	s_mov_b64 s[10:11], -1
                                        ; implicit-def: $vgpr31
	s_branch .LBB203_1999
.LBB203_1995:
	s_or_saveexec_b64 s[8:9], s[8:9]
	v_mov_b32_e32 v31, s12
	s_xor_b64 exec, exec, s[8:9]
	s_cbranch_execz .LBB203_1976
.LBB203_1996:
	v_cmp_ne_u16_e32 vcc, 0, v6
	s_andn2_b64 s[6:7], s[6:7], exec
	s_and_b64 s[10:11], vcc, exec
	s_or_b64 s[6:7], s[6:7], s[10:11]
	v_mov_b32_e32 v31, v6
	s_or_b64 exec, exec, s[8:9]
	s_and_saveexec_b64 s[8:9], s[6:7]
	s_cbranch_execnz .LBB203_1977
	s_branch .LBB203_1978
.LBB203_1997:
	s_mov_b64 s[4:5], -1
                                        ; implicit-def: $vgpr31
.LBB203_1998:
	s_mov_b64 s[10:11], 0
.LBB203_1999:
	s_mov_b64 s[6:7], 0
	s_and_b64 vcc, exec, s[10:11]
	s_cbranch_vccz .LBB203_2001
; %bb.2000:
	v_mov_b32_e32 v6, 11
	v_cmp_ne_u16_sdwa s[4:5], v38, v6 src0_sel:BYTE_0 src1_sel:DWORD
	s_mov_b64 s[6:7], -1
                                        ; implicit-def: $vgpr31
.LBB203_2001:
	s_and_b64 vcc, exec, s[4:5]
	s_cbranch_vccnz .LBB203_2066
; %bb.2002:
	s_andn2_b64 vcc, exec, s[6:7]
	s_cbranch_vccnz .LBB203_2004
.LBB203_2003:
	global_load_ubyte v6, v[2:3], off
	v_mov_b32_e32 v7, 0x3c00
	s_mov_b64 s[8:9], -1
	s_waitcnt vmcnt(0)
	v_cmp_ne_u16_e32 vcc, 0, v6
	v_cndmask_b32_e32 v31, 0, v7, vcc
.LBB203_2004:
	s_mov_b64 s[4:5], 0
.LBB203_2005:
	s_and_b64 vcc, exec, s[4:5]
	s_cbranch_vccz .LBB203_2054
; %bb.2006:
	v_mov_b32_e32 v6, 5
	v_cmp_lt_i16_sdwa s[4:5], v38, v6 src0_sel:BYTE_0 src1_sel:DWORD
	s_and_b64 vcc, exec, s[4:5]
	s_cbranch_vccnz .LBB203_2011
; %bb.2007:
	v_mov_b32_e32 v6, 8
	v_cmp_lt_i16_sdwa s[4:5], v38, v6 src0_sel:BYTE_0 src1_sel:DWORD
	s_and_b64 vcc, exec, s[4:5]
	s_cbranch_vccnz .LBB203_2012
	;; [unrolled: 5-line block ×3, first 2 shown]
; %bb.2009:
	v_cmp_gt_i16_sdwa s[4:5], v38, v6 src0_sel:BYTE_0 src1_sel:DWORD
	s_and_b64 vcc, exec, s[4:5]
	s_cbranch_vccz .LBB203_2014
; %bb.2010:
	global_load_dwordx2 v[6:7], v[2:3], off
	s_mov_b64 s[4:5], 0
	s_waitcnt vmcnt(0)
	v_cvt_f32_f64_e32 v6, v[6:7]
	v_cvt_f16_f32_e32 v31, v6
	s_branch .LBB203_2015
.LBB203_2011:
	s_mov_b64 s[4:5], -1
                                        ; implicit-def: $vgpr31
	s_branch .LBB203_2033
.LBB203_2012:
	s_mov_b64 s[4:5], -1
                                        ; implicit-def: $vgpr31
	s_branch .LBB203_2021
.LBB203_2013:
	s_mov_b64 s[4:5], -1
                                        ; implicit-def: $vgpr31
	s_branch .LBB203_2018
.LBB203_2014:
	s_mov_b64 s[4:5], -1
                                        ; implicit-def: $vgpr31
.LBB203_2015:
	s_andn2_b64 vcc, exec, s[4:5]
	s_cbranch_vccnz .LBB203_2017
; %bb.2016:
	global_load_dword v6, v[2:3], off
	s_waitcnt vmcnt(0)
	v_cvt_f16_f32_e32 v31, v6
.LBB203_2017:
	s_mov_b64 s[4:5], 0
.LBB203_2018:
	s_andn2_b64 vcc, exec, s[4:5]
	s_cbranch_vccnz .LBB203_2020
; %bb.2019:
	global_load_dword v31, v[2:3], off
.LBB203_2020:
	s_mov_b64 s[4:5], 0
.LBB203_2021:
	s_andn2_b64 vcc, exec, s[4:5]
	s_cbranch_vccnz .LBB203_2032
; %bb.2022:
	v_mov_b32_e32 v6, 6
	v_cmp_lt_i16_sdwa s[4:5], v38, v6 src0_sel:BYTE_0 src1_sel:DWORD
	s_and_b64 vcc, exec, s[4:5]
	s_cbranch_vccnz .LBB203_2025
; %bb.2023:
	v_cmp_gt_i16_sdwa s[4:5], v38, v6 src0_sel:BYTE_0 src1_sel:DWORD
	s_and_b64 vcc, exec, s[4:5]
	s_cbranch_vccz .LBB203_2026
; %bb.2024:
	global_load_dwordx2 v[6:7], v[2:3], off
	s_mov_b64 s[4:5], 0
	s_waitcnt vmcnt(0)
	v_cvt_f32_f64_e32 v6, v[6:7]
	v_cvt_f16_f32_e32 v31, v6
	s_branch .LBB203_2027
.LBB203_2025:
	s_mov_b64 s[4:5], -1
                                        ; implicit-def: $vgpr31
	s_branch .LBB203_2030
.LBB203_2026:
	s_mov_b64 s[4:5], -1
                                        ; implicit-def: $vgpr31
.LBB203_2027:
	s_andn2_b64 vcc, exec, s[4:5]
	s_cbranch_vccnz .LBB203_2029
; %bb.2028:
	global_load_dword v6, v[2:3], off
	s_waitcnt vmcnt(0)
	v_cvt_f16_f32_e32 v31, v6
.LBB203_2029:
	s_mov_b64 s[4:5], 0
.LBB203_2030:
	s_andn2_b64 vcc, exec, s[4:5]
	s_cbranch_vccnz .LBB203_2032
; %bb.2031:
	global_load_ushort v31, v[2:3], off
.LBB203_2032:
	s_mov_b64 s[4:5], 0
.LBB203_2033:
	s_andn2_b64 vcc, exec, s[4:5]
	s_cbranch_vccnz .LBB203_2053
; %bb.2034:
	v_mov_b32_e32 v6, 2
	v_cmp_lt_i16_sdwa s[4:5], v38, v6 src0_sel:BYTE_0 src1_sel:DWORD
	s_and_b64 vcc, exec, s[4:5]
	s_cbranch_vccnz .LBB203_2038
; %bb.2035:
	v_mov_b32_e32 v6, 3
	v_cmp_lt_i16_sdwa s[4:5], v38, v6 src0_sel:BYTE_0 src1_sel:DWORD
	s_and_b64 vcc, exec, s[4:5]
	s_cbranch_vccnz .LBB203_2039
; %bb.2036:
	v_cmp_gt_i16_sdwa s[4:5], v38, v6 src0_sel:BYTE_0 src1_sel:DWORD
	s_and_b64 vcc, exec, s[4:5]
	s_cbranch_vccz .LBB203_2040
; %bb.2037:
	global_load_dwordx2 v[6:7], v[2:3], off
	s_mov_b64 s[4:5], 0
	s_waitcnt vmcnt(0)
	v_xor_b32_e32 v9, v6, v7
	v_ffbh_i32_e32 v8, v7
	v_ashrrev_i32_e32 v9, 31, v9
	v_add_u32_e32 v8, -1, v8
	v_add_u32_e32 v9, 32, v9
	v_min_u32_e32 v8, v8, v9
	v_lshlrev_b64 v[6:7], v8, v[6:7]
	v_min_u32_e32 v6, 1, v6
	v_or_b32_e32 v6, v7, v6
	v_cvt_f32_i32_e32 v6, v6
	v_sub_u32_e32 v7, 32, v8
	v_ldexp_f32 v6, v6, v7
	v_cvt_f16_f32_e32 v31, v6
	s_branch .LBB203_2041
.LBB203_2038:
	s_mov_b64 s[4:5], -1
                                        ; implicit-def: $vgpr31
	s_branch .LBB203_2047
.LBB203_2039:
	s_mov_b64 s[4:5], -1
                                        ; implicit-def: $vgpr31
	s_branch .LBB203_2044
.LBB203_2040:
	s_mov_b64 s[4:5], -1
                                        ; implicit-def: $vgpr31
.LBB203_2041:
	s_andn2_b64 vcc, exec, s[4:5]
	s_cbranch_vccnz .LBB203_2043
; %bb.2042:
	global_load_dword v6, v[2:3], off
	s_waitcnt vmcnt(0)
	v_cvt_f32_i32_e32 v6, v6
	v_cvt_f16_f32_e32 v31, v6
.LBB203_2043:
	s_mov_b64 s[4:5], 0
.LBB203_2044:
	s_andn2_b64 vcc, exec, s[4:5]
	s_cbranch_vccnz .LBB203_2046
; %bb.2045:
	global_load_ushort v6, v[2:3], off
	s_waitcnt vmcnt(0)
	v_cvt_f16_i16_e32 v31, v6
.LBB203_2046:
	s_mov_b64 s[4:5], 0
.LBB203_2047:
	s_andn2_b64 vcc, exec, s[4:5]
	s_cbranch_vccnz .LBB203_2053
; %bb.2048:
	v_mov_b32_e32 v6, 0
	v_cmp_gt_i16_sdwa s[4:5], v38, v6 src0_sel:BYTE_0 src1_sel:DWORD
	s_and_b64 vcc, exec, s[4:5]
	s_cbranch_vccz .LBB203_2050
; %bb.2049:
	global_load_sbyte v6, v[2:3], off
	s_mov_b64 s[4:5], 0
	s_waitcnt vmcnt(0)
	v_cvt_f16_i16_e32 v31, v6
	s_branch .LBB203_2051
.LBB203_2050:
	s_mov_b64 s[4:5], -1
                                        ; implicit-def: $vgpr31
.LBB203_2051:
	s_andn2_b64 vcc, exec, s[4:5]
	s_cbranch_vccnz .LBB203_2053
; %bb.2052:
	global_load_ubyte v2, v[2:3], off
	s_waitcnt vmcnt(0)
	v_cvt_f16_u16_e32 v31, v2
.LBB203_2053:
	s_mov_b64 s[8:9], -1
.LBB203_2054:
	s_andn2_b64 vcc, exec, s[8:9]
	s_cbranch_vccnz .LBB203_3030
; %bb.2055:
	v_add_u32_e32 v5, s14, v5
	v_ashrrev_i32_e32 v3, 31, v5
	v_mov_b32_e32 v6, s27
	v_add_co_u32_e32 v2, vcc, s26, v5
	v_addc_co_u32_e32 v3, vcc, v6, v3, vcc
	v_mov_b32_e32 v6, 11
	v_cmp_lt_i16_sdwa s[4:5], v35, v6 src0_sel:BYTE_0 src1_sel:DWORD
	s_and_b64 vcc, exec, s[4:5]
	s_cbranch_vccnz .LBB203_2062
; %bb.2056:
	v_mov_b32_e32 v6, 25
	v_cmp_gt_i16_sdwa s[4:5], v35, v6 src0_sel:BYTE_0 src1_sel:DWORD
	s_mov_b64 s[6:7], 0
	s_and_b64 vcc, exec, s[4:5]
	s_cbranch_vccz .LBB203_2063
; %bb.2057:
	v_mov_b32_e32 v6, 28
	v_cmp_gt_i16_sdwa s[4:5], v35, v6 src0_sel:BYTE_0 src1_sel:DWORD
	s_and_b64 vcc, exec, s[4:5]
	s_cbranch_vccz .LBB203_2064
; %bb.2058:
	v_mov_b32_e32 v6, 43
	v_cmp_gt_i16_sdwa s[4:5], v35, v6 src0_sel:BYTE_0 src1_sel:DWORD
	;; [unrolled: 5-line block ×3, first 2 shown]
	s_and_b64 vcc, exec, s[4:5]
	s_cbranch_vccz .LBB203_2067
; %bb.2060:
	v_mov_b32_e32 v6, 46
	v_cmp_eq_u16_sdwa s[4:5], v35, v6 src0_sel:BYTE_0 src1_sel:DWORD
	s_mov_b64 s[10:11], 0
	s_and_b64 vcc, exec, s[4:5]
	s_cbranch_vccz .LBB203_2068
; %bb.2061:
	global_load_dword v6, v[2:3], off
	s_mov_b64 s[4:5], 0
	s_mov_b64 s[8:9], -1
	s_waitcnt vmcnt(0)
	v_lshlrev_b32_e32 v6, 16, v6
	v_cvt_f16_f32_e32 v32, v6
	s_branch .LBB203_2069
.LBB203_2062:
	s_mov_b64 s[4:5], -1
	s_mov_b64 s[8:9], 0
                                        ; implicit-def: $vgpr32
	s_branch .LBB203_2135
.LBB203_2063:
	s_mov_b64 s[10:11], -1
	s_mov_b64 s[8:9], 0
	s_mov_b64 s[4:5], 0
                                        ; implicit-def: $vgpr32
	s_branch .LBB203_2098
.LBB203_2064:
	s_mov_b64 s[10:11], -1
	s_mov_b64 s[8:9], 0
	s_mov_b64 s[4:5], 0
                                        ; implicit-def: $vgpr32
	s_branch .LBB203_2079
.LBB203_2065:
	s_mov_b64 s[10:11], -1
	s_mov_b64 s[8:9], 0
	s_mov_b64 s[4:5], 0
                                        ; implicit-def: $vgpr32
	s_branch .LBB203_2074
.LBB203_2066:
	s_trap 2
	s_or_b64 s[42:43], s[42:43], exec
                                        ; implicit-def: $vgpr31
	s_cbranch_execz .LBB203_2003
	s_branch .LBB203_2004
.LBB203_2067:
	s_mov_b64 s[10:11], -1
	s_mov_b64 s[8:9], 0
	s_mov_b64 s[4:5], 0
                                        ; implicit-def: $vgpr32
	s_branch .LBB203_2069
.LBB203_2068:
	s_mov_b64 s[4:5], -1
                                        ; implicit-def: $vgpr32
	s_mov_b64 s[8:9], 0
.LBB203_2069:
	s_and_b64 vcc, exec, s[10:11]
	s_cbranch_vccz .LBB203_2073
; %bb.2070:
	v_mov_b32_e32 v6, 44
	v_cmp_eq_u16_sdwa s[4:5], v35, v6 src0_sel:BYTE_0 src1_sel:DWORD
	s_and_b64 vcc, exec, s[4:5]
	s_cbranch_vccz .LBB203_2072
; %bb.2071:
	global_load_ubyte v6, v[2:3], off
	s_movk_i32 s8, 0xff
	v_mov_b32_e32 v8, 0x7e00
	s_mov_b64 s[4:5], 0
	s_waitcnt vmcnt(0)
	v_lshlrev_b32_e32 v7, 23, v6
	v_cvt_f16_f32_e32 v7, v7
	v_cmp_ne_u32_e32 vcc, s8, v6
	s_mov_b64 s[8:9], -1
	v_cndmask_b32_e32 v7, v8, v7, vcc
	v_cmp_ne_u32_e32 vcc, 0, v6
	v_cndmask_b32_e32 v32, 0, v7, vcc
	s_branch .LBB203_2073
.LBB203_2072:
	s_mov_b64 s[4:5], -1
                                        ; implicit-def: $vgpr32
.LBB203_2073:
	s_mov_b64 s[10:11], 0
.LBB203_2074:
	s_and_b64 vcc, exec, s[10:11]
	s_cbranch_vccz .LBB203_2078
; %bb.2075:
	v_mov_b32_e32 v6, 29
	v_cmp_eq_u16_sdwa s[4:5], v35, v6 src0_sel:BYTE_0 src1_sel:DWORD
	s_and_b64 vcc, exec, s[4:5]
	s_cbranch_vccz .LBB203_2077
; %bb.2076:
	global_load_dwordx2 v[6:7], v[2:3], off
	s_mov_b64 s[4:5], 0
	s_mov_b64 s[8:9], -1
	s_mov_b64 s[10:11], 0
	s_waitcnt vmcnt(0)
	v_ffbh_u32_e32 v8, v7
	v_min_u32_e32 v8, 32, v8
	v_lshlrev_b64 v[6:7], v8, v[6:7]
	v_min_u32_e32 v6, 1, v6
	v_or_b32_e32 v6, v7, v6
	v_cvt_f32_u32_e32 v6, v6
	v_sub_u32_e32 v7, 32, v8
	v_ldexp_f32 v6, v6, v7
	v_cvt_f16_f32_e32 v32, v6
	s_branch .LBB203_2079
.LBB203_2077:
	s_mov_b64 s[4:5], -1
                                        ; implicit-def: $vgpr32
.LBB203_2078:
	s_mov_b64 s[10:11], 0
.LBB203_2079:
	s_and_b64 vcc, exec, s[10:11]
	s_cbranch_vccz .LBB203_2097
; %bb.2080:
	v_mov_b32_e32 v6, 27
	v_cmp_lt_i16_sdwa s[8:9], v35, v6 src0_sel:BYTE_0 src1_sel:DWORD
	s_and_b64 vcc, exec, s[8:9]
	s_cbranch_vccnz .LBB203_2083
; %bb.2081:
	v_cmp_gt_i16_sdwa s[8:9], v35, v6 src0_sel:BYTE_0 src1_sel:DWORD
	s_and_b64 vcc, exec, s[8:9]
	s_cbranch_vccz .LBB203_2084
; %bb.2082:
	global_load_dword v6, v[2:3], off
	s_mov_b64 s[8:9], 0
	s_waitcnt vmcnt(0)
	v_cvt_f32_u32_e32 v6, v6
	v_cvt_f16_f32_e32 v32, v6
	s_branch .LBB203_2085
.LBB203_2083:
	s_mov_b64 s[8:9], -1
                                        ; implicit-def: $vgpr32
	s_branch .LBB203_2088
.LBB203_2084:
	s_mov_b64 s[8:9], -1
                                        ; implicit-def: $vgpr32
.LBB203_2085:
	s_andn2_b64 vcc, exec, s[8:9]
	s_cbranch_vccnz .LBB203_2087
; %bb.2086:
	global_load_ushort v6, v[2:3], off
	s_waitcnt vmcnt(0)
	v_cvt_f16_u16_e32 v32, v6
.LBB203_2087:
	s_mov_b64 s[8:9], 0
.LBB203_2088:
	s_andn2_b64 vcc, exec, s[8:9]
	s_cbranch_vccnz .LBB203_2096
; %bb.2089:
	global_load_ubyte v6, v[2:3], off
	s_movk_i32 s8, 0x7f
                                        ; implicit-def: $sgpr16
	s_waitcnt vmcnt(0)
	v_cmp_lt_i16_e32 vcc, s8, v6
	s_mov_b64 s[8:9], 0
	s_and_saveexec_b64 s[10:11], vcc
	s_xor_b64 s[10:11], exec, s[10:11]
	s_cbranch_execz .LBB203_2110
; %bb.2090:
	s_movk_i32 s8, 0x80
	v_cmp_eq_u16_e32 vcc, s8, v6
	s_mov_b64 s[8:9], -1
                                        ; implicit-def: $sgpr16
	s_and_saveexec_b64 s[12:13], vcc
; %bb.2091:
	s_movk_i32 s16, 0x7e00
	s_xor_b64 s[8:9], exec, -1
; %bb.2092:
	s_or_b64 exec, exec, s[12:13]
	s_and_b64 s[8:9], s[8:9], exec
	s_or_saveexec_b64 s[10:11], s[10:11]
	v_mov_b32_e32 v32, s16
	s_xor_b64 exec, exec, s[10:11]
	s_cbranch_execnz .LBB203_2111
.LBB203_2093:
	s_or_b64 exec, exec, s[10:11]
	s_and_saveexec_b64 s[10:11], s[8:9]
	s_cbranch_execz .LBB203_2095
.LBB203_2094:
	v_lshlrev_b32_e32 v7, 24, v6
	v_and_b32_e32 v6, 0xffff, v6
	v_and_b32_e32 v8, 7, v6
	v_ffbh_u32_e32 v10, v8
	v_min_u32_e32 v10, 32, v10
	v_subrev_u32_e32 v11, 28, v10
	v_bfe_u32 v9, v6, 3, 4
	v_lshlrev_b32_e32 v6, v11, v6
	v_sub_u32_e32 v10, 29, v10
	v_and_b32_e32 v6, 7, v6
	v_cmp_eq_u32_e32 vcc, 0, v9
	v_cndmask_b32_e32 v9, v9, v10, vcc
	v_cndmask_b32_e32 v6, v8, v6, vcc
	v_mov_b32_e32 v8, 0x3b800000
	v_lshlrev_b32_e32 v6, 20, v6
	v_and_b32_e32 v7, 0x80000000, v7
	v_lshl_add_u32 v8, v9, 23, v8
	v_or3_b32 v6, v7, v8, v6
	v_cvt_f16_f32_e32 v32, v6
.LBB203_2095:
	s_or_b64 exec, exec, s[10:11]
.LBB203_2096:
	s_mov_b64 s[8:9], -1
.LBB203_2097:
	s_mov_b64 s[10:11], 0
.LBB203_2098:
	s_and_b64 vcc, exec, s[10:11]
	s_cbranch_vccz .LBB203_2131
; %bb.2099:
	v_mov_b32_e32 v6, 22
	v_cmp_gt_i16_sdwa s[6:7], v35, v6 src0_sel:BYTE_0 src1_sel:DWORD
	s_and_b64 vcc, exec, s[6:7]
	s_cbranch_vccz .LBB203_2109
; %bb.2100:
	v_mov_b32_e32 v6, 24
	v_cmp_lt_i16_sdwa s[6:7], v35, v6 src0_sel:BYTE_0 src1_sel:DWORD
	s_and_b64 vcc, exec, s[6:7]
	s_cbranch_vccnz .LBB203_2112
; %bb.2101:
	v_cmp_gt_i16_sdwa s[6:7], v35, v6 src0_sel:BYTE_0 src1_sel:DWORD
	s_and_b64 vcc, exec, s[6:7]
	s_cbranch_vccz .LBB203_2113
; %bb.2102:
	global_load_ubyte v6, v[2:3], off
	s_movk_i32 s6, 0x7f
                                        ; implicit-def: $sgpr12
	s_waitcnt vmcnt(0)
	v_cmp_lt_i16_e32 vcc, s6, v6
	s_mov_b64 s[6:7], 0
	s_and_saveexec_b64 s[8:9], vcc
	s_xor_b64 s[8:9], exec, s[8:9]
	s_cbranch_execz .LBB203_2125
; %bb.2103:
	s_movk_i32 s6, 0x80
	v_cmp_eq_u16_e32 vcc, s6, v6
	s_mov_b64 s[6:7], -1
                                        ; implicit-def: $sgpr12
	s_and_saveexec_b64 s[10:11], vcc
; %bb.2104:
	s_movk_i32 s12, 0x7e00
	s_xor_b64 s[6:7], exec, -1
; %bb.2105:
	s_or_b64 exec, exec, s[10:11]
	s_and_b64 s[6:7], s[6:7], exec
	s_or_saveexec_b64 s[8:9], s[8:9]
	v_mov_b32_e32 v32, s12
	s_xor_b64 exec, exec, s[8:9]
	s_cbranch_execnz .LBB203_2126
.LBB203_2106:
	s_or_b64 exec, exec, s[8:9]
	s_and_saveexec_b64 s[8:9], s[6:7]
	s_cbranch_execz .LBB203_2108
.LBB203_2107:
	v_lshlrev_b32_e32 v7, 24, v6
	v_and_b32_e32 v6, 0xffff, v6
	v_and_b32_e32 v8, 3, v6
	v_ffbh_u32_e32 v10, v8
	v_min_u32_e32 v10, 32, v10
	v_subrev_u32_e32 v11, 29, v10
	v_bfe_u32 v9, v6, 2, 5
	v_lshlrev_b32_e32 v6, v11, v6
	v_sub_u32_e32 v10, 30, v10
	v_and_b32_e32 v6, 3, v6
	v_cmp_eq_u32_e32 vcc, 0, v9
	v_cndmask_b32_e32 v9, v9, v10, vcc
	v_cndmask_b32_e32 v6, v8, v6, vcc
	v_mov_b32_e32 v8, 0x37800000
	v_lshlrev_b32_e32 v6, 21, v6
	v_and_b32_e32 v7, 0x80000000, v7
	v_lshl_add_u32 v8, v9, 23, v8
	v_or3_b32 v6, v7, v8, v6
	v_cvt_f16_f32_e32 v32, v6
.LBB203_2108:
	s_or_b64 exec, exec, s[8:9]
	s_mov_b64 s[6:7], 0
	s_branch .LBB203_2114
.LBB203_2109:
	s_mov_b64 s[6:7], -1
                                        ; implicit-def: $vgpr32
	s_branch .LBB203_2120
.LBB203_2110:
	s_or_saveexec_b64 s[10:11], s[10:11]
	v_mov_b32_e32 v32, s16
	s_xor_b64 exec, exec, s[10:11]
	s_cbranch_execz .LBB203_2093
.LBB203_2111:
	v_cmp_ne_u16_e32 vcc, 0, v6
	s_andn2_b64 s[8:9], s[8:9], exec
	s_and_b64 s[12:13], vcc, exec
	s_or_b64 s[8:9], s[8:9], s[12:13]
	v_mov_b32_e32 v32, v6
	s_or_b64 exec, exec, s[10:11]
	s_and_saveexec_b64 s[10:11], s[8:9]
	s_cbranch_execnz .LBB203_2094
	s_branch .LBB203_2095
.LBB203_2112:
	s_mov_b64 s[6:7], -1
                                        ; implicit-def: $vgpr32
	s_branch .LBB203_2117
.LBB203_2113:
	s_mov_b64 s[6:7], -1
                                        ; implicit-def: $vgpr32
.LBB203_2114:
	s_and_b64 vcc, exec, s[6:7]
	s_cbranch_vccz .LBB203_2116
; %bb.2115:
	global_load_ubyte v6, v[2:3], off
	s_mov_b32 s6, 0x7f800000
	s_waitcnt vmcnt(0)
	v_lshlrev_b32_e32 v6, 24, v6
	v_and_b32_e32 v7, 0x7f000000, v6
	v_ffbh_u32_e32 v8, v7
	v_min_u32_e32 v8, 32, v8
	v_sub_u32_e64 v8, v8, 4 clamp
	v_lshlrev_b32_e32 v10, v8, v7
	v_lshlrev_b32_e32 v8, 23, v8
	v_lshrrev_b32_e32 v10, 4, v10
	v_add_u32_e32 v9, 0x1000000, v7
	v_sub_u32_e32 v8, v10, v8
	v_ashrrev_i32_e32 v9, 8, v9
	v_add_u32_e32 v8, 0x3c000000, v8
	v_and_or_b32 v8, v9, s6, v8
	v_cmp_ne_u32_e32 vcc, 0, v7
	v_cndmask_b32_e32 v7, 0, v8, vcc
	s_brev_b32 s6, 1
	v_and_or_b32 v6, v6, s6, v7
	v_cvt_f16_f32_e32 v32, v6
.LBB203_2116:
	s_mov_b64 s[6:7], 0
.LBB203_2117:
	s_andn2_b64 vcc, exec, s[6:7]
	s_cbranch_vccnz .LBB203_2119
; %bb.2118:
	global_load_ubyte v6, v[2:3], off
	s_movk_i32 s6, 0x7f00
	s_brev_b32 s7, 16
	s_waitcnt vmcnt(0)
	v_lshlrev_b16_e32 v7, 8, v6
	v_lshlrev_b32_e32 v6, 25, v6
	v_lshrrev_b32_e32 v8, 4, v6
	v_and_or_b32 v9, v7, s6, 0.5
	v_or_b32_e32 v8, 0x70000000, v8
	v_add_f32_e32 v9, -0.5, v9
	v_mul_f32_e32 v8, 0x7800000, v8
	v_cmp_gt_u32_e32 vcc, s7, v6
	v_bfe_i32 v7, v7, 0, 16
	v_cndmask_b32_e32 v6, v8, v9, vcc
	s_brev_b32 s6, 1
	v_and_or_b32 v6, v7, s6, v6
	v_cvt_f16_f32_e32 v32, v6
.LBB203_2119:
	s_mov_b64 s[6:7], 0
	s_mov_b64 s[8:9], -1
.LBB203_2120:
	s_andn2_b64 vcc, exec, s[6:7]
	s_mov_b64 s[6:7], 0
	s_cbranch_vccnz .LBB203_2131
; %bb.2121:
	v_mov_b32_e32 v6, 14
	v_cmp_gt_i16_sdwa s[6:7], v35, v6 src0_sel:BYTE_0 src1_sel:DWORD
	s_and_b64 vcc, exec, s[6:7]
	s_cbranch_vccz .LBB203_2124
; %bb.2122:
	v_mov_b32_e32 v6, 15
	v_cmp_eq_u16_sdwa s[4:5], v35, v6 src0_sel:BYTE_0 src1_sel:DWORD
	s_and_b64 vcc, exec, s[4:5]
	s_cbranch_vccz .LBB203_2127
; %bb.2123:
	global_load_ushort v6, v[2:3], off
	s_mov_b64 s[4:5], 0
	s_mov_b64 s[8:9], -1
	s_waitcnt vmcnt(0)
	v_lshlrev_b32_e32 v6, 16, v6
	v_cvt_f16_f32_e32 v32, v6
	s_branch .LBB203_2128
.LBB203_2124:
	s_mov_b64 s[10:11], -1
                                        ; implicit-def: $vgpr32
	s_branch .LBB203_2129
.LBB203_2125:
	s_or_saveexec_b64 s[8:9], s[8:9]
	v_mov_b32_e32 v32, s12
	s_xor_b64 exec, exec, s[8:9]
	s_cbranch_execz .LBB203_2106
.LBB203_2126:
	v_cmp_ne_u16_e32 vcc, 0, v6
	s_andn2_b64 s[6:7], s[6:7], exec
	s_and_b64 s[10:11], vcc, exec
	s_or_b64 s[6:7], s[6:7], s[10:11]
	v_mov_b32_e32 v32, v6
	s_or_b64 exec, exec, s[8:9]
	s_and_saveexec_b64 s[8:9], s[6:7]
	s_cbranch_execnz .LBB203_2107
	s_branch .LBB203_2108
.LBB203_2127:
	s_mov_b64 s[4:5], -1
                                        ; implicit-def: $vgpr32
.LBB203_2128:
	s_mov_b64 s[10:11], 0
.LBB203_2129:
	s_mov_b64 s[6:7], 0
	s_and_b64 vcc, exec, s[10:11]
	s_cbranch_vccz .LBB203_2131
; %bb.2130:
	v_mov_b32_e32 v6, 11
	v_cmp_ne_u16_sdwa s[4:5], v35, v6 src0_sel:BYTE_0 src1_sel:DWORD
	s_mov_b64 s[6:7], -1
                                        ; implicit-def: $vgpr32
.LBB203_2131:
	s_and_b64 vcc, exec, s[4:5]
	s_cbranch_vccnz .LBB203_2196
; %bb.2132:
	s_andn2_b64 vcc, exec, s[6:7]
	s_cbranch_vccnz .LBB203_2134
.LBB203_2133:
	global_load_ubyte v6, v[2:3], off
	v_mov_b32_e32 v7, 0x3c00
	s_mov_b64 s[8:9], -1
	s_waitcnt vmcnt(0)
	v_cmp_ne_u16_e32 vcc, 0, v6
	v_cndmask_b32_e32 v32, 0, v7, vcc
.LBB203_2134:
	s_mov_b64 s[4:5], 0
.LBB203_2135:
	s_and_b64 vcc, exec, s[4:5]
	s_cbranch_vccz .LBB203_2184
; %bb.2136:
	v_mov_b32_e32 v6, 5
	v_cmp_lt_i16_sdwa s[4:5], v35, v6 src0_sel:BYTE_0 src1_sel:DWORD
	s_and_b64 vcc, exec, s[4:5]
	s_cbranch_vccnz .LBB203_2141
; %bb.2137:
	v_mov_b32_e32 v6, 8
	v_cmp_lt_i16_sdwa s[4:5], v35, v6 src0_sel:BYTE_0 src1_sel:DWORD
	s_and_b64 vcc, exec, s[4:5]
	s_cbranch_vccnz .LBB203_2142
	;; [unrolled: 5-line block ×3, first 2 shown]
; %bb.2139:
	v_cmp_gt_i16_sdwa s[4:5], v35, v6 src0_sel:BYTE_0 src1_sel:DWORD
	s_and_b64 vcc, exec, s[4:5]
	s_cbranch_vccz .LBB203_2144
; %bb.2140:
	global_load_dwordx2 v[6:7], v[2:3], off
	s_mov_b64 s[4:5], 0
	s_waitcnt vmcnt(0)
	v_cvt_f32_f64_e32 v6, v[6:7]
	v_cvt_f16_f32_e32 v32, v6
	s_branch .LBB203_2145
.LBB203_2141:
	s_mov_b64 s[4:5], -1
                                        ; implicit-def: $vgpr32
	s_branch .LBB203_2163
.LBB203_2142:
	s_mov_b64 s[4:5], -1
                                        ; implicit-def: $vgpr32
	s_branch .LBB203_2151
.LBB203_2143:
	s_mov_b64 s[4:5], -1
                                        ; implicit-def: $vgpr32
	s_branch .LBB203_2148
.LBB203_2144:
	s_mov_b64 s[4:5], -1
                                        ; implicit-def: $vgpr32
.LBB203_2145:
	s_andn2_b64 vcc, exec, s[4:5]
	s_cbranch_vccnz .LBB203_2147
; %bb.2146:
	global_load_dword v6, v[2:3], off
	s_waitcnt vmcnt(0)
	v_cvt_f16_f32_e32 v32, v6
.LBB203_2147:
	s_mov_b64 s[4:5], 0
.LBB203_2148:
	s_andn2_b64 vcc, exec, s[4:5]
	s_cbranch_vccnz .LBB203_2150
; %bb.2149:
	global_load_dword v32, v[2:3], off
.LBB203_2150:
	s_mov_b64 s[4:5], 0
.LBB203_2151:
	s_andn2_b64 vcc, exec, s[4:5]
	s_cbranch_vccnz .LBB203_2162
; %bb.2152:
	v_mov_b32_e32 v6, 6
	v_cmp_lt_i16_sdwa s[4:5], v35, v6 src0_sel:BYTE_0 src1_sel:DWORD
	s_and_b64 vcc, exec, s[4:5]
	s_cbranch_vccnz .LBB203_2155
; %bb.2153:
	v_cmp_gt_i16_sdwa s[4:5], v35, v6 src0_sel:BYTE_0 src1_sel:DWORD
	s_and_b64 vcc, exec, s[4:5]
	s_cbranch_vccz .LBB203_2156
; %bb.2154:
	global_load_dwordx2 v[6:7], v[2:3], off
	s_mov_b64 s[4:5], 0
	s_waitcnt vmcnt(0)
	v_cvt_f32_f64_e32 v6, v[6:7]
	v_cvt_f16_f32_e32 v32, v6
	s_branch .LBB203_2157
.LBB203_2155:
	s_mov_b64 s[4:5], -1
                                        ; implicit-def: $vgpr32
	s_branch .LBB203_2160
.LBB203_2156:
	s_mov_b64 s[4:5], -1
                                        ; implicit-def: $vgpr32
.LBB203_2157:
	s_andn2_b64 vcc, exec, s[4:5]
	s_cbranch_vccnz .LBB203_2159
; %bb.2158:
	global_load_dword v6, v[2:3], off
	s_waitcnt vmcnt(0)
	v_cvt_f16_f32_e32 v32, v6
.LBB203_2159:
	s_mov_b64 s[4:5], 0
.LBB203_2160:
	s_andn2_b64 vcc, exec, s[4:5]
	s_cbranch_vccnz .LBB203_2162
; %bb.2161:
	global_load_ushort v32, v[2:3], off
.LBB203_2162:
	s_mov_b64 s[4:5], 0
.LBB203_2163:
	s_andn2_b64 vcc, exec, s[4:5]
	s_cbranch_vccnz .LBB203_2183
; %bb.2164:
	v_mov_b32_e32 v6, 2
	v_cmp_lt_i16_sdwa s[4:5], v35, v6 src0_sel:BYTE_0 src1_sel:DWORD
	s_and_b64 vcc, exec, s[4:5]
	s_cbranch_vccnz .LBB203_2168
; %bb.2165:
	v_mov_b32_e32 v6, 3
	v_cmp_lt_i16_sdwa s[4:5], v35, v6 src0_sel:BYTE_0 src1_sel:DWORD
	s_and_b64 vcc, exec, s[4:5]
	s_cbranch_vccnz .LBB203_2169
; %bb.2166:
	v_cmp_gt_i16_sdwa s[4:5], v35, v6 src0_sel:BYTE_0 src1_sel:DWORD
	s_and_b64 vcc, exec, s[4:5]
	s_cbranch_vccz .LBB203_2170
; %bb.2167:
	global_load_dwordx2 v[6:7], v[2:3], off
	s_mov_b64 s[4:5], 0
	s_waitcnt vmcnt(0)
	v_xor_b32_e32 v9, v6, v7
	v_ffbh_i32_e32 v8, v7
	v_ashrrev_i32_e32 v9, 31, v9
	v_add_u32_e32 v8, -1, v8
	v_add_u32_e32 v9, 32, v9
	v_min_u32_e32 v8, v8, v9
	v_lshlrev_b64 v[6:7], v8, v[6:7]
	v_min_u32_e32 v6, 1, v6
	v_or_b32_e32 v6, v7, v6
	v_cvt_f32_i32_e32 v6, v6
	v_sub_u32_e32 v7, 32, v8
	v_ldexp_f32 v6, v6, v7
	v_cvt_f16_f32_e32 v32, v6
	s_branch .LBB203_2171
.LBB203_2168:
	s_mov_b64 s[4:5], -1
                                        ; implicit-def: $vgpr32
	s_branch .LBB203_2177
.LBB203_2169:
	s_mov_b64 s[4:5], -1
                                        ; implicit-def: $vgpr32
	s_branch .LBB203_2174
.LBB203_2170:
	s_mov_b64 s[4:5], -1
                                        ; implicit-def: $vgpr32
.LBB203_2171:
	s_andn2_b64 vcc, exec, s[4:5]
	s_cbranch_vccnz .LBB203_2173
; %bb.2172:
	global_load_dword v6, v[2:3], off
	s_waitcnt vmcnt(0)
	v_cvt_f32_i32_e32 v6, v6
	v_cvt_f16_f32_e32 v32, v6
.LBB203_2173:
	s_mov_b64 s[4:5], 0
.LBB203_2174:
	s_andn2_b64 vcc, exec, s[4:5]
	s_cbranch_vccnz .LBB203_2176
; %bb.2175:
	global_load_ushort v6, v[2:3], off
	s_waitcnt vmcnt(0)
	v_cvt_f16_i16_e32 v32, v6
.LBB203_2176:
	s_mov_b64 s[4:5], 0
.LBB203_2177:
	s_andn2_b64 vcc, exec, s[4:5]
	s_cbranch_vccnz .LBB203_2183
; %bb.2178:
	v_mov_b32_e32 v6, 0
	v_cmp_gt_i16_sdwa s[4:5], v35, v6 src0_sel:BYTE_0 src1_sel:DWORD
	s_and_b64 vcc, exec, s[4:5]
	s_cbranch_vccz .LBB203_2180
; %bb.2179:
	global_load_sbyte v6, v[2:3], off
	s_mov_b64 s[4:5], 0
	s_waitcnt vmcnt(0)
	v_cvt_f16_i16_e32 v32, v6
	s_branch .LBB203_2181
.LBB203_2180:
	s_mov_b64 s[4:5], -1
                                        ; implicit-def: $vgpr32
.LBB203_2181:
	s_andn2_b64 vcc, exec, s[4:5]
	s_cbranch_vccnz .LBB203_2183
; %bb.2182:
	global_load_ubyte v2, v[2:3], off
	s_waitcnt vmcnt(0)
	v_cvt_f16_u16_e32 v32, v2
.LBB203_2183:
	s_mov_b64 s[8:9], -1
.LBB203_2184:
	s_andn2_b64 vcc, exec, s[8:9]
	s_cbranch_vccnz .LBB203_3030
; %bb.2185:
	v_add_u32_e32 v4, s15, v4
	v_ashrrev_i32_e32 v3, 31, v4
	v_mov_b32_e32 v6, s23
	v_add_co_u32_e32 v2, vcc, s22, v4
	v_addc_co_u32_e32 v3, vcc, v6, v3, vcc
	v_mov_b32_e32 v6, 11
	v_cmp_lt_i16_sdwa s[4:5], v38, v6 src0_sel:BYTE_0 src1_sel:DWORD
	s_and_b64 vcc, exec, s[4:5]
	s_cbranch_vccnz .LBB203_2192
; %bb.2186:
	v_mov_b32_e32 v6, 25
	v_cmp_gt_i16_sdwa s[4:5], v38, v6 src0_sel:BYTE_0 src1_sel:DWORD
	s_mov_b64 s[6:7], 0
	s_and_b64 vcc, exec, s[4:5]
	s_cbranch_vccz .LBB203_2193
; %bb.2187:
	v_mov_b32_e32 v6, 28
	v_cmp_gt_i16_sdwa s[4:5], v38, v6 src0_sel:BYTE_0 src1_sel:DWORD
	s_and_b64 vcc, exec, s[4:5]
	s_cbranch_vccz .LBB203_2194
; %bb.2188:
	v_mov_b32_e32 v6, 43
	v_cmp_gt_i16_sdwa s[4:5], v38, v6 src0_sel:BYTE_0 src1_sel:DWORD
	;; [unrolled: 5-line block ×3, first 2 shown]
	s_and_b64 vcc, exec, s[4:5]
	s_cbranch_vccz .LBB203_2197
; %bb.2190:
	v_mov_b32_e32 v6, 46
	v_cmp_eq_u16_sdwa s[4:5], v38, v6 src0_sel:BYTE_0 src1_sel:DWORD
	s_mov_b64 s[10:11], 0
	s_and_b64 vcc, exec, s[4:5]
	s_cbranch_vccz .LBB203_2200
; %bb.2191:
	global_load_dword v6, v[2:3], off
	s_mov_b64 s[4:5], 0
	s_mov_b64 s[8:9], -1
	s_waitcnt vmcnt(0)
	v_lshlrev_b32_e32 v6, 16, v6
	v_cvt_f16_f32_e32 v33, v6
	s_branch .LBB203_2201
.LBB203_2192:
	s_mov_b64 s[4:5], -1
	s_mov_b64 s[8:9], 0
                                        ; implicit-def: $vgpr33
	s_branch .LBB203_2267
.LBB203_2193:
	s_mov_b64 s[10:11], -1
	s_mov_b64 s[8:9], 0
	s_mov_b64 s[4:5], 0
                                        ; implicit-def: $vgpr33
	s_branch .LBB203_2230
.LBB203_2194:
	s_mov_b64 s[10:11], -1
	s_mov_b64 s[8:9], 0
	s_mov_b64 s[4:5], 0
                                        ; implicit-def: $vgpr33
	s_branch .LBB203_2211
.LBB203_2195:
	s_mov_b64 s[10:11], -1
	s_mov_b64 s[8:9], 0
	s_mov_b64 s[4:5], 0
                                        ; implicit-def: $vgpr33
	s_branch .LBB203_2206
.LBB203_2196:
	s_trap 2
	s_or_b64 s[42:43], s[42:43], exec
                                        ; implicit-def: $vgpr32
	s_cbranch_execz .LBB203_2133
	s_branch .LBB203_2134
.LBB203_2197:
	s_mov_b64 s[10:11], -1
	s_mov_b64 s[8:9], 0
	s_mov_b64 s[4:5], 0
                                        ; implicit-def: $vgpr33
	s_branch .LBB203_2201
.LBB203_2198:
	s_or_saveexec_b64 s[10:11], s[10:11]
                                        ; implicit-def: $sgpr12
	s_xor_b64 exec, exec, s[10:11]
	s_cbranch_execz .LBB203_1083
.LBB203_2199:
	s_mov_b32 s12, 0x42800000
	v_add_f32_e64 v4, |v1|, s12
	v_and_b32_e32 v4, 0xff, v4
	v_cmp_ne_u32_e32 vcc, 0, v4
	s_andn2_b64 s[8:9], s[8:9], exec
	s_and_b64 s[14:15], vcc, exec
	s_mov_b32 s12, 0
	s_or_b64 s[8:9], s[8:9], s[14:15]
	s_or_b64 exec, exec, s[10:11]
	v_mov_b32_e32 v5, s12
	s_and_saveexec_b64 s[10:11], s[8:9]
	s_cbranch_execnz .LBB203_1084
	s_branch .LBB203_1085
.LBB203_2200:
	s_mov_b64 s[4:5], -1
                                        ; implicit-def: $vgpr33
	s_mov_b64 s[8:9], 0
.LBB203_2201:
	s_and_b64 vcc, exec, s[10:11]
	s_cbranch_vccz .LBB203_2205
; %bb.2202:
	v_mov_b32_e32 v6, 44
	v_cmp_eq_u16_sdwa s[4:5], v38, v6 src0_sel:BYTE_0 src1_sel:DWORD
	s_and_b64 vcc, exec, s[4:5]
	s_cbranch_vccz .LBB203_2204
; %bb.2203:
	global_load_ubyte v6, v[2:3], off
	s_movk_i32 s8, 0xff
	v_mov_b32_e32 v8, 0x7e00
	s_mov_b64 s[4:5], 0
	s_waitcnt vmcnt(0)
	v_lshlrev_b32_e32 v7, 23, v6
	v_cvt_f16_f32_e32 v7, v7
	v_cmp_ne_u32_e32 vcc, s8, v6
	s_mov_b64 s[8:9], -1
	v_cndmask_b32_e32 v7, v8, v7, vcc
	v_cmp_ne_u32_e32 vcc, 0, v6
	v_cndmask_b32_e32 v33, 0, v7, vcc
	s_branch .LBB203_2205
.LBB203_2204:
	s_mov_b64 s[4:5], -1
                                        ; implicit-def: $vgpr33
.LBB203_2205:
	s_mov_b64 s[10:11], 0
.LBB203_2206:
	s_and_b64 vcc, exec, s[10:11]
	s_cbranch_vccz .LBB203_2210
; %bb.2207:
	v_mov_b32_e32 v6, 29
	v_cmp_eq_u16_sdwa s[4:5], v38, v6 src0_sel:BYTE_0 src1_sel:DWORD
	s_and_b64 vcc, exec, s[4:5]
	s_cbranch_vccz .LBB203_2209
; %bb.2208:
	global_load_dwordx2 v[6:7], v[2:3], off
	s_mov_b64 s[4:5], 0
	s_mov_b64 s[8:9], -1
	s_mov_b64 s[10:11], 0
	s_waitcnt vmcnt(0)
	v_ffbh_u32_e32 v8, v7
	v_min_u32_e32 v8, 32, v8
	v_lshlrev_b64 v[6:7], v8, v[6:7]
	v_min_u32_e32 v6, 1, v6
	v_or_b32_e32 v6, v7, v6
	v_cvt_f32_u32_e32 v6, v6
	v_sub_u32_e32 v7, 32, v8
	v_ldexp_f32 v6, v6, v7
	v_cvt_f16_f32_e32 v33, v6
	s_branch .LBB203_2211
.LBB203_2209:
	s_mov_b64 s[4:5], -1
                                        ; implicit-def: $vgpr33
.LBB203_2210:
	s_mov_b64 s[10:11], 0
.LBB203_2211:
	s_and_b64 vcc, exec, s[10:11]
	s_cbranch_vccz .LBB203_2229
; %bb.2212:
	v_mov_b32_e32 v6, 27
	v_cmp_lt_i16_sdwa s[8:9], v38, v6 src0_sel:BYTE_0 src1_sel:DWORD
	s_and_b64 vcc, exec, s[8:9]
	s_cbranch_vccnz .LBB203_2215
; %bb.2213:
	v_cmp_gt_i16_sdwa s[8:9], v38, v6 src0_sel:BYTE_0 src1_sel:DWORD
	s_and_b64 vcc, exec, s[8:9]
	s_cbranch_vccz .LBB203_2216
; %bb.2214:
	global_load_dword v6, v[2:3], off
	s_mov_b64 s[8:9], 0
	s_waitcnt vmcnt(0)
	v_cvt_f32_u32_e32 v6, v6
	v_cvt_f16_f32_e32 v33, v6
	s_branch .LBB203_2217
.LBB203_2215:
	s_mov_b64 s[8:9], -1
                                        ; implicit-def: $vgpr33
	s_branch .LBB203_2220
.LBB203_2216:
	s_mov_b64 s[8:9], -1
                                        ; implicit-def: $vgpr33
.LBB203_2217:
	s_andn2_b64 vcc, exec, s[8:9]
	s_cbranch_vccnz .LBB203_2219
; %bb.2218:
	global_load_ushort v6, v[2:3], off
	s_waitcnt vmcnt(0)
	v_cvt_f16_u16_e32 v33, v6
.LBB203_2219:
	s_mov_b64 s[8:9], 0
.LBB203_2220:
	s_andn2_b64 vcc, exec, s[8:9]
	s_cbranch_vccnz .LBB203_2228
; %bb.2221:
	global_load_ubyte v6, v[2:3], off
	s_movk_i32 s8, 0x7f
                                        ; implicit-def: $sgpr16
	s_waitcnt vmcnt(0)
	v_cmp_lt_i16_e32 vcc, s8, v6
	s_mov_b64 s[8:9], 0
	s_and_saveexec_b64 s[10:11], vcc
	s_xor_b64 s[10:11], exec, s[10:11]
	s_cbranch_execz .LBB203_2242
; %bb.2222:
	s_movk_i32 s8, 0x80
	v_cmp_eq_u16_e32 vcc, s8, v6
	s_mov_b64 s[8:9], -1
                                        ; implicit-def: $sgpr16
	s_and_saveexec_b64 s[12:13], vcc
; %bb.2223:
	s_movk_i32 s16, 0x7e00
	s_xor_b64 s[8:9], exec, -1
; %bb.2224:
	s_or_b64 exec, exec, s[12:13]
	s_and_b64 s[8:9], s[8:9], exec
	s_or_saveexec_b64 s[10:11], s[10:11]
	v_mov_b32_e32 v33, s16
	s_xor_b64 exec, exec, s[10:11]
	s_cbranch_execnz .LBB203_2243
.LBB203_2225:
	s_or_b64 exec, exec, s[10:11]
	s_and_saveexec_b64 s[10:11], s[8:9]
	s_cbranch_execz .LBB203_2227
.LBB203_2226:
	v_lshlrev_b32_e32 v7, 24, v6
	v_and_b32_e32 v6, 0xffff, v6
	v_and_b32_e32 v8, 7, v6
	v_ffbh_u32_e32 v10, v8
	v_min_u32_e32 v10, 32, v10
	v_subrev_u32_e32 v11, 28, v10
	v_bfe_u32 v9, v6, 3, 4
	v_lshlrev_b32_e32 v6, v11, v6
	v_sub_u32_e32 v10, 29, v10
	v_and_b32_e32 v6, 7, v6
	v_cmp_eq_u32_e32 vcc, 0, v9
	v_cndmask_b32_e32 v9, v9, v10, vcc
	v_cndmask_b32_e32 v6, v8, v6, vcc
	v_mov_b32_e32 v8, 0x3b800000
	v_lshlrev_b32_e32 v6, 20, v6
	v_and_b32_e32 v7, 0x80000000, v7
	v_lshl_add_u32 v8, v9, 23, v8
	v_or3_b32 v6, v7, v8, v6
	v_cvt_f16_f32_e32 v33, v6
.LBB203_2227:
	s_or_b64 exec, exec, s[10:11]
.LBB203_2228:
	s_mov_b64 s[8:9], -1
.LBB203_2229:
	s_mov_b64 s[10:11], 0
.LBB203_2230:
	s_and_b64 vcc, exec, s[10:11]
	s_cbranch_vccz .LBB203_2263
; %bb.2231:
	v_mov_b32_e32 v6, 22
	v_cmp_gt_i16_sdwa s[6:7], v38, v6 src0_sel:BYTE_0 src1_sel:DWORD
	s_and_b64 vcc, exec, s[6:7]
	s_cbranch_vccz .LBB203_2241
; %bb.2232:
	v_mov_b32_e32 v6, 24
	v_cmp_lt_i16_sdwa s[6:7], v38, v6 src0_sel:BYTE_0 src1_sel:DWORD
	s_and_b64 vcc, exec, s[6:7]
	s_cbranch_vccnz .LBB203_2244
; %bb.2233:
	v_cmp_gt_i16_sdwa s[6:7], v38, v6 src0_sel:BYTE_0 src1_sel:DWORD
	s_and_b64 vcc, exec, s[6:7]
	s_cbranch_vccz .LBB203_2245
; %bb.2234:
	global_load_ubyte v6, v[2:3], off
	s_movk_i32 s6, 0x7f
                                        ; implicit-def: $sgpr12
	s_waitcnt vmcnt(0)
	v_cmp_lt_i16_e32 vcc, s6, v6
	s_mov_b64 s[6:7], 0
	s_and_saveexec_b64 s[8:9], vcc
	s_xor_b64 s[8:9], exec, s[8:9]
	s_cbranch_execz .LBB203_2257
; %bb.2235:
	s_movk_i32 s6, 0x80
	v_cmp_eq_u16_e32 vcc, s6, v6
	s_mov_b64 s[6:7], -1
                                        ; implicit-def: $sgpr12
	s_and_saveexec_b64 s[10:11], vcc
; %bb.2236:
	s_movk_i32 s12, 0x7e00
	s_xor_b64 s[6:7], exec, -1
; %bb.2237:
	s_or_b64 exec, exec, s[10:11]
	s_and_b64 s[6:7], s[6:7], exec
	s_or_saveexec_b64 s[8:9], s[8:9]
	v_mov_b32_e32 v33, s12
	s_xor_b64 exec, exec, s[8:9]
	s_cbranch_execnz .LBB203_2258
.LBB203_2238:
	s_or_b64 exec, exec, s[8:9]
	s_and_saveexec_b64 s[8:9], s[6:7]
	s_cbranch_execz .LBB203_2240
.LBB203_2239:
	v_lshlrev_b32_e32 v7, 24, v6
	v_and_b32_e32 v6, 0xffff, v6
	v_and_b32_e32 v8, 3, v6
	v_ffbh_u32_e32 v10, v8
	v_min_u32_e32 v10, 32, v10
	v_subrev_u32_e32 v11, 29, v10
	v_bfe_u32 v9, v6, 2, 5
	v_lshlrev_b32_e32 v6, v11, v6
	v_sub_u32_e32 v10, 30, v10
	v_and_b32_e32 v6, 3, v6
	v_cmp_eq_u32_e32 vcc, 0, v9
	v_cndmask_b32_e32 v9, v9, v10, vcc
	v_cndmask_b32_e32 v6, v8, v6, vcc
	v_mov_b32_e32 v8, 0x37800000
	v_lshlrev_b32_e32 v6, 21, v6
	v_and_b32_e32 v7, 0x80000000, v7
	v_lshl_add_u32 v8, v9, 23, v8
	v_or3_b32 v6, v7, v8, v6
	v_cvt_f16_f32_e32 v33, v6
.LBB203_2240:
	s_or_b64 exec, exec, s[8:9]
	s_mov_b64 s[6:7], 0
	s_branch .LBB203_2246
.LBB203_2241:
	s_mov_b64 s[6:7], -1
                                        ; implicit-def: $vgpr33
	s_branch .LBB203_2252
.LBB203_2242:
	s_or_saveexec_b64 s[10:11], s[10:11]
	v_mov_b32_e32 v33, s16
	s_xor_b64 exec, exec, s[10:11]
	s_cbranch_execz .LBB203_2225
.LBB203_2243:
	v_cmp_ne_u16_e32 vcc, 0, v6
	s_andn2_b64 s[8:9], s[8:9], exec
	s_and_b64 s[12:13], vcc, exec
	s_or_b64 s[8:9], s[8:9], s[12:13]
	v_mov_b32_e32 v33, v6
	s_or_b64 exec, exec, s[10:11]
	s_and_saveexec_b64 s[10:11], s[8:9]
	s_cbranch_execnz .LBB203_2226
	s_branch .LBB203_2227
.LBB203_2244:
	s_mov_b64 s[6:7], -1
                                        ; implicit-def: $vgpr33
	s_branch .LBB203_2249
.LBB203_2245:
	s_mov_b64 s[6:7], -1
                                        ; implicit-def: $vgpr33
.LBB203_2246:
	s_and_b64 vcc, exec, s[6:7]
	s_cbranch_vccz .LBB203_2248
; %bb.2247:
	global_load_ubyte v6, v[2:3], off
	s_mov_b32 s6, 0x7f800000
	s_waitcnt vmcnt(0)
	v_lshlrev_b32_e32 v6, 24, v6
	v_and_b32_e32 v7, 0x7f000000, v6
	v_ffbh_u32_e32 v8, v7
	v_min_u32_e32 v8, 32, v8
	v_sub_u32_e64 v8, v8, 4 clamp
	v_lshlrev_b32_e32 v10, v8, v7
	v_lshlrev_b32_e32 v8, 23, v8
	v_lshrrev_b32_e32 v10, 4, v10
	v_add_u32_e32 v9, 0x1000000, v7
	v_sub_u32_e32 v8, v10, v8
	v_ashrrev_i32_e32 v9, 8, v9
	v_add_u32_e32 v8, 0x3c000000, v8
	v_and_or_b32 v8, v9, s6, v8
	v_cmp_ne_u32_e32 vcc, 0, v7
	v_cndmask_b32_e32 v7, 0, v8, vcc
	s_brev_b32 s6, 1
	v_and_or_b32 v6, v6, s6, v7
	v_cvt_f16_f32_e32 v33, v6
.LBB203_2248:
	s_mov_b64 s[6:7], 0
.LBB203_2249:
	s_andn2_b64 vcc, exec, s[6:7]
	s_cbranch_vccnz .LBB203_2251
; %bb.2250:
	global_load_ubyte v6, v[2:3], off
	s_movk_i32 s6, 0x7f00
	s_brev_b32 s7, 16
	s_waitcnt vmcnt(0)
	v_lshlrev_b16_e32 v7, 8, v6
	v_lshlrev_b32_e32 v6, 25, v6
	v_lshrrev_b32_e32 v8, 4, v6
	v_and_or_b32 v9, v7, s6, 0.5
	v_or_b32_e32 v8, 0x70000000, v8
	v_add_f32_e32 v9, -0.5, v9
	v_mul_f32_e32 v8, 0x7800000, v8
	v_cmp_gt_u32_e32 vcc, s7, v6
	v_bfe_i32 v7, v7, 0, 16
	v_cndmask_b32_e32 v6, v8, v9, vcc
	s_brev_b32 s6, 1
	v_and_or_b32 v6, v7, s6, v6
	v_cvt_f16_f32_e32 v33, v6
.LBB203_2251:
	s_mov_b64 s[6:7], 0
	s_mov_b64 s[8:9], -1
.LBB203_2252:
	s_andn2_b64 vcc, exec, s[6:7]
	s_mov_b64 s[6:7], 0
	s_cbranch_vccnz .LBB203_2263
; %bb.2253:
	v_mov_b32_e32 v6, 14
	v_cmp_gt_i16_sdwa s[6:7], v38, v6 src0_sel:BYTE_0 src1_sel:DWORD
	s_and_b64 vcc, exec, s[6:7]
	s_cbranch_vccz .LBB203_2256
; %bb.2254:
	v_mov_b32_e32 v6, 15
	v_cmp_eq_u16_sdwa s[4:5], v38, v6 src0_sel:BYTE_0 src1_sel:DWORD
	s_and_b64 vcc, exec, s[4:5]
	s_cbranch_vccz .LBB203_2259
; %bb.2255:
	global_load_ushort v6, v[2:3], off
	s_mov_b64 s[4:5], 0
	s_mov_b64 s[8:9], -1
	s_waitcnt vmcnt(0)
	v_lshlrev_b32_e32 v6, 16, v6
	v_cvt_f16_f32_e32 v33, v6
	s_branch .LBB203_2260
.LBB203_2256:
	s_mov_b64 s[10:11], -1
                                        ; implicit-def: $vgpr33
	s_branch .LBB203_2261
.LBB203_2257:
	s_or_saveexec_b64 s[8:9], s[8:9]
	v_mov_b32_e32 v33, s12
	s_xor_b64 exec, exec, s[8:9]
	s_cbranch_execz .LBB203_2238
.LBB203_2258:
	v_cmp_ne_u16_e32 vcc, 0, v6
	s_andn2_b64 s[6:7], s[6:7], exec
	s_and_b64 s[10:11], vcc, exec
	s_or_b64 s[6:7], s[6:7], s[10:11]
	v_mov_b32_e32 v33, v6
	s_or_b64 exec, exec, s[8:9]
	s_and_saveexec_b64 s[8:9], s[6:7]
	s_cbranch_execnz .LBB203_2239
	s_branch .LBB203_2240
.LBB203_2259:
	s_mov_b64 s[4:5], -1
                                        ; implicit-def: $vgpr33
.LBB203_2260:
	s_mov_b64 s[10:11], 0
.LBB203_2261:
	s_mov_b64 s[6:7], 0
	s_and_b64 vcc, exec, s[10:11]
	s_cbranch_vccz .LBB203_2263
; %bb.2262:
	v_mov_b32_e32 v6, 11
	v_cmp_ne_u16_sdwa s[4:5], v38, v6 src0_sel:BYTE_0 src1_sel:DWORD
	s_mov_b64 s[6:7], -1
                                        ; implicit-def: $vgpr33
.LBB203_2263:
	s_and_b64 vcc, exec, s[4:5]
	s_cbranch_vccnz .LBB203_2328
; %bb.2264:
	s_andn2_b64 vcc, exec, s[6:7]
	s_cbranch_vccnz .LBB203_2266
.LBB203_2265:
	global_load_ubyte v6, v[2:3], off
	v_mov_b32_e32 v7, 0x3c00
	s_mov_b64 s[8:9], -1
	s_waitcnt vmcnt(0)
	v_cmp_ne_u16_e32 vcc, 0, v6
	v_cndmask_b32_e32 v33, 0, v7, vcc
.LBB203_2266:
	s_mov_b64 s[4:5], 0
.LBB203_2267:
	s_and_b64 vcc, exec, s[4:5]
	s_cbranch_vccz .LBB203_2316
; %bb.2268:
	v_mov_b32_e32 v6, 5
	v_cmp_lt_i16_sdwa s[4:5], v38, v6 src0_sel:BYTE_0 src1_sel:DWORD
	s_and_b64 vcc, exec, s[4:5]
	s_cbranch_vccnz .LBB203_2273
; %bb.2269:
	v_mov_b32_e32 v6, 8
	v_cmp_lt_i16_sdwa s[4:5], v38, v6 src0_sel:BYTE_0 src1_sel:DWORD
	s_and_b64 vcc, exec, s[4:5]
	s_cbranch_vccnz .LBB203_2274
	;; [unrolled: 5-line block ×3, first 2 shown]
; %bb.2271:
	v_cmp_gt_i16_sdwa s[4:5], v38, v6 src0_sel:BYTE_0 src1_sel:DWORD
	s_and_b64 vcc, exec, s[4:5]
	s_cbranch_vccz .LBB203_2276
; %bb.2272:
	global_load_dwordx2 v[6:7], v[2:3], off
	s_mov_b64 s[4:5], 0
	s_waitcnt vmcnt(0)
	v_cvt_f32_f64_e32 v6, v[6:7]
	v_cvt_f16_f32_e32 v33, v6
	s_branch .LBB203_2277
.LBB203_2273:
	s_mov_b64 s[4:5], -1
                                        ; implicit-def: $vgpr33
	s_branch .LBB203_2295
.LBB203_2274:
	s_mov_b64 s[4:5], -1
                                        ; implicit-def: $vgpr33
	s_branch .LBB203_2283
.LBB203_2275:
	s_mov_b64 s[4:5], -1
                                        ; implicit-def: $vgpr33
	s_branch .LBB203_2280
.LBB203_2276:
	s_mov_b64 s[4:5], -1
                                        ; implicit-def: $vgpr33
.LBB203_2277:
	s_andn2_b64 vcc, exec, s[4:5]
	s_cbranch_vccnz .LBB203_2279
; %bb.2278:
	global_load_dword v6, v[2:3], off
	s_waitcnt vmcnt(0)
	v_cvt_f16_f32_e32 v33, v6
.LBB203_2279:
	s_mov_b64 s[4:5], 0
.LBB203_2280:
	s_andn2_b64 vcc, exec, s[4:5]
	s_cbranch_vccnz .LBB203_2282
; %bb.2281:
	global_load_dword v33, v[2:3], off
.LBB203_2282:
	s_mov_b64 s[4:5], 0
.LBB203_2283:
	s_andn2_b64 vcc, exec, s[4:5]
	s_cbranch_vccnz .LBB203_2294
; %bb.2284:
	v_mov_b32_e32 v6, 6
	v_cmp_lt_i16_sdwa s[4:5], v38, v6 src0_sel:BYTE_0 src1_sel:DWORD
	s_and_b64 vcc, exec, s[4:5]
	s_cbranch_vccnz .LBB203_2287
; %bb.2285:
	v_cmp_gt_i16_sdwa s[4:5], v38, v6 src0_sel:BYTE_0 src1_sel:DWORD
	s_and_b64 vcc, exec, s[4:5]
	s_cbranch_vccz .LBB203_2288
; %bb.2286:
	global_load_dwordx2 v[6:7], v[2:3], off
	s_mov_b64 s[4:5], 0
	s_waitcnt vmcnt(0)
	v_cvt_f32_f64_e32 v6, v[6:7]
	v_cvt_f16_f32_e32 v33, v6
	s_branch .LBB203_2289
.LBB203_2287:
	s_mov_b64 s[4:5], -1
                                        ; implicit-def: $vgpr33
	s_branch .LBB203_2292
.LBB203_2288:
	s_mov_b64 s[4:5], -1
                                        ; implicit-def: $vgpr33
.LBB203_2289:
	s_andn2_b64 vcc, exec, s[4:5]
	s_cbranch_vccnz .LBB203_2291
; %bb.2290:
	global_load_dword v6, v[2:3], off
	s_waitcnt vmcnt(0)
	v_cvt_f16_f32_e32 v33, v6
.LBB203_2291:
	s_mov_b64 s[4:5], 0
.LBB203_2292:
	s_andn2_b64 vcc, exec, s[4:5]
	s_cbranch_vccnz .LBB203_2294
; %bb.2293:
	global_load_ushort v33, v[2:3], off
.LBB203_2294:
	s_mov_b64 s[4:5], 0
.LBB203_2295:
	s_andn2_b64 vcc, exec, s[4:5]
	s_cbranch_vccnz .LBB203_2315
; %bb.2296:
	v_mov_b32_e32 v6, 2
	v_cmp_lt_i16_sdwa s[4:5], v38, v6 src0_sel:BYTE_0 src1_sel:DWORD
	s_and_b64 vcc, exec, s[4:5]
	s_cbranch_vccnz .LBB203_2300
; %bb.2297:
	v_mov_b32_e32 v6, 3
	v_cmp_lt_i16_sdwa s[4:5], v38, v6 src0_sel:BYTE_0 src1_sel:DWORD
	s_and_b64 vcc, exec, s[4:5]
	s_cbranch_vccnz .LBB203_2301
; %bb.2298:
	v_cmp_gt_i16_sdwa s[4:5], v38, v6 src0_sel:BYTE_0 src1_sel:DWORD
	s_and_b64 vcc, exec, s[4:5]
	s_cbranch_vccz .LBB203_2302
; %bb.2299:
	global_load_dwordx2 v[6:7], v[2:3], off
	s_mov_b64 s[4:5], 0
	s_waitcnt vmcnt(0)
	v_xor_b32_e32 v9, v6, v7
	v_ffbh_i32_e32 v8, v7
	v_ashrrev_i32_e32 v9, 31, v9
	v_add_u32_e32 v8, -1, v8
	v_add_u32_e32 v9, 32, v9
	v_min_u32_e32 v8, v8, v9
	v_lshlrev_b64 v[6:7], v8, v[6:7]
	v_min_u32_e32 v6, 1, v6
	v_or_b32_e32 v6, v7, v6
	v_cvt_f32_i32_e32 v6, v6
	v_sub_u32_e32 v7, 32, v8
	v_ldexp_f32 v6, v6, v7
	v_cvt_f16_f32_e32 v33, v6
	s_branch .LBB203_2303
.LBB203_2300:
	s_mov_b64 s[4:5], -1
                                        ; implicit-def: $vgpr33
	s_branch .LBB203_2309
.LBB203_2301:
	s_mov_b64 s[4:5], -1
                                        ; implicit-def: $vgpr33
	s_branch .LBB203_2306
.LBB203_2302:
	s_mov_b64 s[4:5], -1
                                        ; implicit-def: $vgpr33
.LBB203_2303:
	s_andn2_b64 vcc, exec, s[4:5]
	s_cbranch_vccnz .LBB203_2305
; %bb.2304:
	global_load_dword v6, v[2:3], off
	s_waitcnt vmcnt(0)
	v_cvt_f32_i32_e32 v6, v6
	v_cvt_f16_f32_e32 v33, v6
.LBB203_2305:
	s_mov_b64 s[4:5], 0
.LBB203_2306:
	s_andn2_b64 vcc, exec, s[4:5]
	s_cbranch_vccnz .LBB203_2308
; %bb.2307:
	global_load_ushort v6, v[2:3], off
	s_waitcnt vmcnt(0)
	v_cvt_f16_i16_e32 v33, v6
.LBB203_2308:
	s_mov_b64 s[4:5], 0
.LBB203_2309:
	s_andn2_b64 vcc, exec, s[4:5]
	s_cbranch_vccnz .LBB203_2315
; %bb.2310:
	v_mov_b32_e32 v6, 0
	v_cmp_gt_i16_sdwa s[4:5], v38, v6 src0_sel:BYTE_0 src1_sel:DWORD
	s_and_b64 vcc, exec, s[4:5]
	s_cbranch_vccz .LBB203_2312
; %bb.2311:
	global_load_sbyte v6, v[2:3], off
	s_mov_b64 s[4:5], 0
	s_waitcnt vmcnt(0)
	v_cvt_f16_i16_e32 v33, v6
	s_branch .LBB203_2313
.LBB203_2312:
	s_mov_b64 s[4:5], -1
                                        ; implicit-def: $vgpr33
.LBB203_2313:
	s_andn2_b64 vcc, exec, s[4:5]
	s_cbranch_vccnz .LBB203_2315
; %bb.2314:
	global_load_ubyte v2, v[2:3], off
	s_waitcnt vmcnt(0)
	v_cvt_f16_u16_e32 v33, v2
.LBB203_2315:
	s_mov_b64 s[8:9], -1
.LBB203_2316:
	s_andn2_b64 vcc, exec, s[8:9]
	s_cbranch_vccnz .LBB203_3030
; %bb.2317:
	v_add_u32_e32 v2, s14, v5
	v_ashrrev_i32_e32 v3, 31, v2
	v_mov_b32_e32 v5, s27
	v_add_co_u32_e32 v2, vcc, s26, v2
	v_addc_co_u32_e32 v3, vcc, v5, v3, vcc
	v_mov_b32_e32 v5, 11
	v_cmp_lt_i16_sdwa s[4:5], v35, v5 src0_sel:BYTE_0 src1_sel:DWORD
	s_and_b64 vcc, exec, s[4:5]
	s_cbranch_vccnz .LBB203_2324
; %bb.2318:
	v_mov_b32_e32 v5, 25
	v_cmp_gt_i16_sdwa s[4:5], v35, v5 src0_sel:BYTE_0 src1_sel:DWORD
	s_mov_b64 s[6:7], 0
	s_and_b64 vcc, exec, s[4:5]
	s_cbranch_vccz .LBB203_2325
; %bb.2319:
	v_mov_b32_e32 v5, 28
	v_cmp_gt_i16_sdwa s[4:5], v35, v5 src0_sel:BYTE_0 src1_sel:DWORD
	s_and_b64 vcc, exec, s[4:5]
	s_cbranch_vccz .LBB203_2326
; %bb.2320:
	v_mov_b32_e32 v5, 43
	v_cmp_gt_i16_sdwa s[4:5], v35, v5 src0_sel:BYTE_0 src1_sel:DWORD
	;; [unrolled: 5-line block ×3, first 2 shown]
	s_and_b64 vcc, exec, s[4:5]
	s_cbranch_vccz .LBB203_2329
; %bb.2322:
	v_mov_b32_e32 v5, 46
	v_cmp_eq_u16_sdwa s[4:5], v35, v5 src0_sel:BYTE_0 src1_sel:DWORD
	s_mov_b64 s[10:11], 0
	s_and_b64 vcc, exec, s[4:5]
	s_cbranch_vccz .LBB203_2330
; %bb.2323:
	global_load_dword v5, v[2:3], off
	s_mov_b64 s[4:5], 0
	s_mov_b64 s[8:9], -1
	s_waitcnt vmcnt(0)
	v_lshlrev_b32_e32 v5, 16, v5
	v_cvt_f16_f32_e32 v34, v5
	s_branch .LBB203_2331
.LBB203_2324:
	s_mov_b64 s[4:5], -1
	s_mov_b64 s[8:9], 0
                                        ; implicit-def: $vgpr34
	s_branch .LBB203_2397
.LBB203_2325:
	s_mov_b64 s[10:11], -1
	s_mov_b64 s[8:9], 0
	s_mov_b64 s[4:5], 0
                                        ; implicit-def: $vgpr34
	s_branch .LBB203_2360
.LBB203_2326:
	s_mov_b64 s[10:11], -1
	s_mov_b64 s[8:9], 0
	s_mov_b64 s[4:5], 0
                                        ; implicit-def: $vgpr34
	s_branch .LBB203_2341
.LBB203_2327:
	s_mov_b64 s[10:11], -1
	s_mov_b64 s[8:9], 0
	s_mov_b64 s[4:5], 0
                                        ; implicit-def: $vgpr34
	s_branch .LBB203_2336
.LBB203_2328:
	s_trap 2
	s_or_b64 s[42:43], s[42:43], exec
                                        ; implicit-def: $vgpr33
	s_cbranch_execz .LBB203_2265
	s_branch .LBB203_2266
.LBB203_2329:
	s_mov_b64 s[10:11], -1
	s_mov_b64 s[8:9], 0
	s_mov_b64 s[4:5], 0
                                        ; implicit-def: $vgpr34
	s_branch .LBB203_2331
.LBB203_2330:
	s_mov_b64 s[4:5], -1
                                        ; implicit-def: $vgpr34
	s_mov_b64 s[8:9], 0
.LBB203_2331:
	s_and_b64 vcc, exec, s[10:11]
	s_cbranch_vccz .LBB203_2335
; %bb.2332:
	v_mov_b32_e32 v5, 44
	v_cmp_eq_u16_sdwa s[4:5], v35, v5 src0_sel:BYTE_0 src1_sel:DWORD
	s_and_b64 vcc, exec, s[4:5]
	s_cbranch_vccz .LBB203_2334
; %bb.2333:
	global_load_ubyte v5, v[2:3], off
	s_movk_i32 s8, 0xff
	v_mov_b32_e32 v7, 0x7e00
	s_mov_b64 s[4:5], 0
	s_waitcnt vmcnt(0)
	v_lshlrev_b32_e32 v6, 23, v5
	v_cvt_f16_f32_e32 v6, v6
	v_cmp_ne_u32_e32 vcc, s8, v5
	s_mov_b64 s[8:9], -1
	v_cndmask_b32_e32 v6, v7, v6, vcc
	v_cmp_ne_u32_e32 vcc, 0, v5
	v_cndmask_b32_e32 v34, 0, v6, vcc
	s_branch .LBB203_2335
.LBB203_2334:
	s_mov_b64 s[4:5], -1
                                        ; implicit-def: $vgpr34
.LBB203_2335:
	s_mov_b64 s[10:11], 0
.LBB203_2336:
	s_and_b64 vcc, exec, s[10:11]
	s_cbranch_vccz .LBB203_2340
; %bb.2337:
	v_mov_b32_e32 v5, 29
	v_cmp_eq_u16_sdwa s[4:5], v35, v5 src0_sel:BYTE_0 src1_sel:DWORD
	s_and_b64 vcc, exec, s[4:5]
	s_cbranch_vccz .LBB203_2339
; %bb.2338:
	global_load_dwordx2 v[6:7], v[2:3], off
	s_mov_b64 s[4:5], 0
	s_mov_b64 s[8:9], -1
	s_mov_b64 s[10:11], 0
	s_waitcnt vmcnt(0)
	v_ffbh_u32_e32 v5, v7
	v_min_u32_e32 v5, 32, v5
	v_lshlrev_b64 v[6:7], v5, v[6:7]
	v_min_u32_e32 v6, 1, v6
	v_or_b32_e32 v6, v7, v6
	v_cvt_f32_u32_e32 v6, v6
	v_sub_u32_e32 v5, 32, v5
	v_ldexp_f32 v5, v6, v5
	v_cvt_f16_f32_e32 v34, v5
	s_branch .LBB203_2341
.LBB203_2339:
	s_mov_b64 s[4:5], -1
                                        ; implicit-def: $vgpr34
.LBB203_2340:
	s_mov_b64 s[10:11], 0
.LBB203_2341:
	s_and_b64 vcc, exec, s[10:11]
	s_cbranch_vccz .LBB203_2359
; %bb.2342:
	v_mov_b32_e32 v5, 27
	v_cmp_lt_i16_sdwa s[8:9], v35, v5 src0_sel:BYTE_0 src1_sel:DWORD
	s_and_b64 vcc, exec, s[8:9]
	s_cbranch_vccnz .LBB203_2345
; %bb.2343:
	v_cmp_gt_i16_sdwa s[8:9], v35, v5 src0_sel:BYTE_0 src1_sel:DWORD
	s_and_b64 vcc, exec, s[8:9]
	s_cbranch_vccz .LBB203_2346
; %bb.2344:
	global_load_dword v5, v[2:3], off
	s_mov_b64 s[8:9], 0
	s_waitcnt vmcnt(0)
	v_cvt_f32_u32_e32 v5, v5
	v_cvt_f16_f32_e32 v34, v5
	s_branch .LBB203_2347
.LBB203_2345:
	s_mov_b64 s[8:9], -1
                                        ; implicit-def: $vgpr34
	s_branch .LBB203_2350
.LBB203_2346:
	s_mov_b64 s[8:9], -1
                                        ; implicit-def: $vgpr34
.LBB203_2347:
	s_andn2_b64 vcc, exec, s[8:9]
	s_cbranch_vccnz .LBB203_2349
; %bb.2348:
	global_load_ushort v5, v[2:3], off
	s_waitcnt vmcnt(0)
	v_cvt_f16_u16_e32 v34, v5
.LBB203_2349:
	s_mov_b64 s[8:9], 0
.LBB203_2350:
	s_andn2_b64 vcc, exec, s[8:9]
	s_cbranch_vccnz .LBB203_2358
; %bb.2351:
	global_load_ubyte v5, v[2:3], off
	s_movk_i32 s8, 0x7f
                                        ; implicit-def: $sgpr14
	s_waitcnt vmcnt(0)
	v_cmp_lt_i16_e32 vcc, s8, v5
	s_mov_b64 s[8:9], 0
	s_and_saveexec_b64 s[10:11], vcc
	s_xor_b64 s[10:11], exec, s[10:11]
	s_cbranch_execz .LBB203_2372
; %bb.2352:
	s_movk_i32 s8, 0x80
	v_cmp_eq_u16_e32 vcc, s8, v5
	s_mov_b64 s[8:9], -1
                                        ; implicit-def: $sgpr14
	s_and_saveexec_b64 s[12:13], vcc
; %bb.2353:
	s_movk_i32 s14, 0x7e00
	s_xor_b64 s[8:9], exec, -1
; %bb.2354:
	s_or_b64 exec, exec, s[12:13]
	s_and_b64 s[8:9], s[8:9], exec
	s_or_saveexec_b64 s[10:11], s[10:11]
	v_mov_b32_e32 v34, s14
	s_xor_b64 exec, exec, s[10:11]
	s_cbranch_execnz .LBB203_2373
.LBB203_2355:
	s_or_b64 exec, exec, s[10:11]
	s_and_saveexec_b64 s[10:11], s[8:9]
	s_cbranch_execz .LBB203_2357
.LBB203_2356:
	v_lshlrev_b32_e32 v6, 24, v5
	v_and_b32_e32 v5, 0xffff, v5
	v_and_b32_e32 v7, 7, v5
	v_ffbh_u32_e32 v9, v7
	v_min_u32_e32 v9, 32, v9
	v_subrev_u32_e32 v10, 28, v9
	v_bfe_u32 v8, v5, 3, 4
	v_lshlrev_b32_e32 v5, v10, v5
	v_sub_u32_e32 v9, 29, v9
	v_and_b32_e32 v5, 7, v5
	v_cmp_eq_u32_e32 vcc, 0, v8
	v_cndmask_b32_e32 v8, v8, v9, vcc
	v_cndmask_b32_e32 v5, v7, v5, vcc
	v_mov_b32_e32 v7, 0x3b800000
	v_lshlrev_b32_e32 v5, 20, v5
	v_and_b32_e32 v6, 0x80000000, v6
	v_lshl_add_u32 v7, v8, 23, v7
	v_or3_b32 v5, v6, v7, v5
	v_cvt_f16_f32_e32 v34, v5
.LBB203_2357:
	s_or_b64 exec, exec, s[10:11]
.LBB203_2358:
	s_mov_b64 s[8:9], -1
.LBB203_2359:
	s_mov_b64 s[10:11], 0
.LBB203_2360:
	s_and_b64 vcc, exec, s[10:11]
	s_cbranch_vccz .LBB203_2393
; %bb.2361:
	v_mov_b32_e32 v5, 22
	v_cmp_gt_i16_sdwa s[6:7], v35, v5 src0_sel:BYTE_0 src1_sel:DWORD
	s_and_b64 vcc, exec, s[6:7]
	s_cbranch_vccz .LBB203_2371
; %bb.2362:
	v_mov_b32_e32 v5, 24
	v_cmp_lt_i16_sdwa s[6:7], v35, v5 src0_sel:BYTE_0 src1_sel:DWORD
	s_and_b64 vcc, exec, s[6:7]
	s_cbranch_vccnz .LBB203_2374
; %bb.2363:
	v_cmp_gt_i16_sdwa s[6:7], v35, v5 src0_sel:BYTE_0 src1_sel:DWORD
	s_and_b64 vcc, exec, s[6:7]
	s_cbranch_vccz .LBB203_2375
; %bb.2364:
	global_load_ubyte v5, v[2:3], off
	s_movk_i32 s6, 0x7f
                                        ; implicit-def: $sgpr12
	s_waitcnt vmcnt(0)
	v_cmp_lt_i16_e32 vcc, s6, v5
	s_mov_b64 s[6:7], 0
	s_and_saveexec_b64 s[8:9], vcc
	s_xor_b64 s[8:9], exec, s[8:9]
	s_cbranch_execz .LBB203_2387
; %bb.2365:
	s_movk_i32 s6, 0x80
	v_cmp_eq_u16_e32 vcc, s6, v5
	s_mov_b64 s[6:7], -1
                                        ; implicit-def: $sgpr12
	s_and_saveexec_b64 s[10:11], vcc
; %bb.2366:
	s_movk_i32 s12, 0x7e00
	s_xor_b64 s[6:7], exec, -1
; %bb.2367:
	s_or_b64 exec, exec, s[10:11]
	s_and_b64 s[6:7], s[6:7], exec
	s_or_saveexec_b64 s[8:9], s[8:9]
	v_mov_b32_e32 v34, s12
	s_xor_b64 exec, exec, s[8:9]
	s_cbranch_execnz .LBB203_2388
.LBB203_2368:
	s_or_b64 exec, exec, s[8:9]
	s_and_saveexec_b64 s[8:9], s[6:7]
	s_cbranch_execz .LBB203_2370
.LBB203_2369:
	v_lshlrev_b32_e32 v6, 24, v5
	v_and_b32_e32 v5, 0xffff, v5
	v_and_b32_e32 v7, 3, v5
	v_ffbh_u32_e32 v9, v7
	v_min_u32_e32 v9, 32, v9
	v_subrev_u32_e32 v10, 29, v9
	v_bfe_u32 v8, v5, 2, 5
	v_lshlrev_b32_e32 v5, v10, v5
	v_sub_u32_e32 v9, 30, v9
	v_and_b32_e32 v5, 3, v5
	v_cmp_eq_u32_e32 vcc, 0, v8
	v_cndmask_b32_e32 v8, v8, v9, vcc
	v_cndmask_b32_e32 v5, v7, v5, vcc
	v_mov_b32_e32 v7, 0x37800000
	v_lshlrev_b32_e32 v5, 21, v5
	v_and_b32_e32 v6, 0x80000000, v6
	v_lshl_add_u32 v7, v8, 23, v7
	v_or3_b32 v5, v6, v7, v5
	v_cvt_f16_f32_e32 v34, v5
.LBB203_2370:
	s_or_b64 exec, exec, s[8:9]
	s_mov_b64 s[6:7], 0
	s_branch .LBB203_2376
.LBB203_2371:
	s_mov_b64 s[6:7], -1
                                        ; implicit-def: $vgpr34
	s_branch .LBB203_2382
.LBB203_2372:
	s_or_saveexec_b64 s[10:11], s[10:11]
	v_mov_b32_e32 v34, s14
	s_xor_b64 exec, exec, s[10:11]
	s_cbranch_execz .LBB203_2355
.LBB203_2373:
	v_cmp_ne_u16_e32 vcc, 0, v5
	s_andn2_b64 s[8:9], s[8:9], exec
	s_and_b64 s[12:13], vcc, exec
	s_or_b64 s[8:9], s[8:9], s[12:13]
	v_mov_b32_e32 v34, v5
	s_or_b64 exec, exec, s[10:11]
	s_and_saveexec_b64 s[10:11], s[8:9]
	s_cbranch_execnz .LBB203_2356
	s_branch .LBB203_2357
.LBB203_2374:
	s_mov_b64 s[6:7], -1
                                        ; implicit-def: $vgpr34
	s_branch .LBB203_2379
.LBB203_2375:
	s_mov_b64 s[6:7], -1
                                        ; implicit-def: $vgpr34
.LBB203_2376:
	s_and_b64 vcc, exec, s[6:7]
	s_cbranch_vccz .LBB203_2378
; %bb.2377:
	global_load_ubyte v5, v[2:3], off
	s_mov_b32 s6, 0x7f800000
	s_waitcnt vmcnt(0)
	v_lshlrev_b32_e32 v5, 24, v5
	v_and_b32_e32 v6, 0x7f000000, v5
	v_ffbh_u32_e32 v7, v6
	v_min_u32_e32 v7, 32, v7
	v_sub_u32_e64 v7, v7, 4 clamp
	v_lshlrev_b32_e32 v9, v7, v6
	v_lshlrev_b32_e32 v7, 23, v7
	v_lshrrev_b32_e32 v9, 4, v9
	v_add_u32_e32 v8, 0x1000000, v6
	v_sub_u32_e32 v7, v9, v7
	v_ashrrev_i32_e32 v8, 8, v8
	v_add_u32_e32 v7, 0x3c000000, v7
	v_and_or_b32 v7, v8, s6, v7
	v_cmp_ne_u32_e32 vcc, 0, v6
	v_cndmask_b32_e32 v6, 0, v7, vcc
	s_brev_b32 s6, 1
	v_and_or_b32 v5, v5, s6, v6
	v_cvt_f16_f32_e32 v34, v5
.LBB203_2378:
	s_mov_b64 s[6:7], 0
.LBB203_2379:
	s_andn2_b64 vcc, exec, s[6:7]
	s_cbranch_vccnz .LBB203_2381
; %bb.2380:
	global_load_ubyte v5, v[2:3], off
	s_movk_i32 s6, 0x7f00
	s_brev_b32 s7, 16
	s_waitcnt vmcnt(0)
	v_lshlrev_b16_e32 v6, 8, v5
	v_lshlrev_b32_e32 v5, 25, v5
	v_lshrrev_b32_e32 v7, 4, v5
	v_and_or_b32 v8, v6, s6, 0.5
	v_or_b32_e32 v7, 0x70000000, v7
	v_add_f32_e32 v8, -0.5, v8
	v_mul_f32_e32 v7, 0x7800000, v7
	v_cmp_gt_u32_e32 vcc, s7, v5
	v_bfe_i32 v6, v6, 0, 16
	v_cndmask_b32_e32 v5, v7, v8, vcc
	s_brev_b32 s6, 1
	v_and_or_b32 v5, v6, s6, v5
	v_cvt_f16_f32_e32 v34, v5
.LBB203_2381:
	s_mov_b64 s[6:7], 0
	s_mov_b64 s[8:9], -1
.LBB203_2382:
	s_andn2_b64 vcc, exec, s[6:7]
	s_mov_b64 s[6:7], 0
	s_cbranch_vccnz .LBB203_2393
; %bb.2383:
	v_mov_b32_e32 v5, 14
	v_cmp_gt_i16_sdwa s[6:7], v35, v5 src0_sel:BYTE_0 src1_sel:DWORD
	s_and_b64 vcc, exec, s[6:7]
	s_cbranch_vccz .LBB203_2386
; %bb.2384:
	v_mov_b32_e32 v5, 15
	v_cmp_eq_u16_sdwa s[4:5], v35, v5 src0_sel:BYTE_0 src1_sel:DWORD
	s_and_b64 vcc, exec, s[4:5]
	s_cbranch_vccz .LBB203_2389
; %bb.2385:
	global_load_ushort v5, v[2:3], off
	s_mov_b64 s[4:5], 0
	s_mov_b64 s[8:9], -1
	s_waitcnt vmcnt(0)
	v_lshlrev_b32_e32 v5, 16, v5
	v_cvt_f16_f32_e32 v34, v5
	s_branch .LBB203_2390
.LBB203_2386:
	s_mov_b64 s[10:11], -1
                                        ; implicit-def: $vgpr34
	s_branch .LBB203_2391
.LBB203_2387:
	s_or_saveexec_b64 s[8:9], s[8:9]
	v_mov_b32_e32 v34, s12
	s_xor_b64 exec, exec, s[8:9]
	s_cbranch_execz .LBB203_2368
.LBB203_2388:
	v_cmp_ne_u16_e32 vcc, 0, v5
	s_andn2_b64 s[6:7], s[6:7], exec
	s_and_b64 s[10:11], vcc, exec
	s_or_b64 s[6:7], s[6:7], s[10:11]
	v_mov_b32_e32 v34, v5
	s_or_b64 exec, exec, s[8:9]
	s_and_saveexec_b64 s[8:9], s[6:7]
	s_cbranch_execnz .LBB203_2369
	s_branch .LBB203_2370
.LBB203_2389:
	s_mov_b64 s[4:5], -1
                                        ; implicit-def: $vgpr34
.LBB203_2390:
	s_mov_b64 s[10:11], 0
.LBB203_2391:
	s_mov_b64 s[6:7], 0
	s_and_b64 vcc, exec, s[10:11]
	s_cbranch_vccz .LBB203_2393
; %bb.2392:
	v_mov_b32_e32 v5, 11
	v_cmp_ne_u16_sdwa s[4:5], v35, v5 src0_sel:BYTE_0 src1_sel:DWORD
	s_mov_b64 s[6:7], -1
                                        ; implicit-def: $vgpr34
.LBB203_2393:
	s_and_b64 vcc, exec, s[4:5]
	s_cbranch_vccnz .LBB203_2458
; %bb.2394:
	s_andn2_b64 vcc, exec, s[6:7]
	s_cbranch_vccnz .LBB203_2396
.LBB203_2395:
	global_load_ubyte v5, v[2:3], off
	v_mov_b32_e32 v6, 0x3c00
	s_mov_b64 s[8:9], -1
	s_waitcnt vmcnt(0)
	v_cmp_ne_u16_e32 vcc, 0, v5
	v_cndmask_b32_e32 v34, 0, v6, vcc
.LBB203_2396:
	s_mov_b64 s[4:5], 0
.LBB203_2397:
	s_and_b64 vcc, exec, s[4:5]
	s_cbranch_vccz .LBB203_2446
; %bb.2398:
	v_mov_b32_e32 v5, 5
	v_cmp_lt_i16_sdwa s[4:5], v35, v5 src0_sel:BYTE_0 src1_sel:DWORD
	s_and_b64 vcc, exec, s[4:5]
	s_cbranch_vccnz .LBB203_2403
; %bb.2399:
	v_mov_b32_e32 v5, 8
	v_cmp_lt_i16_sdwa s[4:5], v35, v5 src0_sel:BYTE_0 src1_sel:DWORD
	s_and_b64 vcc, exec, s[4:5]
	s_cbranch_vccnz .LBB203_2404
	;; [unrolled: 5-line block ×3, first 2 shown]
; %bb.2401:
	v_cmp_gt_i16_sdwa s[4:5], v35, v5 src0_sel:BYTE_0 src1_sel:DWORD
	s_and_b64 vcc, exec, s[4:5]
	s_cbranch_vccz .LBB203_2406
; %bb.2402:
	global_load_dwordx2 v[6:7], v[2:3], off
	s_mov_b64 s[4:5], 0
	s_waitcnt vmcnt(0)
	v_cvt_f32_f64_e32 v5, v[6:7]
	v_cvt_f16_f32_e32 v34, v5
	s_branch .LBB203_2407
.LBB203_2403:
	s_mov_b64 s[4:5], -1
                                        ; implicit-def: $vgpr34
	s_branch .LBB203_2425
.LBB203_2404:
	s_mov_b64 s[4:5], -1
                                        ; implicit-def: $vgpr34
	s_branch .LBB203_2413
.LBB203_2405:
	s_mov_b64 s[4:5], -1
                                        ; implicit-def: $vgpr34
	s_branch .LBB203_2410
.LBB203_2406:
	s_mov_b64 s[4:5], -1
                                        ; implicit-def: $vgpr34
.LBB203_2407:
	s_andn2_b64 vcc, exec, s[4:5]
	s_cbranch_vccnz .LBB203_2409
; %bb.2408:
	global_load_dword v5, v[2:3], off
	s_waitcnt vmcnt(0)
	v_cvt_f16_f32_e32 v34, v5
.LBB203_2409:
	s_mov_b64 s[4:5], 0
.LBB203_2410:
	s_andn2_b64 vcc, exec, s[4:5]
	s_cbranch_vccnz .LBB203_2412
; %bb.2411:
	global_load_dword v34, v[2:3], off
.LBB203_2412:
	s_mov_b64 s[4:5], 0
.LBB203_2413:
	s_andn2_b64 vcc, exec, s[4:5]
	s_cbranch_vccnz .LBB203_2424
; %bb.2414:
	v_mov_b32_e32 v5, 6
	v_cmp_lt_i16_sdwa s[4:5], v35, v5 src0_sel:BYTE_0 src1_sel:DWORD
	s_and_b64 vcc, exec, s[4:5]
	s_cbranch_vccnz .LBB203_2417
; %bb.2415:
	v_cmp_gt_i16_sdwa s[4:5], v35, v5 src0_sel:BYTE_0 src1_sel:DWORD
	s_and_b64 vcc, exec, s[4:5]
	s_cbranch_vccz .LBB203_2418
; %bb.2416:
	global_load_dwordx2 v[6:7], v[2:3], off
	s_mov_b64 s[4:5], 0
	s_waitcnt vmcnt(0)
	v_cvt_f32_f64_e32 v5, v[6:7]
	v_cvt_f16_f32_e32 v34, v5
	s_branch .LBB203_2419
.LBB203_2417:
	s_mov_b64 s[4:5], -1
                                        ; implicit-def: $vgpr34
	s_branch .LBB203_2422
.LBB203_2418:
	s_mov_b64 s[4:5], -1
                                        ; implicit-def: $vgpr34
.LBB203_2419:
	s_andn2_b64 vcc, exec, s[4:5]
	s_cbranch_vccnz .LBB203_2421
; %bb.2420:
	global_load_dword v5, v[2:3], off
	s_waitcnt vmcnt(0)
	v_cvt_f16_f32_e32 v34, v5
.LBB203_2421:
	s_mov_b64 s[4:5], 0
.LBB203_2422:
	s_andn2_b64 vcc, exec, s[4:5]
	s_cbranch_vccnz .LBB203_2424
; %bb.2423:
	global_load_ushort v34, v[2:3], off
.LBB203_2424:
	s_mov_b64 s[4:5], 0
.LBB203_2425:
	s_andn2_b64 vcc, exec, s[4:5]
	s_cbranch_vccnz .LBB203_2445
; %bb.2426:
	v_mov_b32_e32 v5, 2
	v_cmp_lt_i16_sdwa s[4:5], v35, v5 src0_sel:BYTE_0 src1_sel:DWORD
	s_and_b64 vcc, exec, s[4:5]
	s_cbranch_vccnz .LBB203_2430
; %bb.2427:
	v_mov_b32_e32 v5, 3
	v_cmp_lt_i16_sdwa s[4:5], v35, v5 src0_sel:BYTE_0 src1_sel:DWORD
	s_and_b64 vcc, exec, s[4:5]
	s_cbranch_vccnz .LBB203_2431
; %bb.2428:
	v_cmp_gt_i16_sdwa s[4:5], v35, v5 src0_sel:BYTE_0 src1_sel:DWORD
	s_and_b64 vcc, exec, s[4:5]
	s_cbranch_vccz .LBB203_2432
; %bb.2429:
	global_load_dwordx2 v[6:7], v[2:3], off
	s_mov_b64 s[4:5], 0
	s_waitcnt vmcnt(0)
	v_xor_b32_e32 v8, v6, v7
	v_ffbh_i32_e32 v5, v7
	v_ashrrev_i32_e32 v8, 31, v8
	v_add_u32_e32 v5, -1, v5
	v_add_u32_e32 v8, 32, v8
	v_min_u32_e32 v5, v5, v8
	v_lshlrev_b64 v[6:7], v5, v[6:7]
	v_min_u32_e32 v6, 1, v6
	v_or_b32_e32 v6, v7, v6
	v_cvt_f32_i32_e32 v6, v6
	v_sub_u32_e32 v5, 32, v5
	v_ldexp_f32 v5, v6, v5
	v_cvt_f16_f32_e32 v34, v5
	s_branch .LBB203_2433
.LBB203_2430:
	s_mov_b64 s[4:5], -1
                                        ; implicit-def: $vgpr34
	s_branch .LBB203_2439
.LBB203_2431:
	s_mov_b64 s[4:5], -1
                                        ; implicit-def: $vgpr34
	s_branch .LBB203_2436
.LBB203_2432:
	s_mov_b64 s[4:5], -1
                                        ; implicit-def: $vgpr34
.LBB203_2433:
	s_andn2_b64 vcc, exec, s[4:5]
	s_cbranch_vccnz .LBB203_2435
; %bb.2434:
	global_load_dword v5, v[2:3], off
	s_waitcnt vmcnt(0)
	v_cvt_f32_i32_e32 v5, v5
	v_cvt_f16_f32_e32 v34, v5
.LBB203_2435:
	s_mov_b64 s[4:5], 0
.LBB203_2436:
	s_andn2_b64 vcc, exec, s[4:5]
	s_cbranch_vccnz .LBB203_2438
; %bb.2437:
	global_load_ushort v5, v[2:3], off
	s_waitcnt vmcnt(0)
	v_cvt_f16_i16_e32 v34, v5
.LBB203_2438:
	s_mov_b64 s[4:5], 0
.LBB203_2439:
	s_andn2_b64 vcc, exec, s[4:5]
	s_cbranch_vccnz .LBB203_2445
; %bb.2440:
	v_mov_b32_e32 v5, 0
	v_cmp_gt_i16_sdwa s[4:5], v35, v5 src0_sel:BYTE_0 src1_sel:DWORD
	s_and_b64 vcc, exec, s[4:5]
	s_cbranch_vccz .LBB203_2442
; %bb.2441:
	global_load_sbyte v5, v[2:3], off
	s_mov_b64 s[4:5], 0
	s_waitcnt vmcnt(0)
	v_cvt_f16_i16_e32 v34, v5
	s_branch .LBB203_2443
.LBB203_2442:
	s_mov_b64 s[4:5], -1
                                        ; implicit-def: $vgpr34
.LBB203_2443:
	s_andn2_b64 vcc, exec, s[4:5]
	s_cbranch_vccnz .LBB203_2445
; %bb.2444:
	global_load_ubyte v2, v[2:3], off
	s_waitcnt vmcnt(0)
	v_cvt_f16_u16_e32 v34, v2
.LBB203_2445:
	s_mov_b64 s[8:9], -1
.LBB203_2446:
	s_andn2_b64 vcc, exec, s[8:9]
	s_cbranch_vccnz .LBB203_3030
; %bb.2447:
	v_add_u32_e32 v2, s15, v4
	v_ashrrev_i32_e32 v3, 31, v2
	v_mov_b32_e32 v4, s23
	v_add_co_u32_e32 v2, vcc, s22, v2
	v_addc_co_u32_e32 v3, vcc, v4, v3, vcc
	v_mov_b32_e32 v4, 11
	v_cmp_lt_i16_sdwa s[4:5], v38, v4 src0_sel:BYTE_0 src1_sel:DWORD
	s_and_b64 vcc, exec, s[4:5]
	s_cbranch_vccnz .LBB203_2454
; %bb.2448:
	v_mov_b32_e32 v4, 25
	v_cmp_gt_i16_sdwa s[4:5], v38, v4 src0_sel:BYTE_0 src1_sel:DWORD
	s_mov_b64 s[6:7], 0
	s_and_b64 vcc, exec, s[4:5]
	s_cbranch_vccz .LBB203_2455
; %bb.2449:
	v_mov_b32_e32 v4, 28
	v_cmp_gt_i16_sdwa s[4:5], v38, v4 src0_sel:BYTE_0 src1_sel:DWORD
	s_and_b64 vcc, exec, s[4:5]
	s_cbranch_vccz .LBB203_2456
; %bb.2450:
	v_mov_b32_e32 v4, 43
	v_cmp_gt_i16_sdwa s[4:5], v38, v4 src0_sel:BYTE_0 src1_sel:DWORD
	;; [unrolled: 5-line block ×3, first 2 shown]
	s_and_b64 vcc, exec, s[4:5]
	s_cbranch_vccz .LBB203_2459
; %bb.2452:
	v_mov_b32_e32 v4, 46
	v_cmp_eq_u16_sdwa s[4:5], v38, v4 src0_sel:BYTE_0 src1_sel:DWORD
	s_mov_b64 s[10:11], 0
	s_and_b64 vcc, exec, s[4:5]
	s_cbranch_vccz .LBB203_2460
; %bb.2453:
	global_load_dword v4, v[2:3], off
	s_mov_b64 s[4:5], 0
	s_mov_b64 s[8:9], -1
	s_waitcnt vmcnt(0)
	v_lshlrev_b32_e32 v4, 16, v4
	v_cvt_f16_f32_e32 v35, v4
	s_branch .LBB203_2461
.LBB203_2454:
	s_mov_b64 s[4:5], -1
	s_mov_b64 s[8:9], 0
                                        ; implicit-def: $vgpr35
	s_branch .LBB203_2527
.LBB203_2455:
	s_mov_b64 s[10:11], -1
	s_mov_b64 s[8:9], 0
	s_mov_b64 s[4:5], 0
                                        ; implicit-def: $vgpr35
	s_branch .LBB203_2490
.LBB203_2456:
	s_mov_b64 s[10:11], -1
	s_mov_b64 s[8:9], 0
	s_mov_b64 s[4:5], 0
                                        ; implicit-def: $vgpr35
	s_branch .LBB203_2471
.LBB203_2457:
	s_mov_b64 s[10:11], -1
	s_mov_b64 s[8:9], 0
	s_mov_b64 s[4:5], 0
                                        ; implicit-def: $vgpr35
	s_branch .LBB203_2466
.LBB203_2458:
	s_trap 2
	s_or_b64 s[42:43], s[42:43], exec
                                        ; implicit-def: $vgpr34
	s_cbranch_execz .LBB203_2395
	s_branch .LBB203_2396
.LBB203_2459:
	s_mov_b64 s[10:11], -1
	s_mov_b64 s[8:9], 0
	s_mov_b64 s[4:5], 0
                                        ; implicit-def: $vgpr35
	s_branch .LBB203_2461
.LBB203_2460:
	s_mov_b64 s[4:5], -1
                                        ; implicit-def: $vgpr35
	s_mov_b64 s[8:9], 0
.LBB203_2461:
	s_and_b64 vcc, exec, s[10:11]
	s_cbranch_vccz .LBB203_2465
; %bb.2462:
	v_mov_b32_e32 v4, 44
	v_cmp_eq_u16_sdwa s[4:5], v38, v4 src0_sel:BYTE_0 src1_sel:DWORD
	s_and_b64 vcc, exec, s[4:5]
	s_cbranch_vccz .LBB203_2464
; %bb.2463:
	global_load_ubyte v4, v[2:3], off
	s_movk_i32 s8, 0xff
	v_mov_b32_e32 v6, 0x7e00
	s_mov_b64 s[4:5], 0
	s_waitcnt vmcnt(0)
	v_lshlrev_b32_e32 v5, 23, v4
	v_cvt_f16_f32_e32 v5, v5
	v_cmp_ne_u32_e32 vcc, s8, v4
	s_mov_b64 s[8:9], -1
	v_cndmask_b32_e32 v5, v6, v5, vcc
	v_cmp_ne_u32_e32 vcc, 0, v4
	v_cndmask_b32_e32 v35, 0, v5, vcc
	s_branch .LBB203_2465
.LBB203_2464:
	s_mov_b64 s[4:5], -1
                                        ; implicit-def: $vgpr35
.LBB203_2465:
	s_mov_b64 s[10:11], 0
.LBB203_2466:
	s_and_b64 vcc, exec, s[10:11]
	s_cbranch_vccz .LBB203_2470
; %bb.2467:
	v_mov_b32_e32 v4, 29
	v_cmp_eq_u16_sdwa s[4:5], v38, v4 src0_sel:BYTE_0 src1_sel:DWORD
	s_and_b64 vcc, exec, s[4:5]
	s_cbranch_vccz .LBB203_2469
; %bb.2468:
	global_load_dwordx2 v[4:5], v[2:3], off
	s_mov_b64 s[4:5], 0
	s_mov_b64 s[8:9], -1
	s_mov_b64 s[10:11], 0
	s_waitcnt vmcnt(0)
	v_ffbh_u32_e32 v6, v5
	v_min_u32_e32 v6, 32, v6
	v_lshlrev_b64 v[4:5], v6, v[4:5]
	v_min_u32_e32 v4, 1, v4
	v_or_b32_e32 v4, v5, v4
	v_cvt_f32_u32_e32 v4, v4
	v_sub_u32_e32 v5, 32, v6
	v_ldexp_f32 v4, v4, v5
	v_cvt_f16_f32_e32 v35, v4
	s_branch .LBB203_2471
.LBB203_2469:
	s_mov_b64 s[4:5], -1
                                        ; implicit-def: $vgpr35
.LBB203_2470:
	s_mov_b64 s[10:11], 0
.LBB203_2471:
	s_and_b64 vcc, exec, s[10:11]
	s_cbranch_vccz .LBB203_2489
; %bb.2472:
	v_mov_b32_e32 v4, 27
	v_cmp_lt_i16_sdwa s[8:9], v38, v4 src0_sel:BYTE_0 src1_sel:DWORD
	s_and_b64 vcc, exec, s[8:9]
	s_cbranch_vccnz .LBB203_2475
; %bb.2473:
	v_cmp_gt_i16_sdwa s[8:9], v38, v4 src0_sel:BYTE_0 src1_sel:DWORD
	s_and_b64 vcc, exec, s[8:9]
	s_cbranch_vccz .LBB203_2476
; %bb.2474:
	global_load_dword v4, v[2:3], off
	s_mov_b64 s[8:9], 0
	s_waitcnt vmcnt(0)
	v_cvt_f32_u32_e32 v4, v4
	v_cvt_f16_f32_e32 v35, v4
	s_branch .LBB203_2477
.LBB203_2475:
	s_mov_b64 s[8:9], -1
                                        ; implicit-def: $vgpr35
	s_branch .LBB203_2480
.LBB203_2476:
	s_mov_b64 s[8:9], -1
                                        ; implicit-def: $vgpr35
.LBB203_2477:
	s_andn2_b64 vcc, exec, s[8:9]
	s_cbranch_vccnz .LBB203_2479
; %bb.2478:
	global_load_ushort v4, v[2:3], off
	s_waitcnt vmcnt(0)
	v_cvt_f16_u16_e32 v35, v4
.LBB203_2479:
	s_mov_b64 s[8:9], 0
.LBB203_2480:
	s_andn2_b64 vcc, exec, s[8:9]
	s_cbranch_vccnz .LBB203_2488
; %bb.2481:
	global_load_ubyte v4, v[2:3], off
	s_movk_i32 s8, 0x7f
                                        ; implicit-def: $sgpr14
	s_waitcnt vmcnt(0)
	v_cmp_lt_i16_e32 vcc, s8, v4
	s_mov_b64 s[8:9], 0
	s_and_saveexec_b64 s[10:11], vcc
	s_xor_b64 s[10:11], exec, s[10:11]
	s_cbranch_execz .LBB203_2502
; %bb.2482:
	s_movk_i32 s8, 0x80
	v_cmp_eq_u16_e32 vcc, s8, v4
	s_mov_b64 s[8:9], -1
                                        ; implicit-def: $sgpr14
	s_and_saveexec_b64 s[12:13], vcc
; %bb.2483:
	s_movk_i32 s14, 0x7e00
	s_xor_b64 s[8:9], exec, -1
; %bb.2484:
	s_or_b64 exec, exec, s[12:13]
	s_and_b64 s[8:9], s[8:9], exec
	s_or_saveexec_b64 s[10:11], s[10:11]
	v_mov_b32_e32 v35, s14
	s_xor_b64 exec, exec, s[10:11]
	s_cbranch_execnz .LBB203_2503
.LBB203_2485:
	s_or_b64 exec, exec, s[10:11]
	s_and_saveexec_b64 s[10:11], s[8:9]
	s_cbranch_execz .LBB203_2487
.LBB203_2486:
	v_lshlrev_b32_e32 v5, 24, v4
	v_and_b32_e32 v4, 0xffff, v4
	v_and_b32_e32 v6, 7, v4
	v_ffbh_u32_e32 v8, v6
	v_min_u32_e32 v8, 32, v8
	v_subrev_u32_e32 v9, 28, v8
	v_bfe_u32 v7, v4, 3, 4
	v_lshlrev_b32_e32 v4, v9, v4
	v_sub_u32_e32 v8, 29, v8
	v_and_b32_e32 v4, 7, v4
	v_cmp_eq_u32_e32 vcc, 0, v7
	v_cndmask_b32_e32 v7, v7, v8, vcc
	v_cndmask_b32_e32 v4, v6, v4, vcc
	v_mov_b32_e32 v6, 0x3b800000
	v_lshlrev_b32_e32 v4, 20, v4
	v_and_b32_e32 v5, 0x80000000, v5
	v_lshl_add_u32 v6, v7, 23, v6
	v_or3_b32 v4, v5, v6, v4
	v_cvt_f16_f32_e32 v35, v4
.LBB203_2487:
	s_or_b64 exec, exec, s[10:11]
.LBB203_2488:
	s_mov_b64 s[8:9], -1
.LBB203_2489:
	s_mov_b64 s[10:11], 0
.LBB203_2490:
	s_and_b64 vcc, exec, s[10:11]
	s_cbranch_vccz .LBB203_2523
; %bb.2491:
	v_mov_b32_e32 v4, 22
	v_cmp_gt_i16_sdwa s[6:7], v38, v4 src0_sel:BYTE_0 src1_sel:DWORD
	s_and_b64 vcc, exec, s[6:7]
	s_cbranch_vccz .LBB203_2501
; %bb.2492:
	v_mov_b32_e32 v4, 24
	v_cmp_lt_i16_sdwa s[6:7], v38, v4 src0_sel:BYTE_0 src1_sel:DWORD
	s_and_b64 vcc, exec, s[6:7]
	s_cbranch_vccnz .LBB203_2504
; %bb.2493:
	v_cmp_gt_i16_sdwa s[6:7], v38, v4 src0_sel:BYTE_0 src1_sel:DWORD
	s_and_b64 vcc, exec, s[6:7]
	s_cbranch_vccz .LBB203_2505
; %bb.2494:
	global_load_ubyte v4, v[2:3], off
	s_movk_i32 s6, 0x7f
                                        ; implicit-def: $sgpr12
	s_waitcnt vmcnt(0)
	v_cmp_lt_i16_e32 vcc, s6, v4
	s_mov_b64 s[6:7], 0
	s_and_saveexec_b64 s[8:9], vcc
	s_xor_b64 s[8:9], exec, s[8:9]
	s_cbranch_execz .LBB203_2517
; %bb.2495:
	s_movk_i32 s6, 0x80
	v_cmp_eq_u16_e32 vcc, s6, v4
	s_mov_b64 s[6:7], -1
                                        ; implicit-def: $sgpr12
	s_and_saveexec_b64 s[10:11], vcc
; %bb.2496:
	s_movk_i32 s12, 0x7e00
	s_xor_b64 s[6:7], exec, -1
; %bb.2497:
	s_or_b64 exec, exec, s[10:11]
	s_and_b64 s[6:7], s[6:7], exec
	s_or_saveexec_b64 s[8:9], s[8:9]
	v_mov_b32_e32 v35, s12
	s_xor_b64 exec, exec, s[8:9]
	s_cbranch_execnz .LBB203_2518
.LBB203_2498:
	s_or_b64 exec, exec, s[8:9]
	s_and_saveexec_b64 s[8:9], s[6:7]
	s_cbranch_execz .LBB203_2500
.LBB203_2499:
	v_lshlrev_b32_e32 v5, 24, v4
	v_and_b32_e32 v4, 0xffff, v4
	v_and_b32_e32 v6, 3, v4
	v_ffbh_u32_e32 v8, v6
	v_min_u32_e32 v8, 32, v8
	v_subrev_u32_e32 v9, 29, v8
	v_bfe_u32 v7, v4, 2, 5
	v_lshlrev_b32_e32 v4, v9, v4
	v_sub_u32_e32 v8, 30, v8
	v_and_b32_e32 v4, 3, v4
	v_cmp_eq_u32_e32 vcc, 0, v7
	v_cndmask_b32_e32 v7, v7, v8, vcc
	v_cndmask_b32_e32 v4, v6, v4, vcc
	v_mov_b32_e32 v6, 0x37800000
	v_lshlrev_b32_e32 v4, 21, v4
	v_and_b32_e32 v5, 0x80000000, v5
	v_lshl_add_u32 v6, v7, 23, v6
	v_or3_b32 v4, v5, v6, v4
	v_cvt_f16_f32_e32 v35, v4
.LBB203_2500:
	s_or_b64 exec, exec, s[8:9]
	s_mov_b64 s[6:7], 0
	s_branch .LBB203_2506
.LBB203_2501:
	s_mov_b64 s[6:7], -1
                                        ; implicit-def: $vgpr35
	s_branch .LBB203_2512
.LBB203_2502:
	s_or_saveexec_b64 s[10:11], s[10:11]
	v_mov_b32_e32 v35, s14
	s_xor_b64 exec, exec, s[10:11]
	s_cbranch_execz .LBB203_2485
.LBB203_2503:
	v_cmp_ne_u16_e32 vcc, 0, v4
	s_andn2_b64 s[8:9], s[8:9], exec
	s_and_b64 s[12:13], vcc, exec
	s_or_b64 s[8:9], s[8:9], s[12:13]
	v_mov_b32_e32 v35, v4
	s_or_b64 exec, exec, s[10:11]
	s_and_saveexec_b64 s[10:11], s[8:9]
	s_cbranch_execnz .LBB203_2486
	s_branch .LBB203_2487
.LBB203_2504:
	s_mov_b64 s[6:7], -1
                                        ; implicit-def: $vgpr35
	s_branch .LBB203_2509
.LBB203_2505:
	s_mov_b64 s[6:7], -1
                                        ; implicit-def: $vgpr35
.LBB203_2506:
	s_and_b64 vcc, exec, s[6:7]
	s_cbranch_vccz .LBB203_2508
; %bb.2507:
	global_load_ubyte v4, v[2:3], off
	s_mov_b32 s6, 0x7f800000
	s_waitcnt vmcnt(0)
	v_lshlrev_b32_e32 v4, 24, v4
	v_and_b32_e32 v5, 0x7f000000, v4
	v_ffbh_u32_e32 v6, v5
	v_min_u32_e32 v6, 32, v6
	v_sub_u32_e64 v6, v6, 4 clamp
	v_lshlrev_b32_e32 v8, v6, v5
	v_lshlrev_b32_e32 v6, 23, v6
	v_lshrrev_b32_e32 v8, 4, v8
	v_add_u32_e32 v7, 0x1000000, v5
	v_sub_u32_e32 v6, v8, v6
	v_ashrrev_i32_e32 v7, 8, v7
	v_add_u32_e32 v6, 0x3c000000, v6
	v_and_or_b32 v6, v7, s6, v6
	v_cmp_ne_u32_e32 vcc, 0, v5
	v_cndmask_b32_e32 v5, 0, v6, vcc
	s_brev_b32 s6, 1
	v_and_or_b32 v4, v4, s6, v5
	v_cvt_f16_f32_e32 v35, v4
.LBB203_2508:
	s_mov_b64 s[6:7], 0
.LBB203_2509:
	s_andn2_b64 vcc, exec, s[6:7]
	s_cbranch_vccnz .LBB203_2511
; %bb.2510:
	global_load_ubyte v4, v[2:3], off
	s_movk_i32 s6, 0x7f00
	s_brev_b32 s7, 16
	s_waitcnt vmcnt(0)
	v_lshlrev_b16_e32 v5, 8, v4
	v_lshlrev_b32_e32 v4, 25, v4
	v_lshrrev_b32_e32 v6, 4, v4
	v_and_or_b32 v7, v5, s6, 0.5
	v_or_b32_e32 v6, 0x70000000, v6
	v_add_f32_e32 v7, -0.5, v7
	v_mul_f32_e32 v6, 0x7800000, v6
	v_cmp_gt_u32_e32 vcc, s7, v4
	v_bfe_i32 v5, v5, 0, 16
	v_cndmask_b32_e32 v4, v6, v7, vcc
	s_brev_b32 s6, 1
	v_and_or_b32 v4, v5, s6, v4
	v_cvt_f16_f32_e32 v35, v4
.LBB203_2511:
	s_mov_b64 s[6:7], 0
	s_mov_b64 s[8:9], -1
.LBB203_2512:
	s_andn2_b64 vcc, exec, s[6:7]
	s_mov_b64 s[6:7], 0
	s_cbranch_vccnz .LBB203_2523
; %bb.2513:
	v_mov_b32_e32 v4, 14
	v_cmp_gt_i16_sdwa s[6:7], v38, v4 src0_sel:BYTE_0 src1_sel:DWORD
	s_and_b64 vcc, exec, s[6:7]
	s_cbranch_vccz .LBB203_2516
; %bb.2514:
	v_mov_b32_e32 v4, 15
	v_cmp_eq_u16_sdwa s[4:5], v38, v4 src0_sel:BYTE_0 src1_sel:DWORD
	s_and_b64 vcc, exec, s[4:5]
	s_cbranch_vccz .LBB203_2519
; %bb.2515:
	global_load_ushort v4, v[2:3], off
	s_mov_b64 s[4:5], 0
	s_mov_b64 s[8:9], -1
	s_waitcnt vmcnt(0)
	v_lshlrev_b32_e32 v4, 16, v4
	v_cvt_f16_f32_e32 v35, v4
	s_branch .LBB203_2520
.LBB203_2516:
	s_mov_b64 s[10:11], -1
                                        ; implicit-def: $vgpr35
	s_branch .LBB203_2521
.LBB203_2517:
	s_or_saveexec_b64 s[8:9], s[8:9]
	v_mov_b32_e32 v35, s12
	s_xor_b64 exec, exec, s[8:9]
	s_cbranch_execz .LBB203_2498
.LBB203_2518:
	v_cmp_ne_u16_e32 vcc, 0, v4
	s_andn2_b64 s[6:7], s[6:7], exec
	s_and_b64 s[10:11], vcc, exec
	s_or_b64 s[6:7], s[6:7], s[10:11]
	v_mov_b32_e32 v35, v4
	s_or_b64 exec, exec, s[8:9]
	s_and_saveexec_b64 s[8:9], s[6:7]
	s_cbranch_execnz .LBB203_2499
	s_branch .LBB203_2500
.LBB203_2519:
	s_mov_b64 s[4:5], -1
                                        ; implicit-def: $vgpr35
.LBB203_2520:
	s_mov_b64 s[10:11], 0
.LBB203_2521:
	s_mov_b64 s[6:7], 0
	s_and_b64 vcc, exec, s[10:11]
	s_cbranch_vccz .LBB203_2523
; %bb.2522:
	v_mov_b32_e32 v4, 11
	v_cmp_ne_u16_sdwa s[4:5], v38, v4 src0_sel:BYTE_0 src1_sel:DWORD
	s_mov_b64 s[6:7], -1
                                        ; implicit-def: $vgpr35
.LBB203_2523:
	s_and_b64 vcc, exec, s[4:5]
	s_cbranch_vccnz .LBB203_2587
; %bb.2524:
	s_andn2_b64 vcc, exec, s[6:7]
	s_cbranch_vccnz .LBB203_2526
.LBB203_2525:
	global_load_ubyte v4, v[2:3], off
	v_mov_b32_e32 v5, 0x3c00
	s_mov_b64 s[8:9], -1
	s_waitcnt vmcnt(0)
	v_cmp_ne_u16_e32 vcc, 0, v4
	v_cndmask_b32_e32 v35, 0, v5, vcc
.LBB203_2526:
	s_mov_b64 s[4:5], 0
.LBB203_2527:
	s_and_b64 vcc, exec, s[4:5]
	s_cbranch_vccz .LBB203_2576
; %bb.2528:
	v_mov_b32_e32 v4, 5
	v_cmp_lt_i16_sdwa s[4:5], v38, v4 src0_sel:BYTE_0 src1_sel:DWORD
	s_and_b64 vcc, exec, s[4:5]
	s_cbranch_vccnz .LBB203_2533
; %bb.2529:
	v_mov_b32_e32 v4, 8
	v_cmp_lt_i16_sdwa s[4:5], v38, v4 src0_sel:BYTE_0 src1_sel:DWORD
	s_and_b64 vcc, exec, s[4:5]
	s_cbranch_vccnz .LBB203_2534
	;; [unrolled: 5-line block ×3, first 2 shown]
; %bb.2531:
	v_cmp_gt_i16_sdwa s[4:5], v38, v4 src0_sel:BYTE_0 src1_sel:DWORD
	s_and_b64 vcc, exec, s[4:5]
	s_cbranch_vccz .LBB203_2536
; %bb.2532:
	global_load_dwordx2 v[4:5], v[2:3], off
	s_mov_b64 s[4:5], 0
	s_waitcnt vmcnt(0)
	v_cvt_f32_f64_e32 v4, v[4:5]
	v_cvt_f16_f32_e32 v35, v4
	s_branch .LBB203_2537
.LBB203_2533:
	s_mov_b64 s[4:5], -1
                                        ; implicit-def: $vgpr35
	s_branch .LBB203_2555
.LBB203_2534:
	s_mov_b64 s[4:5], -1
                                        ; implicit-def: $vgpr35
	s_branch .LBB203_2543
.LBB203_2535:
	s_mov_b64 s[4:5], -1
                                        ; implicit-def: $vgpr35
	s_branch .LBB203_2540
.LBB203_2536:
	s_mov_b64 s[4:5], -1
                                        ; implicit-def: $vgpr35
.LBB203_2537:
	s_andn2_b64 vcc, exec, s[4:5]
	s_cbranch_vccnz .LBB203_2539
; %bb.2538:
	global_load_dword v4, v[2:3], off
	s_waitcnt vmcnt(0)
	v_cvt_f16_f32_e32 v35, v4
.LBB203_2539:
	s_mov_b64 s[4:5], 0
.LBB203_2540:
	s_andn2_b64 vcc, exec, s[4:5]
	s_cbranch_vccnz .LBB203_2542
; %bb.2541:
	global_load_dword v35, v[2:3], off
.LBB203_2542:
	s_mov_b64 s[4:5], 0
.LBB203_2543:
	s_andn2_b64 vcc, exec, s[4:5]
	s_cbranch_vccnz .LBB203_2554
; %bb.2544:
	v_mov_b32_e32 v4, 6
	v_cmp_lt_i16_sdwa s[4:5], v38, v4 src0_sel:BYTE_0 src1_sel:DWORD
	s_and_b64 vcc, exec, s[4:5]
	s_cbranch_vccnz .LBB203_2547
; %bb.2545:
	v_cmp_gt_i16_sdwa s[4:5], v38, v4 src0_sel:BYTE_0 src1_sel:DWORD
	s_and_b64 vcc, exec, s[4:5]
	s_cbranch_vccz .LBB203_2548
; %bb.2546:
	global_load_dwordx2 v[4:5], v[2:3], off
	s_mov_b64 s[4:5], 0
	s_waitcnt vmcnt(0)
	v_cvt_f32_f64_e32 v4, v[4:5]
	v_cvt_f16_f32_e32 v35, v4
	s_branch .LBB203_2549
.LBB203_2547:
	s_mov_b64 s[4:5], -1
                                        ; implicit-def: $vgpr35
	s_branch .LBB203_2552
.LBB203_2548:
	s_mov_b64 s[4:5], -1
                                        ; implicit-def: $vgpr35
.LBB203_2549:
	s_andn2_b64 vcc, exec, s[4:5]
	s_cbranch_vccnz .LBB203_2551
; %bb.2550:
	global_load_dword v4, v[2:3], off
	s_waitcnt vmcnt(0)
	v_cvt_f16_f32_e32 v35, v4
.LBB203_2551:
	s_mov_b64 s[4:5], 0
.LBB203_2552:
	s_andn2_b64 vcc, exec, s[4:5]
	s_cbranch_vccnz .LBB203_2554
; %bb.2553:
	global_load_ushort v35, v[2:3], off
.LBB203_2554:
	s_mov_b64 s[4:5], 0
.LBB203_2555:
	s_andn2_b64 vcc, exec, s[4:5]
	s_cbranch_vccnz .LBB203_2575
; %bb.2556:
	v_mov_b32_e32 v4, 2
	v_cmp_lt_i16_sdwa s[4:5], v38, v4 src0_sel:BYTE_0 src1_sel:DWORD
	s_and_b64 vcc, exec, s[4:5]
	s_cbranch_vccnz .LBB203_2560
; %bb.2557:
	v_mov_b32_e32 v4, 3
	v_cmp_lt_i16_sdwa s[4:5], v38, v4 src0_sel:BYTE_0 src1_sel:DWORD
	s_and_b64 vcc, exec, s[4:5]
	s_cbranch_vccnz .LBB203_2561
; %bb.2558:
	v_cmp_gt_i16_sdwa s[4:5], v38, v4 src0_sel:BYTE_0 src1_sel:DWORD
	s_and_b64 vcc, exec, s[4:5]
	s_cbranch_vccz .LBB203_2562
; %bb.2559:
	global_load_dwordx2 v[4:5], v[2:3], off
	s_mov_b64 s[4:5], 0
	s_waitcnt vmcnt(0)
	v_xor_b32_e32 v7, v4, v5
	v_ffbh_i32_e32 v6, v5
	v_ashrrev_i32_e32 v7, 31, v7
	v_add_u32_e32 v6, -1, v6
	v_add_u32_e32 v7, 32, v7
	v_min_u32_e32 v6, v6, v7
	v_lshlrev_b64 v[4:5], v6, v[4:5]
	v_min_u32_e32 v4, 1, v4
	v_or_b32_e32 v4, v5, v4
	v_cvt_f32_i32_e32 v4, v4
	v_sub_u32_e32 v5, 32, v6
	v_ldexp_f32 v4, v4, v5
	v_cvt_f16_f32_e32 v35, v4
	s_branch .LBB203_2563
.LBB203_2560:
	s_mov_b64 s[4:5], -1
                                        ; implicit-def: $vgpr35
	s_branch .LBB203_2569
.LBB203_2561:
	s_mov_b64 s[4:5], -1
                                        ; implicit-def: $vgpr35
	s_branch .LBB203_2566
.LBB203_2562:
	s_mov_b64 s[4:5], -1
                                        ; implicit-def: $vgpr35
.LBB203_2563:
	s_andn2_b64 vcc, exec, s[4:5]
	s_cbranch_vccnz .LBB203_2565
; %bb.2564:
	global_load_dword v4, v[2:3], off
	s_waitcnt vmcnt(0)
	v_cvt_f32_i32_e32 v4, v4
	v_cvt_f16_f32_e32 v35, v4
.LBB203_2565:
	s_mov_b64 s[4:5], 0
.LBB203_2566:
	s_andn2_b64 vcc, exec, s[4:5]
	s_cbranch_vccnz .LBB203_2568
; %bb.2567:
	global_load_ushort v4, v[2:3], off
	s_waitcnt vmcnt(0)
	v_cvt_f16_i16_e32 v35, v4
.LBB203_2568:
	s_mov_b64 s[4:5], 0
.LBB203_2569:
	s_andn2_b64 vcc, exec, s[4:5]
	s_cbranch_vccnz .LBB203_2575
; %bb.2570:
	v_mov_b32_e32 v4, 0
	v_cmp_gt_i16_sdwa s[4:5], v38, v4 src0_sel:BYTE_0 src1_sel:DWORD
	s_and_b64 vcc, exec, s[4:5]
	s_cbranch_vccz .LBB203_2572
; %bb.2571:
	global_load_sbyte v4, v[2:3], off
	s_mov_b64 s[4:5], 0
	s_waitcnt vmcnt(0)
	v_cvt_f16_i16_e32 v35, v4
	s_branch .LBB203_2573
.LBB203_2572:
	s_mov_b64 s[4:5], -1
                                        ; implicit-def: $vgpr35
.LBB203_2573:
	s_andn2_b64 vcc, exec, s[4:5]
	s_cbranch_vccnz .LBB203_2575
; %bb.2574:
	global_load_ubyte v2, v[2:3], off
	s_waitcnt vmcnt(0)
	v_cvt_f16_u16_e32 v35, v2
.LBB203_2575:
	s_mov_b64 s[8:9], -1
.LBB203_2576:
	s_andn2_b64 vcc, exec, s[8:9]
	s_cbranch_vccnz .LBB203_3030
; %bb.2577:
	s_getpc_b64 s[4:5]
	s_add_u32 s4, s4, _ZZZZN2at6native33launch_standard_gamma_grad_kernelERNS_18TensorIteratorBaseEENKUlvE_clEvENKUlvE1_clEvENKUlN3c104HalfES6_E_clES6_S6_@rel32@lo+4
	s_addc_u32 s5, s5, _ZZZZN2at6native33launch_standard_gamma_grad_kernelERNS_18TensorIteratorBaseEENKUlvE_clEvENKUlvE1_clEvENKUlN3c104HalfES6_E_clES6_S6_@rel32@hi+12
	s_swappc_b64 s[30:31], s[4:5]
	v_mul_lo_u32 v37, s36, v37
	v_ashrrev_i32_e32 v1, 31, v37
	v_mov_b32_e32 v3, s25
	v_add_co_u32_e32 v2, vcc, s24, v37
	v_addc_co_u32_e32 v3, vcc, v3, v1, vcc
	v_mov_b32_e32 v1, 11
	v_cmp_lt_i16_sdwa s[4:5], v36, v1 src0_sel:BYTE_0 src1_sel:DWORD
	s_and_b64 vcc, exec, s[4:5]
	s_cbranch_vccnz .LBB203_2584
; %bb.2578:
	v_mov_b32_e32 v1, 25
	v_cmp_gt_i16_sdwa s[4:5], v36, v1 src0_sel:BYTE_0 src1_sel:DWORD
	s_mov_b64 s[10:11], -1
	s_mov_b64 s[6:7], 0
	s_and_b64 vcc, exec, s[4:5]
	s_mov_b64 s[8:9], 0
	s_mov_b64 s[4:5], 0
	s_cbranch_vccz .LBB203_2616
; %bb.2579:
	v_mov_b32_e32 v1, 28
	v_cmp_gt_i16_sdwa s[4:5], v36, v1 src0_sel:BYTE_0 src1_sel:DWORD
	s_and_b64 vcc, exec, s[4:5]
	s_cbranch_vccz .LBB203_2585
; %bb.2580:
	v_mov_b32_e32 v1, 43
	v_cmp_gt_i16_sdwa s[4:5], v36, v1 src0_sel:BYTE_0 src1_sel:DWORD
	s_and_b64 vcc, exec, s[4:5]
	;; [unrolled: 5-line block ×3, first 2 shown]
	s_cbranch_vccz .LBB203_2588
; %bb.2582:
	v_mov_b32_e32 v1, 46
	v_cmp_eq_u16_sdwa s[8:9], v36, v1 src0_sel:BYTE_0 src1_sel:DWORD
	s_mov_b64 s[4:5], -1
	s_mov_b64 s[10:11], 0
	s_and_b64 vcc, exec, s[8:9]
	s_mov_b64 s[8:9], 0
	s_cbranch_vccz .LBB203_2589
; %bb.2583:
	v_cvt_f32_f16_e32 v1, v0
	s_movk_i32 s4, 0x7fff
	v_mov_b32_e32 v4, 0x7fc0
	v_cmp_o_f16_e32 vcc, v0, v0
	v_bfe_u32 v5, v1, 16, 1
	v_add3_u32 v1, v1, v5, s4
	v_lshrrev_b32_e32 v1, 16, v1
	v_cndmask_b32_e32 v1, v4, v1, vcc
	global_store_dword v[2:3], v1, off
	s_mov_b64 s[4:5], 0
	s_mov_b64 s[8:9], -1
	s_branch .LBB203_2589
.LBB203_2584:
	s_mov_b64 s[4:5], -1
	s_mov_b64 s[8:9], 0
	s_branch .LBB203_2660
.LBB203_2585:
	s_mov_b64 s[4:5], 0
	s_branch .LBB203_2599
.LBB203_2586:
	s_mov_b64 s[4:5], 0
	s_branch .LBB203_2595
.LBB203_2587:
	s_trap 2
	s_or_b64 s[42:43], s[42:43], exec
                                        ; implicit-def: $vgpr35
	s_cbranch_execz .LBB203_2525
	s_branch .LBB203_2526
.LBB203_2588:
	s_mov_b64 s[4:5], 0
.LBB203_2589:
	s_and_b64 vcc, exec, s[10:11]
	s_cbranch_vccz .LBB203_2594
; %bb.2590:
	v_mov_b32_e32 v1, 44
	v_cmp_eq_u16_sdwa s[10:11], v36, v1 src0_sel:BYTE_0 src1_sel:DWORD
	s_mov_b64 s[4:5], -1
	s_and_b64 vcc, exec, s[10:11]
	s_cbranch_vccz .LBB203_2594
; %bb.2591:
	v_cvt_f32_f16_e32 v1, v0
	s_movk_i32 s4, 0xff
	v_mov_b32_e32 v5, 0xff
	v_bfe_u32 v4, v1, 23, 8
	v_cmp_ne_u32_e32 vcc, s4, v4
	s_and_saveexec_b64 s[8:9], vcc
; %bb.2592:
	s_mov_b32 s4, 0x3fffff
	v_lshrrev_b32_e32 v5, 23, v1
	v_and_b32_e32 v6, 0x400000, v1
	v_and_or_b32 v1, v1, s4, v4
	v_cmp_ne_u32_e32 vcc, 0, v6
	v_cmp_ne_u32_e64 s[4:5], 0, v1
	s_and_b64 s[4:5], vcc, s[4:5]
	v_cndmask_b32_e64 v1, 0, 1, s[4:5]
	v_add_u32_e32 v5, v5, v1
; %bb.2593:
	s_or_b64 exec, exec, s[8:9]
	s_mov_b64 s[4:5], 0
	s_mov_b64 s[8:9], -1
	global_store_byte v[2:3], v5, off
.LBB203_2594:
	s_mov_b64 s[10:11], 0
.LBB203_2595:
	s_and_b64 vcc, exec, s[10:11]
	s_cbranch_vccz .LBB203_2598
; %bb.2596:
	v_mov_b32_e32 v1, 29
	v_cmp_eq_u16_sdwa s[10:11], v36, v1 src0_sel:BYTE_0 src1_sel:DWORD
	s_mov_b64 s[4:5], -1
	s_and_b64 vcc, exec, s[10:11]
	s_cbranch_vccz .LBB203_2598
; %bb.2597:
	v_cvt_f32_f16_e32 v1, v0
	v_mov_b32_e32 v5, 0
	s_mov_b64 s[4:5], 0
	s_mov_b64 s[8:9], -1
	v_cvt_u32_f32_e32 v4, v1
	s_mov_b64 s[10:11], 0
	global_store_dwordx2 v[2:3], v[4:5], off
	s_branch .LBB203_2599
.LBB203_2598:
	s_mov_b64 s[10:11], 0
.LBB203_2599:
	s_and_b64 vcc, exec, s[10:11]
	s_cbranch_vccz .LBB203_2615
; %bb.2600:
	v_mov_b32_e32 v1, 27
	v_cmp_lt_i16_sdwa s[10:11], v36, v1 src0_sel:BYTE_0 src1_sel:DWORD
	s_mov_b64 s[8:9], -1
	s_and_b64 vcc, exec, s[10:11]
	s_cbranch_vccnz .LBB203_2606
; %bb.2601:
	v_cmp_gt_i16_sdwa s[10:11], v36, v1 src0_sel:BYTE_0 src1_sel:DWORD
	s_and_b64 vcc, exec, s[10:11]
	s_cbranch_vccz .LBB203_2603
; %bb.2602:
	v_cvt_f32_f16_e32 v1, v0
	s_mov_b64 s[8:9], 0
	v_cvt_u32_f32_e32 v1, v1
	global_store_dword v[2:3], v1, off
.LBB203_2603:
	s_andn2_b64 vcc, exec, s[8:9]
	s_cbranch_vccnz .LBB203_2605
; %bb.2604:
	v_cvt_u16_f16_e32 v1, v0
	global_store_short v[2:3], v1, off
.LBB203_2605:
	s_mov_b64 s[8:9], 0
.LBB203_2606:
	s_andn2_b64 vcc, exec, s[8:9]
	s_cbranch_vccnz .LBB203_2614
; %bb.2607:
	v_cvt_f32_f16_e32 v1, v0
	s_mov_b32 s8, 0x43800000
	v_mov_b32_e32 v5, 0x80
	v_and_b32_e32 v4, 0x7fffffff, v1
	v_cmp_gt_u32_e32 vcc, s8, v4
	s_and_saveexec_b64 s[8:9], vcc
	s_cbranch_execz .LBB203_2613
; %bb.2608:
	s_mov_b32 s10, 0x3bffffff
	v_cmp_lt_u32_e32 vcc, s10, v4
	s_mov_b64 s[10:11], 0
                                        ; implicit-def: $vgpr4
	s_and_saveexec_b64 s[12:13], vcc
	s_xor_b64 s[12:13], exec, s[12:13]
	s_cbranch_execz .LBB203_2709
; %bb.2609:
	v_bfe_u32 v4, v1, 20, 1
	s_mov_b32 s14, 0x487ffff
	v_add3_u32 v4, v1, v4, s14
	s_mov_b64 s[10:11], exec
	v_lshrrev_b32_e32 v4, 20, v4
	s_or_saveexec_b64 s[12:13], s[12:13]
                                        ; implicit-def: $sgpr14
	s_xor_b64 exec, exec, s[12:13]
	s_cbranch_execnz .LBB203_2710
.LBB203_2610:
	s_or_b64 exec, exec, s[12:13]
	v_mov_b32_e32 v5, s14
	s_and_saveexec_b64 s[12:13], s[10:11]
.LBB203_2611:
	v_lshrrev_b32_e32 v1, 24, v1
	s_movk_i32 s10, 0x80
	v_and_or_b32 v5, v1, s10, v4
.LBB203_2612:
	s_or_b64 exec, exec, s[12:13]
.LBB203_2613:
	s_or_b64 exec, exec, s[8:9]
	global_store_byte v[2:3], v5, off
.LBB203_2614:
	s_mov_b64 s[8:9], -1
.LBB203_2615:
	s_mov_b64 s[10:11], 0
.LBB203_2616:
	s_and_b64 vcc, exec, s[10:11]
	s_cbranch_vccz .LBB203_2656
; %bb.2617:
	v_mov_b32_e32 v1, 22
	v_cmp_gt_i16_sdwa s[10:11], v36, v1 src0_sel:BYTE_0 src1_sel:DWORD
	s_mov_b64 s[6:7], -1
	s_and_b64 vcc, exec, s[10:11]
	s_cbranch_vccz .LBB203_2649
; %bb.2618:
	v_mov_b32_e32 v1, 24
	v_cmp_lt_i16_sdwa s[8:9], v36, v1 src0_sel:BYTE_0 src1_sel:DWORD
	s_and_b64 vcc, exec, s[8:9]
	s_cbranch_vccnz .LBB203_2638
; %bb.2619:
	v_cmp_gt_i16_sdwa s[8:9], v36, v1 src0_sel:BYTE_0 src1_sel:DWORD
	s_and_b64 vcc, exec, s[8:9]
	s_cbranch_vccz .LBB203_2627
; %bb.2620:
	v_cvt_f32_f16_e32 v1, v0
	s_mov_b32 s6, 0x47800000
	v_mov_b32_e32 v5, 0x80
	v_and_b32_e32 v4, 0x7fffffff, v1
	v_cmp_gt_u32_e32 vcc, s6, v4
	s_and_saveexec_b64 s[6:7], vcc
	s_cbranch_execz .LBB203_2626
; %bb.2621:
	s_mov_b32 s8, 0x37ffffff
	v_cmp_lt_u32_e32 vcc, s8, v4
	s_mov_b64 s[8:9], 0
                                        ; implicit-def: $vgpr4
	s_and_saveexec_b64 s[10:11], vcc
	s_xor_b64 s[10:11], exec, s[10:11]
	s_cbranch_execz .LBB203_2713
; %bb.2622:
	v_bfe_u32 v4, v1, 21, 1
	s_mov_b32 s12, 0x88fffff
	v_add3_u32 v4, v1, v4, s12
	s_mov_b64 s[8:9], exec
	v_lshrrev_b32_e32 v4, 21, v4
	s_or_saveexec_b64 s[10:11], s[10:11]
                                        ; implicit-def: $sgpr12
	s_xor_b64 exec, exec, s[10:11]
	s_cbranch_execnz .LBB203_2714
.LBB203_2623:
	s_or_b64 exec, exec, s[10:11]
	v_mov_b32_e32 v5, s12
	s_and_saveexec_b64 s[10:11], s[8:9]
.LBB203_2624:
	v_lshrrev_b32_e32 v1, 24, v1
	s_movk_i32 s8, 0x80
	v_and_or_b32 v5, v1, s8, v4
.LBB203_2625:
	s_or_b64 exec, exec, s[10:11]
.LBB203_2626:
	s_or_b64 exec, exec, s[6:7]
	s_mov_b64 s[6:7], 0
	global_store_byte v[2:3], v5, off
.LBB203_2627:
	s_and_b64 vcc, exec, s[6:7]
	s_cbranch_vccz .LBB203_2637
; %bb.2628:
	v_cvt_f32_f16_e32 v1, v0
	s_mov_b32 s6, 0x43f00000
                                        ; implicit-def: $vgpr4
	v_and_b32_e32 v5, 0x7fffffff, v1
	v_cmp_gt_u32_e32 vcc, s6, v5
	s_and_saveexec_b64 s[6:7], vcc
	s_xor_b64 s[6:7], exec, s[6:7]
	s_cbranch_execz .LBB203_2634
; %bb.2629:
	s_mov_b32 s8, 0x3c7fffff
	v_cmp_lt_u32_e32 vcc, s8, v5
                                        ; implicit-def: $vgpr4
	s_and_saveexec_b64 s[8:9], vcc
	s_xor_b64 s[8:9], exec, s[8:9]
; %bb.2630:
	v_bfe_u32 v4, v1, 20, 1
	s_mov_b32 s10, 0x407ffff
	v_add3_u32 v4, v1, v4, s10
	v_lshrrev_b32_e32 v5, 20, v4
	v_and_b32_e32 v4, 0xff00000, v4
	s_mov_b32 s10, 0x7f00000
	v_mov_b32_e32 v6, 0x7e
	v_cmp_ne_u32_e32 vcc, s10, v4
	v_cndmask_b32_e32 v4, v6, v5, vcc
; %bb.2631:
	s_andn2_saveexec_b64 s[8:9], s[8:9]
; %bb.2632:
	s_mov_b32 s10, 0x46800000
	v_add_f32_e64 v4, |v1|, s10
; %bb.2633:
	s_or_b64 exec, exec, s[8:9]
                                        ; implicit-def: $vgpr5
.LBB203_2634:
	s_andn2_saveexec_b64 s[6:7], s[6:7]
; %bb.2635:
	s_mov_b32 s8, 0x7f800000
	v_mov_b32_e32 v4, 0x7e
	v_mov_b32_e32 v6, 0x7f
	v_cmp_lt_u32_e32 vcc, s8, v5
	v_cndmask_b32_e32 v4, v4, v6, vcc
; %bb.2636:
	s_or_b64 exec, exec, s[6:7]
	v_lshrrev_b32_e32 v1, 24, v1
	s_movk_i32 s6, 0x80
	v_and_or_b32 v1, v1, s6, v4
	global_store_byte v[2:3], v1, off
.LBB203_2637:
	s_mov_b64 s[6:7], 0
.LBB203_2638:
	s_andn2_b64 vcc, exec, s[6:7]
	s_cbranch_vccnz .LBB203_2648
; %bb.2639:
	v_cvt_f32_f16_e32 v1, v0
	s_mov_b32 s6, 0x47800000
                                        ; implicit-def: $vgpr4
	v_and_b32_e32 v5, 0x7fffffff, v1
	v_cmp_gt_u32_e32 vcc, s6, v5
	s_and_saveexec_b64 s[6:7], vcc
	s_xor_b64 s[6:7], exec, s[6:7]
	s_cbranch_execz .LBB203_2645
; %bb.2640:
	s_mov_b32 s8, 0x387fffff
	v_cmp_lt_u32_e32 vcc, s8, v5
                                        ; implicit-def: $vgpr4
	s_and_saveexec_b64 s[8:9], vcc
	s_xor_b64 s[8:9], exec, s[8:9]
; %bb.2641:
	v_bfe_u32 v4, v1, 21, 1
	s_mov_b32 s10, 0x80fffff
	v_add3_u32 v4, v1, v4, s10
	v_lshrrev_b32_e32 v4, 21, v4
; %bb.2642:
	s_andn2_saveexec_b64 s[8:9], s[8:9]
; %bb.2643:
	s_mov_b32 s10, 0x43000000
	v_add_f32_e64 v4, |v1|, s10
; %bb.2644:
	s_or_b64 exec, exec, s[8:9]
                                        ; implicit-def: $vgpr5
.LBB203_2645:
	s_andn2_saveexec_b64 s[6:7], s[6:7]
; %bb.2646:
	s_mov_b32 s8, 0x7f800000
	v_mov_b32_e32 v4, 0x7c
	v_mov_b32_e32 v6, 0x7f
	v_cmp_lt_u32_e32 vcc, s8, v5
	v_cndmask_b32_e32 v4, v4, v6, vcc
; %bb.2647:
	s_or_b64 exec, exec, s[6:7]
	v_lshrrev_b32_e32 v1, 24, v1
	s_movk_i32 s6, 0x80
	v_and_or_b32 v1, v1, s6, v4
	global_store_byte v[2:3], v1, off
.LBB203_2648:
	s_mov_b64 s[6:7], 0
	s_mov_b64 s[8:9], -1
.LBB203_2649:
	s_andn2_b64 vcc, exec, s[6:7]
	s_mov_b64 s[6:7], 0
	s_cbranch_vccnz .LBB203_2656
; %bb.2650:
	v_mov_b32_e32 v1, 14
	v_cmp_gt_i16_sdwa s[6:7], v36, v1 src0_sel:BYTE_0 src1_sel:DWORD
	s_mov_b64 s[10:11], -1
	s_and_b64 vcc, exec, s[6:7]
	s_cbranch_vccz .LBB203_2654
; %bb.2651:
	v_mov_b32_e32 v1, 15
	v_cmp_eq_u16_sdwa s[6:7], v36, v1 src0_sel:BYTE_0 src1_sel:DWORD
	s_mov_b64 s[4:5], -1
	s_and_b64 vcc, exec, s[6:7]
	s_cbranch_vccz .LBB203_2653
; %bb.2652:
	v_cvt_f32_f16_e32 v1, v0
	s_movk_i32 s4, 0x7fff
	v_mov_b32_e32 v4, 0x7fc0
	v_cmp_o_f16_e32 vcc, v0, v0
	v_bfe_u32 v5, v1, 16, 1
	v_add3_u32 v1, v1, v5, s4
	v_lshrrev_b32_e32 v1, 16, v1
	v_cndmask_b32_e32 v1, v4, v1, vcc
	global_store_short v[2:3], v1, off
	s_mov_b64 s[4:5], 0
	s_mov_b64 s[8:9], -1
.LBB203_2653:
	s_mov_b64 s[10:11], 0
.LBB203_2654:
	s_mov_b64 s[6:7], 0
	s_and_b64 vcc, exec, s[10:11]
	s_cbranch_vccz .LBB203_2656
; %bb.2655:
	v_mov_b32_e32 v1, 11
	v_cmp_ne_u16_sdwa s[4:5], v36, v1 src0_sel:BYTE_0 src1_sel:DWORD
	s_mov_b64 s[6:7], -1
.LBB203_2656:
	s_and_b64 vcc, exec, s[4:5]
	s_cbranch_vccnz .LBB203_2712
; %bb.2657:
	s_andn2_b64 vcc, exec, s[6:7]
	s_cbranch_vccnz .LBB203_2659
.LBB203_2658:
	v_and_b32_e32 v1, 0x7fff, v0
	v_cmp_ne_u16_e32 vcc, 0, v1
	v_cndmask_b32_e64 v1, 0, 1, vcc
	s_mov_b64 s[8:9], -1
	global_store_byte v[2:3], v1, off
.LBB203_2659:
	s_mov_b64 s[4:5], 0
.LBB203_2660:
	s_and_b64 vcc, exec, s[4:5]
	s_cbranch_vccz .LBB203_2699
; %bb.2661:
	v_mov_b32_e32 v1, 5
	v_cmp_lt_i16_sdwa s[6:7], v36, v1 src0_sel:BYTE_0 src1_sel:DWORD
	s_mov_b64 s[4:5], -1
	s_and_b64 vcc, exec, s[6:7]
	s_cbranch_vccnz .LBB203_2682
; %bb.2662:
	v_mov_b32_e32 v1, 8
	v_cmp_lt_i16_sdwa s[6:7], v36, v1 src0_sel:BYTE_0 src1_sel:DWORD
	s_and_b64 vcc, exec, s[6:7]
	s_cbranch_vccnz .LBB203_2672
; %bb.2663:
	v_mov_b32_e32 v1, 9
	v_cmp_lt_i16_sdwa s[6:7], v36, v1 src0_sel:BYTE_0 src1_sel:DWORD
	s_and_b64 vcc, exec, s[6:7]
	s_cbranch_vccnz .LBB203_2669
; %bb.2664:
	v_cmp_gt_i16_sdwa s[6:7], v36, v1 src0_sel:BYTE_0 src1_sel:DWORD
	s_and_b64 vcc, exec, s[6:7]
	s_cbranch_vccz .LBB203_2666
; %bb.2665:
	v_cvt_f32_f16_e32 v1, v0
	v_mov_b32_e32 v6, 0
	v_mov_b32_e32 v7, v6
	s_mov_b64 s[4:5], 0
	v_cvt_f64_f32_e32 v[4:5], v1
	global_store_dwordx4 v[2:3], v[4:7], off
.LBB203_2666:
	s_andn2_b64 vcc, exec, s[4:5]
	s_cbranch_vccnz .LBB203_2668
; %bb.2667:
	v_cvt_f32_f16_e32 v4, v0
	v_mov_b32_e32 v5, 0
	global_store_dwordx2 v[2:3], v[4:5], off
.LBB203_2668:
	s_mov_b64 s[4:5], 0
.LBB203_2669:
	s_andn2_b64 vcc, exec, s[4:5]
	s_cbranch_vccnz .LBB203_2671
; %bb.2670:
	v_and_b32_e32 v1, 0xffff, v0
	global_store_dword v[2:3], v1, off
.LBB203_2671:
	s_mov_b64 s[4:5], 0
.LBB203_2672:
	s_andn2_b64 vcc, exec, s[4:5]
	s_cbranch_vccnz .LBB203_2681
; %bb.2673:
	v_mov_b32_e32 v1, 6
	v_cmp_lt_i16_sdwa s[6:7], v36, v1 src0_sel:BYTE_0 src1_sel:DWORD
	s_mov_b64 s[4:5], -1
	s_and_b64 vcc, exec, s[6:7]
	s_cbranch_vccnz .LBB203_2679
; %bb.2674:
	v_cmp_gt_i16_sdwa s[6:7], v36, v1 src0_sel:BYTE_0 src1_sel:DWORD
	s_and_b64 vcc, exec, s[6:7]
	s_cbranch_vccz .LBB203_2676
; %bb.2675:
	v_cvt_f32_f16_e32 v1, v0
	s_mov_b64 s[4:5], 0
	v_cvt_f64_f32_e32 v[4:5], v1
	global_store_dwordx2 v[2:3], v[4:5], off
.LBB203_2676:
	s_andn2_b64 vcc, exec, s[4:5]
	s_cbranch_vccnz .LBB203_2678
; %bb.2677:
	v_cvt_f32_f16_e32 v1, v0
	global_store_dword v[2:3], v1, off
.LBB203_2678:
	s_mov_b64 s[4:5], 0
.LBB203_2679:
	s_andn2_b64 vcc, exec, s[4:5]
	s_cbranch_vccnz .LBB203_2681
; %bb.2680:
	global_store_short v[2:3], v0, off
.LBB203_2681:
	s_mov_b64 s[4:5], 0
.LBB203_2682:
	s_andn2_b64 vcc, exec, s[4:5]
	s_cbranch_vccnz .LBB203_2698
; %bb.2683:
	v_mov_b32_e32 v1, 2
	v_cmp_lt_i16_sdwa s[6:7], v36, v1 src0_sel:BYTE_0 src1_sel:DWORD
	s_mov_b64 s[4:5], -1
	s_and_b64 vcc, exec, s[6:7]
	s_cbranch_vccnz .LBB203_2693
; %bb.2684:
	v_mov_b32_e32 v1, 3
	v_cmp_lt_i16_sdwa s[6:7], v36, v1 src0_sel:BYTE_0 src1_sel:DWORD
	s_and_b64 vcc, exec, s[6:7]
	s_cbranch_vccnz .LBB203_2690
; %bb.2685:
	v_cmp_gt_i16_sdwa s[6:7], v36, v1 src0_sel:BYTE_0 src1_sel:DWORD
	s_and_b64 vcc, exec, s[6:7]
	s_cbranch_vccz .LBB203_2687
; %bb.2686:
	v_cvt_f32_f16_e32 v1, v0
	s_mov_b64 s[4:5], 0
	v_cvt_i32_f32_e32 v4, v1
	v_ashrrev_i32_e32 v5, 31, v4
	global_store_dwordx2 v[2:3], v[4:5], off
.LBB203_2687:
	s_andn2_b64 vcc, exec, s[4:5]
	s_cbranch_vccnz .LBB203_2689
; %bb.2688:
	v_cvt_f32_f16_e32 v1, v0
	v_cvt_i32_f32_e32 v1, v1
	global_store_dword v[2:3], v1, off
.LBB203_2689:
	s_mov_b64 s[4:5], 0
.LBB203_2690:
	s_andn2_b64 vcc, exec, s[4:5]
	s_cbranch_vccnz .LBB203_2692
; %bb.2691:
	v_cvt_i16_f16_e32 v1, v0
	global_store_short v[2:3], v1, off
.LBB203_2692:
	s_mov_b64 s[4:5], 0
.LBB203_2693:
	s_andn2_b64 vcc, exec, s[4:5]
	s_cbranch_vccnz .LBB203_2698
; %bb.2694:
	v_mov_b32_e32 v1, 0
	v_cmp_gt_i16_sdwa s[6:7], v36, v1 src0_sel:BYTE_0 src1_sel:DWORD
	s_mov_b64 s[4:5], -1
	s_and_b64 vcc, exec, s[6:7]
	s_cbranch_vccz .LBB203_2696
; %bb.2695:
	v_cvt_i16_f16_e32 v1, v0
	global_store_byte v[2:3], v1, off
	s_mov_b64 s[4:5], 0
.LBB203_2696:
	s_andn2_b64 vcc, exec, s[4:5]
	s_cbranch_vccnz .LBB203_2698
; %bb.2697:
	v_cvt_f32_f16_e32 v0, v0
	v_cvt_i32_f32_e32 v0, v0
	global_store_byte v[2:3], v0, off
.LBB203_2698:
	s_mov_b64 s[8:9], -1
.LBB203_2699:
	s_andn2_b64 vcc, exec, s[8:9]
	s_cbranch_vccnz .LBB203_3030
; %bb.2700:
	v_mov_b32_e32 v0, v30
	v_mov_b32_e32 v1, v31
	s_getpc_b64 s[4:5]
	s_add_u32 s4, s4, _ZZZZN2at6native33launch_standard_gamma_grad_kernelERNS_18TensorIteratorBaseEENKUlvE_clEvENKUlvE1_clEvENKUlN3c104HalfES6_E_clES6_S6_@rel32@lo+4
	s_addc_u32 s5, s5, _ZZZZN2at6native33launch_standard_gamma_grad_kernelERNS_18TensorIteratorBaseEENKUlvE_clEvENKUlvE1_clEvENKUlN3c104HalfES6_E_clES6_S6_@rel32@hi+12
	s_swappc_b64 s[30:31], s[4:5]
	s_lshl_b32 s22, s36, 7
	v_add_u32_e32 v30, s22, v37
	v_ashrrev_i32_e32 v1, 31, v30
	v_mov_b32_e32 v3, s25
	v_add_co_u32_e32 v2, vcc, s24, v30
	v_addc_co_u32_e32 v3, vcc, v3, v1, vcc
	v_mov_b32_e32 v1, 11
	v_cmp_lt_i16_sdwa s[4:5], v36, v1 src0_sel:BYTE_0 src1_sel:DWORD
	s_and_b64 vcc, exec, s[4:5]
	s_cbranch_vccnz .LBB203_2707
; %bb.2701:
	v_mov_b32_e32 v1, 25
	v_cmp_gt_i16_sdwa s[4:5], v36, v1 src0_sel:BYTE_0 src1_sel:DWORD
	s_mov_b64 s[10:11], -1
	s_mov_b64 s[6:7], 0
	s_and_b64 vcc, exec, s[4:5]
	s_mov_b64 s[8:9], 0
	s_mov_b64 s[4:5], 0
	s_cbranch_vccz .LBB203_2743
; %bb.2702:
	v_mov_b32_e32 v1, 28
	v_cmp_gt_i16_sdwa s[4:5], v36, v1 src0_sel:BYTE_0 src1_sel:DWORD
	s_and_b64 vcc, exec, s[4:5]
	s_cbranch_vccz .LBB203_2708
; %bb.2703:
	v_mov_b32_e32 v1, 43
	v_cmp_gt_i16_sdwa s[4:5], v36, v1 src0_sel:BYTE_0 src1_sel:DWORD
	s_and_b64 vcc, exec, s[4:5]
	s_cbranch_vccz .LBB203_2711
; %bb.2704:
	v_mov_b32_e32 v1, 45
	v_cmp_gt_i16_sdwa s[4:5], v36, v1 src0_sel:BYTE_0 src1_sel:DWORD
	s_and_b64 vcc, exec, s[4:5]
	s_cbranch_vccz .LBB203_2715
; %bb.2705:
	v_mov_b32_e32 v1, 46
	v_cmp_eq_u16_sdwa s[8:9], v36, v1 src0_sel:BYTE_0 src1_sel:DWORD
	s_mov_b64 s[4:5], -1
	s_mov_b64 s[10:11], 0
	s_and_b64 vcc, exec, s[8:9]
	s_mov_b64 s[8:9], 0
	s_cbranch_vccz .LBB203_2716
; %bb.2706:
	v_cvt_f32_f16_e32 v1, v0
	s_movk_i32 s4, 0x7fff
	v_mov_b32_e32 v4, 0x7fc0
	v_cmp_o_f16_e32 vcc, v0, v0
	v_bfe_u32 v5, v1, 16, 1
	v_add3_u32 v1, v1, v5, s4
	v_lshrrev_b32_e32 v1, 16, v1
	v_cndmask_b32_e32 v1, v4, v1, vcc
	global_store_dword v[2:3], v1, off
	s_mov_b64 s[4:5], 0
	s_mov_b64 s[8:9], -1
	s_branch .LBB203_2716
.LBB203_2707:
	s_mov_b64 s[4:5], -1
	s_mov_b64 s[8:9], 0
	s_branch .LBB203_2787
.LBB203_2708:
	s_mov_b64 s[4:5], 0
	s_branch .LBB203_2726
.LBB203_2709:
	s_or_saveexec_b64 s[12:13], s[12:13]
                                        ; implicit-def: $sgpr14
	s_xor_b64 exec, exec, s[12:13]
	s_cbranch_execz .LBB203_2610
.LBB203_2710:
	s_mov_b32 s14, 0x46000000
	v_add_f32_e64 v4, |v1|, s14
	v_and_b32_e32 v4, 0xff, v4
	v_cmp_ne_u32_e32 vcc, 0, v4
	s_andn2_b64 s[10:11], s[10:11], exec
	s_and_b64 s[16:17], vcc, exec
	s_mov_b32 s14, 0
	s_or_b64 s[10:11], s[10:11], s[16:17]
	s_or_b64 exec, exec, s[12:13]
	v_mov_b32_e32 v5, s14
	s_and_saveexec_b64 s[12:13], s[10:11]
	s_cbranch_execnz .LBB203_2611
	s_branch .LBB203_2612
.LBB203_2711:
	s_mov_b64 s[4:5], 0
	s_branch .LBB203_2722
.LBB203_2712:
	s_trap 2
	s_or_b64 s[42:43], s[42:43], exec
	s_cbranch_execz .LBB203_2658
	s_branch .LBB203_2659
.LBB203_2713:
	s_or_saveexec_b64 s[10:11], s[10:11]
                                        ; implicit-def: $sgpr12
	s_xor_b64 exec, exec, s[10:11]
	s_cbranch_execz .LBB203_2623
.LBB203_2714:
	s_mov_b32 s12, 0x42800000
	v_add_f32_e64 v4, |v1|, s12
	v_and_b32_e32 v4, 0xff, v4
	v_cmp_ne_u32_e32 vcc, 0, v4
	s_andn2_b64 s[8:9], s[8:9], exec
	s_and_b64 s[14:15], vcc, exec
	s_mov_b32 s12, 0
	s_or_b64 s[8:9], s[8:9], s[14:15]
	s_or_b64 exec, exec, s[10:11]
	v_mov_b32_e32 v5, s12
	s_and_saveexec_b64 s[10:11], s[8:9]
	s_cbranch_execnz .LBB203_2624
	s_branch .LBB203_2625
.LBB203_2715:
	s_mov_b64 s[4:5], 0
.LBB203_2716:
	s_and_b64 vcc, exec, s[10:11]
	s_cbranch_vccz .LBB203_2721
; %bb.2717:
	v_mov_b32_e32 v1, 44
	v_cmp_eq_u16_sdwa s[10:11], v36, v1 src0_sel:BYTE_0 src1_sel:DWORD
	s_mov_b64 s[4:5], -1
	s_and_b64 vcc, exec, s[10:11]
	s_cbranch_vccz .LBB203_2721
; %bb.2718:
	v_cvt_f32_f16_e32 v1, v0
	s_movk_i32 s4, 0xff
	v_mov_b32_e32 v5, 0xff
	v_bfe_u32 v4, v1, 23, 8
	v_cmp_ne_u32_e32 vcc, s4, v4
	s_and_saveexec_b64 s[8:9], vcc
; %bb.2719:
	s_mov_b32 s4, 0x3fffff
	v_lshrrev_b32_e32 v5, 23, v1
	v_and_b32_e32 v6, 0x400000, v1
	v_and_or_b32 v1, v1, s4, v4
	v_cmp_ne_u32_e32 vcc, 0, v6
	v_cmp_ne_u32_e64 s[4:5], 0, v1
	s_and_b64 s[4:5], vcc, s[4:5]
	v_cndmask_b32_e64 v1, 0, 1, s[4:5]
	v_add_u32_e32 v5, v5, v1
; %bb.2720:
	s_or_b64 exec, exec, s[8:9]
	s_mov_b64 s[4:5], 0
	s_mov_b64 s[8:9], -1
	global_store_byte v[2:3], v5, off
.LBB203_2721:
	s_mov_b64 s[10:11], 0
.LBB203_2722:
	s_and_b64 vcc, exec, s[10:11]
	s_cbranch_vccz .LBB203_2725
; %bb.2723:
	v_mov_b32_e32 v1, 29
	v_cmp_eq_u16_sdwa s[10:11], v36, v1 src0_sel:BYTE_0 src1_sel:DWORD
	s_mov_b64 s[4:5], -1
	s_and_b64 vcc, exec, s[10:11]
	s_cbranch_vccz .LBB203_2725
; %bb.2724:
	v_cvt_f32_f16_e32 v1, v0
	v_mov_b32_e32 v5, 0
	s_mov_b64 s[4:5], 0
	s_mov_b64 s[8:9], -1
	v_cvt_u32_f32_e32 v4, v1
	s_mov_b64 s[10:11], 0
	global_store_dwordx2 v[2:3], v[4:5], off
	s_branch .LBB203_2726
.LBB203_2725:
	s_mov_b64 s[10:11], 0
.LBB203_2726:
	s_and_b64 vcc, exec, s[10:11]
	s_cbranch_vccz .LBB203_2742
; %bb.2727:
	v_mov_b32_e32 v1, 27
	v_cmp_lt_i16_sdwa s[10:11], v36, v1 src0_sel:BYTE_0 src1_sel:DWORD
	s_mov_b64 s[8:9], -1
	s_and_b64 vcc, exec, s[10:11]
	s_cbranch_vccnz .LBB203_2733
; %bb.2728:
	v_cmp_gt_i16_sdwa s[10:11], v36, v1 src0_sel:BYTE_0 src1_sel:DWORD
	s_and_b64 vcc, exec, s[10:11]
	s_cbranch_vccz .LBB203_2730
; %bb.2729:
	v_cvt_f32_f16_e32 v1, v0
	s_mov_b64 s[8:9], 0
	v_cvt_u32_f32_e32 v1, v1
	global_store_dword v[2:3], v1, off
.LBB203_2730:
	s_andn2_b64 vcc, exec, s[8:9]
	s_cbranch_vccnz .LBB203_2732
; %bb.2731:
	v_cvt_u16_f16_e32 v1, v0
	global_store_short v[2:3], v1, off
.LBB203_2732:
	s_mov_b64 s[8:9], 0
.LBB203_2733:
	s_andn2_b64 vcc, exec, s[8:9]
	s_cbranch_vccnz .LBB203_2741
; %bb.2734:
	v_cvt_f32_f16_e32 v1, v0
	s_mov_b32 s8, 0x43800000
	v_mov_b32_e32 v5, 0x80
	v_and_b32_e32 v4, 0x7fffffff, v1
	v_cmp_gt_u32_e32 vcc, s8, v4
	s_and_saveexec_b64 s[8:9], vcc
	s_cbranch_execz .LBB203_2740
; %bb.2735:
	s_mov_b32 s10, 0x3bffffff
	v_cmp_lt_u32_e32 vcc, s10, v4
	s_mov_b64 s[10:11], 0
                                        ; implicit-def: $vgpr4
	s_and_saveexec_b64 s[12:13], vcc
	s_xor_b64 s[12:13], exec, s[12:13]
	s_cbranch_execz .LBB203_2836
; %bb.2736:
	v_bfe_u32 v4, v1, 20, 1
	s_mov_b32 s14, 0x487ffff
	v_add3_u32 v4, v1, v4, s14
	s_mov_b64 s[10:11], exec
	v_lshrrev_b32_e32 v4, 20, v4
	s_or_saveexec_b64 s[12:13], s[12:13]
                                        ; implicit-def: $sgpr14
	s_xor_b64 exec, exec, s[12:13]
	s_cbranch_execnz .LBB203_2837
.LBB203_2737:
	s_or_b64 exec, exec, s[12:13]
	v_mov_b32_e32 v5, s14
	s_and_saveexec_b64 s[12:13], s[10:11]
.LBB203_2738:
	v_lshrrev_b32_e32 v1, 24, v1
	s_movk_i32 s10, 0x80
	v_and_or_b32 v5, v1, s10, v4
.LBB203_2739:
	s_or_b64 exec, exec, s[12:13]
.LBB203_2740:
	s_or_b64 exec, exec, s[8:9]
	global_store_byte v[2:3], v5, off
.LBB203_2741:
	s_mov_b64 s[8:9], -1
.LBB203_2742:
	s_mov_b64 s[10:11], 0
.LBB203_2743:
	s_and_b64 vcc, exec, s[10:11]
	s_cbranch_vccz .LBB203_2783
; %bb.2744:
	v_mov_b32_e32 v1, 22
	v_cmp_gt_i16_sdwa s[10:11], v36, v1 src0_sel:BYTE_0 src1_sel:DWORD
	s_mov_b64 s[6:7], -1
	s_and_b64 vcc, exec, s[10:11]
	s_cbranch_vccz .LBB203_2776
; %bb.2745:
	v_mov_b32_e32 v1, 24
	v_cmp_lt_i16_sdwa s[8:9], v36, v1 src0_sel:BYTE_0 src1_sel:DWORD
	s_and_b64 vcc, exec, s[8:9]
	s_cbranch_vccnz .LBB203_2765
; %bb.2746:
	v_cmp_gt_i16_sdwa s[8:9], v36, v1 src0_sel:BYTE_0 src1_sel:DWORD
	s_and_b64 vcc, exec, s[8:9]
	s_cbranch_vccz .LBB203_2754
; %bb.2747:
	v_cvt_f32_f16_e32 v1, v0
	s_mov_b32 s6, 0x47800000
	v_mov_b32_e32 v5, 0x80
	v_and_b32_e32 v4, 0x7fffffff, v1
	v_cmp_gt_u32_e32 vcc, s6, v4
	s_and_saveexec_b64 s[6:7], vcc
	s_cbranch_execz .LBB203_2753
; %bb.2748:
	s_mov_b32 s8, 0x37ffffff
	v_cmp_lt_u32_e32 vcc, s8, v4
	s_mov_b64 s[8:9], 0
                                        ; implicit-def: $vgpr4
	s_and_saveexec_b64 s[10:11], vcc
	s_xor_b64 s[10:11], exec, s[10:11]
	s_cbranch_execz .LBB203_2840
; %bb.2749:
	v_bfe_u32 v4, v1, 21, 1
	s_mov_b32 s12, 0x88fffff
	v_add3_u32 v4, v1, v4, s12
	s_mov_b64 s[8:9], exec
	v_lshrrev_b32_e32 v4, 21, v4
	s_or_saveexec_b64 s[10:11], s[10:11]
                                        ; implicit-def: $sgpr12
	s_xor_b64 exec, exec, s[10:11]
	s_cbranch_execnz .LBB203_2841
.LBB203_2750:
	s_or_b64 exec, exec, s[10:11]
	v_mov_b32_e32 v5, s12
	s_and_saveexec_b64 s[10:11], s[8:9]
.LBB203_2751:
	v_lshrrev_b32_e32 v1, 24, v1
	s_movk_i32 s8, 0x80
	v_and_or_b32 v5, v1, s8, v4
.LBB203_2752:
	s_or_b64 exec, exec, s[10:11]
.LBB203_2753:
	s_or_b64 exec, exec, s[6:7]
	s_mov_b64 s[6:7], 0
	global_store_byte v[2:3], v5, off
.LBB203_2754:
	s_and_b64 vcc, exec, s[6:7]
	s_cbranch_vccz .LBB203_2764
; %bb.2755:
	v_cvt_f32_f16_e32 v1, v0
	s_mov_b32 s6, 0x43f00000
                                        ; implicit-def: $vgpr4
	v_and_b32_e32 v5, 0x7fffffff, v1
	v_cmp_gt_u32_e32 vcc, s6, v5
	s_and_saveexec_b64 s[6:7], vcc
	s_xor_b64 s[6:7], exec, s[6:7]
	s_cbranch_execz .LBB203_2761
; %bb.2756:
	s_mov_b32 s8, 0x3c7fffff
	v_cmp_lt_u32_e32 vcc, s8, v5
                                        ; implicit-def: $vgpr4
	s_and_saveexec_b64 s[8:9], vcc
	s_xor_b64 s[8:9], exec, s[8:9]
; %bb.2757:
	v_bfe_u32 v4, v1, 20, 1
	s_mov_b32 s10, 0x407ffff
	v_add3_u32 v4, v1, v4, s10
	v_lshrrev_b32_e32 v5, 20, v4
	v_and_b32_e32 v4, 0xff00000, v4
	s_mov_b32 s10, 0x7f00000
	v_mov_b32_e32 v6, 0x7e
	v_cmp_ne_u32_e32 vcc, s10, v4
	v_cndmask_b32_e32 v4, v6, v5, vcc
; %bb.2758:
	s_andn2_saveexec_b64 s[8:9], s[8:9]
; %bb.2759:
	s_mov_b32 s10, 0x46800000
	v_add_f32_e64 v4, |v1|, s10
; %bb.2760:
	s_or_b64 exec, exec, s[8:9]
                                        ; implicit-def: $vgpr5
.LBB203_2761:
	s_andn2_saveexec_b64 s[6:7], s[6:7]
; %bb.2762:
	s_mov_b32 s8, 0x7f800000
	v_mov_b32_e32 v4, 0x7e
	v_mov_b32_e32 v6, 0x7f
	v_cmp_lt_u32_e32 vcc, s8, v5
	v_cndmask_b32_e32 v4, v4, v6, vcc
; %bb.2763:
	s_or_b64 exec, exec, s[6:7]
	v_lshrrev_b32_e32 v1, 24, v1
	s_movk_i32 s6, 0x80
	v_and_or_b32 v1, v1, s6, v4
	global_store_byte v[2:3], v1, off
.LBB203_2764:
	s_mov_b64 s[6:7], 0
.LBB203_2765:
	s_andn2_b64 vcc, exec, s[6:7]
	s_cbranch_vccnz .LBB203_2775
; %bb.2766:
	v_cvt_f32_f16_e32 v1, v0
	s_mov_b32 s6, 0x47800000
                                        ; implicit-def: $vgpr4
	v_and_b32_e32 v5, 0x7fffffff, v1
	v_cmp_gt_u32_e32 vcc, s6, v5
	s_and_saveexec_b64 s[6:7], vcc
	s_xor_b64 s[6:7], exec, s[6:7]
	s_cbranch_execz .LBB203_2772
; %bb.2767:
	s_mov_b32 s8, 0x387fffff
	v_cmp_lt_u32_e32 vcc, s8, v5
                                        ; implicit-def: $vgpr4
	s_and_saveexec_b64 s[8:9], vcc
	s_xor_b64 s[8:9], exec, s[8:9]
; %bb.2768:
	v_bfe_u32 v4, v1, 21, 1
	s_mov_b32 s10, 0x80fffff
	v_add3_u32 v4, v1, v4, s10
	v_lshrrev_b32_e32 v4, 21, v4
; %bb.2769:
	s_andn2_saveexec_b64 s[8:9], s[8:9]
; %bb.2770:
	s_mov_b32 s10, 0x43000000
	v_add_f32_e64 v4, |v1|, s10
; %bb.2771:
	s_or_b64 exec, exec, s[8:9]
                                        ; implicit-def: $vgpr5
.LBB203_2772:
	s_andn2_saveexec_b64 s[6:7], s[6:7]
; %bb.2773:
	s_mov_b32 s8, 0x7f800000
	v_mov_b32_e32 v4, 0x7c
	v_mov_b32_e32 v6, 0x7f
	v_cmp_lt_u32_e32 vcc, s8, v5
	v_cndmask_b32_e32 v4, v4, v6, vcc
; %bb.2774:
	s_or_b64 exec, exec, s[6:7]
	v_lshrrev_b32_e32 v1, 24, v1
	s_movk_i32 s6, 0x80
	v_and_or_b32 v1, v1, s6, v4
	global_store_byte v[2:3], v1, off
.LBB203_2775:
	s_mov_b64 s[6:7], 0
	s_mov_b64 s[8:9], -1
.LBB203_2776:
	s_andn2_b64 vcc, exec, s[6:7]
	s_mov_b64 s[6:7], 0
	s_cbranch_vccnz .LBB203_2783
; %bb.2777:
	v_mov_b32_e32 v1, 14
	v_cmp_gt_i16_sdwa s[6:7], v36, v1 src0_sel:BYTE_0 src1_sel:DWORD
	s_mov_b64 s[10:11], -1
	s_and_b64 vcc, exec, s[6:7]
	s_cbranch_vccz .LBB203_2781
; %bb.2778:
	v_mov_b32_e32 v1, 15
	v_cmp_eq_u16_sdwa s[6:7], v36, v1 src0_sel:BYTE_0 src1_sel:DWORD
	s_mov_b64 s[4:5], -1
	s_and_b64 vcc, exec, s[6:7]
	s_cbranch_vccz .LBB203_2780
; %bb.2779:
	v_cvt_f32_f16_e32 v1, v0
	s_movk_i32 s4, 0x7fff
	v_mov_b32_e32 v4, 0x7fc0
	v_cmp_o_f16_e32 vcc, v0, v0
	v_bfe_u32 v5, v1, 16, 1
	v_add3_u32 v1, v1, v5, s4
	v_lshrrev_b32_e32 v1, 16, v1
	v_cndmask_b32_e32 v1, v4, v1, vcc
	global_store_short v[2:3], v1, off
	s_mov_b64 s[4:5], 0
	s_mov_b64 s[8:9], -1
.LBB203_2780:
	s_mov_b64 s[10:11], 0
.LBB203_2781:
	s_mov_b64 s[6:7], 0
	s_and_b64 vcc, exec, s[10:11]
	s_cbranch_vccz .LBB203_2783
; %bb.2782:
	v_mov_b32_e32 v1, 11
	v_cmp_ne_u16_sdwa s[4:5], v36, v1 src0_sel:BYTE_0 src1_sel:DWORD
	s_mov_b64 s[6:7], -1
.LBB203_2783:
	s_and_b64 vcc, exec, s[4:5]
	s_cbranch_vccnz .LBB203_2839
; %bb.2784:
	s_andn2_b64 vcc, exec, s[6:7]
	s_cbranch_vccnz .LBB203_2786
.LBB203_2785:
	v_and_b32_e32 v1, 0x7fff, v0
	v_cmp_ne_u16_e32 vcc, 0, v1
	v_cndmask_b32_e64 v1, 0, 1, vcc
	s_mov_b64 s[8:9], -1
	global_store_byte v[2:3], v1, off
.LBB203_2786:
	s_mov_b64 s[4:5], 0
.LBB203_2787:
	s_and_b64 vcc, exec, s[4:5]
	s_cbranch_vccz .LBB203_2826
; %bb.2788:
	v_mov_b32_e32 v1, 5
	v_cmp_lt_i16_sdwa s[6:7], v36, v1 src0_sel:BYTE_0 src1_sel:DWORD
	s_mov_b64 s[4:5], -1
	s_and_b64 vcc, exec, s[6:7]
	s_cbranch_vccnz .LBB203_2809
; %bb.2789:
	v_mov_b32_e32 v1, 8
	v_cmp_lt_i16_sdwa s[6:7], v36, v1 src0_sel:BYTE_0 src1_sel:DWORD
	s_and_b64 vcc, exec, s[6:7]
	s_cbranch_vccnz .LBB203_2799
; %bb.2790:
	v_mov_b32_e32 v1, 9
	v_cmp_lt_i16_sdwa s[6:7], v36, v1 src0_sel:BYTE_0 src1_sel:DWORD
	s_and_b64 vcc, exec, s[6:7]
	s_cbranch_vccnz .LBB203_2796
; %bb.2791:
	v_cmp_gt_i16_sdwa s[6:7], v36, v1 src0_sel:BYTE_0 src1_sel:DWORD
	s_and_b64 vcc, exec, s[6:7]
	s_cbranch_vccz .LBB203_2793
; %bb.2792:
	v_cvt_f32_f16_e32 v1, v0
	v_mov_b32_e32 v6, 0
	v_mov_b32_e32 v7, v6
	s_mov_b64 s[4:5], 0
	v_cvt_f64_f32_e32 v[4:5], v1
	global_store_dwordx4 v[2:3], v[4:7], off
.LBB203_2793:
	s_andn2_b64 vcc, exec, s[4:5]
	s_cbranch_vccnz .LBB203_2795
; %bb.2794:
	v_cvt_f32_f16_e32 v4, v0
	v_mov_b32_e32 v5, 0
	global_store_dwordx2 v[2:3], v[4:5], off
.LBB203_2795:
	s_mov_b64 s[4:5], 0
.LBB203_2796:
	s_andn2_b64 vcc, exec, s[4:5]
	s_cbranch_vccnz .LBB203_2798
; %bb.2797:
	v_and_b32_e32 v1, 0xffff, v0
	global_store_dword v[2:3], v1, off
.LBB203_2798:
	s_mov_b64 s[4:5], 0
.LBB203_2799:
	s_andn2_b64 vcc, exec, s[4:5]
	s_cbranch_vccnz .LBB203_2808
; %bb.2800:
	v_mov_b32_e32 v1, 6
	v_cmp_lt_i16_sdwa s[6:7], v36, v1 src0_sel:BYTE_0 src1_sel:DWORD
	s_mov_b64 s[4:5], -1
	s_and_b64 vcc, exec, s[6:7]
	s_cbranch_vccnz .LBB203_2806
; %bb.2801:
	v_cmp_gt_i16_sdwa s[6:7], v36, v1 src0_sel:BYTE_0 src1_sel:DWORD
	s_and_b64 vcc, exec, s[6:7]
	s_cbranch_vccz .LBB203_2803
; %bb.2802:
	v_cvt_f32_f16_e32 v1, v0
	s_mov_b64 s[4:5], 0
	v_cvt_f64_f32_e32 v[4:5], v1
	global_store_dwordx2 v[2:3], v[4:5], off
.LBB203_2803:
	s_andn2_b64 vcc, exec, s[4:5]
	s_cbranch_vccnz .LBB203_2805
; %bb.2804:
	v_cvt_f32_f16_e32 v1, v0
	global_store_dword v[2:3], v1, off
.LBB203_2805:
	s_mov_b64 s[4:5], 0
.LBB203_2806:
	s_andn2_b64 vcc, exec, s[4:5]
	s_cbranch_vccnz .LBB203_2808
; %bb.2807:
	global_store_short v[2:3], v0, off
.LBB203_2808:
	s_mov_b64 s[4:5], 0
.LBB203_2809:
	s_andn2_b64 vcc, exec, s[4:5]
	s_cbranch_vccnz .LBB203_2825
; %bb.2810:
	v_mov_b32_e32 v1, 2
	v_cmp_lt_i16_sdwa s[6:7], v36, v1 src0_sel:BYTE_0 src1_sel:DWORD
	s_mov_b64 s[4:5], -1
	s_and_b64 vcc, exec, s[6:7]
	s_cbranch_vccnz .LBB203_2820
; %bb.2811:
	v_mov_b32_e32 v1, 3
	v_cmp_lt_i16_sdwa s[6:7], v36, v1 src0_sel:BYTE_0 src1_sel:DWORD
	s_and_b64 vcc, exec, s[6:7]
	s_cbranch_vccnz .LBB203_2817
; %bb.2812:
	v_cmp_gt_i16_sdwa s[6:7], v36, v1 src0_sel:BYTE_0 src1_sel:DWORD
	s_and_b64 vcc, exec, s[6:7]
	s_cbranch_vccz .LBB203_2814
; %bb.2813:
	v_cvt_f32_f16_e32 v1, v0
	s_mov_b64 s[4:5], 0
	v_cvt_i32_f32_e32 v4, v1
	v_ashrrev_i32_e32 v5, 31, v4
	global_store_dwordx2 v[2:3], v[4:5], off
.LBB203_2814:
	s_andn2_b64 vcc, exec, s[4:5]
	s_cbranch_vccnz .LBB203_2816
; %bb.2815:
	v_cvt_f32_f16_e32 v1, v0
	v_cvt_i32_f32_e32 v1, v1
	global_store_dword v[2:3], v1, off
.LBB203_2816:
	s_mov_b64 s[4:5], 0
.LBB203_2817:
	s_andn2_b64 vcc, exec, s[4:5]
	s_cbranch_vccnz .LBB203_2819
; %bb.2818:
	v_cvt_i16_f16_e32 v1, v0
	global_store_short v[2:3], v1, off
.LBB203_2819:
	s_mov_b64 s[4:5], 0
.LBB203_2820:
	s_andn2_b64 vcc, exec, s[4:5]
	s_cbranch_vccnz .LBB203_2825
; %bb.2821:
	v_mov_b32_e32 v1, 0
	v_cmp_gt_i16_sdwa s[6:7], v36, v1 src0_sel:BYTE_0 src1_sel:DWORD
	s_mov_b64 s[4:5], -1
	s_and_b64 vcc, exec, s[6:7]
	s_cbranch_vccz .LBB203_2823
; %bb.2822:
	v_cvt_i16_f16_e32 v1, v0
	global_store_byte v[2:3], v1, off
	s_mov_b64 s[4:5], 0
.LBB203_2823:
	s_andn2_b64 vcc, exec, s[4:5]
	s_cbranch_vccnz .LBB203_2825
; %bb.2824:
	v_cvt_f32_f16_e32 v0, v0
	v_cvt_i32_f32_e32 v0, v0
	global_store_byte v[2:3], v0, off
.LBB203_2825:
	s_mov_b64 s[8:9], -1
.LBB203_2826:
	s_andn2_b64 vcc, exec, s[8:9]
	s_cbranch_vccnz .LBB203_3030
; %bb.2827:
	v_mov_b32_e32 v0, v32
	v_mov_b32_e32 v1, v33
	s_getpc_b64 s[4:5]
	s_add_u32 s4, s4, _ZZZZN2at6native33launch_standard_gamma_grad_kernelERNS_18TensorIteratorBaseEENKUlvE_clEvENKUlvE1_clEvENKUlN3c104HalfES6_E_clES6_S6_@rel32@lo+4
	s_addc_u32 s5, s5, _ZZZZN2at6native33launch_standard_gamma_grad_kernelERNS_18TensorIteratorBaseEENKUlvE_clEvENKUlvE1_clEvENKUlN3c104HalfES6_E_clES6_S6_@rel32@hi+12
	s_swappc_b64 s[30:31], s[4:5]
	v_add_u32_e32 v30, s22, v30
	v_ashrrev_i32_e32 v1, 31, v30
	v_mov_b32_e32 v3, s25
	v_add_co_u32_e32 v2, vcc, s24, v30
	v_addc_co_u32_e32 v3, vcc, v3, v1, vcc
	v_mov_b32_e32 v1, 11
	v_cmp_lt_i16_sdwa s[4:5], v36, v1 src0_sel:BYTE_0 src1_sel:DWORD
	s_and_b64 vcc, exec, s[4:5]
	s_cbranch_vccnz .LBB203_2834
; %bb.2828:
	v_mov_b32_e32 v1, 25
	v_cmp_gt_i16_sdwa s[4:5], v36, v1 src0_sel:BYTE_0 src1_sel:DWORD
	s_mov_b64 s[10:11], -1
	s_mov_b64 s[6:7], 0
	s_and_b64 vcc, exec, s[4:5]
	s_mov_b64 s[8:9], 0
	s_mov_b64 s[4:5], 0
	s_cbranch_vccz .LBB203_2870
; %bb.2829:
	v_mov_b32_e32 v1, 28
	v_cmp_gt_i16_sdwa s[4:5], v36, v1 src0_sel:BYTE_0 src1_sel:DWORD
	s_and_b64 vcc, exec, s[4:5]
	s_cbranch_vccz .LBB203_2835
; %bb.2830:
	v_mov_b32_e32 v1, 43
	v_cmp_gt_i16_sdwa s[4:5], v36, v1 src0_sel:BYTE_0 src1_sel:DWORD
	s_and_b64 vcc, exec, s[4:5]
	;; [unrolled: 5-line block ×3, first 2 shown]
	s_cbranch_vccz .LBB203_2842
; %bb.2832:
	v_mov_b32_e32 v1, 46
	v_cmp_eq_u16_sdwa s[8:9], v36, v1 src0_sel:BYTE_0 src1_sel:DWORD
	s_mov_b64 s[4:5], -1
	s_mov_b64 s[10:11], 0
	s_and_b64 vcc, exec, s[8:9]
	s_mov_b64 s[8:9], 0
	s_cbranch_vccz .LBB203_2843
; %bb.2833:
	v_cvt_f32_f16_e32 v1, v0
	s_movk_i32 s4, 0x7fff
	v_mov_b32_e32 v4, 0x7fc0
	v_cmp_o_f16_e32 vcc, v0, v0
	v_bfe_u32 v5, v1, 16, 1
	v_add3_u32 v1, v1, v5, s4
	v_lshrrev_b32_e32 v1, 16, v1
	v_cndmask_b32_e32 v1, v4, v1, vcc
	global_store_dword v[2:3], v1, off
	s_mov_b64 s[4:5], 0
	s_mov_b64 s[8:9], -1
	s_branch .LBB203_2843
.LBB203_2834:
	s_mov_b64 s[4:5], -1
	s_mov_b64 s[8:9], 0
	s_branch .LBB203_2914
.LBB203_2835:
	s_mov_b64 s[4:5], 0
	s_branch .LBB203_2853
.LBB203_2836:
	s_or_saveexec_b64 s[12:13], s[12:13]
                                        ; implicit-def: $sgpr14
	s_xor_b64 exec, exec, s[12:13]
	s_cbranch_execz .LBB203_2737
.LBB203_2837:
	s_mov_b32 s14, 0x46000000
	v_add_f32_e64 v4, |v1|, s14
	v_and_b32_e32 v4, 0xff, v4
	v_cmp_ne_u32_e32 vcc, 0, v4
	s_andn2_b64 s[10:11], s[10:11], exec
	s_and_b64 s[16:17], vcc, exec
	s_mov_b32 s14, 0
	s_or_b64 s[10:11], s[10:11], s[16:17]
	s_or_b64 exec, exec, s[12:13]
	v_mov_b32_e32 v5, s14
	s_and_saveexec_b64 s[12:13], s[10:11]
	s_cbranch_execnz .LBB203_2738
	s_branch .LBB203_2739
.LBB203_2838:
	s_mov_b64 s[4:5], 0
	s_branch .LBB203_2849
.LBB203_2839:
	s_trap 2
	s_or_b64 s[42:43], s[42:43], exec
	s_cbranch_execz .LBB203_2785
	s_branch .LBB203_2786
.LBB203_2840:
	s_or_saveexec_b64 s[10:11], s[10:11]
                                        ; implicit-def: $sgpr12
	s_xor_b64 exec, exec, s[10:11]
	s_cbranch_execz .LBB203_2750
.LBB203_2841:
	s_mov_b32 s12, 0x42800000
	v_add_f32_e64 v4, |v1|, s12
	v_and_b32_e32 v4, 0xff, v4
	v_cmp_ne_u32_e32 vcc, 0, v4
	s_andn2_b64 s[8:9], s[8:9], exec
	s_and_b64 s[14:15], vcc, exec
	s_mov_b32 s12, 0
	s_or_b64 s[8:9], s[8:9], s[14:15]
	s_or_b64 exec, exec, s[10:11]
	v_mov_b32_e32 v5, s12
	s_and_saveexec_b64 s[10:11], s[8:9]
	s_cbranch_execnz .LBB203_2751
	s_branch .LBB203_2752
.LBB203_2842:
	s_mov_b64 s[4:5], 0
.LBB203_2843:
	s_and_b64 vcc, exec, s[10:11]
	s_cbranch_vccz .LBB203_2848
; %bb.2844:
	v_mov_b32_e32 v1, 44
	v_cmp_eq_u16_sdwa s[10:11], v36, v1 src0_sel:BYTE_0 src1_sel:DWORD
	s_mov_b64 s[4:5], -1
	s_and_b64 vcc, exec, s[10:11]
	s_cbranch_vccz .LBB203_2848
; %bb.2845:
	v_cvt_f32_f16_e32 v1, v0
	s_movk_i32 s4, 0xff
	v_mov_b32_e32 v5, 0xff
	v_bfe_u32 v4, v1, 23, 8
	v_cmp_ne_u32_e32 vcc, s4, v4
	s_and_saveexec_b64 s[8:9], vcc
; %bb.2846:
	s_mov_b32 s4, 0x3fffff
	v_lshrrev_b32_e32 v5, 23, v1
	v_and_b32_e32 v6, 0x400000, v1
	v_and_or_b32 v1, v1, s4, v4
	v_cmp_ne_u32_e32 vcc, 0, v6
	v_cmp_ne_u32_e64 s[4:5], 0, v1
	s_and_b64 s[4:5], vcc, s[4:5]
	v_cndmask_b32_e64 v1, 0, 1, s[4:5]
	v_add_u32_e32 v5, v5, v1
; %bb.2847:
	s_or_b64 exec, exec, s[8:9]
	s_mov_b64 s[4:5], 0
	s_mov_b64 s[8:9], -1
	global_store_byte v[2:3], v5, off
.LBB203_2848:
	s_mov_b64 s[10:11], 0
.LBB203_2849:
	s_and_b64 vcc, exec, s[10:11]
	s_cbranch_vccz .LBB203_2852
; %bb.2850:
	v_mov_b32_e32 v1, 29
	v_cmp_eq_u16_sdwa s[10:11], v36, v1 src0_sel:BYTE_0 src1_sel:DWORD
	s_mov_b64 s[4:5], -1
	s_and_b64 vcc, exec, s[10:11]
	s_cbranch_vccz .LBB203_2852
; %bb.2851:
	v_cvt_f32_f16_e32 v1, v0
	v_mov_b32_e32 v5, 0
	s_mov_b64 s[4:5], 0
	s_mov_b64 s[8:9], -1
	v_cvt_u32_f32_e32 v4, v1
	s_mov_b64 s[10:11], 0
	global_store_dwordx2 v[2:3], v[4:5], off
	s_branch .LBB203_2853
.LBB203_2852:
	s_mov_b64 s[10:11], 0
.LBB203_2853:
	s_and_b64 vcc, exec, s[10:11]
	s_cbranch_vccz .LBB203_2869
; %bb.2854:
	v_mov_b32_e32 v1, 27
	v_cmp_lt_i16_sdwa s[10:11], v36, v1 src0_sel:BYTE_0 src1_sel:DWORD
	s_mov_b64 s[8:9], -1
	s_and_b64 vcc, exec, s[10:11]
	s_cbranch_vccnz .LBB203_2860
; %bb.2855:
	v_cmp_gt_i16_sdwa s[10:11], v36, v1 src0_sel:BYTE_0 src1_sel:DWORD
	s_and_b64 vcc, exec, s[10:11]
	s_cbranch_vccz .LBB203_2857
; %bb.2856:
	v_cvt_f32_f16_e32 v1, v0
	s_mov_b64 s[8:9], 0
	v_cvt_u32_f32_e32 v1, v1
	global_store_dword v[2:3], v1, off
.LBB203_2857:
	s_andn2_b64 vcc, exec, s[8:9]
	s_cbranch_vccnz .LBB203_2859
; %bb.2858:
	v_cvt_u16_f16_e32 v1, v0
	global_store_short v[2:3], v1, off
.LBB203_2859:
	s_mov_b64 s[8:9], 0
.LBB203_2860:
	s_andn2_b64 vcc, exec, s[8:9]
	s_cbranch_vccnz .LBB203_2868
; %bb.2861:
	v_cvt_f32_f16_e32 v1, v0
	s_mov_b32 s8, 0x43800000
	v_mov_b32_e32 v5, 0x80
	v_and_b32_e32 v4, 0x7fffffff, v1
	v_cmp_gt_u32_e32 vcc, s8, v4
	s_and_saveexec_b64 s[8:9], vcc
	s_cbranch_execz .LBB203_2867
; %bb.2862:
	s_mov_b32 s10, 0x3bffffff
	v_cmp_lt_u32_e32 vcc, s10, v4
	s_mov_b64 s[10:11], 0
                                        ; implicit-def: $vgpr4
	s_and_saveexec_b64 s[12:13], vcc
	s_xor_b64 s[12:13], exec, s[12:13]
	s_cbranch_execz .LBB203_3076
; %bb.2863:
	v_bfe_u32 v4, v1, 20, 1
	s_mov_b32 s14, 0x487ffff
	v_add3_u32 v4, v1, v4, s14
	s_mov_b64 s[10:11], exec
	v_lshrrev_b32_e32 v4, 20, v4
	s_or_saveexec_b64 s[12:13], s[12:13]
                                        ; implicit-def: $sgpr14
	s_xor_b64 exec, exec, s[12:13]
	s_cbranch_execnz .LBB203_3077
.LBB203_2864:
	s_or_b64 exec, exec, s[12:13]
	v_mov_b32_e32 v5, s14
	s_and_saveexec_b64 s[12:13], s[10:11]
.LBB203_2865:
	v_lshrrev_b32_e32 v1, 24, v1
	s_movk_i32 s10, 0x80
	v_and_or_b32 v5, v1, s10, v4
.LBB203_2866:
	s_or_b64 exec, exec, s[12:13]
.LBB203_2867:
	s_or_b64 exec, exec, s[8:9]
	global_store_byte v[2:3], v5, off
.LBB203_2868:
	s_mov_b64 s[8:9], -1
.LBB203_2869:
	s_mov_b64 s[10:11], 0
.LBB203_2870:
	s_and_b64 vcc, exec, s[10:11]
	s_cbranch_vccz .LBB203_2910
; %bb.2871:
	v_mov_b32_e32 v1, 22
	v_cmp_gt_i16_sdwa s[10:11], v36, v1 src0_sel:BYTE_0 src1_sel:DWORD
	s_mov_b64 s[6:7], -1
	s_and_b64 vcc, exec, s[10:11]
	s_cbranch_vccz .LBB203_2903
; %bb.2872:
	v_mov_b32_e32 v1, 24
	v_cmp_lt_i16_sdwa s[8:9], v36, v1 src0_sel:BYTE_0 src1_sel:DWORD
	s_and_b64 vcc, exec, s[8:9]
	s_cbranch_vccnz .LBB203_2892
; %bb.2873:
	v_cmp_gt_i16_sdwa s[8:9], v36, v1 src0_sel:BYTE_0 src1_sel:DWORD
	s_and_b64 vcc, exec, s[8:9]
	s_cbranch_vccz .LBB203_2881
; %bb.2874:
	v_cvt_f32_f16_e32 v1, v0
	s_mov_b32 s6, 0x47800000
	v_mov_b32_e32 v5, 0x80
	v_and_b32_e32 v4, 0x7fffffff, v1
	v_cmp_gt_u32_e32 vcc, s6, v4
	s_and_saveexec_b64 s[6:7], vcc
	s_cbranch_execz .LBB203_2880
; %bb.2875:
	s_mov_b32 s8, 0x37ffffff
	v_cmp_lt_u32_e32 vcc, s8, v4
	s_mov_b64 s[8:9], 0
                                        ; implicit-def: $vgpr4
	s_and_saveexec_b64 s[10:11], vcc
	s_xor_b64 s[10:11], exec, s[10:11]
	s_cbranch_execz .LBB203_3079
; %bb.2876:
	v_bfe_u32 v4, v1, 21, 1
	s_mov_b32 s12, 0x88fffff
	v_add3_u32 v4, v1, v4, s12
	s_mov_b64 s[8:9], exec
	v_lshrrev_b32_e32 v4, 21, v4
	s_or_saveexec_b64 s[10:11], s[10:11]
                                        ; implicit-def: $sgpr12
	s_xor_b64 exec, exec, s[10:11]
	s_cbranch_execnz .LBB203_3080
.LBB203_2877:
	s_or_b64 exec, exec, s[10:11]
	v_mov_b32_e32 v5, s12
	s_and_saveexec_b64 s[10:11], s[8:9]
.LBB203_2878:
	v_lshrrev_b32_e32 v1, 24, v1
	s_movk_i32 s8, 0x80
	v_and_or_b32 v5, v1, s8, v4
.LBB203_2879:
	s_or_b64 exec, exec, s[10:11]
.LBB203_2880:
	s_or_b64 exec, exec, s[6:7]
	s_mov_b64 s[6:7], 0
	global_store_byte v[2:3], v5, off
.LBB203_2881:
	s_and_b64 vcc, exec, s[6:7]
	s_cbranch_vccz .LBB203_2891
; %bb.2882:
	v_cvt_f32_f16_e32 v1, v0
	s_mov_b32 s6, 0x43f00000
                                        ; implicit-def: $vgpr4
	v_and_b32_e32 v5, 0x7fffffff, v1
	v_cmp_gt_u32_e32 vcc, s6, v5
	s_and_saveexec_b64 s[6:7], vcc
	s_xor_b64 s[6:7], exec, s[6:7]
	s_cbranch_execz .LBB203_2888
; %bb.2883:
	s_mov_b32 s8, 0x3c7fffff
	v_cmp_lt_u32_e32 vcc, s8, v5
                                        ; implicit-def: $vgpr4
	s_and_saveexec_b64 s[8:9], vcc
	s_xor_b64 s[8:9], exec, s[8:9]
; %bb.2884:
	v_bfe_u32 v4, v1, 20, 1
	s_mov_b32 s10, 0x407ffff
	v_add3_u32 v4, v1, v4, s10
	v_lshrrev_b32_e32 v5, 20, v4
	v_and_b32_e32 v4, 0xff00000, v4
	s_mov_b32 s10, 0x7f00000
	v_mov_b32_e32 v6, 0x7e
	v_cmp_ne_u32_e32 vcc, s10, v4
	v_cndmask_b32_e32 v4, v6, v5, vcc
; %bb.2885:
	s_andn2_saveexec_b64 s[8:9], s[8:9]
; %bb.2886:
	s_mov_b32 s10, 0x46800000
	v_add_f32_e64 v4, |v1|, s10
; %bb.2887:
	s_or_b64 exec, exec, s[8:9]
                                        ; implicit-def: $vgpr5
.LBB203_2888:
	s_andn2_saveexec_b64 s[6:7], s[6:7]
; %bb.2889:
	s_mov_b32 s8, 0x7f800000
	v_mov_b32_e32 v4, 0x7e
	v_mov_b32_e32 v6, 0x7f
	v_cmp_lt_u32_e32 vcc, s8, v5
	v_cndmask_b32_e32 v4, v4, v6, vcc
; %bb.2890:
	s_or_b64 exec, exec, s[6:7]
	v_lshrrev_b32_e32 v1, 24, v1
	s_movk_i32 s6, 0x80
	v_and_or_b32 v1, v1, s6, v4
	global_store_byte v[2:3], v1, off
.LBB203_2891:
	s_mov_b64 s[6:7], 0
.LBB203_2892:
	s_andn2_b64 vcc, exec, s[6:7]
	s_cbranch_vccnz .LBB203_2902
; %bb.2893:
	v_cvt_f32_f16_e32 v1, v0
	s_mov_b32 s6, 0x47800000
                                        ; implicit-def: $vgpr4
	v_and_b32_e32 v5, 0x7fffffff, v1
	v_cmp_gt_u32_e32 vcc, s6, v5
	s_and_saveexec_b64 s[6:7], vcc
	s_xor_b64 s[6:7], exec, s[6:7]
	s_cbranch_execz .LBB203_2899
; %bb.2894:
	s_mov_b32 s8, 0x387fffff
	v_cmp_lt_u32_e32 vcc, s8, v5
                                        ; implicit-def: $vgpr4
	s_and_saveexec_b64 s[8:9], vcc
	s_xor_b64 s[8:9], exec, s[8:9]
; %bb.2895:
	v_bfe_u32 v4, v1, 21, 1
	s_mov_b32 s10, 0x80fffff
	v_add3_u32 v4, v1, v4, s10
	v_lshrrev_b32_e32 v4, 21, v4
; %bb.2896:
	s_andn2_saveexec_b64 s[8:9], s[8:9]
; %bb.2897:
	s_mov_b32 s10, 0x43000000
	v_add_f32_e64 v4, |v1|, s10
; %bb.2898:
	s_or_b64 exec, exec, s[8:9]
                                        ; implicit-def: $vgpr5
.LBB203_2899:
	s_andn2_saveexec_b64 s[6:7], s[6:7]
; %bb.2900:
	s_mov_b32 s8, 0x7f800000
	v_mov_b32_e32 v4, 0x7c
	v_mov_b32_e32 v6, 0x7f
	v_cmp_lt_u32_e32 vcc, s8, v5
	v_cndmask_b32_e32 v4, v4, v6, vcc
; %bb.2901:
	s_or_b64 exec, exec, s[6:7]
	v_lshrrev_b32_e32 v1, 24, v1
	s_movk_i32 s6, 0x80
	v_and_or_b32 v1, v1, s6, v4
	global_store_byte v[2:3], v1, off
.LBB203_2902:
	s_mov_b64 s[6:7], 0
	s_mov_b64 s[8:9], -1
.LBB203_2903:
	s_andn2_b64 vcc, exec, s[6:7]
	s_mov_b64 s[6:7], 0
	s_cbranch_vccnz .LBB203_2910
; %bb.2904:
	v_mov_b32_e32 v1, 14
	v_cmp_gt_i16_sdwa s[6:7], v36, v1 src0_sel:BYTE_0 src1_sel:DWORD
	s_mov_b64 s[10:11], -1
	s_and_b64 vcc, exec, s[6:7]
	s_cbranch_vccz .LBB203_2908
; %bb.2905:
	v_mov_b32_e32 v1, 15
	v_cmp_eq_u16_sdwa s[6:7], v36, v1 src0_sel:BYTE_0 src1_sel:DWORD
	s_mov_b64 s[4:5], -1
	s_and_b64 vcc, exec, s[6:7]
	s_cbranch_vccz .LBB203_2907
; %bb.2906:
	v_cvt_f32_f16_e32 v1, v0
	s_movk_i32 s4, 0x7fff
	v_mov_b32_e32 v4, 0x7fc0
	v_cmp_o_f16_e32 vcc, v0, v0
	v_bfe_u32 v5, v1, 16, 1
	v_add3_u32 v1, v1, v5, s4
	v_lshrrev_b32_e32 v1, 16, v1
	v_cndmask_b32_e32 v1, v4, v1, vcc
	global_store_short v[2:3], v1, off
	s_mov_b64 s[4:5], 0
	s_mov_b64 s[8:9], -1
.LBB203_2907:
	s_mov_b64 s[10:11], 0
.LBB203_2908:
	s_mov_b64 s[6:7], 0
	s_and_b64 vcc, exec, s[10:11]
	s_cbranch_vccz .LBB203_2910
; %bb.2909:
	v_mov_b32_e32 v1, 11
	v_cmp_ne_u16_sdwa s[4:5], v36, v1 src0_sel:BYTE_0 src1_sel:DWORD
	s_mov_b64 s[6:7], -1
.LBB203_2910:
	s_and_b64 vcc, exec, s[4:5]
	s_cbranch_vccnz .LBB203_3078
; %bb.2911:
	s_andn2_b64 vcc, exec, s[6:7]
	s_cbranch_vccnz .LBB203_2913
.LBB203_2912:
	v_and_b32_e32 v1, 0x7fff, v0
	v_cmp_ne_u16_e32 vcc, 0, v1
	v_cndmask_b32_e64 v1, 0, 1, vcc
	s_mov_b64 s[8:9], -1
	global_store_byte v[2:3], v1, off
.LBB203_2913:
	s_mov_b64 s[4:5], 0
.LBB203_2914:
	s_and_b64 vcc, exec, s[4:5]
	s_cbranch_vccz .LBB203_2953
; %bb.2915:
	v_mov_b32_e32 v1, 5
	v_cmp_lt_i16_sdwa s[6:7], v36, v1 src0_sel:BYTE_0 src1_sel:DWORD
	s_mov_b64 s[4:5], -1
	s_and_b64 vcc, exec, s[6:7]
	s_cbranch_vccnz .LBB203_2936
; %bb.2916:
	v_mov_b32_e32 v1, 8
	v_cmp_lt_i16_sdwa s[6:7], v36, v1 src0_sel:BYTE_0 src1_sel:DWORD
	s_and_b64 vcc, exec, s[6:7]
	s_cbranch_vccnz .LBB203_2926
; %bb.2917:
	v_mov_b32_e32 v1, 9
	v_cmp_lt_i16_sdwa s[6:7], v36, v1 src0_sel:BYTE_0 src1_sel:DWORD
	s_and_b64 vcc, exec, s[6:7]
	s_cbranch_vccnz .LBB203_2923
; %bb.2918:
	v_cmp_gt_i16_sdwa s[6:7], v36, v1 src0_sel:BYTE_0 src1_sel:DWORD
	s_and_b64 vcc, exec, s[6:7]
	s_cbranch_vccz .LBB203_2920
; %bb.2919:
	v_cvt_f32_f16_e32 v1, v0
	v_mov_b32_e32 v6, 0
	v_mov_b32_e32 v7, v6
	s_mov_b64 s[4:5], 0
	v_cvt_f64_f32_e32 v[4:5], v1
	global_store_dwordx4 v[2:3], v[4:7], off
.LBB203_2920:
	s_andn2_b64 vcc, exec, s[4:5]
	s_cbranch_vccnz .LBB203_2922
; %bb.2921:
	v_cvt_f32_f16_e32 v4, v0
	v_mov_b32_e32 v5, 0
	global_store_dwordx2 v[2:3], v[4:5], off
.LBB203_2922:
	s_mov_b64 s[4:5], 0
.LBB203_2923:
	s_andn2_b64 vcc, exec, s[4:5]
	s_cbranch_vccnz .LBB203_2925
; %bb.2924:
	v_and_b32_e32 v1, 0xffff, v0
	global_store_dword v[2:3], v1, off
.LBB203_2925:
	s_mov_b64 s[4:5], 0
.LBB203_2926:
	s_andn2_b64 vcc, exec, s[4:5]
	s_cbranch_vccnz .LBB203_2935
; %bb.2927:
	v_mov_b32_e32 v1, 6
	v_cmp_lt_i16_sdwa s[6:7], v36, v1 src0_sel:BYTE_0 src1_sel:DWORD
	s_mov_b64 s[4:5], -1
	s_and_b64 vcc, exec, s[6:7]
	s_cbranch_vccnz .LBB203_2933
; %bb.2928:
	v_cmp_gt_i16_sdwa s[6:7], v36, v1 src0_sel:BYTE_0 src1_sel:DWORD
	s_and_b64 vcc, exec, s[6:7]
	s_cbranch_vccz .LBB203_2930
; %bb.2929:
	v_cvt_f32_f16_e32 v1, v0
	s_mov_b64 s[4:5], 0
	v_cvt_f64_f32_e32 v[4:5], v1
	global_store_dwordx2 v[2:3], v[4:5], off
.LBB203_2930:
	s_andn2_b64 vcc, exec, s[4:5]
	s_cbranch_vccnz .LBB203_2932
; %bb.2931:
	v_cvt_f32_f16_e32 v1, v0
	global_store_dword v[2:3], v1, off
.LBB203_2932:
	s_mov_b64 s[4:5], 0
.LBB203_2933:
	s_andn2_b64 vcc, exec, s[4:5]
	s_cbranch_vccnz .LBB203_2935
; %bb.2934:
	global_store_short v[2:3], v0, off
.LBB203_2935:
	s_mov_b64 s[4:5], 0
.LBB203_2936:
	s_andn2_b64 vcc, exec, s[4:5]
	s_cbranch_vccnz .LBB203_2952
; %bb.2937:
	v_mov_b32_e32 v1, 2
	v_cmp_lt_i16_sdwa s[6:7], v36, v1 src0_sel:BYTE_0 src1_sel:DWORD
	s_mov_b64 s[4:5], -1
	s_and_b64 vcc, exec, s[6:7]
	s_cbranch_vccnz .LBB203_2947
; %bb.2938:
	v_mov_b32_e32 v1, 3
	v_cmp_lt_i16_sdwa s[6:7], v36, v1 src0_sel:BYTE_0 src1_sel:DWORD
	s_and_b64 vcc, exec, s[6:7]
	s_cbranch_vccnz .LBB203_2944
; %bb.2939:
	v_cmp_gt_i16_sdwa s[6:7], v36, v1 src0_sel:BYTE_0 src1_sel:DWORD
	s_and_b64 vcc, exec, s[6:7]
	s_cbranch_vccz .LBB203_2941
; %bb.2940:
	v_cvt_f32_f16_e32 v1, v0
	s_mov_b64 s[4:5], 0
	v_cvt_i32_f32_e32 v4, v1
	v_ashrrev_i32_e32 v5, 31, v4
	global_store_dwordx2 v[2:3], v[4:5], off
.LBB203_2941:
	s_andn2_b64 vcc, exec, s[4:5]
	s_cbranch_vccnz .LBB203_2943
; %bb.2942:
	v_cvt_f32_f16_e32 v1, v0
	v_cvt_i32_f32_e32 v1, v1
	global_store_dword v[2:3], v1, off
.LBB203_2943:
	s_mov_b64 s[4:5], 0
.LBB203_2944:
	s_andn2_b64 vcc, exec, s[4:5]
	s_cbranch_vccnz .LBB203_2946
; %bb.2945:
	v_cvt_i16_f16_e32 v1, v0
	global_store_short v[2:3], v1, off
.LBB203_2946:
	s_mov_b64 s[4:5], 0
.LBB203_2947:
	s_andn2_b64 vcc, exec, s[4:5]
	s_cbranch_vccnz .LBB203_2952
; %bb.2948:
	v_mov_b32_e32 v1, 0
	v_cmp_gt_i16_sdwa s[6:7], v36, v1 src0_sel:BYTE_0 src1_sel:DWORD
	s_mov_b64 s[4:5], -1
	s_and_b64 vcc, exec, s[6:7]
	s_cbranch_vccz .LBB203_2950
; %bb.2949:
	v_cvt_i16_f16_e32 v1, v0
	global_store_byte v[2:3], v1, off
	s_mov_b64 s[4:5], 0
.LBB203_2950:
	s_andn2_b64 vcc, exec, s[4:5]
	s_cbranch_vccnz .LBB203_2952
; %bb.2951:
	v_cvt_f32_f16_e32 v0, v0
	v_cvt_i32_f32_e32 v0, v0
	global_store_byte v[2:3], v0, off
.LBB203_2952:
	s_mov_b64 s[8:9], -1
.LBB203_2953:
	s_andn2_b64 vcc, exec, s[8:9]
	s_cbranch_vccnz .LBB203_3030
; %bb.2954:
	v_mov_b32_e32 v0, v34
	v_mov_b32_e32 v1, v35
	s_getpc_b64 s[4:5]
	s_add_u32 s4, s4, _ZZZZN2at6native33launch_standard_gamma_grad_kernelERNS_18TensorIteratorBaseEENKUlvE_clEvENKUlvE1_clEvENKUlN3c104HalfES6_E_clES6_S6_@rel32@lo+4
	s_addc_u32 s5, s5, _ZZZZN2at6native33launch_standard_gamma_grad_kernelERNS_18TensorIteratorBaseEENKUlvE_clEvENKUlvE1_clEvENKUlN3c104HalfES6_E_clES6_S6_@rel32@hi+12
	s_swappc_b64 s[30:31], s[4:5]
	v_add_u32_e32 v1, s22, v30
	v_ashrrev_i32_e32 v3, 31, v1
	v_mov_b32_e32 v4, s25
	v_add_co_u32_e32 v2, vcc, s24, v1
	v_addc_co_u32_e32 v3, vcc, v4, v3, vcc
	v_and_b32_e32 v1, 0xff, v36
	v_cmp_gt_i16_e32 vcc, 11, v1
	s_cbranch_vccnz .LBB203_3075
; %bb.2955:
	v_cmp_lt_i16_e32 vcc, 25, v1
	s_mov_b64 s[8:9], -1
	s_mov_b64 s[6:7], 0
	s_mov_b64 s[4:5], 0
	s_cbranch_vccz .LBB203_2988
; %bb.2956:
	v_cmp_lt_i16_e32 vcc, 28, v1
	s_cbranch_vccz .LBB203_2972
; %bb.2957:
	v_cmp_lt_i16_e32 vcc, 43, v1
	;; [unrolled: 3-line block ×3, first 2 shown]
	s_cbranch_vccz .LBB203_2962
; %bb.2959:
	v_cmp_eq_u16_e32 vcc, 46, v1
	s_mov_b64 s[4:5], -1
	s_cbranch_vccz .LBB203_2961
; %bb.2960:
	v_cvt_f32_f16_e32 v4, v0
	s_movk_i32 s4, 0x7fff
	v_mov_b32_e32 v5, 0x7fc0
	v_cmp_o_f16_e32 vcc, v0, v0
	v_bfe_u32 v6, v4, 16, 1
	v_add3_u32 v4, v4, v6, s4
	v_lshrrev_b32_e32 v4, 16, v4
	v_cndmask_b32_e32 v4, v5, v4, vcc
	global_store_dword v[2:3], v4, off
	s_mov_b64 s[4:5], 0
.LBB203_2961:
	s_mov_b64 s[8:9], 0
.LBB203_2962:
	s_and_b64 vcc, exec, s[8:9]
	s_cbranch_vccz .LBB203_2967
; %bb.2963:
	v_cmp_eq_u16_e32 vcc, 44, v1
	s_mov_b64 s[4:5], -1
	s_cbranch_vccz .LBB203_2967
; %bb.2964:
	v_cvt_f32_f16_e32 v4, v0
	s_movk_i32 s4, 0xff
	v_mov_b32_e32 v6, 0xff
	v_bfe_u32 v5, v4, 23, 8
	v_cmp_ne_u32_e32 vcc, s4, v5
	s_and_saveexec_b64 s[8:9], vcc
; %bb.2965:
	s_mov_b32 s4, 0x3fffff
	v_lshrrev_b32_e32 v6, 23, v4
	v_and_b32_e32 v7, 0x400000, v4
	v_and_or_b32 v4, v4, s4, v5
	v_cmp_ne_u32_e32 vcc, 0, v7
	v_cmp_ne_u32_e64 s[4:5], 0, v4
	s_and_b64 s[4:5], vcc, s[4:5]
	v_cndmask_b32_e64 v4, 0, 1, s[4:5]
	v_add_u32_e32 v6, v6, v4
; %bb.2966:
	s_or_b64 exec, exec, s[8:9]
	s_mov_b64 s[4:5], 0
	global_store_byte v[2:3], v6, off
.LBB203_2967:
	s_mov_b64 s[8:9], 0
.LBB203_2968:
	s_and_b64 vcc, exec, s[8:9]
	s_cbranch_vccz .LBB203_2971
; %bb.2969:
	v_cmp_eq_u16_e32 vcc, 29, v1
	s_mov_b64 s[4:5], -1
	s_cbranch_vccz .LBB203_2971
; %bb.2970:
	v_cvt_f32_f16_e32 v4, v0
	v_mov_b32_e32 v5, 0
	s_mov_b64 s[4:5], 0
	v_cvt_u32_f32_e32 v4, v4
	global_store_dwordx2 v[2:3], v[4:5], off
.LBB203_2971:
	s_mov_b64 s[8:9], 0
.LBB203_2972:
	s_and_b64 vcc, exec, s[8:9]
	s_cbranch_vccz .LBB203_2987
; %bb.2973:
	v_cmp_gt_i16_e32 vcc, 27, v1
	s_mov_b64 s[8:9], -1
	s_cbranch_vccnz .LBB203_2979
; %bb.2974:
	v_cmp_lt_i16_e32 vcc, 27, v1
	s_cbranch_vccz .LBB203_2976
; %bb.2975:
	v_cvt_f32_f16_e32 v4, v0
	s_mov_b64 s[8:9], 0
	v_cvt_u32_f32_e32 v4, v4
	global_store_dword v[2:3], v4, off
.LBB203_2976:
	s_andn2_b64 vcc, exec, s[8:9]
	s_cbranch_vccnz .LBB203_2978
; %bb.2977:
	v_cvt_u16_f16_e32 v4, v0
	global_store_short v[2:3], v4, off
.LBB203_2978:
	s_mov_b64 s[8:9], 0
.LBB203_2979:
	s_andn2_b64 vcc, exec, s[8:9]
	s_cbranch_vccnz .LBB203_2987
; %bb.2980:
	v_cvt_f32_f16_e32 v4, v0
	s_mov_b32 s8, 0x43800000
	v_mov_b32_e32 v6, 0x80
	v_and_b32_e32 v5, 0x7fffffff, v4
	v_cmp_gt_u32_e32 vcc, s8, v5
	s_and_saveexec_b64 s[8:9], vcc
	s_cbranch_execz .LBB203_2986
; %bb.2981:
	s_mov_b32 s10, 0x3bffffff
	v_cmp_lt_u32_e32 vcc, s10, v5
	s_mov_b64 s[10:11], 0
                                        ; implicit-def: $vgpr5
	s_and_saveexec_b64 s[12:13], vcc
	s_xor_b64 s[12:13], exec, s[12:13]
	s_cbranch_execz .LBB203_3081
; %bb.2982:
	v_bfe_u32 v5, v4, 20, 1
	s_mov_b32 s14, 0x487ffff
	v_add3_u32 v5, v4, v5, s14
	s_mov_b64 s[10:11], exec
	v_lshrrev_b32_e32 v5, 20, v5
	s_or_saveexec_b64 s[12:13], s[12:13]
                                        ; implicit-def: $sgpr14
	s_xor_b64 exec, exec, s[12:13]
	s_cbranch_execnz .LBB203_3082
.LBB203_2983:
	s_or_b64 exec, exec, s[12:13]
	v_mov_b32_e32 v6, s14
	s_and_saveexec_b64 s[12:13], s[10:11]
.LBB203_2984:
	v_lshrrev_b32_e32 v4, 24, v4
	s_movk_i32 s10, 0x80
	v_and_or_b32 v6, v4, s10, v5
.LBB203_2985:
	s_or_b64 exec, exec, s[12:13]
.LBB203_2986:
	s_or_b64 exec, exec, s[8:9]
	global_store_byte v[2:3], v6, off
.LBB203_2987:
	s_mov_b64 s[8:9], 0
.LBB203_2988:
	s_and_b64 vcc, exec, s[8:9]
	s_cbranch_vccz .LBB203_3028
; %bb.2989:
	v_cmp_lt_i16_e32 vcc, 22, v1
	s_mov_b64 s[6:7], -1
	s_cbranch_vccz .LBB203_3021
; %bb.2990:
	v_cmp_gt_i16_e32 vcc, 24, v1
	s_cbranch_vccnz .LBB203_3010
; %bb.2991:
	v_cmp_lt_i16_e32 vcc, 24, v1
	s_cbranch_vccz .LBB203_2999
; %bb.2992:
	v_cvt_f32_f16_e32 v4, v0
	s_mov_b32 s6, 0x47800000
	v_mov_b32_e32 v6, 0x80
	v_and_b32_e32 v5, 0x7fffffff, v4
	v_cmp_gt_u32_e32 vcc, s6, v5
	s_and_saveexec_b64 s[6:7], vcc
	s_cbranch_execz .LBB203_2998
; %bb.2993:
	s_mov_b32 s8, 0x37ffffff
	v_cmp_lt_u32_e32 vcc, s8, v5
	s_mov_b64 s[8:9], 0
                                        ; implicit-def: $vgpr5
	s_and_saveexec_b64 s[10:11], vcc
	s_xor_b64 s[10:11], exec, s[10:11]
	s_cbranch_execz .LBB203_3084
; %bb.2994:
	v_bfe_u32 v5, v4, 21, 1
	s_mov_b32 s12, 0x88fffff
	v_add3_u32 v5, v4, v5, s12
	s_mov_b64 s[8:9], exec
	v_lshrrev_b32_e32 v5, 21, v5
	s_or_saveexec_b64 s[10:11], s[10:11]
                                        ; implicit-def: $sgpr12
	s_xor_b64 exec, exec, s[10:11]
	s_cbranch_execnz .LBB203_3085
.LBB203_2995:
	s_or_b64 exec, exec, s[10:11]
	v_mov_b32_e32 v6, s12
	s_and_saveexec_b64 s[10:11], s[8:9]
.LBB203_2996:
	v_lshrrev_b32_e32 v4, 24, v4
	s_movk_i32 s8, 0x80
	v_and_or_b32 v6, v4, s8, v5
.LBB203_2997:
	s_or_b64 exec, exec, s[10:11]
.LBB203_2998:
	s_or_b64 exec, exec, s[6:7]
	s_mov_b64 s[6:7], 0
	global_store_byte v[2:3], v6, off
.LBB203_2999:
	s_and_b64 vcc, exec, s[6:7]
	s_cbranch_vccz .LBB203_3009
; %bb.3000:
	v_cvt_f32_f16_e32 v4, v0
	s_mov_b32 s6, 0x43f00000
                                        ; implicit-def: $vgpr5
	v_and_b32_e32 v6, 0x7fffffff, v4
	v_cmp_gt_u32_e32 vcc, s6, v6
	s_and_saveexec_b64 s[6:7], vcc
	s_xor_b64 s[6:7], exec, s[6:7]
	s_cbranch_execz .LBB203_3006
; %bb.3001:
	s_mov_b32 s8, 0x3c7fffff
	v_cmp_lt_u32_e32 vcc, s8, v6
                                        ; implicit-def: $vgpr5
	s_and_saveexec_b64 s[8:9], vcc
	s_xor_b64 s[8:9], exec, s[8:9]
; %bb.3002:
	v_bfe_u32 v5, v4, 20, 1
	s_mov_b32 s10, 0x407ffff
	v_add3_u32 v5, v4, v5, s10
	v_lshrrev_b32_e32 v6, 20, v5
	v_and_b32_e32 v5, 0xff00000, v5
	s_mov_b32 s10, 0x7f00000
	v_mov_b32_e32 v7, 0x7e
	v_cmp_ne_u32_e32 vcc, s10, v5
	v_cndmask_b32_e32 v5, v7, v6, vcc
; %bb.3003:
	s_andn2_saveexec_b64 s[8:9], s[8:9]
; %bb.3004:
	s_mov_b32 s10, 0x46800000
	v_add_f32_e64 v5, |v4|, s10
; %bb.3005:
	s_or_b64 exec, exec, s[8:9]
                                        ; implicit-def: $vgpr6
.LBB203_3006:
	s_andn2_saveexec_b64 s[6:7], s[6:7]
; %bb.3007:
	s_mov_b32 s8, 0x7f800000
	v_mov_b32_e32 v5, 0x7e
	v_mov_b32_e32 v7, 0x7f
	v_cmp_lt_u32_e32 vcc, s8, v6
	v_cndmask_b32_e32 v5, v5, v7, vcc
; %bb.3008:
	s_or_b64 exec, exec, s[6:7]
	v_lshrrev_b32_e32 v4, 24, v4
	s_movk_i32 s6, 0x80
	v_and_or_b32 v4, v4, s6, v5
	global_store_byte v[2:3], v4, off
.LBB203_3009:
	s_mov_b64 s[6:7], 0
.LBB203_3010:
	s_andn2_b64 vcc, exec, s[6:7]
	s_cbranch_vccnz .LBB203_3020
; %bb.3011:
	v_cvt_f32_f16_e32 v4, v0
	s_mov_b32 s6, 0x47800000
                                        ; implicit-def: $vgpr5
	v_and_b32_e32 v6, 0x7fffffff, v4
	v_cmp_gt_u32_e32 vcc, s6, v6
	s_and_saveexec_b64 s[6:7], vcc
	s_xor_b64 s[6:7], exec, s[6:7]
	s_cbranch_execz .LBB203_3017
; %bb.3012:
	s_mov_b32 s8, 0x387fffff
	v_cmp_lt_u32_e32 vcc, s8, v6
                                        ; implicit-def: $vgpr5
	s_and_saveexec_b64 s[8:9], vcc
	s_xor_b64 s[8:9], exec, s[8:9]
; %bb.3013:
	v_bfe_u32 v5, v4, 21, 1
	s_mov_b32 s10, 0x80fffff
	v_add3_u32 v5, v4, v5, s10
	v_lshrrev_b32_e32 v5, 21, v5
; %bb.3014:
	s_andn2_saveexec_b64 s[8:9], s[8:9]
; %bb.3015:
	s_mov_b32 s10, 0x43000000
	v_add_f32_e64 v5, |v4|, s10
; %bb.3016:
	s_or_b64 exec, exec, s[8:9]
                                        ; implicit-def: $vgpr6
.LBB203_3017:
	s_andn2_saveexec_b64 s[6:7], s[6:7]
; %bb.3018:
	s_mov_b32 s8, 0x7f800000
	v_mov_b32_e32 v5, 0x7c
	v_mov_b32_e32 v7, 0x7f
	v_cmp_lt_u32_e32 vcc, s8, v6
	v_cndmask_b32_e32 v5, v5, v7, vcc
; %bb.3019:
	s_or_b64 exec, exec, s[6:7]
	v_lshrrev_b32_e32 v4, 24, v4
	s_movk_i32 s6, 0x80
	v_and_or_b32 v4, v4, s6, v5
	global_store_byte v[2:3], v4, off
.LBB203_3020:
	s_mov_b64 s[6:7], 0
.LBB203_3021:
	s_andn2_b64 vcc, exec, s[6:7]
	s_mov_b64 s[6:7], 0
	s_cbranch_vccnz .LBB203_3028
; %bb.3022:
	v_cmp_lt_i16_e32 vcc, 14, v1
	s_mov_b64 s[8:9], -1
	s_cbranch_vccz .LBB203_3026
; %bb.3023:
	v_cmp_eq_u16_e32 vcc, 15, v1
	s_mov_b64 s[4:5], -1
	s_cbranch_vccz .LBB203_3025
; %bb.3024:
	v_cvt_f32_f16_e32 v4, v0
	s_movk_i32 s4, 0x7fff
	v_mov_b32_e32 v5, 0x7fc0
	v_cmp_o_f16_e32 vcc, v0, v0
	v_bfe_u32 v6, v4, 16, 1
	v_add3_u32 v4, v4, v6, s4
	v_lshrrev_b32_e32 v4, 16, v4
	v_cndmask_b32_e32 v4, v5, v4, vcc
	global_store_short v[2:3], v4, off
	s_mov_b64 s[4:5], 0
.LBB203_3025:
	s_mov_b64 s[8:9], 0
.LBB203_3026:
	s_and_b64 vcc, exec, s[8:9]
	s_cbranch_vccz .LBB203_3028
; %bb.3027:
	v_cmp_ne_u16_e64 s[4:5], 11, v1
	s_mov_b64 s[6:7], -1
.LBB203_3028:
	s_and_b64 vcc, exec, s[4:5]
	s_cbranch_vccnz .LBB203_3083
.LBB203_3029:
	s_mov_b64 s[4:5], 0
	s_branch .LBB203_3031
.LBB203_3030:
	s_mov_b64 s[4:5], 0
	s_mov_b64 s[6:7], 0
                                        ; implicit-def: $vgpr1
                                        ; implicit-def: $vgpr2_vgpr3
                                        ; implicit-def: $vgpr0
.LBB203_3031:
	s_and_b64 s[28:29], s[6:7], exec
	s_andn2_b64 s[6:7], s[40:41], exec
	s_and_b64 s[8:9], s[42:43], exec
	s_and_b64 s[4:5], s[4:5], exec
	s_or_b64 s[40:41], s[6:7], s[8:9]
.LBB203_3032:
	s_or_b64 exec, exec, s[34:35]
	s_and_saveexec_b64 s[6:7], s[40:41]
	s_cbranch_execz .LBB203_3035
; %bb.3033:
	; divergent unreachable
	s_or_b64 exec, exec, s[6:7]
	s_and_saveexec_b64 s[6:7], s[28:29]
	s_xor_b64 s[6:7], exec, s[6:7]
	s_cbranch_execnz .LBB203_3036
.LBB203_3034:
	s_or_b64 exec, exec, s[6:7]
	s_and_saveexec_b64 s[6:7], s[4:5]
	s_cbranch_execnz .LBB203_3037
	s_branch .LBB203_3074
.LBB203_3035:
	s_or_b64 exec, exec, s[6:7]
	s_and_saveexec_b64 s[6:7], s[28:29]
	s_xor_b64 s[6:7], exec, s[6:7]
	s_cbranch_execz .LBB203_3034
.LBB203_3036:
	s_waitcnt vmcnt(0)
	v_and_b32_e32 v4, 0x7fff, v0
	v_cmp_ne_u16_e32 vcc, 0, v4
	v_cndmask_b32_e64 v4, 0, 1, vcc
	global_store_byte v[2:3], v4, off
	s_or_b64 exec, exec, s[6:7]
	s_and_saveexec_b64 s[6:7], s[4:5]
	s_cbranch_execz .LBB203_3074
.LBB203_3037:
	s_waitcnt vmcnt(0)
	v_cmp_gt_i16_e32 vcc, 5, v1
	s_mov_b64 s[4:5], -1
	s_cbranch_vccnz .LBB203_3058
; %bb.3038:
	v_cmp_gt_i16_e32 vcc, 8, v1
	s_cbranch_vccnz .LBB203_3048
; %bb.3039:
	v_cmp_gt_i16_e32 vcc, 9, v1
	s_cbranch_vccnz .LBB203_3045
; %bb.3040:
	v_cmp_lt_i16_e32 vcc, 9, v1
	s_cbranch_vccz .LBB203_3042
; %bb.3041:
	v_cvt_f32_f16_e32 v4, v0
	v_mov_b32_e32 v6, 0
	v_mov_b32_e32 v7, v6
	s_mov_b64 s[4:5], 0
	v_cvt_f64_f32_e32 v[4:5], v4
	global_store_dwordx4 v[2:3], v[4:7], off
.LBB203_3042:
	s_andn2_b64 vcc, exec, s[4:5]
	s_cbranch_vccnz .LBB203_3044
; %bb.3043:
	v_cvt_f32_f16_e32 v4, v0
	v_mov_b32_e32 v5, 0
	global_store_dwordx2 v[2:3], v[4:5], off
.LBB203_3044:
	s_mov_b64 s[4:5], 0
.LBB203_3045:
	s_andn2_b64 vcc, exec, s[4:5]
	s_cbranch_vccnz .LBB203_3047
; %bb.3046:
	v_and_b32_e32 v4, 0xffff, v0
	global_store_dword v[2:3], v4, off
.LBB203_3047:
	s_mov_b64 s[4:5], 0
.LBB203_3048:
	s_andn2_b64 vcc, exec, s[4:5]
	s_cbranch_vccnz .LBB203_3057
; %bb.3049:
	v_cmp_gt_i16_e32 vcc, 6, v1
	s_mov_b64 s[4:5], -1
	s_cbranch_vccnz .LBB203_3055
; %bb.3050:
	v_cmp_lt_i16_e32 vcc, 6, v1
	s_cbranch_vccz .LBB203_3052
; %bb.3051:
	v_cvt_f32_f16_e32 v4, v0
	s_mov_b64 s[4:5], 0
	v_cvt_f64_f32_e32 v[4:5], v4
	global_store_dwordx2 v[2:3], v[4:5], off
.LBB203_3052:
	s_andn2_b64 vcc, exec, s[4:5]
	s_cbranch_vccnz .LBB203_3054
; %bb.3053:
	v_cvt_f32_f16_e32 v4, v0
	global_store_dword v[2:3], v4, off
.LBB203_3054:
	s_mov_b64 s[4:5], 0
.LBB203_3055:
	s_andn2_b64 vcc, exec, s[4:5]
	s_cbranch_vccnz .LBB203_3057
; %bb.3056:
	global_store_short v[2:3], v0, off
.LBB203_3057:
	s_mov_b64 s[4:5], 0
.LBB203_3058:
	s_andn2_b64 vcc, exec, s[4:5]
	s_cbranch_vccnz .LBB203_3074
; %bb.3059:
	v_cmp_gt_i16_e32 vcc, 2, v1
	s_mov_b64 s[4:5], -1
	s_cbranch_vccnz .LBB203_3069
; %bb.3060:
	v_cmp_gt_i16_e32 vcc, 3, v1
	s_cbranch_vccnz .LBB203_3066
; %bb.3061:
	v_cmp_lt_i16_e32 vcc, 3, v1
	s_cbranch_vccz .LBB203_3063
; %bb.3062:
	v_cvt_f32_f16_e32 v4, v0
	s_mov_b64 s[4:5], 0
	v_cvt_i32_f32_e32 v4, v4
	v_ashrrev_i32_e32 v5, 31, v4
	global_store_dwordx2 v[2:3], v[4:5], off
.LBB203_3063:
	s_andn2_b64 vcc, exec, s[4:5]
	s_cbranch_vccnz .LBB203_3065
; %bb.3064:
	v_cvt_f32_f16_e32 v4, v0
	v_cvt_i32_f32_e32 v4, v4
	global_store_dword v[2:3], v4, off
.LBB203_3065:
	s_mov_b64 s[4:5], 0
.LBB203_3066:
	s_andn2_b64 vcc, exec, s[4:5]
	s_cbranch_vccnz .LBB203_3068
; %bb.3067:
	v_cvt_i16_f16_e32 v4, v0
	global_store_short v[2:3], v4, off
.LBB203_3068:
	s_mov_b64 s[4:5], 0
.LBB203_3069:
	s_andn2_b64 vcc, exec, s[4:5]
	s_cbranch_vccnz .LBB203_3074
; %bb.3070:
	v_cmp_lt_i16_e32 vcc, 0, v1
	s_mov_b64 s[4:5], -1
	s_cbranch_vccz .LBB203_3072
; %bb.3071:
	v_cvt_i16_f16_e32 v1, v0
	global_store_byte v[2:3], v1, off
	s_mov_b64 s[4:5], 0
.LBB203_3072:
	s_andn2_b64 vcc, exec, s[4:5]
	s_cbranch_vccnz .LBB203_3074
; %bb.3073:
	v_cvt_f32_f16_e32 v0, v0
	v_cvt_i32_f32_e32 v0, v0
	global_store_byte v[2:3], v0, off
	s_endpgm
.LBB203_3074:
	s_endpgm
.LBB203_3075:
	s_mov_b64 s[6:7], 0
	s_mov_b64 s[4:5], -1
	s_branch .LBB203_3031
.LBB203_3076:
	s_or_saveexec_b64 s[12:13], s[12:13]
                                        ; implicit-def: $sgpr14
	s_xor_b64 exec, exec, s[12:13]
	s_cbranch_execz .LBB203_2864
.LBB203_3077:
	s_mov_b32 s14, 0x46000000
	v_add_f32_e64 v4, |v1|, s14
	v_and_b32_e32 v4, 0xff, v4
	v_cmp_ne_u32_e32 vcc, 0, v4
	s_andn2_b64 s[10:11], s[10:11], exec
	s_and_b64 s[16:17], vcc, exec
	s_mov_b32 s14, 0
	s_or_b64 s[10:11], s[10:11], s[16:17]
	s_or_b64 exec, exec, s[12:13]
	v_mov_b32_e32 v5, s14
	s_and_saveexec_b64 s[12:13], s[10:11]
	s_cbranch_execnz .LBB203_2865
	s_branch .LBB203_2866
.LBB203_3078:
	s_trap 2
	s_or_b64 s[42:43], s[42:43], exec
	s_cbranch_execz .LBB203_2912
	s_branch .LBB203_2913
.LBB203_3079:
	s_or_saveexec_b64 s[10:11], s[10:11]
                                        ; implicit-def: $sgpr12
	s_xor_b64 exec, exec, s[10:11]
	s_cbranch_execz .LBB203_2877
.LBB203_3080:
	s_mov_b32 s12, 0x42800000
	v_add_f32_e64 v4, |v1|, s12
	v_and_b32_e32 v4, 0xff, v4
	v_cmp_ne_u32_e32 vcc, 0, v4
	s_andn2_b64 s[8:9], s[8:9], exec
	s_and_b64 s[14:15], vcc, exec
	s_mov_b32 s12, 0
	s_or_b64 s[8:9], s[8:9], s[14:15]
	s_or_b64 exec, exec, s[10:11]
	v_mov_b32_e32 v5, s12
	s_and_saveexec_b64 s[10:11], s[8:9]
	s_cbranch_execnz .LBB203_2878
	s_branch .LBB203_2879
.LBB203_3081:
	s_or_saveexec_b64 s[12:13], s[12:13]
                                        ; implicit-def: $sgpr14
	s_xor_b64 exec, exec, s[12:13]
	s_cbranch_execz .LBB203_2983
.LBB203_3082:
	s_mov_b32 s14, 0x46000000
	v_add_f32_e64 v5, |v4|, s14
	v_and_b32_e32 v5, 0xff, v5
	v_cmp_ne_u32_e32 vcc, 0, v5
	s_andn2_b64 s[10:11], s[10:11], exec
	s_and_b64 s[16:17], vcc, exec
	s_mov_b32 s14, 0
	s_or_b64 s[10:11], s[10:11], s[16:17]
	s_or_b64 exec, exec, s[12:13]
	v_mov_b32_e32 v6, s14
	s_and_saveexec_b64 s[12:13], s[10:11]
	s_cbranch_execnz .LBB203_2984
	s_branch .LBB203_2985
.LBB203_3083:
	s_mov_b64 s[6:7], 0
	s_or_b64 s[42:43], s[42:43], exec
	s_trap 2
	s_branch .LBB203_3029
.LBB203_3084:
	s_or_saveexec_b64 s[10:11], s[10:11]
                                        ; implicit-def: $sgpr12
	s_xor_b64 exec, exec, s[10:11]
	s_cbranch_execz .LBB203_2995
.LBB203_3085:
	s_mov_b32 s12, 0x42800000
	v_add_f32_e64 v5, |v4|, s12
	v_and_b32_e32 v5, 0xff, v5
	v_cmp_ne_u32_e32 vcc, 0, v5
	s_andn2_b64 s[8:9], s[8:9], exec
	s_and_b64 s[14:15], vcc, exec
	s_mov_b32 s12, 0
	s_or_b64 s[8:9], s[8:9], s[14:15]
	s_or_b64 exec, exec, s[10:11]
	v_mov_b32_e32 v6, s12
	s_and_saveexec_b64 s[10:11], s[8:9]
	s_cbranch_execnz .LBB203_2996
	s_branch .LBB203_2997
	.section	.rodata,"a",@progbits
	.p2align	6, 0x0
	.amdhsa_kernel _ZN2at6native32elementwise_kernel_manual_unrollILi128ELi4EZNS0_15gpu_kernel_implIZZZNS0_33launch_standard_gamma_grad_kernelERNS_18TensorIteratorBaseEENKUlvE_clEvENKUlvE1_clEvEUlN3c104HalfES8_E_EEvS4_RKT_EUlibE_EEviT1_
		.amdhsa_group_segment_fixed_size 0
		.amdhsa_private_segment_fixed_size 0
		.amdhsa_kernarg_size 48
		.amdhsa_user_sgpr_count 8
		.amdhsa_user_sgpr_private_segment_buffer 1
		.amdhsa_user_sgpr_dispatch_ptr 0
		.amdhsa_user_sgpr_queue_ptr 0
		.amdhsa_user_sgpr_kernarg_segment_ptr 1
		.amdhsa_user_sgpr_dispatch_id 0
		.amdhsa_user_sgpr_flat_scratch_init 1
		.amdhsa_user_sgpr_kernarg_preload_length 0
		.amdhsa_user_sgpr_kernarg_preload_offset 0
		.amdhsa_user_sgpr_private_segment_size 0
		.amdhsa_uses_dynamic_stack 0
		.amdhsa_system_sgpr_private_segment_wavefront_offset 0
		.amdhsa_system_sgpr_workgroup_id_x 1
		.amdhsa_system_sgpr_workgroup_id_y 0
		.amdhsa_system_sgpr_workgroup_id_z 0
		.amdhsa_system_sgpr_workgroup_info 0
		.amdhsa_system_vgpr_workitem_id 0
		.amdhsa_next_free_vgpr 39
		.amdhsa_next_free_sgpr 62
		.amdhsa_accum_offset 40
		.amdhsa_reserve_vcc 1
		.amdhsa_reserve_flat_scratch 1
		.amdhsa_float_round_mode_32 0
		.amdhsa_float_round_mode_16_64 0
		.amdhsa_float_denorm_mode_32 3
		.amdhsa_float_denorm_mode_16_64 3
		.amdhsa_dx10_clamp 1
		.amdhsa_ieee_mode 1
		.amdhsa_fp16_overflow 0
		.amdhsa_tg_split 0
		.amdhsa_exception_fp_ieee_invalid_op 0
		.amdhsa_exception_fp_denorm_src 0
		.amdhsa_exception_fp_ieee_div_zero 0
		.amdhsa_exception_fp_ieee_overflow 0
		.amdhsa_exception_fp_ieee_underflow 0
		.amdhsa_exception_fp_ieee_inexact 0
		.amdhsa_exception_int_div_zero 0
	.end_amdhsa_kernel
	.section	.text._ZN2at6native32elementwise_kernel_manual_unrollILi128ELi4EZNS0_15gpu_kernel_implIZZZNS0_33launch_standard_gamma_grad_kernelERNS_18TensorIteratorBaseEENKUlvE_clEvENKUlvE1_clEvEUlN3c104HalfES8_E_EEvS4_RKT_EUlibE_EEviT1_,"axG",@progbits,_ZN2at6native32elementwise_kernel_manual_unrollILi128ELi4EZNS0_15gpu_kernel_implIZZZNS0_33launch_standard_gamma_grad_kernelERNS_18TensorIteratorBaseEENKUlvE_clEvENKUlvE1_clEvEUlN3c104HalfES8_E_EEvS4_RKT_EUlibE_EEviT1_,comdat
.Lfunc_end203:
	.size	_ZN2at6native32elementwise_kernel_manual_unrollILi128ELi4EZNS0_15gpu_kernel_implIZZZNS0_33launch_standard_gamma_grad_kernelERNS_18TensorIteratorBaseEENKUlvE_clEvENKUlvE1_clEvEUlN3c104HalfES8_E_EEvS4_RKT_EUlibE_EEviT1_, .Lfunc_end203-_ZN2at6native32elementwise_kernel_manual_unrollILi128ELi4EZNS0_15gpu_kernel_implIZZZNS0_33launch_standard_gamma_grad_kernelERNS_18TensorIteratorBaseEENKUlvE_clEvENKUlvE1_clEvEUlN3c104HalfES8_E_EEvS4_RKT_EUlibE_EEviT1_
                                        ; -- End function
	.section	.AMDGPU.csdata,"",@progbits
; Kernel info:
; codeLenInByte = 54012
; NumSgprs: 68
; NumVgprs: 39
; NumAgprs: 0
; TotalNumVgprs: 39
; ScratchSize: 0
; MemoryBound: 0
; FloatMode: 240
; IeeeMode: 1
; LDSByteSize: 0 bytes/workgroup (compile time only)
; SGPRBlocks: 8
; VGPRBlocks: 4
; NumSGPRsForWavesPerEU: 68
; NumVGPRsForWavesPerEU: 39
; AccumOffset: 40
; Occupancy: 8
; WaveLimiterHint : 0
; COMPUTE_PGM_RSRC2:SCRATCH_EN: 0
; COMPUTE_PGM_RSRC2:USER_SGPR: 8
; COMPUTE_PGM_RSRC2:TRAP_HANDLER: 0
; COMPUTE_PGM_RSRC2:TGID_X_EN: 1
; COMPUTE_PGM_RSRC2:TGID_Y_EN: 0
; COMPUTE_PGM_RSRC2:TGID_Z_EN: 0
; COMPUTE_PGM_RSRC2:TIDIG_COMP_CNT: 0
; COMPUTE_PGM_RSRC3_GFX90A:ACCUM_OFFSET: 9
; COMPUTE_PGM_RSRC3_GFX90A:TG_SPLIT: 0
	.section	.text._ZN2at6native32elementwise_kernel_manual_unrollILi128ELi4EZNS0_15gpu_kernel_implIZZZNS0_33launch_standard_gamma_grad_kernelERNS_18TensorIteratorBaseEENKUlvE_clEvENKUlvE1_clEvEUlN3c104HalfES8_E_EEvS4_RKT_EUlibE0_EEviT1_,"axG",@progbits,_ZN2at6native32elementwise_kernel_manual_unrollILi128ELi4EZNS0_15gpu_kernel_implIZZZNS0_33launch_standard_gamma_grad_kernelERNS_18TensorIteratorBaseEENKUlvE_clEvENKUlvE1_clEvEUlN3c104HalfES8_E_EEvS4_RKT_EUlibE0_EEviT1_,comdat
	.globl	_ZN2at6native32elementwise_kernel_manual_unrollILi128ELi4EZNS0_15gpu_kernel_implIZZZNS0_33launch_standard_gamma_grad_kernelERNS_18TensorIteratorBaseEENKUlvE_clEvENKUlvE1_clEvEUlN3c104HalfES8_E_EEvS4_RKT_EUlibE0_EEviT1_ ; -- Begin function _ZN2at6native32elementwise_kernel_manual_unrollILi128ELi4EZNS0_15gpu_kernel_implIZZZNS0_33launch_standard_gamma_grad_kernelERNS_18TensorIteratorBaseEENKUlvE_clEvENKUlvE1_clEvEUlN3c104HalfES8_E_EEvS4_RKT_EUlibE0_EEviT1_
	.p2align	8
	.type	_ZN2at6native32elementwise_kernel_manual_unrollILi128ELi4EZNS0_15gpu_kernel_implIZZZNS0_33launch_standard_gamma_grad_kernelERNS_18TensorIteratorBaseEENKUlvE_clEvENKUlvE1_clEvEUlN3c104HalfES8_E_EEvS4_RKT_EUlibE0_EEviT1_,@function
_ZN2at6native32elementwise_kernel_manual_unrollILi128ELi4EZNS0_15gpu_kernel_implIZZZNS0_33launch_standard_gamma_grad_kernelERNS_18TensorIteratorBaseEENKUlvE_clEvENKUlvE1_clEvEUlN3c104HalfES8_E_EEvS4_RKT_EUlibE0_EEviT1_: ; @_ZN2at6native32elementwise_kernel_manual_unrollILi128ELi4EZNS0_15gpu_kernel_implIZZZNS0_33launch_standard_gamma_grad_kernelERNS_18TensorIteratorBaseEENKUlvE_clEvENKUlvE1_clEvEUlN3c104HalfES8_E_EEvS4_RKT_EUlibE0_EEviT1_
; %bb.0:
	s_load_dword s82, s[4:5], 0x0
	s_load_dword s33, s[4:5], 0x8
	s_add_u32 flat_scratch_lo, s6, s9
	s_addc_u32 flat_scratch_hi, s7, 0
	s_add_u32 s0, s0, s9
	s_addc_u32 s1, s1, 0
	s_or_b32 s22, s4, 8
	v_lshl_or_b32 v34, s8, 9, v0
	s_waitcnt lgkmcnt(0)
	s_add_i32 s80, s33, -1
	v_or_b32_e32 v16, 0x180, v34
	s_cmp_gt_u32 s80, 1
	s_mov_b32 s23, s5
	v_cmp_le_i32_e32 vcc, s82, v16
	s_cselect_b64 s[34:35], -1, 0
	s_mov_b64 s[28:29], 0
	s_mov_b64 s[36:37], 0
	s_mov_b32 s32, 0
	s_and_saveexec_b64 s[6:7], vcc
	s_xor_b64 s[44:45], exec, s[6:7]
	s_cbranch_execz .LBB204_1585
; %bb.1:
	v_mov_b32_e32 v0, 0
	global_load_ushort v32, v0, s[22:23] offset:417
	global_load_sbyte v33, v0, s[22:23] offset:419
	s_load_dwordx4 s[40:43], s[22:23], 0x4
	s_load_dwordx2 s[50:51], s[22:23], 0x14
	s_load_dwordx4 s[36:39], s[22:23], 0xc4
	s_load_dwordx2 s[48:49], s[22:23], 0xd4
	s_load_dwordx2 s[46:47], s[22:23], 0x198
	s_load_dwordx4 s[24:27], s[22:23], 0x188
	s_cmp_lg_u32 s33, 0
	s_cselect_b64 s[54:55], -1, 0
	s_min_u32 s81, s80, 15
	s_cmp_gt_u32 s33, 1
	v_cmp_gt_i32_e32 vcc, s82, v34
	s_mov_b64 s[6:7], -1
	s_mov_b64 s[66:67], 0
	s_mov_b64 s[60:61], 0
	;; [unrolled: 1-line block ×3, first 2 shown]
	s_cselect_b64 s[52:53], -1, 0
	s_mov_b64 s[56:57], 0
	s_waitcnt vmcnt(1)
	v_lshrrev_b32_e32 v35, 8, v32
	s_and_saveexec_b64 s[62:63], vcc
	s_cbranch_execz .LBB204_393
; %bb.2:
	s_andn2_b64 vcc, exec, s[34:35]
	s_cbranch_vccnz .LBB204_9
; %bb.3:
	s_andn2_b64 vcc, exec, s[54:55]
	v_mov_b32_e32 v2, 0
	v_mov_b32_e32 v0, 0
	;; [unrolled: 1-line block ×3, first 2 shown]
	s_cbranch_vccnz .LBB204_8
; %bb.4:
	s_add_i32 s6, s81, 1
	s_and_b32 s8, s6, 30
	s_add_u32 s6, s22, 0xffffffec
	s_addc_u32 s7, s23, -1
	v_mov_b32_e32 v30, 0
	v_mov_b32_e32 v1, v34
	;; [unrolled: 1-line block ×4, first 2 shown]
.LBB204_5:                              ; =>This Inner Loop Header: Depth=1
	s_mov_b64 s[10:11], s[6:7]
	s_load_dwordx4 s[12:15], s[10:11], 0x18
	s_load_dwordx2 s[20:21], s[10:11], 0x28
	s_load_dwordx2 s[30:31], s[10:11], 0xe8
	s_load_dwordx4 s[16:19], s[10:11], 0xd8
	s_add_u32 s6, s10, 24
	s_waitcnt lgkmcnt(0)
	v_mul_hi_u32 v3, s13, v1
	v_add_u32_e32 v3, v1, v3
	v_lshrrev_b32_e32 v3, s14, v3
	v_mul_lo_u32 v4, v3, s12
	v_mul_hi_u32 v5, s20, v3
	v_sub_u32_e32 v1, v1, v4
	v_add_u32_e32 v4, v3, v5
	v_mul_lo_u32 v5, v1, s16
	v_mul_lo_u32 v6, v1, s17
	;; [unrolled: 1-line block ×3, first 2 shown]
	v_lshrrev_b32_e32 v1, s21, v4
	v_mul_lo_u32 v4, v1, s15
	v_sub_u32_e32 v3, v3, v4
	s_addc_u32 s7, s11, 0
	s_add_i32 s8, s8, -2
	v_mul_lo_u32 v4, v3, s19
	v_mul_lo_u32 v8, v3, s30
	;; [unrolled: 1-line block ×3, first 2 shown]
	s_cmp_lg_u32 s8, 0
	v_add3_u32 v30, v5, v30, v4
	v_add3_u32 v2, v7, v2, v3
	;; [unrolled: 1-line block ×3, first 2 shown]
	s_cbranch_scc1 .LBB204_5
; %bb.6:
	s_bitcmp1_b32 s81, 0
	s_cselect_b64 s[8:9], -1, 0
	s_and_b64 vcc, exec, s[8:9]
	s_cbranch_vccnz .LBB204_8
; %bb.7:
	s_load_dwordx2 s[8:9], s[6:7], 0x18
	s_load_dword s10, s[6:7], 0x20
	s_load_dword s11, s[6:7], 0xe0
	s_nop 0
	s_load_dwordx2 s[6:7], s[6:7], 0xd8
	s_waitcnt lgkmcnt(0)
	v_mul_hi_u32 v3, s9, v1
	v_add_u32_e32 v3, v1, v3
	v_lshrrev_b32_e32 v3, s10, v3
	v_mul_lo_u32 v3, v3, s8
	v_sub_u32_e32 v3, v1, v3
	v_mad_u64_u32 v[30:31], s[8:9], v3, s6, v[30:31]
	v_mad_u64_u32 v[0:1], s[6:7], v3, s7, v[0:1]
	;; [unrolled: 1-line block ×3, first 2 shown]
.LBB204_8:
	s_cbranch_execz .LBB204_10
	s_branch .LBB204_12
.LBB204_9:
                                        ; implicit-def: $vgpr2
                                        ; implicit-def: $vgpr0
                                        ; implicit-def: $vgpr30
	s_andn2_b64 vcc, exec, s[6:7]
	s_cbranch_vccnz .LBB204_12
.LBB204_10:
	s_waitcnt lgkmcnt(0)
	v_mul_hi_u32 v0, s41, v34
	v_add_u32_e32 v0, v34, v0
	v_lshrrev_b32_e32 v1, s42, v0
	v_mul_lo_u32 v0, v1, s40
	v_sub_u32_e32 v0, v34, v0
	v_mul_lo_u32 v30, v0, s36
	v_mul_lo_u32 v2, v0, s38
	s_andn2_b64 vcc, exec, s[52:53]
	v_mul_lo_u32 v0, v0, s37
	s_cbranch_vccnz .LBB204_12
; %bb.11:
	v_mul_hi_u32 v3, s50, v1
	v_add_u32_e32 v3, v1, v3
	v_lshrrev_b32_e32 v3, s51, v3
	v_mul_lo_u32 v3, v3, s43
	v_sub_u32_e32 v3, v1, v3
	v_mad_u64_u32 v[30:31], s[6:7], v3, s39, v[30:31]
	v_mad_u64_u32 v[0:1], s[6:7], v3, s48, v[0:1]
	;; [unrolled: 1-line block ×3, first 2 shown]
.LBB204_12:
	s_waitcnt lgkmcnt(0)
	v_mov_b32_e32 v1, s27
	v_add_co_u32_e32 v4, vcc, s26, v0
	v_mov_b32_e32 v0, 11
	v_addc_co_u32_e32 v5, vcc, 0, v1, vcc
	v_cmp_lt_i16_sdwa s[6:7], v35, v0 src0_sel:BYTE_0 src1_sel:DWORD
	s_and_b64 vcc, exec, s[6:7]
	s_cbranch_vccnz .LBB204_19
; %bb.13:
	v_mov_b32_e32 v0, 25
	v_cmp_gt_i16_sdwa s[6:7], v35, v0 src0_sel:BYTE_0 src1_sel:DWORD
	s_and_b64 vcc, exec, s[6:7]
	s_cbranch_vccz .LBB204_28
; %bb.14:
	v_mov_b32_e32 v0, 28
	v_cmp_gt_i16_sdwa s[6:7], v35, v0 src0_sel:BYTE_0 src1_sel:DWORD
	s_and_b64 vcc, exec, s[6:7]
	s_cbranch_vccz .LBB204_38
	;; [unrolled: 5-line block ×4, first 2 shown]
; %bb.17:
	v_mov_b32_e32 v0, 46
	v_cmp_eq_u16_sdwa s[6:7], v35, v0 src0_sel:BYTE_0 src1_sel:DWORD
	s_mov_b64 s[8:9], 0
	s_and_b64 vcc, exec, s[6:7]
	s_cbranch_vccz .LBB204_47
; %bb.18:
	global_load_dword v0, v[4:5], off
	s_mov_b64 s[6:7], -1
	s_mov_b64 s[60:61], 0
	s_waitcnt vmcnt(0)
	v_lshlrev_b32_e32 v0, 16, v0
	v_cvt_f16_f32_e32 v0, v0
	s_branch .LBB204_49
.LBB204_19:
	s_mov_b64 s[60:61], 0
                                        ; implicit-def: $vgpr0
	s_mov_b64 s[6:7], 0
	s_cbranch_execnz .LBB204_115
.LBB204_20:
	s_andn2_b64 vcc, exec, s[6:7]
	s_cbranch_vccnz .LBB204_162
.LBB204_21:
	v_mov_b32_e32 v1, s47
	v_add_co_u32_e32 v2, vcc, s46, v2
	v_addc_co_u32_e32 v3, vcc, 0, v1, vcc
	v_mov_b32_e32 v1, 11
	s_waitcnt vmcnt(0)
	v_cmp_lt_i16_sdwa s[6:7], v33, v1 src0_sel:BYTE_0 src1_sel:DWORD
	s_and_b64 vcc, exec, s[6:7]
	s_cbranch_vccnz .LBB204_29
; %bb.22:
	v_mov_b32_e32 v1, 25
	v_cmp_gt_i16_sdwa s[6:7], v33, v1 src0_sel:BYTE_0 src1_sel:DWORD
	s_and_b64 vcc, exec, s[6:7]
	s_cbranch_vccz .LBB204_39
; %bb.23:
	v_mov_b32_e32 v1, 28
	v_cmp_gt_i16_sdwa s[6:7], v33, v1 src0_sel:BYTE_0 src1_sel:DWORD
	s_and_b64 vcc, exec, s[6:7]
	s_cbranch_vccz .LBB204_42
	;; [unrolled: 5-line block ×4, first 2 shown]
; %bb.26:
	v_mov_b32_e32 v1, 46
	v_cmp_eq_u16_sdwa s[6:7], v33, v1 src0_sel:BYTE_0 src1_sel:DWORD
	s_mov_b64 s[8:9], 0
	s_and_b64 vcc, exec, s[6:7]
	s_cbranch_vccz .LBB204_163
; %bb.27:
	global_load_dword v1, v[2:3], off
	s_mov_b64 s[6:7], -1
	s_mov_b64 s[58:59], 0
	s_waitcnt vmcnt(0)
	v_lshlrev_b32_e32 v1, 16, v1
	v_cvt_f16_f32_e32 v1, v1
	s_branch .LBB204_165
.LBB204_28:
	s_mov_b64 s[60:61], 0
	s_mov_b64 s[6:7], 0
                                        ; implicit-def: $vgpr0
	s_cbranch_execnz .LBB204_80
	s_branch .LBB204_114
.LBB204_29:
	s_mov_b64 s[58:59], 0
                                        ; implicit-def: $vgpr1
	s_mov_b64 s[6:7], 0
	s_cbranch_execnz .LBB204_342
.LBB204_30:
	s_andn2_b64 vcc, exec, s[6:7]
	s_cbranch_vccnz .LBB204_390
.LBB204_31:
	s_mov_b64 s[56:57], s[4:5]
	s_getpc_b64 s[4:5]
	s_add_u32 s4, s4, _ZZZZN2at6native33launch_standard_gamma_grad_kernelERNS_18TensorIteratorBaseEENKUlvE_clEvENKUlvE1_clEvENKUlN3c104HalfES6_E_clES6_S6_@rel32@lo+4
	s_addc_u32 s5, s5, _ZZZZN2at6native33launch_standard_gamma_grad_kernelERNS_18TensorIteratorBaseEENKUlvE_clEvENKUlvE1_clEvENKUlN3c104HalfES6_E_clES6_S6_@rel32@hi+12
	s_swappc_b64 s[30:31], s[4:5]
	v_mov_b32_e32 v1, s25
	v_add_co_u32_e32 v2, vcc, s24, v30
	v_addc_co_u32_e32 v3, vcc, 0, v1, vcc
	v_mov_b32_e32 v1, 11
	v_cmp_lt_i16_sdwa s[4:5], v32, v1 src0_sel:BYTE_0 src1_sel:DWORD
	s_and_b64 vcc, exec, s[4:5]
	s_cbranch_vccnz .LBB204_40
; %bb.32:
	v_mov_b32_e32 v1, 25
	v_cmp_gt_i16_sdwa s[4:5], v32, v1 src0_sel:BYTE_0 src1_sel:DWORD
	s_and_b64 vcc, exec, s[4:5]
	s_cbranch_vccz .LBB204_43
; %bb.33:
	v_mov_b32_e32 v1, 28
	v_cmp_gt_i16_sdwa s[4:5], v32, v1 src0_sel:BYTE_0 src1_sel:DWORD
	s_and_b64 vcc, exec, s[4:5]
	s_mov_b64 s[4:5], s[56:57]
	s_cbranch_vccz .LBB204_46
; %bb.34:
	v_mov_b32_e32 v1, 43
	v_cmp_gt_i16_sdwa s[6:7], v32, v1 src0_sel:BYTE_0 src1_sel:DWORD
	s_and_b64 vcc, exec, s[6:7]
	s_cbranch_vccz .LBB204_53
; %bb.35:
	v_mov_b32_e32 v1, 45
	v_cmp_gt_i16_sdwa s[6:7], v32, v1 src0_sel:BYTE_0 src1_sel:DWORD
	s_and_b64 vcc, exec, s[6:7]
	s_cbranch_vccz .LBB204_168
; %bb.36:
	v_mov_b32_e32 v1, 46
	v_cmp_eq_u16_sdwa s[8:9], v32, v1 src0_sel:BYTE_0 src1_sel:DWORD
	s_mov_b64 s[10:11], 0
	s_mov_b64 s[6:7], -1
	s_and_b64 vcc, exec, s[8:9]
	s_mov_b64 s[8:9], 0
	s_cbranch_vccz .LBB204_169
; %bb.37:
	v_cvt_f32_f16_e32 v1, v0
	s_movk_i32 s6, 0x7fff
	v_mov_b32_e32 v4, 0x7fc0
	v_cmp_o_f16_e32 vcc, v0, v0
	v_bfe_u32 v5, v1, 16, 1
	v_add3_u32 v1, v1, v5, s6
	v_lshrrev_b32_e32 v1, 16, v1
	v_cndmask_b32_e32 v1, v4, v1, vcc
	global_store_dword v[2:3], v1, off
	s_mov_b64 s[8:9], -1
	s_mov_b64 s[6:7], 0
	s_branch .LBB204_169
.LBB204_38:
	s_mov_b64 s[8:9], -1
	s_mov_b64 s[60:61], 0
	s_mov_b64 s[6:7], 0
                                        ; implicit-def: $vgpr0
	s_branch .LBB204_61
.LBB204_39:
	s_mov_b64 s[8:9], -1
	s_mov_b64 s[58:59], 0
	s_mov_b64 s[6:7], 0
                                        ; implicit-def: $vgpr1
	s_branch .LBB204_306
.LBB204_40:
	s_mov_b64 s[10:11], -1
	s_mov_b64 s[6:7], 0
	s_mov_b64 s[8:9], 0
	;; [unrolled: 1-line block ×3, first 2 shown]
	s_branch .LBB204_238
.LBB204_41:
	s_mov_b64 s[8:9], -1
	s_mov_b64 s[60:61], 0
	s_mov_b64 s[6:7], 0
                                        ; implicit-def: $vgpr0
	s_branch .LBB204_56
.LBB204_42:
	s_mov_b64 s[8:9], -1
	s_mov_b64 s[58:59], 0
	s_mov_b64 s[6:7], 0
                                        ; implicit-def: $vgpr1
	s_branch .LBB204_287
.LBB204_43:
	s_mov_b64 s[10:11], -1
	s_mov_b64 s[6:7], 0
	s_mov_b64 s[8:9], 0
	;; [unrolled: 1-line block ×3, first 2 shown]
	s_branch .LBB204_196
.LBB204_44:
	s_mov_b64 s[8:9], -1
	s_mov_b64 s[60:61], 0
	s_branch .LBB204_48
.LBB204_45:
	s_mov_b64 s[8:9], -1
	s_mov_b64 s[58:59], 0
	s_mov_b64 s[6:7], 0
                                        ; implicit-def: $vgpr1
	s_branch .LBB204_282
.LBB204_46:
	s_mov_b64 s[10:11], -1
	s_mov_b64 s[6:7], 0
	s_mov_b64 s[8:9], 0
	s_branch .LBB204_179
.LBB204_47:
	s_mov_b64 s[60:61], -1
.LBB204_48:
	s_mov_b64 s[6:7], 0
                                        ; implicit-def: $vgpr0
.LBB204_49:
	s_and_b64 vcc, exec, s[8:9]
	s_cbranch_vccz .LBB204_55
; %bb.50:
	v_mov_b32_e32 v0, 44
	v_cmp_eq_u16_sdwa s[8:9], v35, v0 src0_sel:BYTE_0 src1_sel:DWORD
	s_and_b64 vcc, exec, s[8:9]
	s_cbranch_vccz .LBB204_54
; %bb.51:
	global_load_ubyte v0, v[4:5], off
	s_movk_i32 s8, 0xff
	v_mov_b32_e32 v3, 0x7e00
	s_mov_b64 s[6:7], -1
	s_mov_b64 s[60:61], 0
	s_waitcnt vmcnt(0)
	v_lshlrev_b32_e32 v1, 23, v0
	v_cvt_f16_f32_e32 v1, v1
	v_cmp_ne_u32_e32 vcc, s8, v0
	v_cndmask_b32_e32 v1, v3, v1, vcc
	v_cmp_ne_u32_e32 vcc, 0, v0
	v_cndmask_b32_e32 v0, 0, v1, vcc
	s_branch .LBB204_55
.LBB204_52:
	s_mov_b64 s[8:9], -1
	s_mov_b64 s[58:59], 0
	s_branch .LBB204_164
.LBB204_53:
	s_mov_b64 s[10:11], -1
	s_mov_b64 s[6:7], 0
	s_mov_b64 s[8:9], 0
	s_branch .LBB204_175
.LBB204_54:
	s_mov_b64 s[60:61], -1
                                        ; implicit-def: $vgpr0
.LBB204_55:
	s_mov_b64 s[8:9], 0
.LBB204_56:
	s_and_b64 vcc, exec, s[8:9]
	s_cbranch_vccz .LBB204_60
; %bb.57:
	v_mov_b32_e32 v0, 29
	v_cmp_eq_u16_sdwa s[8:9], v35, v0 src0_sel:BYTE_0 src1_sel:DWORD
	s_and_b64 vcc, exec, s[8:9]
	s_cbranch_vccz .LBB204_59
; %bb.58:
	global_load_dwordx2 v[0:1], v[4:5], off
	s_mov_b64 s[6:7], -1
	s_mov_b64 s[60:61], 0
	s_mov_b64 s[8:9], 0
	s_waitcnt vmcnt(0)
	v_ffbh_u32_e32 v3, v1
	v_min_u32_e32 v3, 32, v3
	v_lshlrev_b64 v[0:1], v3, v[0:1]
	v_min_u32_e32 v0, 1, v0
	v_or_b32_e32 v0, v1, v0
	v_cvt_f32_u32_e32 v0, v0
	v_sub_u32_e32 v1, 32, v3
	v_ldexp_f32 v0, v0, v1
	v_cvt_f16_f32_e32 v0, v0
	s_branch .LBB204_61
.LBB204_59:
	s_mov_b64 s[60:61], -1
                                        ; implicit-def: $vgpr0
.LBB204_60:
	s_mov_b64 s[8:9], 0
.LBB204_61:
	s_and_b64 vcc, exec, s[8:9]
	s_cbranch_vccz .LBB204_79
; %bb.62:
	v_mov_b32_e32 v0, 27
	v_cmp_lt_i16_sdwa s[6:7], v35, v0 src0_sel:BYTE_0 src1_sel:DWORD
	s_and_b64 vcc, exec, s[6:7]
	s_cbranch_vccnz .LBB204_65
; %bb.63:
	v_cmp_gt_i16_sdwa s[6:7], v35, v0 src0_sel:BYTE_0 src1_sel:DWORD
	s_and_b64 vcc, exec, s[6:7]
	s_cbranch_vccz .LBB204_66
; %bb.64:
	global_load_dword v0, v[4:5], off
	s_mov_b64 s[6:7], 0
	s_waitcnt vmcnt(0)
	v_cvt_f32_u32_e32 v0, v0
	v_cvt_f16_f32_e32 v0, v0
	s_branch .LBB204_67
.LBB204_65:
	s_mov_b64 s[6:7], -1
                                        ; implicit-def: $vgpr0
	s_branch .LBB204_70
.LBB204_66:
	s_mov_b64 s[6:7], -1
                                        ; implicit-def: $vgpr0
.LBB204_67:
	s_andn2_b64 vcc, exec, s[6:7]
	s_cbranch_vccnz .LBB204_69
; %bb.68:
	global_load_ushort v0, v[4:5], off
	s_waitcnt vmcnt(0)
	v_cvt_f16_u16_e32 v0, v0
.LBB204_69:
	s_mov_b64 s[6:7], 0
.LBB204_70:
	s_andn2_b64 vcc, exec, s[6:7]
	s_cbranch_vccnz .LBB204_78
; %bb.71:
	global_load_ubyte v1, v[4:5], off
	s_movk_i32 s6, 0x7f
                                        ; implicit-def: $sgpr12
	s_waitcnt vmcnt(0)
	v_cmp_lt_i16_e32 vcc, s6, v1
	s_mov_b64 s[6:7], 0
	s_and_saveexec_b64 s[8:9], vcc
	s_xor_b64 s[8:9], exec, s[8:9]
	s_cbranch_execz .LBB204_91
; %bb.72:
	s_movk_i32 s6, 0x80
	v_cmp_eq_u16_e32 vcc, s6, v1
	s_mov_b64 s[6:7], -1
                                        ; implicit-def: $sgpr12
	s_and_saveexec_b64 s[10:11], vcc
; %bb.73:
	s_movk_i32 s12, 0x7e00
	s_xor_b64 s[6:7], exec, -1
; %bb.74:
	s_or_b64 exec, exec, s[10:11]
	s_and_b64 s[6:7], s[6:7], exec
	s_or_saveexec_b64 s[8:9], s[8:9]
	v_mov_b32_e32 v0, s12
	s_xor_b64 exec, exec, s[8:9]
	s_cbranch_execnz .LBB204_92
.LBB204_75:
	s_or_b64 exec, exec, s[8:9]
	s_and_saveexec_b64 s[8:9], s[6:7]
	s_cbranch_execz .LBB204_77
.LBB204_76:
	v_lshlrev_b32_e32 v0, 24, v1
	v_and_b32_e32 v1, 0xffff, v1
	v_and_b32_e32 v3, 7, v1
	v_ffbh_u32_e32 v7, v3
	v_min_u32_e32 v7, 32, v7
	v_subrev_u32_e32 v8, 28, v7
	v_bfe_u32 v6, v1, 3, 4
	v_lshlrev_b32_e32 v1, v8, v1
	v_sub_u32_e32 v7, 29, v7
	v_and_b32_e32 v1, 7, v1
	v_cmp_eq_u32_e32 vcc, 0, v6
	v_cndmask_b32_e32 v6, v6, v7, vcc
	v_cndmask_b32_e32 v1, v3, v1, vcc
	v_mov_b32_e32 v3, 0x3b800000
	v_lshlrev_b32_e32 v1, 20, v1
	v_and_b32_e32 v0, 0x80000000, v0
	v_lshl_add_u32 v3, v6, 23, v3
	v_or3_b32 v0, v0, v3, v1
	v_cvt_f16_f32_e32 v0, v0
.LBB204_77:
	s_or_b64 exec, exec, s[8:9]
.LBB204_78:
	s_mov_b64 s[6:7], -1
.LBB204_79:
	s_branch .LBB204_114
.LBB204_80:
	v_mov_b32_e32 v0, 22
	v_cmp_gt_i16_sdwa s[8:9], v35, v0 src0_sel:BYTE_0 src1_sel:DWORD
	s_and_b64 vcc, exec, s[8:9]
	s_cbranch_vccz .LBB204_90
; %bb.81:
	v_mov_b32_e32 v0, 24
	v_cmp_lt_i16_sdwa s[6:7], v35, v0 src0_sel:BYTE_0 src1_sel:DWORD
	s_and_b64 vcc, exec, s[6:7]
	s_cbranch_vccnz .LBB204_93
; %bb.82:
	v_cmp_gt_i16_sdwa s[6:7], v35, v0 src0_sel:BYTE_0 src1_sel:DWORD
	s_and_b64 vcc, exec, s[6:7]
	s_cbranch_vccz .LBB204_94
; %bb.83:
	global_load_ubyte v1, v[4:5], off
	s_movk_i32 s6, 0x7f
                                        ; implicit-def: $sgpr12
	s_waitcnt vmcnt(0)
	v_cmp_lt_i16_e32 vcc, s6, v1
	s_mov_b64 s[6:7], 0
	s_and_saveexec_b64 s[8:9], vcc
	s_xor_b64 s[8:9], exec, s[8:9]
	s_cbranch_execz .LBB204_106
; %bb.84:
	s_movk_i32 s6, 0x80
	v_cmp_eq_u16_e32 vcc, s6, v1
	s_mov_b64 s[6:7], -1
                                        ; implicit-def: $sgpr12
	s_and_saveexec_b64 s[10:11], vcc
; %bb.85:
	s_movk_i32 s12, 0x7e00
	s_xor_b64 s[6:7], exec, -1
; %bb.86:
	s_or_b64 exec, exec, s[10:11]
	s_and_b64 s[6:7], s[6:7], exec
	s_or_saveexec_b64 s[8:9], s[8:9]
	v_mov_b32_e32 v0, s12
	s_xor_b64 exec, exec, s[8:9]
	s_cbranch_execnz .LBB204_107
.LBB204_87:
	s_or_b64 exec, exec, s[8:9]
	s_and_saveexec_b64 s[8:9], s[6:7]
	s_cbranch_execz .LBB204_89
.LBB204_88:
	v_lshlrev_b32_e32 v0, 24, v1
	v_and_b32_e32 v1, 0xffff, v1
	v_and_b32_e32 v3, 3, v1
	v_ffbh_u32_e32 v7, v3
	v_min_u32_e32 v7, 32, v7
	v_subrev_u32_e32 v8, 29, v7
	v_bfe_u32 v6, v1, 2, 5
	v_lshlrev_b32_e32 v1, v8, v1
	v_sub_u32_e32 v7, 30, v7
	v_and_b32_e32 v1, 3, v1
	v_cmp_eq_u32_e32 vcc, 0, v6
	v_cndmask_b32_e32 v6, v6, v7, vcc
	v_cndmask_b32_e32 v1, v3, v1, vcc
	v_mov_b32_e32 v3, 0x37800000
	v_lshlrev_b32_e32 v1, 21, v1
	v_and_b32_e32 v0, 0x80000000, v0
	v_lshl_add_u32 v3, v6, 23, v3
	v_or3_b32 v0, v0, v3, v1
	v_cvt_f16_f32_e32 v0, v0
.LBB204_89:
	s_or_b64 exec, exec, s[8:9]
	s_mov_b64 s[6:7], 0
	s_branch .LBB204_95
.LBB204_90:
	s_mov_b64 s[8:9], -1
                                        ; implicit-def: $vgpr0
	s_branch .LBB204_101
.LBB204_91:
	s_or_saveexec_b64 s[8:9], s[8:9]
	v_mov_b32_e32 v0, s12
	s_xor_b64 exec, exec, s[8:9]
	s_cbranch_execz .LBB204_75
.LBB204_92:
	v_cmp_ne_u16_e32 vcc, 0, v1
	s_andn2_b64 s[6:7], s[6:7], exec
	s_and_b64 s[10:11], vcc, exec
	s_or_b64 s[6:7], s[6:7], s[10:11]
	v_mov_b32_e32 v0, v1
	s_or_b64 exec, exec, s[8:9]
	s_and_saveexec_b64 s[8:9], s[6:7]
	s_cbranch_execnz .LBB204_76
	s_branch .LBB204_77
.LBB204_93:
	s_mov_b64 s[6:7], -1
                                        ; implicit-def: $vgpr0
	s_branch .LBB204_98
.LBB204_94:
	s_mov_b64 s[6:7], -1
                                        ; implicit-def: $vgpr0
.LBB204_95:
	s_and_b64 vcc, exec, s[6:7]
	s_cbranch_vccz .LBB204_97
; %bb.96:
	global_load_ubyte v0, v[4:5], off
	s_mov_b32 s6, 0x7f800000
	s_waitcnt vmcnt(0)
	v_lshlrev_b32_e32 v0, 24, v0
	v_and_b32_e32 v1, 0x7f000000, v0
	v_ffbh_u32_e32 v3, v1
	v_min_u32_e32 v3, 32, v3
	v_sub_u32_e64 v3, v3, 4 clamp
	v_lshlrev_b32_e32 v7, v3, v1
	v_lshlrev_b32_e32 v3, 23, v3
	v_lshrrev_b32_e32 v7, 4, v7
	v_add_u32_e32 v6, 0x1000000, v1
	v_sub_u32_e32 v3, v7, v3
	v_ashrrev_i32_e32 v6, 8, v6
	v_add_u32_e32 v3, 0x3c000000, v3
	v_and_or_b32 v3, v6, s6, v3
	v_cmp_ne_u32_e32 vcc, 0, v1
	v_cndmask_b32_e32 v1, 0, v3, vcc
	s_brev_b32 s6, 1
	v_and_or_b32 v0, v0, s6, v1
	v_cvt_f16_f32_e32 v0, v0
.LBB204_97:
	s_mov_b64 s[6:7], 0
.LBB204_98:
	s_andn2_b64 vcc, exec, s[6:7]
	s_cbranch_vccnz .LBB204_100
; %bb.99:
	global_load_ubyte v0, v[4:5], off
	s_movk_i32 s6, 0x7f00
	s_brev_b32 s7, 16
	s_waitcnt vmcnt(0)
	v_lshlrev_b16_e32 v1, 8, v0
	v_lshlrev_b32_e32 v0, 25, v0
	v_lshrrev_b32_e32 v3, 4, v0
	v_and_or_b32 v6, v1, s6, 0.5
	v_or_b32_e32 v3, 0x70000000, v3
	v_add_f32_e32 v6, -0.5, v6
	v_mul_f32_e32 v3, 0x7800000, v3
	v_cmp_gt_u32_e32 vcc, s7, v0
	v_bfe_i32 v1, v1, 0, 16
	v_cndmask_b32_e32 v0, v3, v6, vcc
	s_brev_b32 s6, 1
	v_and_or_b32 v0, v1, s6, v0
	v_cvt_f16_f32_e32 v0, v0
.LBB204_100:
	s_mov_b64 s[8:9], 0
	s_mov_b64 s[6:7], -1
.LBB204_101:
	s_andn2_b64 vcc, exec, s[8:9]
	s_cbranch_vccnz .LBB204_114
; %bb.102:
	v_mov_b32_e32 v0, 14
	v_cmp_gt_i16_sdwa s[8:9], v35, v0 src0_sel:BYTE_0 src1_sel:DWORD
	s_and_b64 vcc, exec, s[8:9]
	s_cbranch_vccz .LBB204_105
; %bb.103:
	v_mov_b32_e32 v0, 15
	v_cmp_eq_u16_sdwa s[8:9], v35, v0 src0_sel:BYTE_0 src1_sel:DWORD
	s_and_b64 vcc, exec, s[8:9]
	s_cbranch_vccz .LBB204_108
; %bb.104:
	global_load_ushort v0, v[4:5], off
	s_mov_b64 s[6:7], -1
	s_mov_b64 s[60:61], 0
	s_waitcnt vmcnt(0)
	v_lshlrev_b32_e32 v0, 16, v0
	v_cvt_f16_f32_e32 v0, v0
	s_branch .LBB204_109
.LBB204_105:
	s_mov_b64 s[8:9], -1
                                        ; implicit-def: $vgpr0
	s_branch .LBB204_110
.LBB204_106:
	s_or_saveexec_b64 s[8:9], s[8:9]
	v_mov_b32_e32 v0, s12
	s_xor_b64 exec, exec, s[8:9]
	s_cbranch_execz .LBB204_87
.LBB204_107:
	v_cmp_ne_u16_e32 vcc, 0, v1
	s_andn2_b64 s[6:7], s[6:7], exec
	s_and_b64 s[10:11], vcc, exec
	s_or_b64 s[6:7], s[6:7], s[10:11]
	v_mov_b32_e32 v0, v1
	s_or_b64 exec, exec, s[8:9]
	s_and_saveexec_b64 s[8:9], s[6:7]
	s_cbranch_execnz .LBB204_88
	s_branch .LBB204_89
.LBB204_108:
	s_mov_b64 s[60:61], -1
                                        ; implicit-def: $vgpr0
.LBB204_109:
	s_mov_b64 s[8:9], 0
.LBB204_110:
	s_and_b64 vcc, exec, s[8:9]
	s_cbranch_vccz .LBB204_114
; %bb.111:
	v_mov_b32_e32 v0, 11
	v_cmp_eq_u16_sdwa s[8:9], v35, v0 src0_sel:BYTE_0 src1_sel:DWORD
	s_and_b64 vcc, exec, s[8:9]
	s_cbranch_vccz .LBB204_113
; %bb.112:
	global_load_ubyte v0, v[4:5], off
	v_mov_b32_e32 v1, 0x3c00
	s_mov_b64 s[6:7], -1
	s_mov_b64 s[60:61], 0
	s_waitcnt vmcnt(0)
	v_cmp_ne_u16_e32 vcc, 0, v0
	v_cndmask_b32_e32 v0, 0, v1, vcc
	s_branch .LBB204_114
.LBB204_113:
	s_mov_b64 s[60:61], -1
                                        ; implicit-def: $vgpr0
.LBB204_114:
	s_branch .LBB204_20
.LBB204_115:
	v_mov_b32_e32 v0, 5
	v_cmp_lt_i16_sdwa s[6:7], v35, v0 src0_sel:BYTE_0 src1_sel:DWORD
	s_and_b64 vcc, exec, s[6:7]
	s_cbranch_vccnz .LBB204_120
; %bb.116:
	v_mov_b32_e32 v0, 8
	v_cmp_lt_i16_sdwa s[6:7], v35, v0 src0_sel:BYTE_0 src1_sel:DWORD
	s_and_b64 vcc, exec, s[6:7]
	s_cbranch_vccnz .LBB204_121
; %bb.117:
	;; [unrolled: 5-line block ×3, first 2 shown]
	v_cmp_gt_i16_sdwa s[6:7], v35, v0 src0_sel:BYTE_0 src1_sel:DWORD
	s_and_b64 vcc, exec, s[6:7]
	s_cbranch_vccz .LBB204_123
; %bb.119:
	global_load_dwordx2 v[0:1], v[4:5], off
	s_mov_b64 s[6:7], 0
	s_waitcnt vmcnt(0)
	v_cvt_f32_f64_e32 v0, v[0:1]
	v_cvt_f16_f32_e32 v0, v0
	s_branch .LBB204_124
.LBB204_120:
                                        ; implicit-def: $vgpr0
	s_branch .LBB204_142
.LBB204_121:
	s_mov_b64 s[6:7], -1
                                        ; implicit-def: $vgpr0
	s_branch .LBB204_130
.LBB204_122:
	s_mov_b64 s[6:7], -1
                                        ; implicit-def: $vgpr0
	s_branch .LBB204_127
.LBB204_123:
	s_mov_b64 s[6:7], -1
                                        ; implicit-def: $vgpr0
.LBB204_124:
	s_andn2_b64 vcc, exec, s[6:7]
	s_cbranch_vccnz .LBB204_126
; %bb.125:
	global_load_dword v0, v[4:5], off
	s_waitcnt vmcnt(0)
	v_cvt_f16_f32_e32 v0, v0
.LBB204_126:
	s_mov_b64 s[6:7], 0
.LBB204_127:
	s_andn2_b64 vcc, exec, s[6:7]
	s_cbranch_vccnz .LBB204_129
; %bb.128:
	global_load_dword v0, v[4:5], off
.LBB204_129:
	s_mov_b64 s[6:7], 0
.LBB204_130:
	s_andn2_b64 vcc, exec, s[6:7]
	s_cbranch_vccnz .LBB204_141
; %bb.131:
	s_waitcnt vmcnt(0)
	v_mov_b32_e32 v0, 6
	v_cmp_lt_i16_sdwa s[6:7], v35, v0 src0_sel:BYTE_0 src1_sel:DWORD
	s_and_b64 vcc, exec, s[6:7]
	s_cbranch_vccnz .LBB204_134
; %bb.132:
	v_cmp_gt_i16_sdwa s[6:7], v35, v0 src0_sel:BYTE_0 src1_sel:DWORD
	s_and_b64 vcc, exec, s[6:7]
	s_cbranch_vccz .LBB204_135
; %bb.133:
	global_load_dwordx2 v[0:1], v[4:5], off
	s_mov_b64 s[6:7], 0
	s_waitcnt vmcnt(0)
	v_cvt_f32_f64_e32 v0, v[0:1]
	v_cvt_f16_f32_e32 v0, v0
	s_branch .LBB204_136
.LBB204_134:
	s_mov_b64 s[6:7], -1
                                        ; implicit-def: $vgpr0
	s_branch .LBB204_139
.LBB204_135:
	s_mov_b64 s[6:7], -1
                                        ; implicit-def: $vgpr0
.LBB204_136:
	s_andn2_b64 vcc, exec, s[6:7]
	s_cbranch_vccnz .LBB204_138
; %bb.137:
	global_load_dword v0, v[4:5], off
	s_waitcnt vmcnt(0)
	v_cvt_f16_f32_e32 v0, v0
.LBB204_138:
	s_mov_b64 s[6:7], 0
.LBB204_139:
	s_andn2_b64 vcc, exec, s[6:7]
	s_cbranch_vccnz .LBB204_141
; %bb.140:
	global_load_ushort v0, v[4:5], off
.LBB204_141:
	s_cbranch_execnz .LBB204_161
.LBB204_142:
	s_waitcnt vmcnt(0)
	v_mov_b32_e32 v0, 2
	v_cmp_lt_i16_sdwa s[6:7], v35, v0 src0_sel:BYTE_0 src1_sel:DWORD
	s_and_b64 vcc, exec, s[6:7]
	s_cbranch_vccnz .LBB204_146
; %bb.143:
	v_mov_b32_e32 v0, 3
	v_cmp_lt_i16_sdwa s[6:7], v35, v0 src0_sel:BYTE_0 src1_sel:DWORD
	s_and_b64 vcc, exec, s[6:7]
	s_cbranch_vccnz .LBB204_147
; %bb.144:
	v_cmp_gt_i16_sdwa s[6:7], v35, v0 src0_sel:BYTE_0 src1_sel:DWORD
	s_and_b64 vcc, exec, s[6:7]
	s_cbranch_vccz .LBB204_148
; %bb.145:
	global_load_dwordx2 v[0:1], v[4:5], off
	s_mov_b64 s[6:7], 0
	s_waitcnt vmcnt(0)
	v_xor_b32_e32 v6, v0, v1
	v_ffbh_i32_e32 v3, v1
	v_ashrrev_i32_e32 v6, 31, v6
	v_add_u32_e32 v3, -1, v3
	v_add_u32_e32 v6, 32, v6
	v_min_u32_e32 v3, v3, v6
	v_lshlrev_b64 v[0:1], v3, v[0:1]
	v_min_u32_e32 v0, 1, v0
	v_or_b32_e32 v0, v1, v0
	v_cvt_f32_i32_e32 v0, v0
	v_sub_u32_e32 v1, 32, v3
	v_ldexp_f32 v0, v0, v1
	v_cvt_f16_f32_e32 v0, v0
	s_branch .LBB204_149
.LBB204_146:
	s_mov_b64 s[6:7], -1
                                        ; implicit-def: $vgpr0
	s_branch .LBB204_155
.LBB204_147:
	s_mov_b64 s[6:7], -1
                                        ; implicit-def: $vgpr0
	s_branch .LBB204_152
.LBB204_148:
	s_mov_b64 s[6:7], -1
                                        ; implicit-def: $vgpr0
.LBB204_149:
	s_andn2_b64 vcc, exec, s[6:7]
	s_cbranch_vccnz .LBB204_151
; %bb.150:
	global_load_dword v0, v[4:5], off
	s_waitcnt vmcnt(0)
	v_cvt_f32_i32_e32 v0, v0
	v_cvt_f16_f32_e32 v0, v0
.LBB204_151:
	s_mov_b64 s[6:7], 0
.LBB204_152:
	s_andn2_b64 vcc, exec, s[6:7]
	s_cbranch_vccnz .LBB204_154
; %bb.153:
	global_load_ushort v0, v[4:5], off
	s_waitcnt vmcnt(0)
	v_cvt_f16_i16_e32 v0, v0
.LBB204_154:
	s_mov_b64 s[6:7], 0
.LBB204_155:
	s_andn2_b64 vcc, exec, s[6:7]
	s_cbranch_vccnz .LBB204_161
; %bb.156:
	v_mov_b32_e32 v0, 0
	v_cmp_gt_i16_sdwa s[6:7], v35, v0 src0_sel:BYTE_0 src1_sel:DWORD
	s_and_b64 vcc, exec, s[6:7]
	s_cbranch_vccz .LBB204_158
; %bb.157:
	global_load_sbyte v0, v[4:5], off
	s_mov_b64 s[6:7], 0
	s_waitcnt vmcnt(0)
	v_cvt_f16_i16_e32 v0, v0
	s_branch .LBB204_159
.LBB204_158:
	s_mov_b64 s[6:7], -1
                                        ; implicit-def: $vgpr0
.LBB204_159:
	s_andn2_b64 vcc, exec, s[6:7]
	s_cbranch_vccnz .LBB204_161
; %bb.160:
	global_load_ubyte v0, v[4:5], off
	s_waitcnt vmcnt(0)
	v_cvt_f16_u16_e32 v0, v0
.LBB204_161:
	s_branch .LBB204_21
.LBB204_162:
	s_mov_b64 s[6:7], 0
	s_mov_b64 s[58:59], 0
	s_branch .LBB204_391
.LBB204_163:
	s_mov_b64 s[58:59], -1
.LBB204_164:
	s_mov_b64 s[6:7], 0
                                        ; implicit-def: $vgpr1
.LBB204_165:
	s_and_b64 vcc, exec, s[8:9]
	s_cbranch_vccz .LBB204_281
; %bb.166:
	v_mov_b32_e32 v1, 44
	v_cmp_eq_u16_sdwa s[8:9], v33, v1 src0_sel:BYTE_0 src1_sel:DWORD
	s_and_b64 vcc, exec, s[8:9]
	s_cbranch_vccz .LBB204_280
; %bb.167:
	global_load_ubyte v1, v[2:3], off
	s_movk_i32 s8, 0xff
	v_mov_b32_e32 v5, 0x7e00
	s_mov_b64 s[6:7], -1
	s_mov_b64 s[58:59], 0
	s_waitcnt vmcnt(0)
	v_lshlrev_b32_e32 v4, 23, v1
	v_cvt_f16_f32_e32 v4, v4
	v_cmp_ne_u32_e32 vcc, s8, v1
	v_cndmask_b32_e32 v4, v5, v4, vcc
	v_cmp_ne_u32_e32 vcc, 0, v1
	v_cndmask_b32_e32 v1, 0, v4, vcc
	s_branch .LBB204_281
.LBB204_168:
	s_mov_b64 s[10:11], -1
	s_mov_b64 s[6:7], 0
	s_mov_b64 s[8:9], 0
.LBB204_169:
	s_and_b64 vcc, exec, s[10:11]
	s_cbranch_vccz .LBB204_174
; %bb.170:
	v_mov_b32_e32 v1, 44
	v_cmp_eq_u16_sdwa s[10:11], v32, v1 src0_sel:BYTE_0 src1_sel:DWORD
	s_mov_b64 s[6:7], -1
	s_and_b64 vcc, exec, s[10:11]
	s_cbranch_vccz .LBB204_174
; %bb.171:
	v_cvt_f32_f16_e32 v1, v0
	s_movk_i32 s6, 0xff
	v_mov_b32_e32 v5, 0xff
	v_bfe_u32 v4, v1, 23, 8
	v_cmp_ne_u32_e32 vcc, s6, v4
	s_and_saveexec_b64 s[8:9], vcc
; %bb.172:
	s_mov_b32 s6, 0x3fffff
	v_lshrrev_b32_e32 v5, 23, v1
	v_and_b32_e32 v6, 0x400000, v1
	v_and_or_b32 v1, v1, s6, v4
	v_cmp_ne_u32_e32 vcc, 0, v6
	v_cmp_ne_u32_e64 s[6:7], 0, v1
	s_and_b64 s[6:7], vcc, s[6:7]
	v_cndmask_b32_e64 v1, 0, 1, s[6:7]
	v_add_u32_e32 v5, v5, v1
; %bb.173:
	s_or_b64 exec, exec, s[8:9]
	s_mov_b64 s[8:9], -1
	s_mov_b64 s[6:7], 0
	global_store_byte v[2:3], v5, off
.LBB204_174:
	s_mov_b64 s[10:11], 0
.LBB204_175:
	s_and_b64 vcc, exec, s[10:11]
	s_cbranch_vccz .LBB204_178
; %bb.176:
	v_mov_b32_e32 v1, 29
	v_cmp_eq_u16_sdwa s[10:11], v32, v1 src0_sel:BYTE_0 src1_sel:DWORD
	s_mov_b64 s[6:7], -1
	s_and_b64 vcc, exec, s[10:11]
	s_cbranch_vccz .LBB204_178
; %bb.177:
	v_cvt_f32_f16_e32 v1, v0
	v_mov_b32_e32 v5, 0
	s_mov_b64 s[8:9], -1
	s_mov_b64 s[6:7], 0
	v_cvt_u32_f32_e32 v4, v1
	s_mov_b64 s[10:11], 0
	global_store_dwordx2 v[2:3], v[4:5], off
	s_branch .LBB204_179
.LBB204_178:
	s_mov_b64 s[10:11], 0
.LBB204_179:
	s_and_b64 vcc, exec, s[10:11]
	s_cbranch_vccz .LBB204_195
; %bb.180:
	v_mov_b32_e32 v1, 27
	v_cmp_lt_i16_sdwa s[10:11], v32, v1 src0_sel:BYTE_0 src1_sel:DWORD
	s_mov_b64 s[8:9], -1
	s_and_b64 vcc, exec, s[10:11]
	s_cbranch_vccnz .LBB204_186
; %bb.181:
	v_cmp_gt_i16_sdwa s[10:11], v32, v1 src0_sel:BYTE_0 src1_sel:DWORD
	s_and_b64 vcc, exec, s[10:11]
	s_cbranch_vccz .LBB204_183
; %bb.182:
	v_cvt_f32_f16_e32 v1, v0
	s_mov_b64 s[8:9], 0
	v_cvt_u32_f32_e32 v1, v1
	global_store_dword v[2:3], v1, off
.LBB204_183:
	s_andn2_b64 vcc, exec, s[8:9]
	s_cbranch_vccnz .LBB204_185
; %bb.184:
	v_cvt_u16_f16_e32 v1, v0
	global_store_short v[2:3], v1, off
.LBB204_185:
	s_mov_b64 s[8:9], 0
.LBB204_186:
	s_andn2_b64 vcc, exec, s[8:9]
	s_cbranch_vccnz .LBB204_194
; %bb.187:
	v_cvt_f32_f16_e32 v1, v0
	s_mov_b32 s8, 0x43800000
	v_mov_b32_e32 v5, 0x80
	v_and_b32_e32 v4, 0x7fffffff, v1
	v_cmp_gt_u32_e32 vcc, s8, v4
	s_and_saveexec_b64 s[8:9], vcc
	s_cbranch_execz .LBB204_193
; %bb.188:
	s_mov_b32 s10, 0x3bffffff
	v_cmp_lt_u32_e32 vcc, s10, v4
	s_mov_b64 s[10:11], 0
                                        ; implicit-def: $vgpr4
	s_and_saveexec_b64 s[12:13], vcc
	s_xor_b64 s[12:13], exec, s[12:13]
	s_cbranch_execz .LBB204_432
; %bb.189:
	v_bfe_u32 v4, v1, 20, 1
	s_mov_b32 s14, 0x487ffff
	v_add3_u32 v4, v1, v4, s14
	s_mov_b64 s[10:11], exec
	v_lshrrev_b32_e32 v4, 20, v4
	s_or_saveexec_b64 s[12:13], s[12:13]
                                        ; implicit-def: $sgpr14
	s_xor_b64 exec, exec, s[12:13]
	s_cbranch_execnz .LBB204_433
.LBB204_190:
	s_or_b64 exec, exec, s[12:13]
	v_mov_b32_e32 v5, s14
	s_and_saveexec_b64 s[12:13], s[10:11]
.LBB204_191:
	v_lshrrev_b32_e32 v1, 24, v1
	s_movk_i32 s10, 0x80
	v_and_or_b32 v5, v1, s10, v4
.LBB204_192:
	s_or_b64 exec, exec, s[12:13]
.LBB204_193:
	s_or_b64 exec, exec, s[8:9]
	global_store_byte v[2:3], v5, off
.LBB204_194:
	s_mov_b64 s[8:9], -1
.LBB204_195:
	s_mov_b64 s[10:11], 0
.LBB204_196:
	s_and_b64 vcc, exec, s[10:11]
	s_cbranch_vccz .LBB204_237
; %bb.197:
	v_mov_b32_e32 v1, 22
	v_cmp_gt_i16_sdwa s[12:13], v32, v1 src0_sel:BYTE_0 src1_sel:DWORD
	s_mov_b64 s[10:11], -1
	s_and_b64 vcc, exec, s[12:13]
	s_cbranch_vccz .LBB204_229
; %bb.198:
	v_mov_b32_e32 v1, 24
	v_cmp_lt_i16_sdwa s[10:11], v32, v1 src0_sel:BYTE_0 src1_sel:DWORD
	s_mov_b64 s[8:9], -1
	s_and_b64 vcc, exec, s[10:11]
	s_cbranch_vccnz .LBB204_218
; %bb.199:
	v_cmp_gt_i16_sdwa s[10:11], v32, v1 src0_sel:BYTE_0 src1_sel:DWORD
	s_and_b64 vcc, exec, s[10:11]
	s_cbranch_vccz .LBB204_207
; %bb.200:
	v_cvt_f32_f16_e32 v1, v0
	s_mov_b32 s8, 0x47800000
	v_mov_b32_e32 v5, 0x80
	v_and_b32_e32 v4, 0x7fffffff, v1
	v_cmp_gt_u32_e32 vcc, s8, v4
	s_and_saveexec_b64 s[8:9], vcc
	s_cbranch_execz .LBB204_206
; %bb.201:
	s_mov_b32 s10, 0x37ffffff
	v_cmp_lt_u32_e32 vcc, s10, v4
	s_mov_b64 s[10:11], 0
                                        ; implicit-def: $vgpr4
	s_and_saveexec_b64 s[12:13], vcc
	s_xor_b64 s[12:13], exec, s[12:13]
	s_cbranch_execz .LBB204_551
; %bb.202:
	v_bfe_u32 v4, v1, 21, 1
	s_mov_b32 s14, 0x88fffff
	v_add3_u32 v4, v1, v4, s14
	s_mov_b64 s[10:11], exec
	v_lshrrev_b32_e32 v4, 21, v4
	s_or_saveexec_b64 s[12:13], s[12:13]
                                        ; implicit-def: $sgpr14
	s_xor_b64 exec, exec, s[12:13]
	s_cbranch_execnz .LBB204_552
.LBB204_203:
	s_or_b64 exec, exec, s[12:13]
	v_mov_b32_e32 v5, s14
	s_and_saveexec_b64 s[12:13], s[10:11]
.LBB204_204:
	v_lshrrev_b32_e32 v1, 24, v1
	s_movk_i32 s10, 0x80
	v_and_or_b32 v5, v1, s10, v4
.LBB204_205:
	s_or_b64 exec, exec, s[12:13]
.LBB204_206:
	s_or_b64 exec, exec, s[8:9]
	s_mov_b64 s[8:9], 0
	global_store_byte v[2:3], v5, off
.LBB204_207:
	s_and_b64 vcc, exec, s[8:9]
	s_cbranch_vccz .LBB204_217
; %bb.208:
	v_cvt_f32_f16_e32 v1, v0
	s_mov_b32 s8, 0x43f00000
                                        ; implicit-def: $vgpr4
	v_and_b32_e32 v5, 0x7fffffff, v1
	v_cmp_gt_u32_e32 vcc, s8, v5
	s_and_saveexec_b64 s[8:9], vcc
	s_xor_b64 s[8:9], exec, s[8:9]
	s_cbranch_execz .LBB204_214
; %bb.209:
	s_mov_b32 s10, 0x3c7fffff
	v_cmp_lt_u32_e32 vcc, s10, v5
                                        ; implicit-def: $vgpr4
	s_and_saveexec_b64 s[10:11], vcc
	s_xor_b64 s[10:11], exec, s[10:11]
; %bb.210:
	v_bfe_u32 v4, v1, 20, 1
	s_mov_b32 s12, 0x407ffff
	v_add3_u32 v4, v1, v4, s12
	v_lshrrev_b32_e32 v5, 20, v4
	v_and_b32_e32 v4, 0xff00000, v4
	s_mov_b32 s12, 0x7f00000
	v_mov_b32_e32 v6, 0x7e
	v_cmp_ne_u32_e32 vcc, s12, v4
	v_cndmask_b32_e32 v4, v6, v5, vcc
; %bb.211:
	s_andn2_saveexec_b64 s[10:11], s[10:11]
; %bb.212:
	s_mov_b32 s12, 0x46800000
	v_add_f32_e64 v4, |v1|, s12
; %bb.213:
	s_or_b64 exec, exec, s[10:11]
                                        ; implicit-def: $vgpr5
.LBB204_214:
	s_andn2_saveexec_b64 s[8:9], s[8:9]
; %bb.215:
	s_mov_b32 s10, 0x7f800000
	v_mov_b32_e32 v4, 0x7e
	v_mov_b32_e32 v6, 0x7f
	v_cmp_lt_u32_e32 vcc, s10, v5
	v_cndmask_b32_e32 v4, v4, v6, vcc
; %bb.216:
	s_or_b64 exec, exec, s[8:9]
	v_lshrrev_b32_e32 v1, 24, v1
	s_movk_i32 s8, 0x80
	v_and_or_b32 v1, v1, s8, v4
	global_store_byte v[2:3], v1, off
.LBB204_217:
	s_mov_b64 s[8:9], 0
.LBB204_218:
	s_andn2_b64 vcc, exec, s[8:9]
	s_cbranch_vccnz .LBB204_228
; %bb.219:
	v_cvt_f32_f16_e32 v1, v0
	s_mov_b32 s8, 0x47800000
                                        ; implicit-def: $vgpr4
	v_and_b32_e32 v5, 0x7fffffff, v1
	v_cmp_gt_u32_e32 vcc, s8, v5
	s_and_saveexec_b64 s[8:9], vcc
	s_xor_b64 s[8:9], exec, s[8:9]
	s_cbranch_execz .LBB204_225
; %bb.220:
	s_mov_b32 s10, 0x387fffff
	v_cmp_lt_u32_e32 vcc, s10, v5
                                        ; implicit-def: $vgpr4
	s_and_saveexec_b64 s[10:11], vcc
	s_xor_b64 s[10:11], exec, s[10:11]
; %bb.221:
	v_bfe_u32 v4, v1, 21, 1
	s_mov_b32 s12, 0x80fffff
	v_add3_u32 v4, v1, v4, s12
	v_lshrrev_b32_e32 v4, 21, v4
; %bb.222:
	s_andn2_saveexec_b64 s[10:11], s[10:11]
; %bb.223:
	s_mov_b32 s12, 0x43000000
	v_add_f32_e64 v4, |v1|, s12
; %bb.224:
	s_or_b64 exec, exec, s[10:11]
                                        ; implicit-def: $vgpr5
.LBB204_225:
	s_andn2_saveexec_b64 s[8:9], s[8:9]
; %bb.226:
	s_mov_b32 s10, 0x7f800000
	v_mov_b32_e32 v4, 0x7c
	v_mov_b32_e32 v6, 0x7f
	v_cmp_lt_u32_e32 vcc, s10, v5
	v_cndmask_b32_e32 v4, v4, v6, vcc
; %bb.227:
	s_or_b64 exec, exec, s[8:9]
	v_lshrrev_b32_e32 v1, 24, v1
	s_movk_i32 s8, 0x80
	v_and_or_b32 v1, v1, s8, v4
	global_store_byte v[2:3], v1, off
.LBB204_228:
	s_mov_b64 s[10:11], 0
	s_mov_b64 s[8:9], -1
.LBB204_229:
	s_andn2_b64 vcc, exec, s[10:11]
	s_cbranch_vccnz .LBB204_237
; %bb.230:
	v_mov_b32_e32 v1, 14
	v_cmp_gt_i16_sdwa s[12:13], v32, v1 src0_sel:BYTE_0 src1_sel:DWORD
	s_mov_b64 s[10:11], -1
	s_and_b64 vcc, exec, s[12:13]
	s_cbranch_vccz .LBB204_234
; %bb.231:
	v_mov_b32_e32 v1, 15
	v_cmp_eq_u16_sdwa s[10:11], v32, v1 src0_sel:BYTE_0 src1_sel:DWORD
	s_mov_b64 s[6:7], -1
	s_and_b64 vcc, exec, s[10:11]
	s_cbranch_vccz .LBB204_233
; %bb.232:
	v_cvt_f32_f16_e32 v1, v0
	s_movk_i32 s6, 0x7fff
	v_mov_b32_e32 v4, 0x7fc0
	v_cmp_o_f16_e32 vcc, v0, v0
	v_bfe_u32 v5, v1, 16, 1
	v_add3_u32 v1, v1, v5, s6
	v_lshrrev_b32_e32 v1, 16, v1
	v_cndmask_b32_e32 v1, v4, v1, vcc
	global_store_short v[2:3], v1, off
	s_mov_b64 s[8:9], -1
	s_mov_b64 s[6:7], 0
.LBB204_233:
	s_mov_b64 s[10:11], 0
.LBB204_234:
	s_and_b64 vcc, exec, s[10:11]
	s_cbranch_vccz .LBB204_237
; %bb.235:
	v_mov_b32_e32 v1, 11
	v_cmp_eq_u16_sdwa s[10:11], v32, v1 src0_sel:BYTE_0 src1_sel:DWORD
	s_mov_b64 s[6:7], -1
	s_and_b64 vcc, exec, s[10:11]
	s_cbranch_vccz .LBB204_237
; %bb.236:
	v_and_b32_e32 v1, 0x7fff, v0
	v_cmp_ne_u16_e32 vcc, 0, v1
	v_cndmask_b32_e64 v1, 0, 1, vcc
	s_mov_b64 s[8:9], -1
	s_mov_b64 s[6:7], 0
	global_store_byte v[2:3], v1, off
.LBB204_237:
	s_mov_b64 s[10:11], 0
.LBB204_238:
	s_and_b64 vcc, exec, s[10:11]
	s_cbranch_vccz .LBB204_277
; %bb.239:
	v_mov_b32_e32 v1, 5
	v_cmp_lt_i16_sdwa s[10:11], v32, v1 src0_sel:BYTE_0 src1_sel:DWORD
	s_mov_b64 s[8:9], -1
	s_and_b64 vcc, exec, s[10:11]
	s_cbranch_vccnz .LBB204_260
; %bb.240:
	v_mov_b32_e32 v1, 8
	v_cmp_lt_i16_sdwa s[10:11], v32, v1 src0_sel:BYTE_0 src1_sel:DWORD
	s_and_b64 vcc, exec, s[10:11]
	s_cbranch_vccnz .LBB204_250
; %bb.241:
	v_mov_b32_e32 v1, 9
	v_cmp_lt_i16_sdwa s[10:11], v32, v1 src0_sel:BYTE_0 src1_sel:DWORD
	s_and_b64 vcc, exec, s[10:11]
	s_cbranch_vccnz .LBB204_247
; %bb.242:
	v_cmp_gt_i16_sdwa s[10:11], v32, v1 src0_sel:BYTE_0 src1_sel:DWORD
	s_and_b64 vcc, exec, s[10:11]
	s_cbranch_vccz .LBB204_244
; %bb.243:
	v_cvt_f32_f16_e32 v1, v0
	v_mov_b32_e32 v6, 0
	v_mov_b32_e32 v7, v6
	s_mov_b64 s[8:9], 0
	v_cvt_f64_f32_e32 v[4:5], v1
	global_store_dwordx4 v[2:3], v[4:7], off
.LBB204_244:
	s_andn2_b64 vcc, exec, s[8:9]
	s_cbranch_vccnz .LBB204_246
; %bb.245:
	v_cvt_f32_f16_e32 v4, v0
	v_mov_b32_e32 v5, 0
	global_store_dwordx2 v[2:3], v[4:5], off
.LBB204_246:
	s_mov_b64 s[8:9], 0
.LBB204_247:
	s_andn2_b64 vcc, exec, s[8:9]
	s_cbranch_vccnz .LBB204_249
; %bb.248:
	v_and_b32_e32 v1, 0xffff, v0
	global_store_dword v[2:3], v1, off
.LBB204_249:
	s_mov_b64 s[8:9], 0
.LBB204_250:
	s_andn2_b64 vcc, exec, s[8:9]
	s_cbranch_vccnz .LBB204_259
; %bb.251:
	v_mov_b32_e32 v1, 6
	v_cmp_lt_i16_sdwa s[10:11], v32, v1 src0_sel:BYTE_0 src1_sel:DWORD
	s_mov_b64 s[8:9], -1
	s_and_b64 vcc, exec, s[10:11]
	s_cbranch_vccnz .LBB204_257
; %bb.252:
	v_cmp_gt_i16_sdwa s[10:11], v32, v1 src0_sel:BYTE_0 src1_sel:DWORD
	s_and_b64 vcc, exec, s[10:11]
	s_cbranch_vccz .LBB204_254
; %bb.253:
	v_cvt_f32_f16_e32 v1, v0
	s_mov_b64 s[8:9], 0
	v_cvt_f64_f32_e32 v[4:5], v1
	global_store_dwordx2 v[2:3], v[4:5], off
.LBB204_254:
	s_andn2_b64 vcc, exec, s[8:9]
	s_cbranch_vccnz .LBB204_256
; %bb.255:
	v_cvt_f32_f16_e32 v1, v0
	global_store_dword v[2:3], v1, off
.LBB204_256:
	s_mov_b64 s[8:9], 0
.LBB204_257:
	s_andn2_b64 vcc, exec, s[8:9]
	s_cbranch_vccnz .LBB204_259
; %bb.258:
	global_store_short v[2:3], v0, off
.LBB204_259:
	s_mov_b64 s[8:9], 0
.LBB204_260:
	s_andn2_b64 vcc, exec, s[8:9]
	s_cbranch_vccnz .LBB204_276
; %bb.261:
	v_mov_b32_e32 v1, 2
	v_cmp_lt_i16_sdwa s[10:11], v32, v1 src0_sel:BYTE_0 src1_sel:DWORD
	s_mov_b64 s[8:9], -1
	s_and_b64 vcc, exec, s[10:11]
	s_cbranch_vccnz .LBB204_271
; %bb.262:
	v_mov_b32_e32 v1, 3
	v_cmp_lt_i16_sdwa s[10:11], v32, v1 src0_sel:BYTE_0 src1_sel:DWORD
	s_and_b64 vcc, exec, s[10:11]
	s_cbranch_vccnz .LBB204_268
; %bb.263:
	v_cmp_gt_i16_sdwa s[10:11], v32, v1 src0_sel:BYTE_0 src1_sel:DWORD
	s_and_b64 vcc, exec, s[10:11]
	s_cbranch_vccz .LBB204_265
; %bb.264:
	v_cvt_f32_f16_e32 v1, v0
	s_mov_b64 s[8:9], 0
	v_cvt_i32_f32_e32 v4, v1
	v_ashrrev_i32_e32 v5, 31, v4
	global_store_dwordx2 v[2:3], v[4:5], off
.LBB204_265:
	s_andn2_b64 vcc, exec, s[8:9]
	s_cbranch_vccnz .LBB204_267
; %bb.266:
	v_cvt_f32_f16_e32 v1, v0
	v_cvt_i32_f32_e32 v1, v1
	global_store_dword v[2:3], v1, off
.LBB204_267:
	s_mov_b64 s[8:9], 0
.LBB204_268:
	s_andn2_b64 vcc, exec, s[8:9]
	s_cbranch_vccnz .LBB204_270
; %bb.269:
	v_cvt_i16_f16_e32 v1, v0
	global_store_short v[2:3], v1, off
.LBB204_270:
	s_mov_b64 s[8:9], 0
.LBB204_271:
	s_andn2_b64 vcc, exec, s[8:9]
	s_cbranch_vccnz .LBB204_276
; %bb.272:
	v_mov_b32_e32 v1, 0
	v_cmp_gt_i16_sdwa s[10:11], v32, v1 src0_sel:BYTE_0 src1_sel:DWORD
	s_mov_b64 s[8:9], -1
	s_and_b64 vcc, exec, s[10:11]
	s_cbranch_vccz .LBB204_274
; %bb.273:
	v_cvt_i16_f16_e32 v1, v0
	global_store_byte v[2:3], v1, off
	s_mov_b64 s[8:9], 0
.LBB204_274:
	s_andn2_b64 vcc, exec, s[8:9]
	s_cbranch_vccnz .LBB204_276
; %bb.275:
	v_cvt_f32_f16_e32 v0, v0
	v_cvt_i32_f32_e32 v0, v0
	global_store_byte v[2:3], v0, off
.LBB204_276:
	s_mov_b64 s[8:9], -1
.LBB204_277:
	s_andn2_b64 vcc, exec, s[8:9]
	s_cbranch_vccnz .LBB204_279
; %bb.278:
	v_add_u32_e32 v34, 0x80, v34
	s_mov_b64 s[8:9], -1
	s_branch .LBB204_392
.LBB204_279:
	s_mov_b64 s[8:9], 0
                                        ; implicit-def: $vgpr34
	s_branch .LBB204_392
.LBB204_280:
	s_mov_b64 s[58:59], -1
                                        ; implicit-def: $vgpr1
.LBB204_281:
	s_mov_b64 s[8:9], 0
.LBB204_282:
	s_and_b64 vcc, exec, s[8:9]
	s_cbranch_vccz .LBB204_286
; %bb.283:
	v_mov_b32_e32 v1, 29
	v_cmp_eq_u16_sdwa s[8:9], v33, v1 src0_sel:BYTE_0 src1_sel:DWORD
	s_and_b64 vcc, exec, s[8:9]
	s_cbranch_vccz .LBB204_285
; %bb.284:
	global_load_dwordx2 v[4:5], v[2:3], off
	s_mov_b64 s[6:7], -1
	s_mov_b64 s[58:59], 0
	s_mov_b64 s[8:9], 0
	s_waitcnt vmcnt(0)
	v_ffbh_u32_e32 v1, v5
	v_min_u32_e32 v1, 32, v1
	v_lshlrev_b64 v[4:5], v1, v[4:5]
	v_min_u32_e32 v4, 1, v4
	v_or_b32_e32 v4, v5, v4
	v_cvt_f32_u32_e32 v4, v4
	v_sub_u32_e32 v1, 32, v1
	v_ldexp_f32 v1, v4, v1
	v_cvt_f16_f32_e32 v1, v1
	s_branch .LBB204_287
.LBB204_285:
	s_mov_b64 s[58:59], -1
                                        ; implicit-def: $vgpr1
.LBB204_286:
	s_mov_b64 s[8:9], 0
.LBB204_287:
	s_and_b64 vcc, exec, s[8:9]
	s_cbranch_vccz .LBB204_305
; %bb.288:
	v_mov_b32_e32 v1, 27
	v_cmp_lt_i16_sdwa s[6:7], v33, v1 src0_sel:BYTE_0 src1_sel:DWORD
	s_and_b64 vcc, exec, s[6:7]
	s_cbranch_vccnz .LBB204_291
; %bb.289:
	v_cmp_gt_i16_sdwa s[6:7], v33, v1 src0_sel:BYTE_0 src1_sel:DWORD
	s_and_b64 vcc, exec, s[6:7]
	s_cbranch_vccz .LBB204_292
; %bb.290:
	global_load_dword v1, v[2:3], off
	s_mov_b64 s[6:7], 0
	s_waitcnt vmcnt(0)
	v_cvt_f32_u32_e32 v1, v1
	v_cvt_f16_f32_e32 v1, v1
	s_branch .LBB204_293
.LBB204_291:
	s_mov_b64 s[6:7], -1
                                        ; implicit-def: $vgpr1
	s_branch .LBB204_296
.LBB204_292:
	s_mov_b64 s[6:7], -1
                                        ; implicit-def: $vgpr1
.LBB204_293:
	s_andn2_b64 vcc, exec, s[6:7]
	s_cbranch_vccnz .LBB204_295
; %bb.294:
	global_load_ushort v1, v[2:3], off
	s_waitcnt vmcnt(0)
	v_cvt_f16_u16_e32 v1, v1
.LBB204_295:
	s_mov_b64 s[6:7], 0
.LBB204_296:
	s_andn2_b64 vcc, exec, s[6:7]
	s_cbranch_vccnz .LBB204_304
; %bb.297:
	global_load_ubyte v4, v[2:3], off
	s_movk_i32 s6, 0x7f
                                        ; implicit-def: $sgpr12
	s_waitcnt vmcnt(0)
	v_cmp_lt_i16_e32 vcc, s6, v4
	s_mov_b64 s[6:7], 0
	s_and_saveexec_b64 s[8:9], vcc
	s_xor_b64 s[8:9], exec, s[8:9]
	s_cbranch_execz .LBB204_318
; %bb.298:
	s_movk_i32 s6, 0x80
	v_cmp_eq_u16_e32 vcc, s6, v4
	s_mov_b64 s[6:7], -1
                                        ; implicit-def: $sgpr12
	s_and_saveexec_b64 s[10:11], vcc
; %bb.299:
	s_movk_i32 s12, 0x7e00
	s_xor_b64 s[6:7], exec, -1
; %bb.300:
	s_or_b64 exec, exec, s[10:11]
	s_and_b64 s[6:7], s[6:7], exec
	s_or_saveexec_b64 s[8:9], s[8:9]
	v_mov_b32_e32 v1, s12
	s_xor_b64 exec, exec, s[8:9]
	s_cbranch_execnz .LBB204_319
.LBB204_301:
	s_or_b64 exec, exec, s[8:9]
	s_and_saveexec_b64 s[8:9], s[6:7]
	s_cbranch_execz .LBB204_303
.LBB204_302:
	v_lshlrev_b32_e32 v1, 24, v4
	v_and_b32_e32 v4, 0xffff, v4
	v_and_b32_e32 v5, 7, v4
	v_ffbh_u32_e32 v7, v5
	v_min_u32_e32 v7, 32, v7
	v_subrev_u32_e32 v8, 28, v7
	v_bfe_u32 v6, v4, 3, 4
	v_lshlrev_b32_e32 v4, v8, v4
	v_sub_u32_e32 v7, 29, v7
	v_and_b32_e32 v4, 7, v4
	v_cmp_eq_u32_e32 vcc, 0, v6
	v_cndmask_b32_e32 v6, v6, v7, vcc
	v_cndmask_b32_e32 v4, v5, v4, vcc
	v_mov_b32_e32 v5, 0x3b800000
	v_lshlrev_b32_e32 v4, 20, v4
	v_and_b32_e32 v1, 0x80000000, v1
	v_lshl_add_u32 v5, v6, 23, v5
	v_or3_b32 v1, v1, v5, v4
	v_cvt_f16_f32_e32 v1, v1
.LBB204_303:
	s_or_b64 exec, exec, s[8:9]
.LBB204_304:
	s_mov_b64 s[6:7], -1
.LBB204_305:
	s_mov_b64 s[8:9], 0
.LBB204_306:
	s_and_b64 vcc, exec, s[8:9]
	s_cbranch_vccz .LBB204_341
; %bb.307:
	v_mov_b32_e32 v1, 22
	v_cmp_gt_i16_sdwa s[8:9], v33, v1 src0_sel:BYTE_0 src1_sel:DWORD
	s_and_b64 vcc, exec, s[8:9]
	s_cbranch_vccz .LBB204_317
; %bb.308:
	v_mov_b32_e32 v1, 24
	v_cmp_lt_i16_sdwa s[6:7], v33, v1 src0_sel:BYTE_0 src1_sel:DWORD
	s_and_b64 vcc, exec, s[6:7]
	s_cbranch_vccnz .LBB204_320
; %bb.309:
	v_cmp_gt_i16_sdwa s[6:7], v33, v1 src0_sel:BYTE_0 src1_sel:DWORD
	s_and_b64 vcc, exec, s[6:7]
	s_cbranch_vccz .LBB204_321
; %bb.310:
	global_load_ubyte v4, v[2:3], off
	s_movk_i32 s6, 0x7f
                                        ; implicit-def: $sgpr12
	s_waitcnt vmcnt(0)
	v_cmp_lt_i16_e32 vcc, s6, v4
	s_mov_b64 s[6:7], 0
	s_and_saveexec_b64 s[8:9], vcc
	s_xor_b64 s[8:9], exec, s[8:9]
	s_cbranch_execz .LBB204_333
; %bb.311:
	s_movk_i32 s6, 0x80
	v_cmp_eq_u16_e32 vcc, s6, v4
	s_mov_b64 s[6:7], -1
                                        ; implicit-def: $sgpr12
	s_and_saveexec_b64 s[10:11], vcc
; %bb.312:
	s_movk_i32 s12, 0x7e00
	s_xor_b64 s[6:7], exec, -1
; %bb.313:
	s_or_b64 exec, exec, s[10:11]
	s_and_b64 s[6:7], s[6:7], exec
	s_or_saveexec_b64 s[8:9], s[8:9]
	v_mov_b32_e32 v1, s12
	s_xor_b64 exec, exec, s[8:9]
	s_cbranch_execnz .LBB204_334
.LBB204_314:
	s_or_b64 exec, exec, s[8:9]
	s_and_saveexec_b64 s[8:9], s[6:7]
	s_cbranch_execz .LBB204_316
.LBB204_315:
	v_lshlrev_b32_e32 v1, 24, v4
	v_and_b32_e32 v4, 0xffff, v4
	v_and_b32_e32 v5, 3, v4
	v_ffbh_u32_e32 v7, v5
	v_min_u32_e32 v7, 32, v7
	v_subrev_u32_e32 v8, 29, v7
	v_bfe_u32 v6, v4, 2, 5
	v_lshlrev_b32_e32 v4, v8, v4
	v_sub_u32_e32 v7, 30, v7
	v_and_b32_e32 v4, 3, v4
	v_cmp_eq_u32_e32 vcc, 0, v6
	v_cndmask_b32_e32 v6, v6, v7, vcc
	v_cndmask_b32_e32 v4, v5, v4, vcc
	v_mov_b32_e32 v5, 0x37800000
	v_lshlrev_b32_e32 v4, 21, v4
	v_and_b32_e32 v1, 0x80000000, v1
	v_lshl_add_u32 v5, v6, 23, v5
	v_or3_b32 v1, v1, v5, v4
	v_cvt_f16_f32_e32 v1, v1
.LBB204_316:
	s_or_b64 exec, exec, s[8:9]
	s_mov_b64 s[6:7], 0
	s_branch .LBB204_322
.LBB204_317:
	s_mov_b64 s[8:9], -1
                                        ; implicit-def: $vgpr1
	s_branch .LBB204_328
.LBB204_318:
	s_or_saveexec_b64 s[8:9], s[8:9]
	v_mov_b32_e32 v1, s12
	s_xor_b64 exec, exec, s[8:9]
	s_cbranch_execz .LBB204_301
.LBB204_319:
	v_cmp_ne_u16_e32 vcc, 0, v4
	s_andn2_b64 s[6:7], s[6:7], exec
	s_and_b64 s[10:11], vcc, exec
	s_or_b64 s[6:7], s[6:7], s[10:11]
	v_mov_b32_e32 v1, v4
	s_or_b64 exec, exec, s[8:9]
	s_and_saveexec_b64 s[8:9], s[6:7]
	s_cbranch_execnz .LBB204_302
	s_branch .LBB204_303
.LBB204_320:
	s_mov_b64 s[6:7], -1
                                        ; implicit-def: $vgpr1
	s_branch .LBB204_325
.LBB204_321:
	s_mov_b64 s[6:7], -1
                                        ; implicit-def: $vgpr1
.LBB204_322:
	s_and_b64 vcc, exec, s[6:7]
	s_cbranch_vccz .LBB204_324
; %bb.323:
	global_load_ubyte v1, v[2:3], off
	s_mov_b32 s6, 0x7f800000
	s_waitcnt vmcnt(0)
	v_lshlrev_b32_e32 v1, 24, v1
	v_and_b32_e32 v4, 0x7f000000, v1
	v_ffbh_u32_e32 v5, v4
	v_min_u32_e32 v5, 32, v5
	v_sub_u32_e64 v5, v5, 4 clamp
	v_lshlrev_b32_e32 v7, v5, v4
	v_lshlrev_b32_e32 v5, 23, v5
	v_lshrrev_b32_e32 v7, 4, v7
	v_add_u32_e32 v6, 0x1000000, v4
	v_sub_u32_e32 v5, v7, v5
	v_ashrrev_i32_e32 v6, 8, v6
	v_add_u32_e32 v5, 0x3c000000, v5
	v_and_or_b32 v5, v6, s6, v5
	v_cmp_ne_u32_e32 vcc, 0, v4
	v_cndmask_b32_e32 v4, 0, v5, vcc
	s_brev_b32 s6, 1
	v_and_or_b32 v1, v1, s6, v4
	v_cvt_f16_f32_e32 v1, v1
.LBB204_324:
	s_mov_b64 s[6:7], 0
.LBB204_325:
	s_andn2_b64 vcc, exec, s[6:7]
	s_cbranch_vccnz .LBB204_327
; %bb.326:
	global_load_ubyte v1, v[2:3], off
	s_movk_i32 s6, 0x7f00
	s_brev_b32 s7, 16
	s_waitcnt vmcnt(0)
	v_lshlrev_b16_e32 v4, 8, v1
	v_lshlrev_b32_e32 v1, 25, v1
	v_lshrrev_b32_e32 v5, 4, v1
	v_and_or_b32 v6, v4, s6, 0.5
	v_or_b32_e32 v5, 0x70000000, v5
	v_add_f32_e32 v6, -0.5, v6
	v_mul_f32_e32 v5, 0x7800000, v5
	v_cmp_gt_u32_e32 vcc, s7, v1
	v_bfe_i32 v4, v4, 0, 16
	v_cndmask_b32_e32 v1, v5, v6, vcc
	s_brev_b32 s6, 1
	v_and_or_b32 v1, v4, s6, v1
	v_cvt_f16_f32_e32 v1, v1
.LBB204_327:
	s_mov_b64 s[8:9], 0
	s_mov_b64 s[6:7], -1
.LBB204_328:
	s_andn2_b64 vcc, exec, s[8:9]
	s_cbranch_vccnz .LBB204_341
; %bb.329:
	v_mov_b32_e32 v1, 14
	v_cmp_gt_i16_sdwa s[8:9], v33, v1 src0_sel:BYTE_0 src1_sel:DWORD
	s_and_b64 vcc, exec, s[8:9]
	s_cbranch_vccz .LBB204_332
; %bb.330:
	v_mov_b32_e32 v1, 15
	v_cmp_eq_u16_sdwa s[8:9], v33, v1 src0_sel:BYTE_0 src1_sel:DWORD
	s_and_b64 vcc, exec, s[8:9]
	s_cbranch_vccz .LBB204_335
; %bb.331:
	global_load_ushort v1, v[2:3], off
	s_mov_b64 s[6:7], -1
	s_mov_b64 s[58:59], 0
	s_waitcnt vmcnt(0)
	v_lshlrev_b32_e32 v1, 16, v1
	v_cvt_f16_f32_e32 v1, v1
	s_branch .LBB204_336
.LBB204_332:
	s_mov_b64 s[8:9], -1
                                        ; implicit-def: $vgpr1
	s_branch .LBB204_337
.LBB204_333:
	s_or_saveexec_b64 s[8:9], s[8:9]
	v_mov_b32_e32 v1, s12
	s_xor_b64 exec, exec, s[8:9]
	s_cbranch_execz .LBB204_314
.LBB204_334:
	v_cmp_ne_u16_e32 vcc, 0, v4
	s_andn2_b64 s[6:7], s[6:7], exec
	s_and_b64 s[10:11], vcc, exec
	s_or_b64 s[6:7], s[6:7], s[10:11]
	v_mov_b32_e32 v1, v4
	s_or_b64 exec, exec, s[8:9]
	s_and_saveexec_b64 s[8:9], s[6:7]
	s_cbranch_execnz .LBB204_315
	s_branch .LBB204_316
.LBB204_335:
	s_mov_b64 s[58:59], -1
                                        ; implicit-def: $vgpr1
.LBB204_336:
	s_mov_b64 s[8:9], 0
.LBB204_337:
	s_and_b64 vcc, exec, s[8:9]
	s_cbranch_vccz .LBB204_341
; %bb.338:
	v_mov_b32_e32 v1, 11
	v_cmp_eq_u16_sdwa s[8:9], v33, v1 src0_sel:BYTE_0 src1_sel:DWORD
	s_and_b64 vcc, exec, s[8:9]
	s_cbranch_vccz .LBB204_340
; %bb.339:
	global_load_ubyte v1, v[2:3], off
	v_mov_b32_e32 v4, 0x3c00
	s_mov_b64 s[6:7], -1
	s_mov_b64 s[58:59], 0
	s_waitcnt vmcnt(0)
	v_cmp_ne_u16_e32 vcc, 0, v1
	v_cndmask_b32_e32 v1, 0, v4, vcc
	s_branch .LBB204_341
.LBB204_340:
	s_mov_b64 s[58:59], -1
                                        ; implicit-def: $vgpr1
.LBB204_341:
	s_branch .LBB204_30
.LBB204_342:
	v_mov_b32_e32 v1, 5
	v_cmp_lt_i16_sdwa s[6:7], v33, v1 src0_sel:BYTE_0 src1_sel:DWORD
	s_and_b64 vcc, exec, s[6:7]
	s_cbranch_vccnz .LBB204_347
; %bb.343:
	v_mov_b32_e32 v1, 8
	v_cmp_lt_i16_sdwa s[6:7], v33, v1 src0_sel:BYTE_0 src1_sel:DWORD
	s_and_b64 vcc, exec, s[6:7]
	s_cbranch_vccnz .LBB204_348
; %bb.344:
	;; [unrolled: 5-line block ×3, first 2 shown]
	v_cmp_gt_i16_sdwa s[6:7], v33, v1 src0_sel:BYTE_0 src1_sel:DWORD
	s_and_b64 vcc, exec, s[6:7]
	s_cbranch_vccz .LBB204_350
; %bb.346:
	global_load_dwordx2 v[4:5], v[2:3], off
	s_mov_b64 s[6:7], 0
	s_waitcnt vmcnt(0)
	v_cvt_f32_f64_e32 v1, v[4:5]
	v_cvt_f16_f32_e32 v1, v1
	s_branch .LBB204_351
.LBB204_347:
	s_mov_b64 s[6:7], -1
                                        ; implicit-def: $vgpr1
	s_branch .LBB204_369
.LBB204_348:
	s_mov_b64 s[6:7], -1
                                        ; implicit-def: $vgpr1
	s_branch .LBB204_357
.LBB204_349:
	s_mov_b64 s[6:7], -1
                                        ; implicit-def: $vgpr1
	s_branch .LBB204_354
.LBB204_350:
	s_mov_b64 s[6:7], -1
                                        ; implicit-def: $vgpr1
.LBB204_351:
	s_andn2_b64 vcc, exec, s[6:7]
	s_cbranch_vccnz .LBB204_353
; %bb.352:
	global_load_dword v1, v[2:3], off
	s_waitcnt vmcnt(0)
	v_cvt_f16_f32_e32 v1, v1
.LBB204_353:
	s_mov_b64 s[6:7], 0
.LBB204_354:
	s_andn2_b64 vcc, exec, s[6:7]
	s_cbranch_vccnz .LBB204_356
; %bb.355:
	global_load_dword v1, v[2:3], off
.LBB204_356:
	s_mov_b64 s[6:7], 0
.LBB204_357:
	s_andn2_b64 vcc, exec, s[6:7]
	s_cbranch_vccnz .LBB204_368
; %bb.358:
	s_waitcnt vmcnt(0)
	v_mov_b32_e32 v1, 6
	v_cmp_lt_i16_sdwa s[6:7], v33, v1 src0_sel:BYTE_0 src1_sel:DWORD
	s_and_b64 vcc, exec, s[6:7]
	s_cbranch_vccnz .LBB204_361
; %bb.359:
	v_cmp_gt_i16_sdwa s[6:7], v33, v1 src0_sel:BYTE_0 src1_sel:DWORD
	s_and_b64 vcc, exec, s[6:7]
	s_cbranch_vccz .LBB204_362
; %bb.360:
	global_load_dwordx2 v[4:5], v[2:3], off
	s_mov_b64 s[6:7], 0
	s_waitcnt vmcnt(0)
	v_cvt_f32_f64_e32 v1, v[4:5]
	v_cvt_f16_f32_e32 v1, v1
	s_branch .LBB204_363
.LBB204_361:
	s_mov_b64 s[6:7], -1
                                        ; implicit-def: $vgpr1
	s_branch .LBB204_366
.LBB204_362:
	s_mov_b64 s[6:7], -1
                                        ; implicit-def: $vgpr1
.LBB204_363:
	s_andn2_b64 vcc, exec, s[6:7]
	s_cbranch_vccnz .LBB204_365
; %bb.364:
	global_load_dword v1, v[2:3], off
	s_waitcnt vmcnt(0)
	v_cvt_f16_f32_e32 v1, v1
.LBB204_365:
	s_mov_b64 s[6:7], 0
.LBB204_366:
	s_andn2_b64 vcc, exec, s[6:7]
	s_cbranch_vccnz .LBB204_368
; %bb.367:
	global_load_ushort v1, v[2:3], off
.LBB204_368:
	s_mov_b64 s[6:7], 0
.LBB204_369:
	s_andn2_b64 vcc, exec, s[6:7]
	s_cbranch_vccnz .LBB204_389
; %bb.370:
	s_waitcnt vmcnt(0)
	v_mov_b32_e32 v1, 2
	v_cmp_lt_i16_sdwa s[6:7], v33, v1 src0_sel:BYTE_0 src1_sel:DWORD
	s_and_b64 vcc, exec, s[6:7]
	s_cbranch_vccnz .LBB204_374
; %bb.371:
	v_mov_b32_e32 v1, 3
	v_cmp_lt_i16_sdwa s[6:7], v33, v1 src0_sel:BYTE_0 src1_sel:DWORD
	s_and_b64 vcc, exec, s[6:7]
	s_cbranch_vccnz .LBB204_375
; %bb.372:
	v_cmp_gt_i16_sdwa s[6:7], v33, v1 src0_sel:BYTE_0 src1_sel:DWORD
	s_and_b64 vcc, exec, s[6:7]
	s_cbranch_vccz .LBB204_376
; %bb.373:
	global_load_dwordx2 v[4:5], v[2:3], off
	s_mov_b64 s[6:7], 0
	s_waitcnt vmcnt(0)
	v_xor_b32_e32 v6, v4, v5
	v_ffbh_i32_e32 v1, v5
	v_ashrrev_i32_e32 v6, 31, v6
	v_add_u32_e32 v1, -1, v1
	v_add_u32_e32 v6, 32, v6
	v_min_u32_e32 v1, v1, v6
	v_lshlrev_b64 v[4:5], v1, v[4:5]
	v_min_u32_e32 v4, 1, v4
	v_or_b32_e32 v4, v5, v4
	v_cvt_f32_i32_e32 v4, v4
	v_sub_u32_e32 v1, 32, v1
	v_ldexp_f32 v1, v4, v1
	v_cvt_f16_f32_e32 v1, v1
	s_branch .LBB204_377
.LBB204_374:
	s_mov_b64 s[6:7], -1
                                        ; implicit-def: $vgpr1
	s_branch .LBB204_383
.LBB204_375:
	s_mov_b64 s[6:7], -1
                                        ; implicit-def: $vgpr1
	s_branch .LBB204_380
.LBB204_376:
	s_mov_b64 s[6:7], -1
                                        ; implicit-def: $vgpr1
.LBB204_377:
	s_andn2_b64 vcc, exec, s[6:7]
	s_cbranch_vccnz .LBB204_379
; %bb.378:
	global_load_dword v1, v[2:3], off
	s_waitcnt vmcnt(0)
	v_cvt_f32_i32_e32 v1, v1
	v_cvt_f16_f32_e32 v1, v1
.LBB204_379:
	s_mov_b64 s[6:7], 0
.LBB204_380:
	s_andn2_b64 vcc, exec, s[6:7]
	s_cbranch_vccnz .LBB204_382
; %bb.381:
	global_load_ushort v1, v[2:3], off
	s_waitcnt vmcnt(0)
	v_cvt_f16_i16_e32 v1, v1
.LBB204_382:
	s_mov_b64 s[6:7], 0
.LBB204_383:
	s_andn2_b64 vcc, exec, s[6:7]
	s_cbranch_vccnz .LBB204_389
; %bb.384:
	v_mov_b32_e32 v1, 0
	v_cmp_gt_i16_sdwa s[6:7], v33, v1 src0_sel:BYTE_0 src1_sel:DWORD
	s_and_b64 vcc, exec, s[6:7]
	s_cbranch_vccz .LBB204_386
; %bb.385:
	global_load_sbyte v1, v[2:3], off
	s_mov_b64 s[6:7], 0
	s_waitcnt vmcnt(0)
	v_cvt_f16_i16_e32 v1, v1
	s_branch .LBB204_387
.LBB204_386:
	s_mov_b64 s[6:7], -1
                                        ; implicit-def: $vgpr1
.LBB204_387:
	s_andn2_b64 vcc, exec, s[6:7]
	s_cbranch_vccnz .LBB204_389
; %bb.388:
	global_load_ubyte v1, v[2:3], off
	s_waitcnt vmcnt(0)
	v_cvt_f16_u16_e32 v1, v1
.LBB204_389:
	s_branch .LBB204_31
.LBB204_390:
	s_mov_b64 s[6:7], 0
.LBB204_391:
                                        ; implicit-def: $vgpr34
	s_mov_b64 s[8:9], 0
.LBB204_392:
	s_and_b64 s[56:57], s[6:7], exec
	s_and_b64 s[58:59], s[58:59], exec
	;; [unrolled: 1-line block ×3, first 2 shown]
	s_orn2_b64 s[6:7], s[8:9], exec
.LBB204_393:
	s_or_b64 exec, exec, s[62:63]
	s_mov_b64 s[10:11], 0
	s_mov_b64 s[8:9], 0
                                        ; implicit-def: $vgpr1
                                        ; implicit-def: $vgpr4_vgpr5
                                        ; implicit-def: $vgpr2
                                        ; implicit-def: $vgpr30
                                        ; implicit-def: $vgpr0
	s_and_saveexec_b64 s[62:63], s[6:7]
	s_cbranch_execz .LBB204_402
; %bb.394:
	v_cmp_gt_i32_e32 vcc, s82, v34
	s_mov_b64 s[6:7], -1
	s_mov_b64 s[64:65], s[60:61]
	s_mov_b64 s[66:67], s[58:59]
	;; [unrolled: 1-line block ×3, first 2 shown]
	s_and_saveexec_b64 s[70:71], vcc
	s_cbranch_execz .LBB204_793
; %bb.395:
	s_andn2_b64 vcc, exec, s[34:35]
	s_cbranch_vccnz .LBB204_405
; %bb.396:
	s_andn2_b64 vcc, exec, s[54:55]
	v_mov_b32_e32 v2, 0
	s_waitcnt vmcnt(0)
	v_mov_b32_e32 v0, 0
	v_mov_b32_e32 v30, 0
	s_cbranch_vccnz .LBB204_401
; %bb.397:
	s_add_i32 s6, s81, 1
	s_and_b32 s8, s6, 30
	s_add_u32 s6, s22, 0xffffffec
	s_addc_u32 s7, s23, -1
	v_mov_b32_e32 v30, 0
	v_mov_b32_e32 v1, v34
	v_mov_b32_e32 v0, 0
	v_mov_b32_e32 v2, 0
.LBB204_398:                            ; =>This Inner Loop Header: Depth=1
	s_mov_b64 s[10:11], s[6:7]
	s_load_dwordx4 s[12:15], s[10:11], 0x18
	s_load_dwordx2 s[20:21], s[10:11], 0x28
	s_load_dwordx2 s[30:31], s[10:11], 0xe8
	s_load_dwordx4 s[16:19], s[10:11], 0xd8
	s_add_u32 s6, s10, 24
	s_waitcnt lgkmcnt(0)
	v_mul_hi_u32 v3, s13, v1
	v_add_u32_e32 v3, v1, v3
	v_lshrrev_b32_e32 v3, s14, v3
	v_mul_lo_u32 v4, v3, s12
	v_mul_hi_u32 v5, s20, v3
	v_sub_u32_e32 v1, v1, v4
	v_add_u32_e32 v4, v3, v5
	v_mul_lo_u32 v5, v1, s16
	v_mul_lo_u32 v6, v1, s17
	v_mul_lo_u32 v7, v1, s18
	v_lshrrev_b32_e32 v1, s21, v4
	v_mul_lo_u32 v4, v1, s15
	v_sub_u32_e32 v3, v3, v4
	s_addc_u32 s7, s11, 0
	s_add_i32 s8, s8, -2
	v_mul_lo_u32 v4, v3, s19
	v_mul_lo_u32 v8, v3, s30
	;; [unrolled: 1-line block ×3, first 2 shown]
	s_cmp_eq_u32 s8, 0
	v_add3_u32 v30, v5, v30, v4
	v_add3_u32 v2, v7, v2, v3
	;; [unrolled: 1-line block ×3, first 2 shown]
	s_cbranch_scc0 .LBB204_398
; %bb.399:
	s_bitcmp1_b32 s81, 0
	s_cselect_b64 s[8:9], -1, 0
	s_and_b64 vcc, exec, s[8:9]
	s_cbranch_vccnz .LBB204_401
; %bb.400:
	s_load_dwordx2 s[8:9], s[6:7], 0x18
	s_load_dword s10, s[6:7], 0x20
	s_load_dword s11, s[6:7], 0xe0
	s_nop 0
	s_load_dwordx2 s[6:7], s[6:7], 0xd8
	s_waitcnt lgkmcnt(0)
	v_mul_hi_u32 v3, s9, v1
	v_add_u32_e32 v3, v1, v3
	v_lshrrev_b32_e32 v3, s10, v3
	v_mul_lo_u32 v3, v3, s8
	v_sub_u32_e32 v3, v1, v3
	v_mad_u64_u32 v[30:31], s[8:9], v3, s6, v[30:31]
	v_mad_u64_u32 v[0:1], s[6:7], v3, s7, v[0:1]
	;; [unrolled: 1-line block ×3, first 2 shown]
.LBB204_401:
	s_cbranch_execz .LBB204_406
	s_branch .LBB204_408
.LBB204_402:
	s_or_b64 exec, exec, s[62:63]
	s_waitcnt lgkmcnt(0)
	s_mov_b64 s[26:27], 0
	s_and_saveexec_b64 s[6:7], s[60:61]
	s_cbranch_execnz .LBB204_1289
.LBB204_403:
	s_or_b64 exec, exec, s[6:7]
	s_and_saveexec_b64 s[6:7], s[66:67]
	s_xor_b64 s[6:7], exec, s[6:7]
	s_cbranch_execz .LBB204_1290
.LBB204_404:
	global_load_ubyte v0, v[4:5], off
	v_mov_b32_e32 v3, 0x3c00
	s_or_b64 s[8:9], s[8:9], exec
	s_waitcnt vmcnt(0)
	v_cmp_ne_u16_e32 vcc, 0, v0
	v_cndmask_b32_e32 v0, 0, v3, vcc
	s_or_b64 exec, exec, s[6:7]
	s_and_saveexec_b64 s[6:7], s[10:11]
	s_cbranch_execz .LBB204_1336
	s_branch .LBB204_1291
.LBB204_405:
                                        ; implicit-def: $vgpr2
                                        ; implicit-def: $vgpr0
                                        ; implicit-def: $vgpr30
	s_andn2_b64 vcc, exec, s[6:7]
	s_cbranch_vccnz .LBB204_408
.LBB204_406:
	s_waitcnt vmcnt(0) lgkmcnt(0)
	v_mul_hi_u32 v0, s41, v34
	v_add_u32_e32 v0, v34, v0
	v_lshrrev_b32_e32 v1, s42, v0
	v_mul_lo_u32 v0, v1, s40
	v_sub_u32_e32 v0, v34, v0
	v_mul_lo_u32 v30, v0, s36
	v_mul_lo_u32 v2, v0, s38
	s_andn2_b64 vcc, exec, s[52:53]
	v_mul_lo_u32 v0, v0, s37
	s_cbranch_vccnz .LBB204_408
; %bb.407:
	v_mul_hi_u32 v3, s50, v1
	v_add_u32_e32 v3, v1, v3
	v_lshrrev_b32_e32 v3, s51, v3
	v_mul_lo_u32 v3, v3, s43
	v_sub_u32_e32 v3, v1, v3
	v_mad_u64_u32 v[30:31], s[6:7], v3, s39, v[30:31]
	v_mad_u64_u32 v[0:1], s[6:7], v3, s48, v[0:1]
	v_mad_u64_u32 v[2:3], s[6:7], v3, s49, v[2:3]
.LBB204_408:
	s_waitcnt vmcnt(0) lgkmcnt(0)
	v_mov_b32_e32 v1, s27
	v_add_co_u32_e32 v4, vcc, s26, v0
	v_mov_b32_e32 v0, 11
	v_addc_co_u32_e32 v5, vcc, 0, v1, vcc
	v_cmp_lt_i16_sdwa s[6:7], v35, v0 src0_sel:BYTE_0 src1_sel:DWORD
	s_and_b64 vcc, exec, s[6:7]
	s_cbranch_vccnz .LBB204_415
; %bb.409:
	v_mov_b32_e32 v0, 25
	v_cmp_gt_i16_sdwa s[6:7], v35, v0 src0_sel:BYTE_0 src1_sel:DWORD
	s_and_b64 vcc, exec, s[6:7]
	s_cbranch_vccz .LBB204_424
; %bb.410:
	v_mov_b32_e32 v0, 28
	v_cmp_gt_i16_sdwa s[6:7], v35, v0 src0_sel:BYTE_0 src1_sel:DWORD
	s_and_b64 vcc, exec, s[6:7]
	s_cbranch_vccz .LBB204_426
	;; [unrolled: 5-line block ×4, first 2 shown]
; %bb.413:
	v_mov_b32_e32 v0, 46
	v_cmp_eq_u16_sdwa s[6:7], v35, v0 src0_sel:BYTE_0 src1_sel:DWORD
	s_mov_b64 s[8:9], 0
	s_and_b64 vcc, exec, s[6:7]
	s_cbranch_vccz .LBB204_434
; %bb.414:
	global_load_dword v0, v[4:5], off
	s_mov_b64 s[6:7], -1
	s_mov_b64 s[64:65], 0
	s_waitcnt vmcnt(0)
	v_lshlrev_b32_e32 v0, 16, v0
	v_cvt_f16_f32_e32 v0, v0
	s_branch .LBB204_435
.LBB204_415:
	s_mov_b64 s[6:7], 0
                                        ; implicit-def: $vgpr0
	s_mov_b64 s[64:65], s[60:61]
	s_cbranch_execnz .LBB204_501
.LBB204_416:
	s_andn2_b64 vcc, exec, s[6:7]
	s_cbranch_vccnz .LBB204_549
.LBB204_417:
	v_mov_b32_e32 v1, s47
	v_add_co_u32_e32 v2, vcc, s46, v2
	v_addc_co_u32_e32 v3, vcc, 0, v1, vcc
	v_mov_b32_e32 v1, 11
	v_cmp_lt_i16_sdwa s[6:7], v33, v1 src0_sel:BYTE_0 src1_sel:DWORD
	s_and_b64 vcc, exec, s[6:7]
	s_cbranch_vccnz .LBB204_425
; %bb.418:
	v_mov_b32_e32 v1, 25
	v_cmp_gt_i16_sdwa s[6:7], v33, v1 src0_sel:BYTE_0 src1_sel:DWORD
	s_and_b64 vcc, exec, s[6:7]
	s_cbranch_vccz .LBB204_427
; %bb.419:
	v_mov_b32_e32 v1, 28
	v_cmp_gt_i16_sdwa s[6:7], v33, v1 src0_sel:BYTE_0 src1_sel:DWORD
	s_and_b64 vcc, exec, s[6:7]
	s_cbranch_vccz .LBB204_429
	;; [unrolled: 5-line block ×4, first 2 shown]
; %bb.422:
	v_mov_b32_e32 v1, 46
	v_cmp_eq_u16_sdwa s[6:7], v33, v1 src0_sel:BYTE_0 src1_sel:DWORD
	s_mov_b64 s[8:9], 0
	s_and_b64 vcc, exec, s[6:7]
	s_cbranch_vccz .LBB204_553
; %bb.423:
	global_load_dword v1, v[2:3], off
	s_mov_b64 s[6:7], -1
	s_mov_b64 s[66:67], 0
	s_waitcnt vmcnt(0)
	v_lshlrev_b32_e32 v1, 16, v1
	v_cvt_f16_f32_e32 v1, v1
	s_branch .LBB204_554
.LBB204_424:
	s_mov_b64 s[8:9], -1
	s_mov_b64 s[6:7], 0
	s_mov_b64 s[64:65], s[60:61]
                                        ; implicit-def: $vgpr0
	s_branch .LBB204_465
.LBB204_425:
	s_mov_b64 s[8:9], -1
	s_mov_b64 s[6:7], 0
                                        ; implicit-def: $vgpr1
	s_mov_b64 s[66:67], s[58:59]
	s_branch .LBB204_619
.LBB204_426:
	s_mov_b64 s[8:9], -1
	s_mov_b64 s[6:7], 0
	s_mov_b64 s[64:65], s[60:61]
                                        ; implicit-def: $vgpr0
	s_branch .LBB204_446
.LBB204_427:
	s_mov_b64 s[8:9], -1
	s_mov_b64 s[6:7], 0
	s_mov_b64 s[66:67], s[58:59]
                                        ; implicit-def: $vgpr1
	s_branch .LBB204_583
.LBB204_428:
	s_mov_b64 s[8:9], -1
	s_mov_b64 s[6:7], 0
	s_mov_b64 s[64:65], s[60:61]
                                        ; implicit-def: $vgpr0
	s_branch .LBB204_441
.LBB204_429:
	s_mov_b64 s[8:9], -1
	s_mov_b64 s[6:7], 0
	s_mov_b64 s[66:67], s[58:59]
                                        ; implicit-def: $vgpr1
	s_branch .LBB204_564
.LBB204_430:
	s_mov_b64 s[8:9], -1
	s_mov_b64 s[6:7], 0
	s_mov_b64 s[64:65], s[60:61]
                                        ; implicit-def: $vgpr0
	s_branch .LBB204_435
.LBB204_431:
	s_mov_b64 s[8:9], -1
	s_mov_b64 s[6:7], 0
	s_mov_b64 s[66:67], s[58:59]
                                        ; implicit-def: $vgpr1
	s_branch .LBB204_559
.LBB204_432:
	s_or_saveexec_b64 s[12:13], s[12:13]
                                        ; implicit-def: $sgpr14
	s_xor_b64 exec, exec, s[12:13]
	s_cbranch_execz .LBB204_190
.LBB204_433:
	s_mov_b32 s14, 0x46000000
	v_add_f32_e64 v4, |v1|, s14
	v_and_b32_e32 v4, 0xff, v4
	v_cmp_ne_u32_e32 vcc, 0, v4
	s_andn2_b64 s[10:11], s[10:11], exec
	s_and_b64 s[16:17], vcc, exec
	s_mov_b32 s14, 0
	s_or_b64 s[10:11], s[10:11], s[16:17]
	s_or_b64 exec, exec, s[12:13]
	v_mov_b32_e32 v5, s14
	s_and_saveexec_b64 s[12:13], s[10:11]
	s_cbranch_execnz .LBB204_191
	s_branch .LBB204_192
.LBB204_434:
	s_mov_b64 s[64:65], -1
                                        ; implicit-def: $vgpr0
	s_mov_b64 s[6:7], 0
.LBB204_435:
	s_and_b64 vcc, exec, s[8:9]
	s_cbranch_vccz .LBB204_440
; %bb.436:
	v_mov_b32_e32 v0, 44
	v_cmp_eq_u16_sdwa s[8:9], v35, v0 src0_sel:BYTE_0 src1_sel:DWORD
	s_and_b64 vcc, exec, s[8:9]
	s_cbranch_vccz .LBB204_439
; %bb.437:
	global_load_ubyte v0, v[4:5], off
	s_movk_i32 s8, 0xff
	v_mov_b32_e32 v3, 0x7e00
	s_mov_b64 s[6:7], -1
	s_mov_b64 s[64:65], 0
	s_waitcnt vmcnt(0)
	v_lshlrev_b32_e32 v1, 23, v0
	v_cvt_f16_f32_e32 v1, v1
	v_cmp_ne_u32_e32 vcc, s8, v0
	v_cndmask_b32_e32 v1, v3, v1, vcc
	v_cmp_ne_u32_e32 vcc, 0, v0
	v_cndmask_b32_e32 v0, 0, v1, vcc
	s_branch .LBB204_440
.LBB204_438:
	s_mov_b64 s[8:9], -1
	s_mov_b64 s[6:7], 0
	s_mov_b64 s[66:67], s[58:59]
                                        ; implicit-def: $vgpr1
	s_branch .LBB204_554
.LBB204_439:
	s_mov_b64 s[64:65], -1
                                        ; implicit-def: $vgpr0
.LBB204_440:
	s_mov_b64 s[8:9], 0
.LBB204_441:
	s_and_b64 vcc, exec, s[8:9]
	s_cbranch_vccz .LBB204_445
; %bb.442:
	v_mov_b32_e32 v0, 29
	v_cmp_eq_u16_sdwa s[8:9], v35, v0 src0_sel:BYTE_0 src1_sel:DWORD
	s_and_b64 vcc, exec, s[8:9]
	s_cbranch_vccz .LBB204_444
; %bb.443:
	global_load_dwordx2 v[0:1], v[4:5], off
	s_mov_b64 s[6:7], -1
	s_mov_b64 s[64:65], 0
	s_mov_b64 s[8:9], 0
	s_waitcnt vmcnt(0)
	v_ffbh_u32_e32 v3, v1
	v_min_u32_e32 v3, 32, v3
	v_lshlrev_b64 v[0:1], v3, v[0:1]
	v_min_u32_e32 v0, 1, v0
	v_or_b32_e32 v0, v1, v0
	v_cvt_f32_u32_e32 v0, v0
	v_sub_u32_e32 v1, 32, v3
	v_ldexp_f32 v0, v0, v1
	v_cvt_f16_f32_e32 v0, v0
	s_branch .LBB204_446
.LBB204_444:
	s_mov_b64 s[64:65], -1
                                        ; implicit-def: $vgpr0
.LBB204_445:
	s_mov_b64 s[8:9], 0
.LBB204_446:
	s_and_b64 vcc, exec, s[8:9]
	s_cbranch_vccz .LBB204_464
; %bb.447:
	v_mov_b32_e32 v0, 27
	v_cmp_lt_i16_sdwa s[6:7], v35, v0 src0_sel:BYTE_0 src1_sel:DWORD
	s_and_b64 vcc, exec, s[6:7]
	s_cbranch_vccnz .LBB204_450
; %bb.448:
	v_cmp_gt_i16_sdwa s[6:7], v35, v0 src0_sel:BYTE_0 src1_sel:DWORD
	s_and_b64 vcc, exec, s[6:7]
	s_cbranch_vccz .LBB204_451
; %bb.449:
	global_load_dword v0, v[4:5], off
	s_mov_b64 s[6:7], 0
	s_waitcnt vmcnt(0)
	v_cvt_f32_u32_e32 v0, v0
	v_cvt_f16_f32_e32 v0, v0
	s_branch .LBB204_452
.LBB204_450:
	s_mov_b64 s[6:7], -1
                                        ; implicit-def: $vgpr0
	s_branch .LBB204_455
.LBB204_451:
	s_mov_b64 s[6:7], -1
                                        ; implicit-def: $vgpr0
.LBB204_452:
	s_andn2_b64 vcc, exec, s[6:7]
	s_cbranch_vccnz .LBB204_454
; %bb.453:
	global_load_ushort v0, v[4:5], off
	s_waitcnt vmcnt(0)
	v_cvt_f16_u16_e32 v0, v0
.LBB204_454:
	s_mov_b64 s[6:7], 0
.LBB204_455:
	s_andn2_b64 vcc, exec, s[6:7]
	s_cbranch_vccnz .LBB204_463
; %bb.456:
	global_load_ubyte v1, v[4:5], off
	s_movk_i32 s6, 0x7f
                                        ; implicit-def: $sgpr12
	s_waitcnt vmcnt(0)
	v_cmp_lt_i16_e32 vcc, s6, v1
	s_mov_b64 s[6:7], 0
	s_and_saveexec_b64 s[8:9], vcc
	s_xor_b64 s[8:9], exec, s[8:9]
	s_cbranch_execz .LBB204_477
; %bb.457:
	s_movk_i32 s6, 0x80
	v_cmp_eq_u16_e32 vcc, s6, v1
	s_mov_b64 s[6:7], -1
                                        ; implicit-def: $sgpr12
	s_and_saveexec_b64 s[10:11], vcc
; %bb.458:
	s_movk_i32 s12, 0x7e00
	s_xor_b64 s[6:7], exec, -1
; %bb.459:
	s_or_b64 exec, exec, s[10:11]
	s_and_b64 s[6:7], s[6:7], exec
	s_or_saveexec_b64 s[8:9], s[8:9]
	v_mov_b32_e32 v0, s12
	s_xor_b64 exec, exec, s[8:9]
	s_cbranch_execnz .LBB204_478
.LBB204_460:
	s_or_b64 exec, exec, s[8:9]
	s_and_saveexec_b64 s[8:9], s[6:7]
	s_cbranch_execz .LBB204_462
.LBB204_461:
	v_lshlrev_b32_e32 v0, 24, v1
	v_and_b32_e32 v1, 0xffff, v1
	v_and_b32_e32 v3, 7, v1
	v_ffbh_u32_e32 v7, v3
	v_min_u32_e32 v7, 32, v7
	v_subrev_u32_e32 v8, 28, v7
	v_bfe_u32 v6, v1, 3, 4
	v_lshlrev_b32_e32 v1, v8, v1
	v_sub_u32_e32 v7, 29, v7
	v_and_b32_e32 v1, 7, v1
	v_cmp_eq_u32_e32 vcc, 0, v6
	v_cndmask_b32_e32 v6, v6, v7, vcc
	v_cndmask_b32_e32 v1, v3, v1, vcc
	v_mov_b32_e32 v3, 0x3b800000
	v_lshlrev_b32_e32 v1, 20, v1
	v_and_b32_e32 v0, 0x80000000, v0
	v_lshl_add_u32 v3, v6, 23, v3
	v_or3_b32 v0, v0, v3, v1
	v_cvt_f16_f32_e32 v0, v0
.LBB204_462:
	s_or_b64 exec, exec, s[8:9]
.LBB204_463:
	s_mov_b64 s[6:7], -1
.LBB204_464:
	s_mov_b64 s[8:9], 0
.LBB204_465:
	s_and_b64 vcc, exec, s[8:9]
	s_cbranch_vccz .LBB204_500
; %bb.466:
	v_mov_b32_e32 v0, 22
	v_cmp_gt_i16_sdwa s[8:9], v35, v0 src0_sel:BYTE_0 src1_sel:DWORD
	s_and_b64 vcc, exec, s[8:9]
	s_cbranch_vccz .LBB204_476
; %bb.467:
	v_mov_b32_e32 v0, 24
	v_cmp_lt_i16_sdwa s[6:7], v35, v0 src0_sel:BYTE_0 src1_sel:DWORD
	s_and_b64 vcc, exec, s[6:7]
	s_cbranch_vccnz .LBB204_479
; %bb.468:
	v_cmp_gt_i16_sdwa s[6:7], v35, v0 src0_sel:BYTE_0 src1_sel:DWORD
	s_and_b64 vcc, exec, s[6:7]
	s_cbranch_vccz .LBB204_480
; %bb.469:
	global_load_ubyte v1, v[4:5], off
	s_movk_i32 s6, 0x7f
                                        ; implicit-def: $sgpr12
	s_waitcnt vmcnt(0)
	v_cmp_lt_i16_e32 vcc, s6, v1
	s_mov_b64 s[6:7], 0
	s_and_saveexec_b64 s[8:9], vcc
	s_xor_b64 s[8:9], exec, s[8:9]
	s_cbranch_execz .LBB204_492
; %bb.470:
	s_movk_i32 s6, 0x80
	v_cmp_eq_u16_e32 vcc, s6, v1
	s_mov_b64 s[6:7], -1
                                        ; implicit-def: $sgpr12
	s_and_saveexec_b64 s[10:11], vcc
; %bb.471:
	s_movk_i32 s12, 0x7e00
	s_xor_b64 s[6:7], exec, -1
; %bb.472:
	s_or_b64 exec, exec, s[10:11]
	s_and_b64 s[6:7], s[6:7], exec
	s_or_saveexec_b64 s[8:9], s[8:9]
	v_mov_b32_e32 v0, s12
	s_xor_b64 exec, exec, s[8:9]
	s_cbranch_execnz .LBB204_493
.LBB204_473:
	s_or_b64 exec, exec, s[8:9]
	s_and_saveexec_b64 s[8:9], s[6:7]
	s_cbranch_execz .LBB204_475
.LBB204_474:
	v_lshlrev_b32_e32 v0, 24, v1
	v_and_b32_e32 v1, 0xffff, v1
	v_and_b32_e32 v3, 3, v1
	v_ffbh_u32_e32 v7, v3
	v_min_u32_e32 v7, 32, v7
	v_subrev_u32_e32 v8, 29, v7
	v_bfe_u32 v6, v1, 2, 5
	v_lshlrev_b32_e32 v1, v8, v1
	v_sub_u32_e32 v7, 30, v7
	v_and_b32_e32 v1, 3, v1
	v_cmp_eq_u32_e32 vcc, 0, v6
	v_cndmask_b32_e32 v6, v6, v7, vcc
	v_cndmask_b32_e32 v1, v3, v1, vcc
	v_mov_b32_e32 v3, 0x37800000
	v_lshlrev_b32_e32 v1, 21, v1
	v_and_b32_e32 v0, 0x80000000, v0
	v_lshl_add_u32 v3, v6, 23, v3
	v_or3_b32 v0, v0, v3, v1
	v_cvt_f16_f32_e32 v0, v0
.LBB204_475:
	s_or_b64 exec, exec, s[8:9]
	s_mov_b64 s[6:7], 0
	s_branch .LBB204_481
.LBB204_476:
	s_mov_b64 s[8:9], -1
                                        ; implicit-def: $vgpr0
	s_branch .LBB204_487
.LBB204_477:
	s_or_saveexec_b64 s[8:9], s[8:9]
	v_mov_b32_e32 v0, s12
	s_xor_b64 exec, exec, s[8:9]
	s_cbranch_execz .LBB204_460
.LBB204_478:
	v_cmp_ne_u16_e32 vcc, 0, v1
	s_andn2_b64 s[6:7], s[6:7], exec
	s_and_b64 s[10:11], vcc, exec
	s_or_b64 s[6:7], s[6:7], s[10:11]
	v_mov_b32_e32 v0, v1
	s_or_b64 exec, exec, s[8:9]
	s_and_saveexec_b64 s[8:9], s[6:7]
	s_cbranch_execnz .LBB204_461
	s_branch .LBB204_462
.LBB204_479:
	s_mov_b64 s[6:7], -1
                                        ; implicit-def: $vgpr0
	s_branch .LBB204_484
.LBB204_480:
	s_mov_b64 s[6:7], -1
                                        ; implicit-def: $vgpr0
.LBB204_481:
	s_and_b64 vcc, exec, s[6:7]
	s_cbranch_vccz .LBB204_483
; %bb.482:
	global_load_ubyte v0, v[4:5], off
	s_mov_b32 s6, 0x7f800000
	s_waitcnt vmcnt(0)
	v_lshlrev_b32_e32 v0, 24, v0
	v_and_b32_e32 v1, 0x7f000000, v0
	v_ffbh_u32_e32 v3, v1
	v_min_u32_e32 v3, 32, v3
	v_sub_u32_e64 v3, v3, 4 clamp
	v_lshlrev_b32_e32 v7, v3, v1
	v_lshlrev_b32_e32 v3, 23, v3
	v_lshrrev_b32_e32 v7, 4, v7
	v_add_u32_e32 v6, 0x1000000, v1
	v_sub_u32_e32 v3, v7, v3
	v_ashrrev_i32_e32 v6, 8, v6
	v_add_u32_e32 v3, 0x3c000000, v3
	v_and_or_b32 v3, v6, s6, v3
	v_cmp_ne_u32_e32 vcc, 0, v1
	v_cndmask_b32_e32 v1, 0, v3, vcc
	s_brev_b32 s6, 1
	v_and_or_b32 v0, v0, s6, v1
	v_cvt_f16_f32_e32 v0, v0
.LBB204_483:
	s_mov_b64 s[6:7], 0
.LBB204_484:
	s_andn2_b64 vcc, exec, s[6:7]
	s_cbranch_vccnz .LBB204_486
; %bb.485:
	global_load_ubyte v0, v[4:5], off
	s_movk_i32 s6, 0x7f00
	s_brev_b32 s7, 16
	s_waitcnt vmcnt(0)
	v_lshlrev_b16_e32 v1, 8, v0
	v_lshlrev_b32_e32 v0, 25, v0
	v_lshrrev_b32_e32 v3, 4, v0
	v_and_or_b32 v6, v1, s6, 0.5
	v_or_b32_e32 v3, 0x70000000, v3
	v_add_f32_e32 v6, -0.5, v6
	v_mul_f32_e32 v3, 0x7800000, v3
	v_cmp_gt_u32_e32 vcc, s7, v0
	v_bfe_i32 v1, v1, 0, 16
	v_cndmask_b32_e32 v0, v3, v6, vcc
	s_brev_b32 s6, 1
	v_and_or_b32 v0, v1, s6, v0
	v_cvt_f16_f32_e32 v0, v0
.LBB204_486:
	s_mov_b64 s[8:9], 0
	s_mov_b64 s[6:7], -1
.LBB204_487:
	s_andn2_b64 vcc, exec, s[8:9]
	s_cbranch_vccnz .LBB204_500
; %bb.488:
	v_mov_b32_e32 v0, 14
	v_cmp_gt_i16_sdwa s[8:9], v35, v0 src0_sel:BYTE_0 src1_sel:DWORD
	s_and_b64 vcc, exec, s[8:9]
	s_cbranch_vccz .LBB204_491
; %bb.489:
	v_mov_b32_e32 v0, 15
	v_cmp_eq_u16_sdwa s[8:9], v35, v0 src0_sel:BYTE_0 src1_sel:DWORD
	s_and_b64 vcc, exec, s[8:9]
	s_cbranch_vccz .LBB204_494
; %bb.490:
	global_load_ushort v0, v[4:5], off
	s_mov_b64 s[6:7], -1
	s_mov_b64 s[64:65], 0
	s_waitcnt vmcnt(0)
	v_lshlrev_b32_e32 v0, 16, v0
	v_cvt_f16_f32_e32 v0, v0
	s_branch .LBB204_495
.LBB204_491:
	s_mov_b64 s[8:9], -1
                                        ; implicit-def: $vgpr0
	s_branch .LBB204_496
.LBB204_492:
	s_or_saveexec_b64 s[8:9], s[8:9]
	v_mov_b32_e32 v0, s12
	s_xor_b64 exec, exec, s[8:9]
	s_cbranch_execz .LBB204_473
.LBB204_493:
	v_cmp_ne_u16_e32 vcc, 0, v1
	s_andn2_b64 s[6:7], s[6:7], exec
	s_and_b64 s[10:11], vcc, exec
	s_or_b64 s[6:7], s[6:7], s[10:11]
	v_mov_b32_e32 v0, v1
	s_or_b64 exec, exec, s[8:9]
	s_and_saveexec_b64 s[8:9], s[6:7]
	s_cbranch_execnz .LBB204_474
	s_branch .LBB204_475
.LBB204_494:
	s_mov_b64 s[64:65], -1
                                        ; implicit-def: $vgpr0
.LBB204_495:
	s_mov_b64 s[8:9], 0
.LBB204_496:
	s_and_b64 vcc, exec, s[8:9]
	s_cbranch_vccz .LBB204_500
; %bb.497:
	v_mov_b32_e32 v0, 11
	v_cmp_eq_u16_sdwa s[8:9], v35, v0 src0_sel:BYTE_0 src1_sel:DWORD
	s_and_b64 vcc, exec, s[8:9]
	s_cbranch_vccz .LBB204_499
; %bb.498:
	global_load_ubyte v0, v[4:5], off
	v_mov_b32_e32 v1, 0x3c00
	s_mov_b64 s[6:7], -1
	s_mov_b64 s[64:65], 0
	s_waitcnt vmcnt(0)
	v_cmp_ne_u16_e32 vcc, 0, v0
	v_cndmask_b32_e32 v0, 0, v1, vcc
	s_branch .LBB204_500
.LBB204_499:
	s_mov_b64 s[64:65], -1
                                        ; implicit-def: $vgpr0
.LBB204_500:
	s_branch .LBB204_416
.LBB204_501:
	v_mov_b32_e32 v0, 5
	v_cmp_lt_i16_sdwa s[6:7], v35, v0 src0_sel:BYTE_0 src1_sel:DWORD
	s_and_b64 vcc, exec, s[6:7]
	s_cbranch_vccnz .LBB204_506
; %bb.502:
	v_mov_b32_e32 v0, 8
	v_cmp_lt_i16_sdwa s[6:7], v35, v0 src0_sel:BYTE_0 src1_sel:DWORD
	s_and_b64 vcc, exec, s[6:7]
	s_cbranch_vccnz .LBB204_507
; %bb.503:
	;; [unrolled: 5-line block ×3, first 2 shown]
	v_cmp_gt_i16_sdwa s[6:7], v35, v0 src0_sel:BYTE_0 src1_sel:DWORD
	s_and_b64 vcc, exec, s[6:7]
	s_cbranch_vccz .LBB204_509
; %bb.505:
	global_load_dwordx2 v[0:1], v[4:5], off
	s_mov_b64 s[6:7], 0
	s_waitcnt vmcnt(0)
	v_cvt_f32_f64_e32 v0, v[0:1]
	v_cvt_f16_f32_e32 v0, v0
	s_branch .LBB204_510
.LBB204_506:
	s_mov_b64 s[6:7], -1
                                        ; implicit-def: $vgpr0
	s_branch .LBB204_528
.LBB204_507:
	s_mov_b64 s[6:7], -1
                                        ; implicit-def: $vgpr0
	s_branch .LBB204_516
.LBB204_508:
	s_mov_b64 s[6:7], -1
                                        ; implicit-def: $vgpr0
	s_branch .LBB204_513
.LBB204_509:
	s_mov_b64 s[6:7], -1
                                        ; implicit-def: $vgpr0
.LBB204_510:
	s_andn2_b64 vcc, exec, s[6:7]
	s_cbranch_vccnz .LBB204_512
; %bb.511:
	global_load_dword v0, v[4:5], off
	s_waitcnt vmcnt(0)
	v_cvt_f16_f32_e32 v0, v0
.LBB204_512:
	s_mov_b64 s[6:7], 0
.LBB204_513:
	s_andn2_b64 vcc, exec, s[6:7]
	s_cbranch_vccnz .LBB204_515
; %bb.514:
	global_load_dword v0, v[4:5], off
.LBB204_515:
	s_mov_b64 s[6:7], 0
.LBB204_516:
	s_andn2_b64 vcc, exec, s[6:7]
	s_cbranch_vccnz .LBB204_527
; %bb.517:
	s_waitcnt vmcnt(0)
	v_mov_b32_e32 v0, 6
	v_cmp_lt_i16_sdwa s[6:7], v35, v0 src0_sel:BYTE_0 src1_sel:DWORD
	s_and_b64 vcc, exec, s[6:7]
	s_cbranch_vccnz .LBB204_520
; %bb.518:
	v_cmp_gt_i16_sdwa s[6:7], v35, v0 src0_sel:BYTE_0 src1_sel:DWORD
	s_and_b64 vcc, exec, s[6:7]
	s_cbranch_vccz .LBB204_521
; %bb.519:
	global_load_dwordx2 v[0:1], v[4:5], off
	s_mov_b64 s[6:7], 0
	s_waitcnt vmcnt(0)
	v_cvt_f32_f64_e32 v0, v[0:1]
	v_cvt_f16_f32_e32 v0, v0
	s_branch .LBB204_522
.LBB204_520:
	s_mov_b64 s[6:7], -1
                                        ; implicit-def: $vgpr0
	s_branch .LBB204_525
.LBB204_521:
	s_mov_b64 s[6:7], -1
                                        ; implicit-def: $vgpr0
.LBB204_522:
	s_andn2_b64 vcc, exec, s[6:7]
	s_cbranch_vccnz .LBB204_524
; %bb.523:
	global_load_dword v0, v[4:5], off
	s_waitcnt vmcnt(0)
	v_cvt_f16_f32_e32 v0, v0
.LBB204_524:
	s_mov_b64 s[6:7], 0
.LBB204_525:
	s_andn2_b64 vcc, exec, s[6:7]
	s_cbranch_vccnz .LBB204_527
; %bb.526:
	global_load_ushort v0, v[4:5], off
.LBB204_527:
	s_mov_b64 s[6:7], 0
.LBB204_528:
	s_andn2_b64 vcc, exec, s[6:7]
	s_cbranch_vccnz .LBB204_548
; %bb.529:
	s_waitcnt vmcnt(0)
	v_mov_b32_e32 v0, 2
	v_cmp_lt_i16_sdwa s[6:7], v35, v0 src0_sel:BYTE_0 src1_sel:DWORD
	s_and_b64 vcc, exec, s[6:7]
	s_cbranch_vccnz .LBB204_533
; %bb.530:
	v_mov_b32_e32 v0, 3
	v_cmp_lt_i16_sdwa s[6:7], v35, v0 src0_sel:BYTE_0 src1_sel:DWORD
	s_and_b64 vcc, exec, s[6:7]
	s_cbranch_vccnz .LBB204_534
; %bb.531:
	v_cmp_gt_i16_sdwa s[6:7], v35, v0 src0_sel:BYTE_0 src1_sel:DWORD
	s_and_b64 vcc, exec, s[6:7]
	s_cbranch_vccz .LBB204_535
; %bb.532:
	global_load_dwordx2 v[0:1], v[4:5], off
	s_mov_b64 s[6:7], 0
	s_waitcnt vmcnt(0)
	v_xor_b32_e32 v6, v0, v1
	v_ffbh_i32_e32 v3, v1
	v_ashrrev_i32_e32 v6, 31, v6
	v_add_u32_e32 v3, -1, v3
	v_add_u32_e32 v6, 32, v6
	v_min_u32_e32 v3, v3, v6
	v_lshlrev_b64 v[0:1], v3, v[0:1]
	v_min_u32_e32 v0, 1, v0
	v_or_b32_e32 v0, v1, v0
	v_cvt_f32_i32_e32 v0, v0
	v_sub_u32_e32 v1, 32, v3
	v_ldexp_f32 v0, v0, v1
	v_cvt_f16_f32_e32 v0, v0
	s_branch .LBB204_536
.LBB204_533:
	s_mov_b64 s[6:7], -1
                                        ; implicit-def: $vgpr0
	s_branch .LBB204_542
.LBB204_534:
	s_mov_b64 s[6:7], -1
                                        ; implicit-def: $vgpr0
	s_branch .LBB204_539
.LBB204_535:
	s_mov_b64 s[6:7], -1
                                        ; implicit-def: $vgpr0
.LBB204_536:
	s_andn2_b64 vcc, exec, s[6:7]
	s_cbranch_vccnz .LBB204_538
; %bb.537:
	global_load_dword v0, v[4:5], off
	s_waitcnt vmcnt(0)
	v_cvt_f32_i32_e32 v0, v0
	v_cvt_f16_f32_e32 v0, v0
.LBB204_538:
	s_mov_b64 s[6:7], 0
.LBB204_539:
	s_andn2_b64 vcc, exec, s[6:7]
	s_cbranch_vccnz .LBB204_541
; %bb.540:
	global_load_ushort v0, v[4:5], off
	s_waitcnt vmcnt(0)
	v_cvt_f16_i16_e32 v0, v0
.LBB204_541:
	s_mov_b64 s[6:7], 0
.LBB204_542:
	s_andn2_b64 vcc, exec, s[6:7]
	s_cbranch_vccnz .LBB204_548
; %bb.543:
	v_mov_b32_e32 v0, 0
	v_cmp_gt_i16_sdwa s[6:7], v35, v0 src0_sel:BYTE_0 src1_sel:DWORD
	s_and_b64 vcc, exec, s[6:7]
	s_cbranch_vccz .LBB204_545
; %bb.544:
	global_load_sbyte v0, v[4:5], off
	s_mov_b64 s[6:7], 0
	s_waitcnt vmcnt(0)
	v_cvt_f16_i16_e32 v0, v0
	s_branch .LBB204_546
.LBB204_545:
	s_mov_b64 s[6:7], -1
                                        ; implicit-def: $vgpr0
.LBB204_546:
	s_andn2_b64 vcc, exec, s[6:7]
	s_cbranch_vccnz .LBB204_548
; %bb.547:
	global_load_ubyte v0, v[4:5], off
	s_waitcnt vmcnt(0)
	v_cvt_f16_u16_e32 v0, v0
.LBB204_548:
	s_branch .LBB204_417
.LBB204_549:
	s_mov_b64 s[8:9], 0
	s_mov_b64 s[6:7], s[56:57]
	;; [unrolled: 1-line block ×3, first 2 shown]
.LBB204_550:
                                        ; implicit-def: $vgpr34
	s_branch .LBB204_792
.LBB204_551:
	s_or_saveexec_b64 s[12:13], s[12:13]
                                        ; implicit-def: $sgpr14
	s_xor_b64 exec, exec, s[12:13]
	s_cbranch_execz .LBB204_203
.LBB204_552:
	s_mov_b32 s14, 0x42800000
	v_add_f32_e64 v4, |v1|, s14
	v_and_b32_e32 v4, 0xff, v4
	v_cmp_ne_u32_e32 vcc, 0, v4
	s_andn2_b64 s[10:11], s[10:11], exec
	s_and_b64 s[16:17], vcc, exec
	s_mov_b32 s14, 0
	s_or_b64 s[10:11], s[10:11], s[16:17]
	s_or_b64 exec, exec, s[12:13]
	v_mov_b32_e32 v5, s14
	s_and_saveexec_b64 s[12:13], s[10:11]
	s_cbranch_execnz .LBB204_204
	s_branch .LBB204_205
.LBB204_553:
	s_mov_b64 s[66:67], -1
                                        ; implicit-def: $vgpr1
	s_mov_b64 s[6:7], 0
.LBB204_554:
	s_and_b64 vcc, exec, s[8:9]
	s_cbranch_vccz .LBB204_558
; %bb.555:
	v_mov_b32_e32 v1, 44
	v_cmp_eq_u16_sdwa s[8:9], v33, v1 src0_sel:BYTE_0 src1_sel:DWORD
	s_and_b64 vcc, exec, s[8:9]
	s_cbranch_vccz .LBB204_557
; %bb.556:
	global_load_ubyte v1, v[2:3], off
	s_movk_i32 s8, 0xff
	v_mov_b32_e32 v5, 0x7e00
	s_mov_b64 s[6:7], -1
	s_mov_b64 s[66:67], 0
	s_waitcnt vmcnt(0)
	v_lshlrev_b32_e32 v4, 23, v1
	v_cvt_f16_f32_e32 v4, v4
	v_cmp_ne_u32_e32 vcc, s8, v1
	v_cndmask_b32_e32 v4, v5, v4, vcc
	v_cmp_ne_u32_e32 vcc, 0, v1
	v_cndmask_b32_e32 v1, 0, v4, vcc
	s_branch .LBB204_558
.LBB204_557:
	s_mov_b64 s[66:67], -1
                                        ; implicit-def: $vgpr1
.LBB204_558:
	s_mov_b64 s[8:9], 0
.LBB204_559:
	s_and_b64 vcc, exec, s[8:9]
	s_cbranch_vccz .LBB204_563
; %bb.560:
	v_mov_b32_e32 v1, 29
	v_cmp_eq_u16_sdwa s[8:9], v33, v1 src0_sel:BYTE_0 src1_sel:DWORD
	s_and_b64 vcc, exec, s[8:9]
	s_cbranch_vccz .LBB204_562
; %bb.561:
	global_load_dwordx2 v[4:5], v[2:3], off
	s_mov_b64 s[6:7], -1
	s_mov_b64 s[66:67], 0
	s_mov_b64 s[8:9], 0
	s_waitcnt vmcnt(0)
	v_ffbh_u32_e32 v1, v5
	v_min_u32_e32 v1, 32, v1
	v_lshlrev_b64 v[4:5], v1, v[4:5]
	v_min_u32_e32 v4, 1, v4
	v_or_b32_e32 v4, v5, v4
	v_cvt_f32_u32_e32 v4, v4
	v_sub_u32_e32 v1, 32, v1
	v_ldexp_f32 v1, v4, v1
	v_cvt_f16_f32_e32 v1, v1
	s_branch .LBB204_564
.LBB204_562:
	s_mov_b64 s[66:67], -1
                                        ; implicit-def: $vgpr1
.LBB204_563:
	s_mov_b64 s[8:9], 0
.LBB204_564:
	s_and_b64 vcc, exec, s[8:9]
	s_cbranch_vccz .LBB204_582
; %bb.565:
	v_mov_b32_e32 v1, 27
	v_cmp_lt_i16_sdwa s[6:7], v33, v1 src0_sel:BYTE_0 src1_sel:DWORD
	s_and_b64 vcc, exec, s[6:7]
	s_cbranch_vccnz .LBB204_568
; %bb.566:
	v_cmp_gt_i16_sdwa s[6:7], v33, v1 src0_sel:BYTE_0 src1_sel:DWORD
	s_and_b64 vcc, exec, s[6:7]
	s_cbranch_vccz .LBB204_569
; %bb.567:
	global_load_dword v1, v[2:3], off
	s_mov_b64 s[6:7], 0
	s_waitcnt vmcnt(0)
	v_cvt_f32_u32_e32 v1, v1
	v_cvt_f16_f32_e32 v1, v1
	s_branch .LBB204_570
.LBB204_568:
	s_mov_b64 s[6:7], -1
                                        ; implicit-def: $vgpr1
	s_branch .LBB204_573
.LBB204_569:
	s_mov_b64 s[6:7], -1
                                        ; implicit-def: $vgpr1
.LBB204_570:
	s_andn2_b64 vcc, exec, s[6:7]
	s_cbranch_vccnz .LBB204_572
; %bb.571:
	global_load_ushort v1, v[2:3], off
	s_waitcnt vmcnt(0)
	v_cvt_f16_u16_e32 v1, v1
.LBB204_572:
	s_mov_b64 s[6:7], 0
.LBB204_573:
	s_andn2_b64 vcc, exec, s[6:7]
	s_cbranch_vccnz .LBB204_581
; %bb.574:
	global_load_ubyte v4, v[2:3], off
	s_movk_i32 s6, 0x7f
                                        ; implicit-def: $sgpr12
	s_waitcnt vmcnt(0)
	v_cmp_lt_i16_e32 vcc, s6, v4
	s_mov_b64 s[6:7], 0
	s_and_saveexec_b64 s[8:9], vcc
	s_xor_b64 s[8:9], exec, s[8:9]
	s_cbranch_execz .LBB204_595
; %bb.575:
	s_movk_i32 s6, 0x80
	v_cmp_eq_u16_e32 vcc, s6, v4
	s_mov_b64 s[6:7], -1
                                        ; implicit-def: $sgpr12
	s_and_saveexec_b64 s[10:11], vcc
; %bb.576:
	s_movk_i32 s12, 0x7e00
	s_xor_b64 s[6:7], exec, -1
; %bb.577:
	s_or_b64 exec, exec, s[10:11]
	s_and_b64 s[6:7], s[6:7], exec
	s_or_saveexec_b64 s[8:9], s[8:9]
	v_mov_b32_e32 v1, s12
	s_xor_b64 exec, exec, s[8:9]
	s_cbranch_execnz .LBB204_596
.LBB204_578:
	s_or_b64 exec, exec, s[8:9]
	s_and_saveexec_b64 s[8:9], s[6:7]
	s_cbranch_execz .LBB204_580
.LBB204_579:
	v_lshlrev_b32_e32 v1, 24, v4
	v_and_b32_e32 v4, 0xffff, v4
	v_and_b32_e32 v5, 7, v4
	v_ffbh_u32_e32 v7, v5
	v_min_u32_e32 v7, 32, v7
	v_subrev_u32_e32 v8, 28, v7
	v_bfe_u32 v6, v4, 3, 4
	v_lshlrev_b32_e32 v4, v8, v4
	v_sub_u32_e32 v7, 29, v7
	v_and_b32_e32 v4, 7, v4
	v_cmp_eq_u32_e32 vcc, 0, v6
	v_cndmask_b32_e32 v6, v6, v7, vcc
	v_cndmask_b32_e32 v4, v5, v4, vcc
	v_mov_b32_e32 v5, 0x3b800000
	v_lshlrev_b32_e32 v4, 20, v4
	v_and_b32_e32 v1, 0x80000000, v1
	v_lshl_add_u32 v5, v6, 23, v5
	v_or3_b32 v1, v1, v5, v4
	v_cvt_f16_f32_e32 v1, v1
.LBB204_580:
	s_or_b64 exec, exec, s[8:9]
.LBB204_581:
	s_mov_b64 s[6:7], -1
.LBB204_582:
	s_mov_b64 s[8:9], 0
.LBB204_583:
	s_and_b64 vcc, exec, s[8:9]
	s_cbranch_vccz .LBB204_618
; %bb.584:
	v_mov_b32_e32 v1, 22
	v_cmp_gt_i16_sdwa s[8:9], v33, v1 src0_sel:BYTE_0 src1_sel:DWORD
	s_and_b64 vcc, exec, s[8:9]
	s_cbranch_vccz .LBB204_594
; %bb.585:
	v_mov_b32_e32 v1, 24
	v_cmp_lt_i16_sdwa s[6:7], v33, v1 src0_sel:BYTE_0 src1_sel:DWORD
	s_and_b64 vcc, exec, s[6:7]
	s_cbranch_vccnz .LBB204_597
; %bb.586:
	v_cmp_gt_i16_sdwa s[6:7], v33, v1 src0_sel:BYTE_0 src1_sel:DWORD
	s_and_b64 vcc, exec, s[6:7]
	s_cbranch_vccz .LBB204_598
; %bb.587:
	global_load_ubyte v4, v[2:3], off
	s_movk_i32 s6, 0x7f
                                        ; implicit-def: $sgpr12
	s_waitcnt vmcnt(0)
	v_cmp_lt_i16_e32 vcc, s6, v4
	s_mov_b64 s[6:7], 0
	s_and_saveexec_b64 s[8:9], vcc
	s_xor_b64 s[8:9], exec, s[8:9]
	s_cbranch_execz .LBB204_610
; %bb.588:
	s_movk_i32 s6, 0x80
	v_cmp_eq_u16_e32 vcc, s6, v4
	s_mov_b64 s[6:7], -1
                                        ; implicit-def: $sgpr12
	s_and_saveexec_b64 s[10:11], vcc
; %bb.589:
	s_movk_i32 s12, 0x7e00
	s_xor_b64 s[6:7], exec, -1
; %bb.590:
	s_or_b64 exec, exec, s[10:11]
	s_and_b64 s[6:7], s[6:7], exec
	s_or_saveexec_b64 s[8:9], s[8:9]
	v_mov_b32_e32 v1, s12
	s_xor_b64 exec, exec, s[8:9]
	s_cbranch_execnz .LBB204_611
.LBB204_591:
	s_or_b64 exec, exec, s[8:9]
	s_and_saveexec_b64 s[8:9], s[6:7]
	s_cbranch_execz .LBB204_593
.LBB204_592:
	v_lshlrev_b32_e32 v1, 24, v4
	v_and_b32_e32 v4, 0xffff, v4
	v_and_b32_e32 v5, 3, v4
	v_ffbh_u32_e32 v7, v5
	v_min_u32_e32 v7, 32, v7
	v_subrev_u32_e32 v8, 29, v7
	v_bfe_u32 v6, v4, 2, 5
	v_lshlrev_b32_e32 v4, v8, v4
	v_sub_u32_e32 v7, 30, v7
	v_and_b32_e32 v4, 3, v4
	v_cmp_eq_u32_e32 vcc, 0, v6
	v_cndmask_b32_e32 v6, v6, v7, vcc
	v_cndmask_b32_e32 v4, v5, v4, vcc
	v_mov_b32_e32 v5, 0x37800000
	v_lshlrev_b32_e32 v4, 21, v4
	v_and_b32_e32 v1, 0x80000000, v1
	v_lshl_add_u32 v5, v6, 23, v5
	v_or3_b32 v1, v1, v5, v4
	v_cvt_f16_f32_e32 v1, v1
.LBB204_593:
	s_or_b64 exec, exec, s[8:9]
	s_mov_b64 s[6:7], 0
	s_branch .LBB204_599
.LBB204_594:
	s_mov_b64 s[8:9], -1
                                        ; implicit-def: $vgpr1
	s_branch .LBB204_605
.LBB204_595:
	s_or_saveexec_b64 s[8:9], s[8:9]
	v_mov_b32_e32 v1, s12
	s_xor_b64 exec, exec, s[8:9]
	s_cbranch_execz .LBB204_578
.LBB204_596:
	v_cmp_ne_u16_e32 vcc, 0, v4
	s_andn2_b64 s[6:7], s[6:7], exec
	s_and_b64 s[10:11], vcc, exec
	s_or_b64 s[6:7], s[6:7], s[10:11]
	v_mov_b32_e32 v1, v4
	s_or_b64 exec, exec, s[8:9]
	s_and_saveexec_b64 s[8:9], s[6:7]
	s_cbranch_execnz .LBB204_579
	s_branch .LBB204_580
.LBB204_597:
	s_mov_b64 s[6:7], -1
                                        ; implicit-def: $vgpr1
	s_branch .LBB204_602
.LBB204_598:
	s_mov_b64 s[6:7], -1
                                        ; implicit-def: $vgpr1
.LBB204_599:
	s_and_b64 vcc, exec, s[6:7]
	s_cbranch_vccz .LBB204_601
; %bb.600:
	global_load_ubyte v1, v[2:3], off
	s_mov_b32 s6, 0x7f800000
	s_waitcnt vmcnt(0)
	v_lshlrev_b32_e32 v1, 24, v1
	v_and_b32_e32 v4, 0x7f000000, v1
	v_ffbh_u32_e32 v5, v4
	v_min_u32_e32 v5, 32, v5
	v_sub_u32_e64 v5, v5, 4 clamp
	v_lshlrev_b32_e32 v7, v5, v4
	v_lshlrev_b32_e32 v5, 23, v5
	v_lshrrev_b32_e32 v7, 4, v7
	v_add_u32_e32 v6, 0x1000000, v4
	v_sub_u32_e32 v5, v7, v5
	v_ashrrev_i32_e32 v6, 8, v6
	v_add_u32_e32 v5, 0x3c000000, v5
	v_and_or_b32 v5, v6, s6, v5
	v_cmp_ne_u32_e32 vcc, 0, v4
	v_cndmask_b32_e32 v4, 0, v5, vcc
	s_brev_b32 s6, 1
	v_and_or_b32 v1, v1, s6, v4
	v_cvt_f16_f32_e32 v1, v1
.LBB204_601:
	s_mov_b64 s[6:7], 0
.LBB204_602:
	s_andn2_b64 vcc, exec, s[6:7]
	s_cbranch_vccnz .LBB204_604
; %bb.603:
	global_load_ubyte v1, v[2:3], off
	s_movk_i32 s6, 0x7f00
	s_brev_b32 s7, 16
	s_waitcnt vmcnt(0)
	v_lshlrev_b16_e32 v4, 8, v1
	v_lshlrev_b32_e32 v1, 25, v1
	v_lshrrev_b32_e32 v5, 4, v1
	v_and_or_b32 v6, v4, s6, 0.5
	v_or_b32_e32 v5, 0x70000000, v5
	v_add_f32_e32 v6, -0.5, v6
	v_mul_f32_e32 v5, 0x7800000, v5
	v_cmp_gt_u32_e32 vcc, s7, v1
	v_bfe_i32 v4, v4, 0, 16
	v_cndmask_b32_e32 v1, v5, v6, vcc
	s_brev_b32 s6, 1
	v_and_or_b32 v1, v4, s6, v1
	v_cvt_f16_f32_e32 v1, v1
.LBB204_604:
	s_mov_b64 s[8:9], 0
	s_mov_b64 s[6:7], -1
.LBB204_605:
	s_andn2_b64 vcc, exec, s[8:9]
	s_cbranch_vccnz .LBB204_618
; %bb.606:
	v_mov_b32_e32 v1, 14
	v_cmp_gt_i16_sdwa s[8:9], v33, v1 src0_sel:BYTE_0 src1_sel:DWORD
	s_and_b64 vcc, exec, s[8:9]
	s_cbranch_vccz .LBB204_609
; %bb.607:
	v_mov_b32_e32 v1, 15
	v_cmp_eq_u16_sdwa s[8:9], v33, v1 src0_sel:BYTE_0 src1_sel:DWORD
	s_and_b64 vcc, exec, s[8:9]
	s_cbranch_vccz .LBB204_612
; %bb.608:
	global_load_ushort v1, v[2:3], off
	s_mov_b64 s[6:7], -1
	s_mov_b64 s[66:67], 0
	s_waitcnt vmcnt(0)
	v_lshlrev_b32_e32 v1, 16, v1
	v_cvt_f16_f32_e32 v1, v1
	s_branch .LBB204_613
.LBB204_609:
	s_mov_b64 s[8:9], -1
                                        ; implicit-def: $vgpr1
	s_branch .LBB204_614
.LBB204_610:
	s_or_saveexec_b64 s[8:9], s[8:9]
	v_mov_b32_e32 v1, s12
	s_xor_b64 exec, exec, s[8:9]
	s_cbranch_execz .LBB204_591
.LBB204_611:
	v_cmp_ne_u16_e32 vcc, 0, v4
	s_andn2_b64 s[6:7], s[6:7], exec
	s_and_b64 s[10:11], vcc, exec
	s_or_b64 s[6:7], s[6:7], s[10:11]
	v_mov_b32_e32 v1, v4
	s_or_b64 exec, exec, s[8:9]
	s_and_saveexec_b64 s[8:9], s[6:7]
	s_cbranch_execnz .LBB204_592
	s_branch .LBB204_593
.LBB204_612:
	s_mov_b64 s[66:67], -1
                                        ; implicit-def: $vgpr1
.LBB204_613:
	s_mov_b64 s[8:9], 0
.LBB204_614:
	s_and_b64 vcc, exec, s[8:9]
	s_cbranch_vccz .LBB204_618
; %bb.615:
	v_mov_b32_e32 v1, 11
	v_cmp_eq_u16_sdwa s[8:9], v33, v1 src0_sel:BYTE_0 src1_sel:DWORD
	s_and_b64 vcc, exec, s[8:9]
	s_cbranch_vccz .LBB204_617
; %bb.616:
	global_load_ubyte v1, v[2:3], off
	v_mov_b32_e32 v4, 0x3c00
	s_mov_b64 s[6:7], -1
	s_mov_b64 s[66:67], 0
	s_waitcnt vmcnt(0)
	v_cmp_ne_u16_e32 vcc, 0, v1
	v_cndmask_b32_e32 v1, 0, v4, vcc
	s_branch .LBB204_618
.LBB204_617:
	s_mov_b64 s[66:67], -1
                                        ; implicit-def: $vgpr1
.LBB204_618:
	s_mov_b64 s[8:9], 0
.LBB204_619:
	s_and_b64 vcc, exec, s[8:9]
	s_cbranch_vccz .LBB204_668
; %bb.620:
	v_mov_b32_e32 v1, 5
	v_cmp_lt_i16_sdwa s[6:7], v33, v1 src0_sel:BYTE_0 src1_sel:DWORD
	s_and_b64 vcc, exec, s[6:7]
	s_cbranch_vccnz .LBB204_625
; %bb.621:
	v_mov_b32_e32 v1, 8
	v_cmp_lt_i16_sdwa s[6:7], v33, v1 src0_sel:BYTE_0 src1_sel:DWORD
	s_and_b64 vcc, exec, s[6:7]
	s_cbranch_vccnz .LBB204_626
	;; [unrolled: 5-line block ×3, first 2 shown]
; %bb.623:
	v_cmp_gt_i16_sdwa s[6:7], v33, v1 src0_sel:BYTE_0 src1_sel:DWORD
	s_and_b64 vcc, exec, s[6:7]
	s_cbranch_vccz .LBB204_628
; %bb.624:
	global_load_dwordx2 v[4:5], v[2:3], off
	s_mov_b64 s[6:7], 0
	s_waitcnt vmcnt(0)
	v_cvt_f32_f64_e32 v1, v[4:5]
	v_cvt_f16_f32_e32 v1, v1
	s_branch .LBB204_629
.LBB204_625:
	s_mov_b64 s[6:7], -1
                                        ; implicit-def: $vgpr1
	s_branch .LBB204_647
.LBB204_626:
	s_mov_b64 s[6:7], -1
                                        ; implicit-def: $vgpr1
	s_branch .LBB204_635
.LBB204_627:
	s_mov_b64 s[6:7], -1
                                        ; implicit-def: $vgpr1
	s_branch .LBB204_632
.LBB204_628:
	s_mov_b64 s[6:7], -1
                                        ; implicit-def: $vgpr1
.LBB204_629:
	s_andn2_b64 vcc, exec, s[6:7]
	s_cbranch_vccnz .LBB204_631
; %bb.630:
	global_load_dword v1, v[2:3], off
	s_waitcnt vmcnt(0)
	v_cvt_f16_f32_e32 v1, v1
.LBB204_631:
	s_mov_b64 s[6:7], 0
.LBB204_632:
	s_andn2_b64 vcc, exec, s[6:7]
	s_cbranch_vccnz .LBB204_634
; %bb.633:
	global_load_dword v1, v[2:3], off
.LBB204_634:
	s_mov_b64 s[6:7], 0
.LBB204_635:
	s_andn2_b64 vcc, exec, s[6:7]
	s_cbranch_vccnz .LBB204_646
; %bb.636:
	s_waitcnt vmcnt(0)
	v_mov_b32_e32 v1, 6
	v_cmp_lt_i16_sdwa s[6:7], v33, v1 src0_sel:BYTE_0 src1_sel:DWORD
	s_and_b64 vcc, exec, s[6:7]
	s_cbranch_vccnz .LBB204_639
; %bb.637:
	v_cmp_gt_i16_sdwa s[6:7], v33, v1 src0_sel:BYTE_0 src1_sel:DWORD
	s_and_b64 vcc, exec, s[6:7]
	s_cbranch_vccz .LBB204_640
; %bb.638:
	global_load_dwordx2 v[4:5], v[2:3], off
	s_mov_b64 s[6:7], 0
	s_waitcnt vmcnt(0)
	v_cvt_f32_f64_e32 v1, v[4:5]
	v_cvt_f16_f32_e32 v1, v1
	s_branch .LBB204_641
.LBB204_639:
	s_mov_b64 s[6:7], -1
                                        ; implicit-def: $vgpr1
	s_branch .LBB204_644
.LBB204_640:
	s_mov_b64 s[6:7], -1
                                        ; implicit-def: $vgpr1
.LBB204_641:
	s_andn2_b64 vcc, exec, s[6:7]
	s_cbranch_vccnz .LBB204_643
; %bb.642:
	global_load_dword v1, v[2:3], off
	s_waitcnt vmcnt(0)
	v_cvt_f16_f32_e32 v1, v1
.LBB204_643:
	s_mov_b64 s[6:7], 0
.LBB204_644:
	s_andn2_b64 vcc, exec, s[6:7]
	s_cbranch_vccnz .LBB204_646
; %bb.645:
	global_load_ushort v1, v[2:3], off
.LBB204_646:
	s_mov_b64 s[6:7], 0
.LBB204_647:
	s_andn2_b64 vcc, exec, s[6:7]
	s_cbranch_vccnz .LBB204_667
; %bb.648:
	s_waitcnt vmcnt(0)
	v_mov_b32_e32 v1, 2
	v_cmp_lt_i16_sdwa s[6:7], v33, v1 src0_sel:BYTE_0 src1_sel:DWORD
	s_and_b64 vcc, exec, s[6:7]
	s_cbranch_vccnz .LBB204_652
; %bb.649:
	v_mov_b32_e32 v1, 3
	v_cmp_lt_i16_sdwa s[6:7], v33, v1 src0_sel:BYTE_0 src1_sel:DWORD
	s_and_b64 vcc, exec, s[6:7]
	s_cbranch_vccnz .LBB204_653
; %bb.650:
	v_cmp_gt_i16_sdwa s[6:7], v33, v1 src0_sel:BYTE_0 src1_sel:DWORD
	s_and_b64 vcc, exec, s[6:7]
	s_cbranch_vccz .LBB204_654
; %bb.651:
	global_load_dwordx2 v[4:5], v[2:3], off
	s_mov_b64 s[6:7], 0
	s_waitcnt vmcnt(0)
	v_xor_b32_e32 v6, v4, v5
	v_ffbh_i32_e32 v1, v5
	v_ashrrev_i32_e32 v6, 31, v6
	v_add_u32_e32 v1, -1, v1
	v_add_u32_e32 v6, 32, v6
	v_min_u32_e32 v1, v1, v6
	v_lshlrev_b64 v[4:5], v1, v[4:5]
	v_min_u32_e32 v4, 1, v4
	v_or_b32_e32 v4, v5, v4
	v_cvt_f32_i32_e32 v4, v4
	v_sub_u32_e32 v1, 32, v1
	v_ldexp_f32 v1, v4, v1
	v_cvt_f16_f32_e32 v1, v1
	s_branch .LBB204_655
.LBB204_652:
	s_mov_b64 s[6:7], -1
                                        ; implicit-def: $vgpr1
	s_branch .LBB204_661
.LBB204_653:
	s_mov_b64 s[6:7], -1
                                        ; implicit-def: $vgpr1
	s_branch .LBB204_658
.LBB204_654:
	s_mov_b64 s[6:7], -1
                                        ; implicit-def: $vgpr1
.LBB204_655:
	s_andn2_b64 vcc, exec, s[6:7]
	s_cbranch_vccnz .LBB204_657
; %bb.656:
	global_load_dword v1, v[2:3], off
	s_waitcnt vmcnt(0)
	v_cvt_f32_i32_e32 v1, v1
	v_cvt_f16_f32_e32 v1, v1
.LBB204_657:
	s_mov_b64 s[6:7], 0
.LBB204_658:
	s_andn2_b64 vcc, exec, s[6:7]
	s_cbranch_vccnz .LBB204_660
; %bb.659:
	global_load_ushort v1, v[2:3], off
	s_waitcnt vmcnt(0)
	v_cvt_f16_i16_e32 v1, v1
.LBB204_660:
	s_mov_b64 s[6:7], 0
.LBB204_661:
	s_andn2_b64 vcc, exec, s[6:7]
	s_cbranch_vccnz .LBB204_667
; %bb.662:
	v_mov_b32_e32 v1, 0
	v_cmp_gt_i16_sdwa s[6:7], v33, v1 src0_sel:BYTE_0 src1_sel:DWORD
	s_and_b64 vcc, exec, s[6:7]
	s_cbranch_vccz .LBB204_664
; %bb.663:
	global_load_sbyte v1, v[2:3], off
	s_mov_b64 s[6:7], 0
	s_waitcnt vmcnt(0)
	v_cvt_f16_i16_e32 v1, v1
	s_branch .LBB204_665
.LBB204_664:
	s_mov_b64 s[6:7], -1
                                        ; implicit-def: $vgpr1
.LBB204_665:
	s_andn2_b64 vcc, exec, s[6:7]
	s_cbranch_vccnz .LBB204_667
; %bb.666:
	global_load_ubyte v1, v[2:3], off
	s_waitcnt vmcnt(0)
	v_cvt_f16_u16_e32 v1, v1
.LBB204_667:
	s_mov_b64 s[6:7], -1
.LBB204_668:
	s_andn2_b64 vcc, exec, s[6:7]
	s_cbranch_vccnz .LBB204_676
; %bb.669:
	s_mov_b64 s[68:69], s[4:5]
	s_getpc_b64 s[4:5]
	s_add_u32 s4, s4, _ZZZZN2at6native33launch_standard_gamma_grad_kernelERNS_18TensorIteratorBaseEENKUlvE_clEvENKUlvE1_clEvENKUlN3c104HalfES6_E_clES6_S6_@rel32@lo+4
	s_addc_u32 s5, s5, _ZZZZN2at6native33launch_standard_gamma_grad_kernelERNS_18TensorIteratorBaseEENKUlvE_clEvENKUlvE1_clEvENKUlN3c104HalfES6_E_clES6_S6_@rel32@hi+12
	s_swappc_b64 s[30:31], s[4:5]
	v_mov_b32_e32 v1, s25
	v_add_co_u32_e32 v2, vcc, s24, v30
	v_addc_co_u32_e32 v3, vcc, 0, v1, vcc
	v_mov_b32_e32 v1, 11
	v_cmp_lt_i16_sdwa s[4:5], v32, v1 src0_sel:BYTE_0 src1_sel:DWORD
	s_and_b64 vcc, exec, s[4:5]
	s_cbranch_vccnz .LBB204_677
; %bb.670:
	v_mov_b32_e32 v1, 25
	v_cmp_gt_i16_sdwa s[4:5], v32, v1 src0_sel:BYTE_0 src1_sel:DWORD
	s_and_b64 vcc, exec, s[4:5]
	s_cbranch_vccz .LBB204_678
; %bb.671:
	v_mov_b32_e32 v1, 28
	v_cmp_gt_i16_sdwa s[4:5], v32, v1 src0_sel:BYTE_0 src1_sel:DWORD
	s_and_b64 vcc, exec, s[4:5]
	s_mov_b64 s[4:5], s[68:69]
	s_cbranch_vccz .LBB204_679
; %bb.672:
	v_mov_b32_e32 v1, 43
	v_cmp_gt_i16_sdwa s[6:7], v32, v1 src0_sel:BYTE_0 src1_sel:DWORD
	s_and_b64 vcc, exec, s[6:7]
	s_cbranch_vccz .LBB204_680
; %bb.673:
	v_mov_b32_e32 v1, 45
	v_cmp_gt_i16_sdwa s[6:7], v32, v1 src0_sel:BYTE_0 src1_sel:DWORD
	s_and_b64 vcc, exec, s[6:7]
	s_cbranch_vccz .LBB204_681
; %bb.674:
	v_mov_b32_e32 v1, 46
	v_cmp_eq_u16_sdwa s[8:9], v32, v1 src0_sel:BYTE_0 src1_sel:DWORD
	s_mov_b64 s[10:11], 0
	s_mov_b64 s[6:7], -1
	s_and_b64 vcc, exec, s[8:9]
	s_mov_b64 s[8:9], 0
	s_cbranch_vccz .LBB204_682
; %bb.675:
	v_cvt_f32_f16_e32 v1, v0
	s_movk_i32 s6, 0x7fff
	v_mov_b32_e32 v4, 0x7fc0
	v_cmp_o_f16_e32 vcc, v0, v0
	v_bfe_u32 v5, v1, 16, 1
	v_add3_u32 v1, v1, v5, s6
	v_lshrrev_b32_e32 v1, 16, v1
	v_cndmask_b32_e32 v1, v4, v1, vcc
	global_store_dword v[2:3], v1, off
	s_mov_b64 s[8:9], -1
	s_mov_b64 s[6:7], 0
	s_branch .LBB204_682
.LBB204_676:
	s_mov_b64 s[8:9], 0
                                        ; implicit-def: $vgpr34
	s_mov_b64 s[6:7], s[56:57]
	s_branch .LBB204_792
.LBB204_677:
	s_mov_b64 s[10:11], -1
	s_mov_b64 s[8:9], 0
	s_mov_b64 s[6:7], s[56:57]
	;; [unrolled: 1-line block ×3, first 2 shown]
	s_branch .LBB204_751
.LBB204_678:
	s_mov_b64 s[10:11], -1
	s_mov_b64 s[8:9], 0
	s_mov_b64 s[6:7], s[56:57]
	;; [unrolled: 1-line block ×3, first 2 shown]
	s_branch .LBB204_709
.LBB204_679:
	s_mov_b64 s[10:11], -1
	s_mov_b64 s[8:9], 0
	s_mov_b64 s[6:7], s[56:57]
	s_branch .LBB204_692
.LBB204_680:
	s_mov_b64 s[10:11], -1
	s_mov_b64 s[8:9], 0
	s_mov_b64 s[6:7], s[56:57]
	s_branch .LBB204_688
.LBB204_681:
	s_mov_b64 s[10:11], -1
	s_mov_b64 s[8:9], 0
	s_mov_b64 s[6:7], s[56:57]
.LBB204_682:
	s_and_b64 vcc, exec, s[10:11]
	s_cbranch_vccz .LBB204_687
; %bb.683:
	v_mov_b32_e32 v1, 44
	v_cmp_eq_u16_sdwa s[10:11], v32, v1 src0_sel:BYTE_0 src1_sel:DWORD
	s_mov_b64 s[6:7], -1
	s_and_b64 vcc, exec, s[10:11]
	s_cbranch_vccz .LBB204_687
; %bb.684:
	v_cvt_f32_f16_e32 v1, v0
	s_movk_i32 s6, 0xff
	v_mov_b32_e32 v5, 0xff
	v_bfe_u32 v4, v1, 23, 8
	v_cmp_ne_u32_e32 vcc, s6, v4
	s_and_saveexec_b64 s[8:9], vcc
; %bb.685:
	s_mov_b32 s6, 0x3fffff
	v_lshrrev_b32_e32 v5, 23, v1
	v_and_b32_e32 v6, 0x400000, v1
	v_and_or_b32 v1, v1, s6, v4
	v_cmp_ne_u32_e32 vcc, 0, v6
	v_cmp_ne_u32_e64 s[6:7], 0, v1
	s_and_b64 s[6:7], vcc, s[6:7]
	v_cndmask_b32_e64 v1, 0, 1, s[6:7]
	v_add_u32_e32 v5, v5, v1
; %bb.686:
	s_or_b64 exec, exec, s[8:9]
	s_mov_b64 s[8:9], -1
	s_mov_b64 s[6:7], 0
	global_store_byte v[2:3], v5, off
.LBB204_687:
	s_mov_b64 s[10:11], 0
.LBB204_688:
	s_and_b64 vcc, exec, s[10:11]
	s_cbranch_vccz .LBB204_691
; %bb.689:
	v_mov_b32_e32 v1, 29
	v_cmp_eq_u16_sdwa s[10:11], v32, v1 src0_sel:BYTE_0 src1_sel:DWORD
	s_mov_b64 s[6:7], -1
	s_and_b64 vcc, exec, s[10:11]
	s_cbranch_vccz .LBB204_691
; %bb.690:
	v_cvt_f32_f16_e32 v1, v0
	v_mov_b32_e32 v5, 0
	s_mov_b64 s[8:9], -1
	s_mov_b64 s[6:7], 0
	v_cvt_u32_f32_e32 v4, v1
	s_mov_b64 s[10:11], 0
	global_store_dwordx2 v[2:3], v[4:5], off
	s_branch .LBB204_692
.LBB204_691:
	s_mov_b64 s[10:11], 0
.LBB204_692:
	s_and_b64 vcc, exec, s[10:11]
	s_cbranch_vccz .LBB204_708
; %bb.693:
	v_mov_b32_e32 v1, 27
	v_cmp_lt_i16_sdwa s[10:11], v32, v1 src0_sel:BYTE_0 src1_sel:DWORD
	s_mov_b64 s[8:9], -1
	s_and_b64 vcc, exec, s[10:11]
	s_cbranch_vccnz .LBB204_699
; %bb.694:
	v_cmp_gt_i16_sdwa s[10:11], v32, v1 src0_sel:BYTE_0 src1_sel:DWORD
	s_and_b64 vcc, exec, s[10:11]
	s_cbranch_vccz .LBB204_696
; %bb.695:
	v_cvt_f32_f16_e32 v1, v0
	s_mov_b64 s[8:9], 0
	v_cvt_u32_f32_e32 v1, v1
	global_store_dword v[2:3], v1, off
.LBB204_696:
	s_andn2_b64 vcc, exec, s[8:9]
	s_cbranch_vccnz .LBB204_698
; %bb.697:
	v_cvt_u16_f16_e32 v1, v0
	global_store_short v[2:3], v1, off
.LBB204_698:
	s_mov_b64 s[8:9], 0
.LBB204_699:
	s_andn2_b64 vcc, exec, s[8:9]
	s_cbranch_vccnz .LBB204_707
; %bb.700:
	v_cvt_f32_f16_e32 v1, v0
	s_mov_b32 s8, 0x43800000
	v_mov_b32_e32 v5, 0x80
	v_and_b32_e32 v4, 0x7fffffff, v1
	v_cmp_gt_u32_e32 vcc, s8, v4
	s_and_saveexec_b64 s[8:9], vcc
	s_cbranch_execz .LBB204_706
; %bb.701:
	s_mov_b32 s10, 0x3bffffff
	v_cmp_lt_u32_e32 vcc, s10, v4
	s_mov_b64 s[10:11], 0
                                        ; implicit-def: $vgpr4
	s_and_saveexec_b64 s[12:13], vcc
	s_xor_b64 s[12:13], exec, s[12:13]
	s_cbranch_execz .LBB204_819
; %bb.702:
	v_bfe_u32 v4, v1, 20, 1
	s_mov_b32 s14, 0x487ffff
	v_add3_u32 v4, v1, v4, s14
	s_mov_b64 s[10:11], exec
	v_lshrrev_b32_e32 v4, 20, v4
	s_or_saveexec_b64 s[12:13], s[12:13]
                                        ; implicit-def: $sgpr14
	s_xor_b64 exec, exec, s[12:13]
	s_cbranch_execnz .LBB204_820
.LBB204_703:
	s_or_b64 exec, exec, s[12:13]
	v_mov_b32_e32 v5, s14
	s_and_saveexec_b64 s[12:13], s[10:11]
.LBB204_704:
	v_lshrrev_b32_e32 v1, 24, v1
	s_movk_i32 s10, 0x80
	v_and_or_b32 v5, v1, s10, v4
.LBB204_705:
	s_or_b64 exec, exec, s[12:13]
.LBB204_706:
	s_or_b64 exec, exec, s[8:9]
	global_store_byte v[2:3], v5, off
.LBB204_707:
	s_mov_b64 s[8:9], -1
.LBB204_708:
	s_mov_b64 s[10:11], 0
.LBB204_709:
	s_and_b64 vcc, exec, s[10:11]
	s_cbranch_vccz .LBB204_750
; %bb.710:
	v_mov_b32_e32 v1, 22
	v_cmp_gt_i16_sdwa s[12:13], v32, v1 src0_sel:BYTE_0 src1_sel:DWORD
	s_mov_b64 s[10:11], -1
	s_and_b64 vcc, exec, s[12:13]
	s_cbranch_vccz .LBB204_742
; %bb.711:
	v_mov_b32_e32 v1, 24
	v_cmp_lt_i16_sdwa s[10:11], v32, v1 src0_sel:BYTE_0 src1_sel:DWORD
	s_mov_b64 s[8:9], -1
	s_and_b64 vcc, exec, s[10:11]
	s_cbranch_vccnz .LBB204_731
; %bb.712:
	v_cmp_gt_i16_sdwa s[10:11], v32, v1 src0_sel:BYTE_0 src1_sel:DWORD
	s_and_b64 vcc, exec, s[10:11]
	s_cbranch_vccz .LBB204_720
; %bb.713:
	v_cvt_f32_f16_e32 v1, v0
	s_mov_b32 s8, 0x47800000
	v_mov_b32_e32 v5, 0x80
	v_and_b32_e32 v4, 0x7fffffff, v1
	v_cmp_gt_u32_e32 vcc, s8, v4
	s_and_saveexec_b64 s[8:9], vcc
	s_cbranch_execz .LBB204_719
; %bb.714:
	s_mov_b32 s10, 0x37ffffff
	v_cmp_lt_u32_e32 vcc, s10, v4
	s_mov_b64 s[10:11], 0
                                        ; implicit-def: $vgpr4
	s_and_saveexec_b64 s[12:13], vcc
	s_xor_b64 s[12:13], exec, s[12:13]
	s_cbranch_execz .LBB204_951
; %bb.715:
	v_bfe_u32 v4, v1, 21, 1
	s_mov_b32 s14, 0x88fffff
	v_add3_u32 v4, v1, v4, s14
	s_mov_b64 s[10:11], exec
	v_lshrrev_b32_e32 v4, 21, v4
	s_or_saveexec_b64 s[12:13], s[12:13]
                                        ; implicit-def: $sgpr14
	s_xor_b64 exec, exec, s[12:13]
	s_cbranch_execnz .LBB204_952
.LBB204_716:
	s_or_b64 exec, exec, s[12:13]
	v_mov_b32_e32 v5, s14
	s_and_saveexec_b64 s[12:13], s[10:11]
.LBB204_717:
	v_lshrrev_b32_e32 v1, 24, v1
	s_movk_i32 s10, 0x80
	v_and_or_b32 v5, v1, s10, v4
.LBB204_718:
	s_or_b64 exec, exec, s[12:13]
.LBB204_719:
	s_or_b64 exec, exec, s[8:9]
	s_mov_b64 s[8:9], 0
	global_store_byte v[2:3], v5, off
.LBB204_720:
	s_and_b64 vcc, exec, s[8:9]
	s_cbranch_vccz .LBB204_730
; %bb.721:
	v_cvt_f32_f16_e32 v1, v0
	s_mov_b32 s8, 0x43f00000
                                        ; implicit-def: $vgpr4
	v_and_b32_e32 v5, 0x7fffffff, v1
	v_cmp_gt_u32_e32 vcc, s8, v5
	s_and_saveexec_b64 s[8:9], vcc
	s_xor_b64 s[8:9], exec, s[8:9]
	s_cbranch_execz .LBB204_727
; %bb.722:
	s_mov_b32 s10, 0x3c7fffff
	v_cmp_lt_u32_e32 vcc, s10, v5
                                        ; implicit-def: $vgpr4
	s_and_saveexec_b64 s[10:11], vcc
	s_xor_b64 s[10:11], exec, s[10:11]
; %bb.723:
	v_bfe_u32 v4, v1, 20, 1
	s_mov_b32 s12, 0x407ffff
	v_add3_u32 v4, v1, v4, s12
	v_lshrrev_b32_e32 v5, 20, v4
	v_and_b32_e32 v4, 0xff00000, v4
	s_mov_b32 s12, 0x7f00000
	v_mov_b32_e32 v6, 0x7e
	v_cmp_ne_u32_e32 vcc, s12, v4
	v_cndmask_b32_e32 v4, v6, v5, vcc
; %bb.724:
	s_andn2_saveexec_b64 s[10:11], s[10:11]
; %bb.725:
	s_mov_b32 s12, 0x46800000
	v_add_f32_e64 v4, |v1|, s12
; %bb.726:
	s_or_b64 exec, exec, s[10:11]
                                        ; implicit-def: $vgpr5
.LBB204_727:
	s_andn2_saveexec_b64 s[8:9], s[8:9]
; %bb.728:
	s_mov_b32 s10, 0x7f800000
	v_mov_b32_e32 v4, 0x7e
	v_mov_b32_e32 v6, 0x7f
	v_cmp_lt_u32_e32 vcc, s10, v5
	v_cndmask_b32_e32 v4, v4, v6, vcc
; %bb.729:
	s_or_b64 exec, exec, s[8:9]
	v_lshrrev_b32_e32 v1, 24, v1
	s_movk_i32 s8, 0x80
	v_and_or_b32 v1, v1, s8, v4
	global_store_byte v[2:3], v1, off
.LBB204_730:
	s_mov_b64 s[8:9], 0
.LBB204_731:
	s_andn2_b64 vcc, exec, s[8:9]
	s_cbranch_vccnz .LBB204_741
; %bb.732:
	v_cvt_f32_f16_e32 v1, v0
	s_mov_b32 s8, 0x47800000
                                        ; implicit-def: $vgpr4
	v_and_b32_e32 v5, 0x7fffffff, v1
	v_cmp_gt_u32_e32 vcc, s8, v5
	s_and_saveexec_b64 s[8:9], vcc
	s_xor_b64 s[8:9], exec, s[8:9]
	s_cbranch_execz .LBB204_738
; %bb.733:
	s_mov_b32 s10, 0x387fffff
	v_cmp_lt_u32_e32 vcc, s10, v5
                                        ; implicit-def: $vgpr4
	s_and_saveexec_b64 s[10:11], vcc
	s_xor_b64 s[10:11], exec, s[10:11]
; %bb.734:
	v_bfe_u32 v4, v1, 21, 1
	s_mov_b32 s12, 0x80fffff
	v_add3_u32 v4, v1, v4, s12
	v_lshrrev_b32_e32 v4, 21, v4
; %bb.735:
	s_andn2_saveexec_b64 s[10:11], s[10:11]
; %bb.736:
	s_mov_b32 s12, 0x43000000
	v_add_f32_e64 v4, |v1|, s12
; %bb.737:
	s_or_b64 exec, exec, s[10:11]
                                        ; implicit-def: $vgpr5
.LBB204_738:
	s_andn2_saveexec_b64 s[8:9], s[8:9]
; %bb.739:
	s_mov_b32 s10, 0x7f800000
	v_mov_b32_e32 v4, 0x7c
	v_mov_b32_e32 v6, 0x7f
	v_cmp_lt_u32_e32 vcc, s10, v5
	v_cndmask_b32_e32 v4, v4, v6, vcc
; %bb.740:
	s_or_b64 exec, exec, s[8:9]
	v_lshrrev_b32_e32 v1, 24, v1
	s_movk_i32 s8, 0x80
	v_and_or_b32 v1, v1, s8, v4
	global_store_byte v[2:3], v1, off
.LBB204_741:
	s_mov_b64 s[10:11], 0
	s_mov_b64 s[8:9], -1
.LBB204_742:
	s_andn2_b64 vcc, exec, s[10:11]
	s_cbranch_vccnz .LBB204_750
; %bb.743:
	v_mov_b32_e32 v1, 14
	v_cmp_gt_i16_sdwa s[12:13], v32, v1 src0_sel:BYTE_0 src1_sel:DWORD
	s_mov_b64 s[10:11], -1
	s_and_b64 vcc, exec, s[12:13]
	s_cbranch_vccz .LBB204_747
; %bb.744:
	v_mov_b32_e32 v1, 15
	v_cmp_eq_u16_sdwa s[10:11], v32, v1 src0_sel:BYTE_0 src1_sel:DWORD
	s_mov_b64 s[6:7], -1
	s_and_b64 vcc, exec, s[10:11]
	s_cbranch_vccz .LBB204_746
; %bb.745:
	v_cvt_f32_f16_e32 v1, v0
	s_movk_i32 s6, 0x7fff
	v_mov_b32_e32 v4, 0x7fc0
	v_cmp_o_f16_e32 vcc, v0, v0
	v_bfe_u32 v5, v1, 16, 1
	v_add3_u32 v1, v1, v5, s6
	v_lshrrev_b32_e32 v1, 16, v1
	v_cndmask_b32_e32 v1, v4, v1, vcc
	global_store_short v[2:3], v1, off
	s_mov_b64 s[8:9], -1
	s_mov_b64 s[6:7], 0
.LBB204_746:
	s_mov_b64 s[10:11], 0
.LBB204_747:
	s_and_b64 vcc, exec, s[10:11]
	s_cbranch_vccz .LBB204_750
; %bb.748:
	v_mov_b32_e32 v1, 11
	v_cmp_eq_u16_sdwa s[10:11], v32, v1 src0_sel:BYTE_0 src1_sel:DWORD
	s_mov_b64 s[6:7], -1
	s_and_b64 vcc, exec, s[10:11]
	s_cbranch_vccz .LBB204_750
; %bb.749:
	v_and_b32_e32 v1, 0x7fff, v0
	v_cmp_ne_u16_e32 vcc, 0, v1
	v_cndmask_b32_e64 v1, 0, 1, vcc
	s_mov_b64 s[8:9], -1
	s_mov_b64 s[6:7], 0
	global_store_byte v[2:3], v1, off
.LBB204_750:
	s_mov_b64 s[10:11], 0
.LBB204_751:
	s_and_b64 vcc, exec, s[10:11]
	s_cbranch_vccz .LBB204_790
; %bb.752:
	v_mov_b32_e32 v1, 5
	v_cmp_lt_i16_sdwa s[10:11], v32, v1 src0_sel:BYTE_0 src1_sel:DWORD
	s_mov_b64 s[8:9], -1
	s_and_b64 vcc, exec, s[10:11]
	s_cbranch_vccnz .LBB204_773
; %bb.753:
	v_mov_b32_e32 v1, 8
	v_cmp_lt_i16_sdwa s[10:11], v32, v1 src0_sel:BYTE_0 src1_sel:DWORD
	s_and_b64 vcc, exec, s[10:11]
	s_cbranch_vccnz .LBB204_763
; %bb.754:
	v_mov_b32_e32 v1, 9
	v_cmp_lt_i16_sdwa s[10:11], v32, v1 src0_sel:BYTE_0 src1_sel:DWORD
	s_and_b64 vcc, exec, s[10:11]
	s_cbranch_vccnz .LBB204_760
; %bb.755:
	v_cmp_gt_i16_sdwa s[10:11], v32, v1 src0_sel:BYTE_0 src1_sel:DWORD
	s_and_b64 vcc, exec, s[10:11]
	s_cbranch_vccz .LBB204_757
; %bb.756:
	v_cvt_f32_f16_e32 v1, v0
	v_mov_b32_e32 v6, 0
	v_mov_b32_e32 v7, v6
	s_mov_b64 s[8:9], 0
	v_cvt_f64_f32_e32 v[4:5], v1
	global_store_dwordx4 v[2:3], v[4:7], off
.LBB204_757:
	s_andn2_b64 vcc, exec, s[8:9]
	s_cbranch_vccnz .LBB204_759
; %bb.758:
	v_cvt_f32_f16_e32 v4, v0
	v_mov_b32_e32 v5, 0
	global_store_dwordx2 v[2:3], v[4:5], off
.LBB204_759:
	s_mov_b64 s[8:9], 0
.LBB204_760:
	s_andn2_b64 vcc, exec, s[8:9]
	s_cbranch_vccnz .LBB204_762
; %bb.761:
	v_and_b32_e32 v1, 0xffff, v0
	global_store_dword v[2:3], v1, off
.LBB204_762:
	s_mov_b64 s[8:9], 0
.LBB204_763:
	s_andn2_b64 vcc, exec, s[8:9]
	s_cbranch_vccnz .LBB204_772
; %bb.764:
	v_mov_b32_e32 v1, 6
	v_cmp_lt_i16_sdwa s[10:11], v32, v1 src0_sel:BYTE_0 src1_sel:DWORD
	s_mov_b64 s[8:9], -1
	s_and_b64 vcc, exec, s[10:11]
	s_cbranch_vccnz .LBB204_770
; %bb.765:
	v_cmp_gt_i16_sdwa s[10:11], v32, v1 src0_sel:BYTE_0 src1_sel:DWORD
	s_and_b64 vcc, exec, s[10:11]
	s_cbranch_vccz .LBB204_767
; %bb.766:
	v_cvt_f32_f16_e32 v1, v0
	s_mov_b64 s[8:9], 0
	v_cvt_f64_f32_e32 v[4:5], v1
	global_store_dwordx2 v[2:3], v[4:5], off
.LBB204_767:
	s_andn2_b64 vcc, exec, s[8:9]
	s_cbranch_vccnz .LBB204_769
; %bb.768:
	v_cvt_f32_f16_e32 v1, v0
	global_store_dword v[2:3], v1, off
.LBB204_769:
	s_mov_b64 s[8:9], 0
.LBB204_770:
	s_andn2_b64 vcc, exec, s[8:9]
	s_cbranch_vccnz .LBB204_772
; %bb.771:
	global_store_short v[2:3], v0, off
.LBB204_772:
	s_mov_b64 s[8:9], 0
.LBB204_773:
	s_andn2_b64 vcc, exec, s[8:9]
	s_cbranch_vccnz .LBB204_789
; %bb.774:
	v_mov_b32_e32 v1, 2
	v_cmp_lt_i16_sdwa s[10:11], v32, v1 src0_sel:BYTE_0 src1_sel:DWORD
	s_mov_b64 s[8:9], -1
	s_and_b64 vcc, exec, s[10:11]
	s_cbranch_vccnz .LBB204_784
; %bb.775:
	v_mov_b32_e32 v1, 3
	v_cmp_lt_i16_sdwa s[10:11], v32, v1 src0_sel:BYTE_0 src1_sel:DWORD
	s_and_b64 vcc, exec, s[10:11]
	s_cbranch_vccnz .LBB204_781
; %bb.776:
	v_cmp_gt_i16_sdwa s[10:11], v32, v1 src0_sel:BYTE_0 src1_sel:DWORD
	s_and_b64 vcc, exec, s[10:11]
	s_cbranch_vccz .LBB204_778
; %bb.777:
	v_cvt_f32_f16_e32 v1, v0
	s_mov_b64 s[8:9], 0
	v_cvt_i32_f32_e32 v4, v1
	v_ashrrev_i32_e32 v5, 31, v4
	global_store_dwordx2 v[2:3], v[4:5], off
.LBB204_778:
	s_andn2_b64 vcc, exec, s[8:9]
	s_cbranch_vccnz .LBB204_780
; %bb.779:
	v_cvt_f32_f16_e32 v1, v0
	v_cvt_i32_f32_e32 v1, v1
	global_store_dword v[2:3], v1, off
.LBB204_780:
	s_mov_b64 s[8:9], 0
.LBB204_781:
	s_andn2_b64 vcc, exec, s[8:9]
	s_cbranch_vccnz .LBB204_783
; %bb.782:
	v_cvt_i16_f16_e32 v1, v0
	global_store_short v[2:3], v1, off
.LBB204_783:
	s_mov_b64 s[8:9], 0
.LBB204_784:
	s_andn2_b64 vcc, exec, s[8:9]
	s_cbranch_vccnz .LBB204_789
; %bb.785:
	v_mov_b32_e32 v1, 0
	v_cmp_gt_i16_sdwa s[10:11], v32, v1 src0_sel:BYTE_0 src1_sel:DWORD
	s_mov_b64 s[8:9], -1
	s_and_b64 vcc, exec, s[10:11]
	s_cbranch_vccz .LBB204_787
; %bb.786:
	v_cvt_i16_f16_e32 v1, v0
	s_mov_b64 s[8:9], 0
	global_store_byte v[2:3], v1, off
.LBB204_787:
	s_andn2_b64 vcc, exec, s[8:9]
	s_cbranch_vccnz .LBB204_789
; %bb.788:
	v_cvt_f32_f16_e32 v0, v0
	v_cvt_i32_f32_e32 v0, v0
	global_store_byte v[2:3], v0, off
.LBB204_789:
	s_mov_b64 s[8:9], -1
.LBB204_790:
	s_andn2_b64 vcc, exec, s[8:9]
	s_cbranch_vccnz .LBB204_814
; %bb.791:
	v_add_u32_e32 v34, 0x80, v34
	s_mov_b64 s[8:9], -1
.LBB204_792:
	s_andn2_b64 s[10:11], s[56:57], exec
	s_and_b64 s[6:7], s[6:7], exec
	s_or_b64 s[68:69], s[10:11], s[6:7]
	s_andn2_b64 s[6:7], s[58:59], exec
	s_and_b64 s[10:11], s[66:67], exec
	s_or_b64 s[66:67], s[6:7], s[10:11]
	;; [unrolled: 3-line block ×3, first 2 shown]
	s_orn2_b64 s[6:7], s[8:9], exec
.LBB204_793:
	s_or_b64 exec, exec, s[70:71]
	s_mov_b64 s[12:13], 0
	s_mov_b64 s[10:11], 0
	;; [unrolled: 1-line block ×3, first 2 shown]
                                        ; implicit-def: $vgpr1
                                        ; implicit-def: $vgpr4_vgpr5
                                        ; implicit-def: $vgpr2
                                        ; implicit-def: $vgpr30
                                        ; implicit-def: $vgpr0
	s_and_saveexec_b64 s[70:71], s[6:7]
	s_cbranch_execz .LBB204_1288
; %bb.794:
	v_cmp_gt_i32_e32 vcc, s82, v34
	s_mov_b64 s[20:21], -1
	s_mov_b64 s[6:7], s[64:65]
	s_mov_b64 s[8:9], s[66:67]
	;; [unrolled: 1-line block ×3, first 2 shown]
	s_and_saveexec_b64 s[72:73], vcc
	s_cbranch_execz .LBB204_1193
; %bb.795:
	s_andn2_b64 vcc, exec, s[34:35]
	s_cbranch_vccnz .LBB204_802
; %bb.796:
	s_andn2_b64 vcc, exec, s[54:55]
	v_mov_b32_e32 v2, 0
	s_waitcnt vmcnt(0)
	v_mov_b32_e32 v0, 0
	v_mov_b32_e32 v30, 0
	s_cbranch_vccnz .LBB204_801
; %bb.797:
	s_add_i32 s6, s81, 1
	s_and_b32 s8, s6, 30
	s_add_u32 s6, s22, 0xffffffec
	s_addc_u32 s7, s23, -1
	v_mov_b32_e32 v30, 0
	v_mov_b32_e32 v1, v34
	;; [unrolled: 1-line block ×4, first 2 shown]
.LBB204_798:                            ; =>This Inner Loop Header: Depth=1
	s_mov_b64 s[10:11], s[6:7]
	s_load_dwordx4 s[12:15], s[10:11], 0x18
	s_load_dwordx2 s[20:21], s[10:11], 0x28
	s_load_dwordx2 s[30:31], s[10:11], 0xe8
	s_load_dwordx4 s[16:19], s[10:11], 0xd8
	s_add_u32 s6, s10, 24
	s_waitcnt lgkmcnt(0)
	v_mul_hi_u32 v3, s13, v1
	v_add_u32_e32 v3, v1, v3
	v_lshrrev_b32_e32 v3, s14, v3
	v_mul_lo_u32 v4, v3, s12
	v_mul_hi_u32 v5, s20, v3
	v_sub_u32_e32 v1, v1, v4
	v_add_u32_e32 v4, v3, v5
	v_mul_lo_u32 v5, v1, s16
	v_mul_lo_u32 v6, v1, s17
	;; [unrolled: 1-line block ×3, first 2 shown]
	v_lshrrev_b32_e32 v1, s21, v4
	v_mul_lo_u32 v4, v1, s15
	v_sub_u32_e32 v3, v3, v4
	s_addc_u32 s7, s11, 0
	s_add_i32 s8, s8, -2
	v_mul_lo_u32 v4, v3, s19
	v_mul_lo_u32 v8, v3, s30
	v_mul_lo_u32 v3, v3, s31
	s_cmp_eq_u32 s8, 0
	v_add3_u32 v30, v5, v30, v4
	v_add3_u32 v2, v7, v2, v3
	;; [unrolled: 1-line block ×3, first 2 shown]
	s_cbranch_scc0 .LBB204_798
; %bb.799:
	s_bitcmp1_b32 s81, 0
	s_cselect_b64 s[8:9], -1, 0
	s_and_b64 vcc, exec, s[8:9]
	s_cbranch_vccnz .LBB204_801
; %bb.800:
	s_load_dwordx2 s[8:9], s[6:7], 0x18
	s_load_dword s10, s[6:7], 0x20
	s_load_dword s11, s[6:7], 0xe0
	s_nop 0
	s_load_dwordx2 s[6:7], s[6:7], 0xd8
	s_waitcnt lgkmcnt(0)
	v_mul_hi_u32 v3, s9, v1
	v_add_u32_e32 v3, v1, v3
	v_lshrrev_b32_e32 v3, s10, v3
	v_mul_lo_u32 v3, v3, s8
	v_sub_u32_e32 v3, v1, v3
	v_mad_u64_u32 v[30:31], s[8:9], v3, s6, v[30:31]
	v_mad_u64_u32 v[0:1], s[6:7], v3, s7, v[0:1]
	;; [unrolled: 1-line block ×3, first 2 shown]
.LBB204_801:
	s_mov_b64 s[6:7], 0
	s_branch .LBB204_803
.LBB204_802:
	s_mov_b64 s[6:7], -1
                                        ; implicit-def: $vgpr2
                                        ; implicit-def: $vgpr0
                                        ; implicit-def: $vgpr30
.LBB204_803:
	s_andn2_b64 vcc, exec, s[6:7]
	s_cbranch_vccnz .LBB204_806
; %bb.804:
	s_waitcnt vmcnt(0) lgkmcnt(0)
	v_mul_hi_u32 v0, s41, v34
	v_add_u32_e32 v0, v34, v0
	v_lshrrev_b32_e32 v1, s42, v0
	v_mul_lo_u32 v0, v1, s40
	v_sub_u32_e32 v0, v34, v0
	v_mul_lo_u32 v30, v0, s36
	v_mul_lo_u32 v2, v0, s38
	s_andn2_b64 vcc, exec, s[52:53]
	v_mul_lo_u32 v0, v0, s37
	s_cbranch_vccnz .LBB204_806
; %bb.805:
	v_mul_hi_u32 v3, s50, v1
	v_add_u32_e32 v3, v1, v3
	v_lshrrev_b32_e32 v3, s51, v3
	v_mul_lo_u32 v3, v3, s43
	v_sub_u32_e32 v3, v1, v3
	v_mad_u64_u32 v[30:31], s[6:7], v3, s39, v[30:31]
	v_mad_u64_u32 v[0:1], s[6:7], v3, s48, v[0:1]
	v_mad_u64_u32 v[2:3], s[6:7], v3, s49, v[2:3]
.LBB204_806:
	s_waitcnt vmcnt(0) lgkmcnt(0)
	v_mov_b32_e32 v1, s27
	v_add_co_u32_e32 v4, vcc, s26, v0
	v_mov_b32_e32 v0, 11
	v_addc_co_u32_e32 v5, vcc, 0, v1, vcc
	v_cmp_lt_i16_sdwa s[6:7], v35, v0 src0_sel:BYTE_0 src1_sel:DWORD
	s_and_b64 vcc, exec, s[6:7]
	s_cbranch_vccnz .LBB204_813
; %bb.807:
	v_mov_b32_e32 v0, 25
	v_cmp_gt_i16_sdwa s[6:7], v35, v0 src0_sel:BYTE_0 src1_sel:DWORD
	s_and_b64 vcc, exec, s[6:7]
	s_cbranch_vccz .LBB204_815
; %bb.808:
	v_mov_b32_e32 v0, 28
	v_cmp_gt_i16_sdwa s[6:7], v35, v0 src0_sel:BYTE_0 src1_sel:DWORD
	s_and_b64 vcc, exec, s[6:7]
	s_cbranch_vccz .LBB204_816
	;; [unrolled: 5-line block ×4, first 2 shown]
; %bb.811:
	v_mov_b32_e32 v0, 46
	v_cmp_eq_u16_sdwa s[6:7], v35, v0 src0_sel:BYTE_0 src1_sel:DWORD
	s_mov_b64 s[8:9], 0
	s_and_b64 vcc, exec, s[6:7]
	s_cbranch_vccz .LBB204_821
; %bb.812:
	global_load_dword v0, v[4:5], off
	s_mov_b64 s[6:7], -1
	s_mov_b64 s[74:75], 0
	s_waitcnt vmcnt(0)
	v_lshlrev_b32_e32 v0, 16, v0
	v_cvt_f16_f32_e32 v0, v0
	s_branch .LBB204_822
.LBB204_813:
	s_mov_b64 s[8:9], -1
	s_mov_b64 s[6:7], 0
                                        ; implicit-def: $vgpr0
	s_mov_b64 s[74:75], s[64:65]
	s_branch .LBB204_887
.LBB204_814:
	s_mov_b64 s[8:9], 0
	s_branch .LBB204_550
.LBB204_815:
	s_mov_b64 s[8:9], -1
	s_mov_b64 s[6:7], 0
	s_mov_b64 s[74:75], s[64:65]
                                        ; implicit-def: $vgpr0
	s_branch .LBB204_851
.LBB204_816:
	s_mov_b64 s[8:9], -1
	s_mov_b64 s[6:7], 0
	s_mov_b64 s[74:75], s[64:65]
                                        ; implicit-def: $vgpr0
	s_branch .LBB204_832
.LBB204_817:
	s_mov_b64 s[8:9], -1
	s_mov_b64 s[6:7], 0
	s_mov_b64 s[74:75], s[64:65]
                                        ; implicit-def: $vgpr0
	s_branch .LBB204_827
.LBB204_818:
	s_mov_b64 s[8:9], -1
	s_mov_b64 s[6:7], 0
	s_mov_b64 s[74:75], s[64:65]
                                        ; implicit-def: $vgpr0
	s_branch .LBB204_822
.LBB204_819:
	s_or_saveexec_b64 s[12:13], s[12:13]
                                        ; implicit-def: $sgpr14
	s_xor_b64 exec, exec, s[12:13]
	s_cbranch_execz .LBB204_703
.LBB204_820:
	s_mov_b32 s14, 0x46000000
	v_add_f32_e64 v4, |v1|, s14
	v_and_b32_e32 v4, 0xff, v4
	v_cmp_ne_u32_e32 vcc, 0, v4
	s_andn2_b64 s[10:11], s[10:11], exec
	s_and_b64 s[16:17], vcc, exec
	s_mov_b32 s14, 0
	s_or_b64 s[10:11], s[10:11], s[16:17]
	s_or_b64 exec, exec, s[12:13]
	v_mov_b32_e32 v5, s14
	s_and_saveexec_b64 s[12:13], s[10:11]
	s_cbranch_execnz .LBB204_704
	s_branch .LBB204_705
.LBB204_821:
	s_mov_b64 s[74:75], -1
                                        ; implicit-def: $vgpr0
	s_mov_b64 s[6:7], 0
.LBB204_822:
	s_and_b64 vcc, exec, s[8:9]
	s_cbranch_vccz .LBB204_826
; %bb.823:
	v_mov_b32_e32 v0, 44
	v_cmp_eq_u16_sdwa s[8:9], v35, v0 src0_sel:BYTE_0 src1_sel:DWORD
	s_and_b64 vcc, exec, s[8:9]
	s_cbranch_vccz .LBB204_825
; %bb.824:
	global_load_ubyte v0, v[4:5], off
	s_movk_i32 s8, 0xff
	v_mov_b32_e32 v3, 0x7e00
	s_mov_b64 s[6:7], -1
	s_mov_b64 s[74:75], 0
	s_waitcnt vmcnt(0)
	v_lshlrev_b32_e32 v1, 23, v0
	v_cvt_f16_f32_e32 v1, v1
	v_cmp_ne_u32_e32 vcc, s8, v0
	v_cndmask_b32_e32 v1, v3, v1, vcc
	v_cmp_ne_u32_e32 vcc, 0, v0
	v_cndmask_b32_e32 v0, 0, v1, vcc
	s_branch .LBB204_826
.LBB204_825:
	s_mov_b64 s[74:75], -1
                                        ; implicit-def: $vgpr0
.LBB204_826:
	s_mov_b64 s[8:9], 0
.LBB204_827:
	s_and_b64 vcc, exec, s[8:9]
	s_cbranch_vccz .LBB204_831
; %bb.828:
	v_mov_b32_e32 v0, 29
	v_cmp_eq_u16_sdwa s[8:9], v35, v0 src0_sel:BYTE_0 src1_sel:DWORD
	s_and_b64 vcc, exec, s[8:9]
	s_cbranch_vccz .LBB204_830
; %bb.829:
	global_load_dwordx2 v[0:1], v[4:5], off
	s_mov_b64 s[6:7], -1
	s_mov_b64 s[74:75], 0
	s_mov_b64 s[8:9], 0
	s_waitcnt vmcnt(0)
	v_ffbh_u32_e32 v3, v1
	v_min_u32_e32 v3, 32, v3
	v_lshlrev_b64 v[0:1], v3, v[0:1]
	v_min_u32_e32 v0, 1, v0
	v_or_b32_e32 v0, v1, v0
	v_cvt_f32_u32_e32 v0, v0
	v_sub_u32_e32 v1, 32, v3
	v_ldexp_f32 v0, v0, v1
	v_cvt_f16_f32_e32 v0, v0
	s_branch .LBB204_832
.LBB204_830:
	s_mov_b64 s[74:75], -1
                                        ; implicit-def: $vgpr0
.LBB204_831:
	s_mov_b64 s[8:9], 0
.LBB204_832:
	s_and_b64 vcc, exec, s[8:9]
	s_cbranch_vccz .LBB204_850
; %bb.833:
	v_mov_b32_e32 v0, 27
	v_cmp_lt_i16_sdwa s[6:7], v35, v0 src0_sel:BYTE_0 src1_sel:DWORD
	s_and_b64 vcc, exec, s[6:7]
	s_cbranch_vccnz .LBB204_836
; %bb.834:
	v_cmp_gt_i16_sdwa s[6:7], v35, v0 src0_sel:BYTE_0 src1_sel:DWORD
	s_and_b64 vcc, exec, s[6:7]
	s_cbranch_vccz .LBB204_837
; %bb.835:
	global_load_dword v0, v[4:5], off
	s_mov_b64 s[6:7], 0
	s_waitcnt vmcnt(0)
	v_cvt_f32_u32_e32 v0, v0
	v_cvt_f16_f32_e32 v0, v0
	s_branch .LBB204_838
.LBB204_836:
	s_mov_b64 s[6:7], -1
                                        ; implicit-def: $vgpr0
	s_branch .LBB204_841
.LBB204_837:
	s_mov_b64 s[6:7], -1
                                        ; implicit-def: $vgpr0
.LBB204_838:
	s_andn2_b64 vcc, exec, s[6:7]
	s_cbranch_vccnz .LBB204_840
; %bb.839:
	global_load_ushort v0, v[4:5], off
	s_waitcnt vmcnt(0)
	v_cvt_f16_u16_e32 v0, v0
.LBB204_840:
	s_mov_b64 s[6:7], 0
.LBB204_841:
	s_andn2_b64 vcc, exec, s[6:7]
	s_cbranch_vccnz .LBB204_849
; %bb.842:
	global_load_ubyte v1, v[4:5], off
	s_movk_i32 s6, 0x7f
                                        ; implicit-def: $sgpr12
	s_waitcnt vmcnt(0)
	v_cmp_lt_i16_e32 vcc, s6, v1
	s_mov_b64 s[6:7], 0
	s_and_saveexec_b64 s[8:9], vcc
	s_xor_b64 s[8:9], exec, s[8:9]
	s_cbranch_execz .LBB204_863
; %bb.843:
	s_movk_i32 s6, 0x80
	v_cmp_eq_u16_e32 vcc, s6, v1
	s_mov_b64 s[6:7], -1
                                        ; implicit-def: $sgpr12
	s_and_saveexec_b64 s[10:11], vcc
; %bb.844:
	s_movk_i32 s12, 0x7e00
	s_xor_b64 s[6:7], exec, -1
; %bb.845:
	s_or_b64 exec, exec, s[10:11]
	s_and_b64 s[6:7], s[6:7], exec
	s_or_saveexec_b64 s[8:9], s[8:9]
	v_mov_b32_e32 v0, s12
	s_xor_b64 exec, exec, s[8:9]
	s_cbranch_execnz .LBB204_864
.LBB204_846:
	s_or_b64 exec, exec, s[8:9]
	s_and_saveexec_b64 s[8:9], s[6:7]
	s_cbranch_execz .LBB204_848
.LBB204_847:
	v_lshlrev_b32_e32 v0, 24, v1
	v_and_b32_e32 v1, 0xffff, v1
	v_and_b32_e32 v3, 7, v1
	v_ffbh_u32_e32 v7, v3
	v_min_u32_e32 v7, 32, v7
	v_subrev_u32_e32 v8, 28, v7
	v_bfe_u32 v6, v1, 3, 4
	v_lshlrev_b32_e32 v1, v8, v1
	v_sub_u32_e32 v7, 29, v7
	v_and_b32_e32 v1, 7, v1
	v_cmp_eq_u32_e32 vcc, 0, v6
	v_cndmask_b32_e32 v6, v6, v7, vcc
	v_cndmask_b32_e32 v1, v3, v1, vcc
	v_mov_b32_e32 v3, 0x3b800000
	v_lshlrev_b32_e32 v1, 20, v1
	v_and_b32_e32 v0, 0x80000000, v0
	v_lshl_add_u32 v3, v6, 23, v3
	v_or3_b32 v0, v0, v3, v1
	v_cvt_f16_f32_e32 v0, v0
.LBB204_848:
	s_or_b64 exec, exec, s[8:9]
.LBB204_849:
	s_mov_b64 s[6:7], -1
.LBB204_850:
	s_mov_b64 s[8:9], 0
.LBB204_851:
	s_and_b64 vcc, exec, s[8:9]
	s_cbranch_vccz .LBB204_886
; %bb.852:
	v_mov_b32_e32 v0, 22
	v_cmp_gt_i16_sdwa s[8:9], v35, v0 src0_sel:BYTE_0 src1_sel:DWORD
	s_and_b64 vcc, exec, s[8:9]
	s_cbranch_vccz .LBB204_862
; %bb.853:
	v_mov_b32_e32 v0, 24
	v_cmp_lt_i16_sdwa s[6:7], v35, v0 src0_sel:BYTE_0 src1_sel:DWORD
	s_and_b64 vcc, exec, s[6:7]
	s_cbranch_vccnz .LBB204_865
; %bb.854:
	v_cmp_gt_i16_sdwa s[6:7], v35, v0 src0_sel:BYTE_0 src1_sel:DWORD
	s_and_b64 vcc, exec, s[6:7]
	s_cbranch_vccz .LBB204_866
; %bb.855:
	global_load_ubyte v1, v[4:5], off
	s_movk_i32 s6, 0x7f
                                        ; implicit-def: $sgpr12
	s_waitcnt vmcnt(0)
	v_cmp_lt_i16_e32 vcc, s6, v1
	s_mov_b64 s[6:7], 0
	s_and_saveexec_b64 s[8:9], vcc
	s_xor_b64 s[8:9], exec, s[8:9]
	s_cbranch_execz .LBB204_878
; %bb.856:
	s_movk_i32 s6, 0x80
	v_cmp_eq_u16_e32 vcc, s6, v1
	s_mov_b64 s[6:7], -1
                                        ; implicit-def: $sgpr12
	s_and_saveexec_b64 s[10:11], vcc
; %bb.857:
	s_movk_i32 s12, 0x7e00
	s_xor_b64 s[6:7], exec, -1
; %bb.858:
	s_or_b64 exec, exec, s[10:11]
	s_and_b64 s[6:7], s[6:7], exec
	s_or_saveexec_b64 s[8:9], s[8:9]
	v_mov_b32_e32 v0, s12
	s_xor_b64 exec, exec, s[8:9]
	s_cbranch_execnz .LBB204_879
.LBB204_859:
	s_or_b64 exec, exec, s[8:9]
	s_and_saveexec_b64 s[8:9], s[6:7]
	s_cbranch_execz .LBB204_861
.LBB204_860:
	v_lshlrev_b32_e32 v0, 24, v1
	v_and_b32_e32 v1, 0xffff, v1
	v_and_b32_e32 v3, 3, v1
	v_ffbh_u32_e32 v7, v3
	v_min_u32_e32 v7, 32, v7
	v_subrev_u32_e32 v8, 29, v7
	v_bfe_u32 v6, v1, 2, 5
	v_lshlrev_b32_e32 v1, v8, v1
	v_sub_u32_e32 v7, 30, v7
	v_and_b32_e32 v1, 3, v1
	v_cmp_eq_u32_e32 vcc, 0, v6
	v_cndmask_b32_e32 v6, v6, v7, vcc
	v_cndmask_b32_e32 v1, v3, v1, vcc
	v_mov_b32_e32 v3, 0x37800000
	v_lshlrev_b32_e32 v1, 21, v1
	v_and_b32_e32 v0, 0x80000000, v0
	v_lshl_add_u32 v3, v6, 23, v3
	v_or3_b32 v0, v0, v3, v1
	v_cvt_f16_f32_e32 v0, v0
.LBB204_861:
	s_or_b64 exec, exec, s[8:9]
	s_mov_b64 s[6:7], 0
	s_branch .LBB204_867
.LBB204_862:
	s_mov_b64 s[8:9], -1
                                        ; implicit-def: $vgpr0
	s_branch .LBB204_873
.LBB204_863:
	s_or_saveexec_b64 s[8:9], s[8:9]
	v_mov_b32_e32 v0, s12
	s_xor_b64 exec, exec, s[8:9]
	s_cbranch_execz .LBB204_846
.LBB204_864:
	v_cmp_ne_u16_e32 vcc, 0, v1
	s_andn2_b64 s[6:7], s[6:7], exec
	s_and_b64 s[10:11], vcc, exec
	s_or_b64 s[6:7], s[6:7], s[10:11]
	v_mov_b32_e32 v0, v1
	s_or_b64 exec, exec, s[8:9]
	s_and_saveexec_b64 s[8:9], s[6:7]
	s_cbranch_execnz .LBB204_847
	s_branch .LBB204_848
.LBB204_865:
	s_mov_b64 s[6:7], -1
                                        ; implicit-def: $vgpr0
	s_branch .LBB204_870
.LBB204_866:
	s_mov_b64 s[6:7], -1
                                        ; implicit-def: $vgpr0
.LBB204_867:
	s_and_b64 vcc, exec, s[6:7]
	s_cbranch_vccz .LBB204_869
; %bb.868:
	global_load_ubyte v0, v[4:5], off
	s_mov_b32 s6, 0x7f800000
	s_waitcnt vmcnt(0)
	v_lshlrev_b32_e32 v0, 24, v0
	v_and_b32_e32 v1, 0x7f000000, v0
	v_ffbh_u32_e32 v3, v1
	v_min_u32_e32 v3, 32, v3
	v_sub_u32_e64 v3, v3, 4 clamp
	v_lshlrev_b32_e32 v7, v3, v1
	v_lshlrev_b32_e32 v3, 23, v3
	v_lshrrev_b32_e32 v7, 4, v7
	v_add_u32_e32 v6, 0x1000000, v1
	v_sub_u32_e32 v3, v7, v3
	v_ashrrev_i32_e32 v6, 8, v6
	v_add_u32_e32 v3, 0x3c000000, v3
	v_and_or_b32 v3, v6, s6, v3
	v_cmp_ne_u32_e32 vcc, 0, v1
	v_cndmask_b32_e32 v1, 0, v3, vcc
	s_brev_b32 s6, 1
	v_and_or_b32 v0, v0, s6, v1
	v_cvt_f16_f32_e32 v0, v0
.LBB204_869:
	s_mov_b64 s[6:7], 0
.LBB204_870:
	s_andn2_b64 vcc, exec, s[6:7]
	s_cbranch_vccnz .LBB204_872
; %bb.871:
	global_load_ubyte v0, v[4:5], off
	s_movk_i32 s6, 0x7f00
	s_brev_b32 s7, 16
	s_waitcnt vmcnt(0)
	v_lshlrev_b16_e32 v1, 8, v0
	v_lshlrev_b32_e32 v0, 25, v0
	v_lshrrev_b32_e32 v3, 4, v0
	v_and_or_b32 v6, v1, s6, 0.5
	v_or_b32_e32 v3, 0x70000000, v3
	v_add_f32_e32 v6, -0.5, v6
	v_mul_f32_e32 v3, 0x7800000, v3
	v_cmp_gt_u32_e32 vcc, s7, v0
	v_bfe_i32 v1, v1, 0, 16
	v_cndmask_b32_e32 v0, v3, v6, vcc
	s_brev_b32 s6, 1
	v_and_or_b32 v0, v1, s6, v0
	v_cvt_f16_f32_e32 v0, v0
.LBB204_872:
	s_mov_b64 s[8:9], 0
	s_mov_b64 s[6:7], -1
.LBB204_873:
	s_andn2_b64 vcc, exec, s[8:9]
	s_cbranch_vccnz .LBB204_886
; %bb.874:
	v_mov_b32_e32 v0, 14
	v_cmp_gt_i16_sdwa s[8:9], v35, v0 src0_sel:BYTE_0 src1_sel:DWORD
	s_and_b64 vcc, exec, s[8:9]
	s_cbranch_vccz .LBB204_877
; %bb.875:
	v_mov_b32_e32 v0, 15
	v_cmp_eq_u16_sdwa s[8:9], v35, v0 src0_sel:BYTE_0 src1_sel:DWORD
	s_and_b64 vcc, exec, s[8:9]
	s_cbranch_vccz .LBB204_880
; %bb.876:
	global_load_ushort v0, v[4:5], off
	s_mov_b64 s[6:7], -1
	s_mov_b64 s[74:75], 0
	s_waitcnt vmcnt(0)
	v_lshlrev_b32_e32 v0, 16, v0
	v_cvt_f16_f32_e32 v0, v0
	s_branch .LBB204_881
.LBB204_877:
	s_mov_b64 s[8:9], -1
                                        ; implicit-def: $vgpr0
	s_branch .LBB204_882
.LBB204_878:
	s_or_saveexec_b64 s[8:9], s[8:9]
	v_mov_b32_e32 v0, s12
	s_xor_b64 exec, exec, s[8:9]
	s_cbranch_execz .LBB204_859
.LBB204_879:
	v_cmp_ne_u16_e32 vcc, 0, v1
	s_andn2_b64 s[6:7], s[6:7], exec
	s_and_b64 s[10:11], vcc, exec
	s_or_b64 s[6:7], s[6:7], s[10:11]
	v_mov_b32_e32 v0, v1
	s_or_b64 exec, exec, s[8:9]
	s_and_saveexec_b64 s[8:9], s[6:7]
	s_cbranch_execnz .LBB204_860
	s_branch .LBB204_861
.LBB204_880:
	s_mov_b64 s[74:75], -1
                                        ; implicit-def: $vgpr0
.LBB204_881:
	s_mov_b64 s[8:9], 0
.LBB204_882:
	s_and_b64 vcc, exec, s[8:9]
	s_cbranch_vccz .LBB204_886
; %bb.883:
	v_mov_b32_e32 v0, 11
	v_cmp_eq_u16_sdwa s[8:9], v35, v0 src0_sel:BYTE_0 src1_sel:DWORD
	s_and_b64 vcc, exec, s[8:9]
	s_cbranch_vccz .LBB204_885
; %bb.884:
	global_load_ubyte v0, v[4:5], off
	v_mov_b32_e32 v1, 0x3c00
	s_mov_b64 s[6:7], -1
	s_mov_b64 s[74:75], 0
	s_waitcnt vmcnt(0)
	v_cmp_ne_u16_e32 vcc, 0, v0
	v_cndmask_b32_e32 v0, 0, v1, vcc
	s_branch .LBB204_886
.LBB204_885:
	s_mov_b64 s[74:75], -1
                                        ; implicit-def: $vgpr0
.LBB204_886:
	s_mov_b64 s[8:9], 0
.LBB204_887:
	s_and_b64 vcc, exec, s[8:9]
	s_cbranch_vccz .LBB204_936
; %bb.888:
	v_mov_b32_e32 v0, 5
	v_cmp_lt_i16_sdwa s[6:7], v35, v0 src0_sel:BYTE_0 src1_sel:DWORD
	s_and_b64 vcc, exec, s[6:7]
	s_cbranch_vccnz .LBB204_893
; %bb.889:
	v_mov_b32_e32 v0, 8
	v_cmp_lt_i16_sdwa s[6:7], v35, v0 src0_sel:BYTE_0 src1_sel:DWORD
	s_and_b64 vcc, exec, s[6:7]
	s_cbranch_vccnz .LBB204_894
	;; [unrolled: 5-line block ×3, first 2 shown]
; %bb.891:
	v_cmp_gt_i16_sdwa s[6:7], v35, v0 src0_sel:BYTE_0 src1_sel:DWORD
	s_and_b64 vcc, exec, s[6:7]
	s_cbranch_vccz .LBB204_896
; %bb.892:
	global_load_dwordx2 v[0:1], v[4:5], off
	s_mov_b64 s[6:7], 0
	s_waitcnt vmcnt(0)
	v_cvt_f32_f64_e32 v0, v[0:1]
	v_cvt_f16_f32_e32 v0, v0
	s_branch .LBB204_897
.LBB204_893:
	s_mov_b64 s[6:7], -1
                                        ; implicit-def: $vgpr0
	s_branch .LBB204_915
.LBB204_894:
	s_mov_b64 s[6:7], -1
                                        ; implicit-def: $vgpr0
	s_branch .LBB204_903
.LBB204_895:
	s_mov_b64 s[6:7], -1
                                        ; implicit-def: $vgpr0
	s_branch .LBB204_900
.LBB204_896:
	s_mov_b64 s[6:7], -1
                                        ; implicit-def: $vgpr0
.LBB204_897:
	s_andn2_b64 vcc, exec, s[6:7]
	s_cbranch_vccnz .LBB204_899
; %bb.898:
	global_load_dword v0, v[4:5], off
	s_waitcnt vmcnt(0)
	v_cvt_f16_f32_e32 v0, v0
.LBB204_899:
	s_mov_b64 s[6:7], 0
.LBB204_900:
	s_andn2_b64 vcc, exec, s[6:7]
	s_cbranch_vccnz .LBB204_902
; %bb.901:
	global_load_dword v0, v[4:5], off
.LBB204_902:
	s_mov_b64 s[6:7], 0
.LBB204_903:
	s_andn2_b64 vcc, exec, s[6:7]
	s_cbranch_vccnz .LBB204_914
; %bb.904:
	s_waitcnt vmcnt(0)
	v_mov_b32_e32 v0, 6
	v_cmp_lt_i16_sdwa s[6:7], v35, v0 src0_sel:BYTE_0 src1_sel:DWORD
	s_and_b64 vcc, exec, s[6:7]
	s_cbranch_vccnz .LBB204_907
; %bb.905:
	v_cmp_gt_i16_sdwa s[6:7], v35, v0 src0_sel:BYTE_0 src1_sel:DWORD
	s_and_b64 vcc, exec, s[6:7]
	s_cbranch_vccz .LBB204_908
; %bb.906:
	global_load_dwordx2 v[0:1], v[4:5], off
	s_mov_b64 s[6:7], 0
	s_waitcnt vmcnt(0)
	v_cvt_f32_f64_e32 v0, v[0:1]
	v_cvt_f16_f32_e32 v0, v0
	s_branch .LBB204_909
.LBB204_907:
	s_mov_b64 s[6:7], -1
                                        ; implicit-def: $vgpr0
	s_branch .LBB204_912
.LBB204_908:
	s_mov_b64 s[6:7], -1
                                        ; implicit-def: $vgpr0
.LBB204_909:
	s_andn2_b64 vcc, exec, s[6:7]
	s_cbranch_vccnz .LBB204_911
; %bb.910:
	global_load_dword v0, v[4:5], off
	s_waitcnt vmcnt(0)
	v_cvt_f16_f32_e32 v0, v0
.LBB204_911:
	s_mov_b64 s[6:7], 0
.LBB204_912:
	s_andn2_b64 vcc, exec, s[6:7]
	s_cbranch_vccnz .LBB204_914
; %bb.913:
	global_load_ushort v0, v[4:5], off
.LBB204_914:
	s_mov_b64 s[6:7], 0
.LBB204_915:
	s_andn2_b64 vcc, exec, s[6:7]
	s_cbranch_vccnz .LBB204_935
; %bb.916:
	s_waitcnt vmcnt(0)
	v_mov_b32_e32 v0, 2
	v_cmp_lt_i16_sdwa s[6:7], v35, v0 src0_sel:BYTE_0 src1_sel:DWORD
	s_and_b64 vcc, exec, s[6:7]
	s_cbranch_vccnz .LBB204_920
; %bb.917:
	v_mov_b32_e32 v0, 3
	v_cmp_lt_i16_sdwa s[6:7], v35, v0 src0_sel:BYTE_0 src1_sel:DWORD
	s_and_b64 vcc, exec, s[6:7]
	s_cbranch_vccnz .LBB204_921
; %bb.918:
	v_cmp_gt_i16_sdwa s[6:7], v35, v0 src0_sel:BYTE_0 src1_sel:DWORD
	s_and_b64 vcc, exec, s[6:7]
	s_cbranch_vccz .LBB204_922
; %bb.919:
	global_load_dwordx2 v[0:1], v[4:5], off
	s_mov_b64 s[6:7], 0
	s_waitcnt vmcnt(0)
	v_xor_b32_e32 v6, v0, v1
	v_ffbh_i32_e32 v3, v1
	v_ashrrev_i32_e32 v6, 31, v6
	v_add_u32_e32 v3, -1, v3
	v_add_u32_e32 v6, 32, v6
	v_min_u32_e32 v3, v3, v6
	v_lshlrev_b64 v[0:1], v3, v[0:1]
	v_min_u32_e32 v0, 1, v0
	v_or_b32_e32 v0, v1, v0
	v_cvt_f32_i32_e32 v0, v0
	v_sub_u32_e32 v1, 32, v3
	v_ldexp_f32 v0, v0, v1
	v_cvt_f16_f32_e32 v0, v0
	s_branch .LBB204_923
.LBB204_920:
	s_mov_b64 s[6:7], -1
                                        ; implicit-def: $vgpr0
	s_branch .LBB204_929
.LBB204_921:
	s_mov_b64 s[6:7], -1
                                        ; implicit-def: $vgpr0
	s_branch .LBB204_926
.LBB204_922:
	s_mov_b64 s[6:7], -1
                                        ; implicit-def: $vgpr0
.LBB204_923:
	s_andn2_b64 vcc, exec, s[6:7]
	s_cbranch_vccnz .LBB204_925
; %bb.924:
	global_load_dword v0, v[4:5], off
	s_waitcnt vmcnt(0)
	v_cvt_f32_i32_e32 v0, v0
	v_cvt_f16_f32_e32 v0, v0
.LBB204_925:
	s_mov_b64 s[6:7], 0
.LBB204_926:
	s_andn2_b64 vcc, exec, s[6:7]
	s_cbranch_vccnz .LBB204_928
; %bb.927:
	global_load_ushort v0, v[4:5], off
	s_waitcnt vmcnt(0)
	v_cvt_f16_i16_e32 v0, v0
.LBB204_928:
	s_mov_b64 s[6:7], 0
.LBB204_929:
	s_andn2_b64 vcc, exec, s[6:7]
	s_cbranch_vccnz .LBB204_935
; %bb.930:
	v_mov_b32_e32 v0, 0
	v_cmp_gt_i16_sdwa s[6:7], v35, v0 src0_sel:BYTE_0 src1_sel:DWORD
	s_and_b64 vcc, exec, s[6:7]
	s_cbranch_vccz .LBB204_932
; %bb.931:
	global_load_sbyte v0, v[4:5], off
	s_mov_b64 s[6:7], 0
	s_waitcnt vmcnt(0)
	v_cvt_f16_i16_e32 v0, v0
	s_branch .LBB204_933
.LBB204_932:
	s_mov_b64 s[6:7], -1
                                        ; implicit-def: $vgpr0
.LBB204_933:
	s_andn2_b64 vcc, exec, s[6:7]
	s_cbranch_vccnz .LBB204_935
; %bb.934:
	global_load_ubyte v0, v[4:5], off
	s_waitcnt vmcnt(0)
	v_cvt_f16_u16_e32 v0, v0
.LBB204_935:
	s_mov_b64 s[6:7], -1
.LBB204_936:
	s_andn2_b64 vcc, exec, s[6:7]
	s_cbranch_vccnz .LBB204_944
; %bb.937:
	v_mov_b32_e32 v1, s47
	v_add_co_u32_e32 v2, vcc, s46, v2
	v_addc_co_u32_e32 v3, vcc, 0, v1, vcc
	v_mov_b32_e32 v1, 11
	v_cmp_lt_i16_sdwa s[6:7], v33, v1 src0_sel:BYTE_0 src1_sel:DWORD
	s_and_b64 vcc, exec, s[6:7]
	s_cbranch_vccnz .LBB204_946
; %bb.938:
	v_mov_b32_e32 v1, 25
	v_cmp_gt_i16_sdwa s[6:7], v33, v1 src0_sel:BYTE_0 src1_sel:DWORD
	s_and_b64 vcc, exec, s[6:7]
	s_cbranch_vccz .LBB204_947
; %bb.939:
	v_mov_b32_e32 v1, 28
	v_cmp_gt_i16_sdwa s[6:7], v33, v1 src0_sel:BYTE_0 src1_sel:DWORD
	s_and_b64 vcc, exec, s[6:7]
	s_cbranch_vccz .LBB204_948
; %bb.940:
	v_mov_b32_e32 v1, 43
	v_cmp_gt_i16_sdwa s[6:7], v33, v1 src0_sel:BYTE_0 src1_sel:DWORD
	s_and_b64 vcc, exec, s[6:7]
	s_cbranch_vccz .LBB204_949
; %bb.941:
	v_mov_b32_e32 v1, 45
	v_cmp_gt_i16_sdwa s[6:7], v33, v1 src0_sel:BYTE_0 src1_sel:DWORD
	s_and_b64 vcc, exec, s[6:7]
	s_cbranch_vccz .LBB204_950
; %bb.942:
	v_mov_b32_e32 v1, 46
	v_cmp_eq_u16_sdwa s[6:7], v33, v1 src0_sel:BYTE_0 src1_sel:DWORD
	s_mov_b64 s[8:9], 0
	s_and_b64 vcc, exec, s[6:7]
	s_cbranch_vccz .LBB204_953
; %bb.943:
	global_load_dword v1, v[2:3], off
	s_mov_b64 s[6:7], -1
	s_mov_b64 s[76:77], 0
	s_waitcnt vmcnt(0)
	v_lshlrev_b32_e32 v1, 16, v1
	v_cvt_f16_f32_e32 v1, v1
	s_branch .LBB204_954
.LBB204_944:
	s_mov_b64 s[12:13], 0
	s_mov_b64 s[6:7], s[68:69]
	;; [unrolled: 1-line block ×3, first 2 shown]
.LBB204_945:
                                        ; implicit-def: $vgpr34
	s_branch .LBB204_1192
.LBB204_946:
	s_mov_b64 s[8:9], -1
	s_mov_b64 s[6:7], 0
                                        ; implicit-def: $vgpr1
	s_mov_b64 s[76:77], s[66:67]
	s_branch .LBB204_1019
.LBB204_947:
	s_mov_b64 s[8:9], -1
	s_mov_b64 s[6:7], 0
	s_mov_b64 s[76:77], s[66:67]
                                        ; implicit-def: $vgpr1
	s_branch .LBB204_983
.LBB204_948:
	s_mov_b64 s[8:9], -1
	s_mov_b64 s[6:7], 0
	s_mov_b64 s[76:77], s[66:67]
                                        ; implicit-def: $vgpr1
	s_branch .LBB204_964
.LBB204_949:
	s_mov_b64 s[8:9], -1
	s_mov_b64 s[6:7], 0
	s_mov_b64 s[76:77], s[66:67]
                                        ; implicit-def: $vgpr1
	s_branch .LBB204_959
.LBB204_950:
	s_mov_b64 s[8:9], -1
	s_mov_b64 s[6:7], 0
	s_mov_b64 s[76:77], s[66:67]
                                        ; implicit-def: $vgpr1
	s_branch .LBB204_954
.LBB204_951:
	s_or_saveexec_b64 s[12:13], s[12:13]
                                        ; implicit-def: $sgpr14
	s_xor_b64 exec, exec, s[12:13]
	s_cbranch_execz .LBB204_716
.LBB204_952:
	s_mov_b32 s14, 0x42800000
	v_add_f32_e64 v4, |v1|, s14
	v_and_b32_e32 v4, 0xff, v4
	v_cmp_ne_u32_e32 vcc, 0, v4
	s_andn2_b64 s[10:11], s[10:11], exec
	s_and_b64 s[16:17], vcc, exec
	s_mov_b32 s14, 0
	s_or_b64 s[10:11], s[10:11], s[16:17]
	s_or_b64 exec, exec, s[12:13]
	v_mov_b32_e32 v5, s14
	s_and_saveexec_b64 s[12:13], s[10:11]
	s_cbranch_execnz .LBB204_717
	s_branch .LBB204_718
.LBB204_953:
	s_mov_b64 s[76:77], -1
                                        ; implicit-def: $vgpr1
	s_mov_b64 s[6:7], 0
.LBB204_954:
	s_and_b64 vcc, exec, s[8:9]
	s_cbranch_vccz .LBB204_958
; %bb.955:
	v_mov_b32_e32 v1, 44
	v_cmp_eq_u16_sdwa s[8:9], v33, v1 src0_sel:BYTE_0 src1_sel:DWORD
	s_and_b64 vcc, exec, s[8:9]
	s_cbranch_vccz .LBB204_957
; %bb.956:
	global_load_ubyte v1, v[2:3], off
	s_movk_i32 s8, 0xff
	v_mov_b32_e32 v5, 0x7e00
	s_mov_b64 s[6:7], -1
	s_mov_b64 s[76:77], 0
	s_waitcnt vmcnt(0)
	v_lshlrev_b32_e32 v4, 23, v1
	v_cvt_f16_f32_e32 v4, v4
	v_cmp_ne_u32_e32 vcc, s8, v1
	v_cndmask_b32_e32 v4, v5, v4, vcc
	v_cmp_ne_u32_e32 vcc, 0, v1
	v_cndmask_b32_e32 v1, 0, v4, vcc
	s_branch .LBB204_958
.LBB204_957:
	s_mov_b64 s[76:77], -1
                                        ; implicit-def: $vgpr1
.LBB204_958:
	s_mov_b64 s[8:9], 0
.LBB204_959:
	s_and_b64 vcc, exec, s[8:9]
	s_cbranch_vccz .LBB204_963
; %bb.960:
	v_mov_b32_e32 v1, 29
	v_cmp_eq_u16_sdwa s[8:9], v33, v1 src0_sel:BYTE_0 src1_sel:DWORD
	s_and_b64 vcc, exec, s[8:9]
	s_cbranch_vccz .LBB204_962
; %bb.961:
	global_load_dwordx2 v[4:5], v[2:3], off
	s_mov_b64 s[6:7], -1
	s_mov_b64 s[76:77], 0
	s_mov_b64 s[8:9], 0
	s_waitcnt vmcnt(0)
	v_ffbh_u32_e32 v1, v5
	v_min_u32_e32 v1, 32, v1
	v_lshlrev_b64 v[4:5], v1, v[4:5]
	v_min_u32_e32 v4, 1, v4
	v_or_b32_e32 v4, v5, v4
	v_cvt_f32_u32_e32 v4, v4
	v_sub_u32_e32 v1, 32, v1
	v_ldexp_f32 v1, v4, v1
	v_cvt_f16_f32_e32 v1, v1
	s_branch .LBB204_964
.LBB204_962:
	s_mov_b64 s[76:77], -1
                                        ; implicit-def: $vgpr1
.LBB204_963:
	s_mov_b64 s[8:9], 0
.LBB204_964:
	s_and_b64 vcc, exec, s[8:9]
	s_cbranch_vccz .LBB204_982
; %bb.965:
	v_mov_b32_e32 v1, 27
	v_cmp_lt_i16_sdwa s[6:7], v33, v1 src0_sel:BYTE_0 src1_sel:DWORD
	s_and_b64 vcc, exec, s[6:7]
	s_cbranch_vccnz .LBB204_968
; %bb.966:
	v_cmp_gt_i16_sdwa s[6:7], v33, v1 src0_sel:BYTE_0 src1_sel:DWORD
	s_and_b64 vcc, exec, s[6:7]
	s_cbranch_vccz .LBB204_969
; %bb.967:
	global_load_dword v1, v[2:3], off
	s_mov_b64 s[6:7], 0
	s_waitcnt vmcnt(0)
	v_cvt_f32_u32_e32 v1, v1
	v_cvt_f16_f32_e32 v1, v1
	s_branch .LBB204_970
.LBB204_968:
	s_mov_b64 s[6:7], -1
                                        ; implicit-def: $vgpr1
	s_branch .LBB204_973
.LBB204_969:
	s_mov_b64 s[6:7], -1
                                        ; implicit-def: $vgpr1
.LBB204_970:
	s_andn2_b64 vcc, exec, s[6:7]
	s_cbranch_vccnz .LBB204_972
; %bb.971:
	global_load_ushort v1, v[2:3], off
	s_waitcnt vmcnt(0)
	v_cvt_f16_u16_e32 v1, v1
.LBB204_972:
	s_mov_b64 s[6:7], 0
.LBB204_973:
	s_andn2_b64 vcc, exec, s[6:7]
	s_cbranch_vccnz .LBB204_981
; %bb.974:
	global_load_ubyte v4, v[2:3], off
	s_movk_i32 s6, 0x7f
                                        ; implicit-def: $sgpr12
	s_waitcnt vmcnt(0)
	v_cmp_lt_i16_e32 vcc, s6, v4
	s_mov_b64 s[6:7], 0
	s_and_saveexec_b64 s[8:9], vcc
	s_xor_b64 s[8:9], exec, s[8:9]
	s_cbranch_execz .LBB204_995
; %bb.975:
	s_movk_i32 s6, 0x80
	v_cmp_eq_u16_e32 vcc, s6, v4
	s_mov_b64 s[6:7], -1
                                        ; implicit-def: $sgpr12
	s_and_saveexec_b64 s[10:11], vcc
; %bb.976:
	s_movk_i32 s12, 0x7e00
	s_xor_b64 s[6:7], exec, -1
; %bb.977:
	s_or_b64 exec, exec, s[10:11]
	s_and_b64 s[6:7], s[6:7], exec
	s_or_saveexec_b64 s[8:9], s[8:9]
	v_mov_b32_e32 v1, s12
	s_xor_b64 exec, exec, s[8:9]
	s_cbranch_execnz .LBB204_996
.LBB204_978:
	s_or_b64 exec, exec, s[8:9]
	s_and_saveexec_b64 s[8:9], s[6:7]
	s_cbranch_execz .LBB204_980
.LBB204_979:
	v_lshlrev_b32_e32 v1, 24, v4
	v_and_b32_e32 v4, 0xffff, v4
	v_and_b32_e32 v5, 7, v4
	v_ffbh_u32_e32 v7, v5
	v_min_u32_e32 v7, 32, v7
	v_subrev_u32_e32 v8, 28, v7
	v_bfe_u32 v6, v4, 3, 4
	v_lshlrev_b32_e32 v4, v8, v4
	v_sub_u32_e32 v7, 29, v7
	v_and_b32_e32 v4, 7, v4
	v_cmp_eq_u32_e32 vcc, 0, v6
	v_cndmask_b32_e32 v6, v6, v7, vcc
	v_cndmask_b32_e32 v4, v5, v4, vcc
	v_mov_b32_e32 v5, 0x3b800000
	v_lshlrev_b32_e32 v4, 20, v4
	v_and_b32_e32 v1, 0x80000000, v1
	v_lshl_add_u32 v5, v6, 23, v5
	v_or3_b32 v1, v1, v5, v4
	v_cvt_f16_f32_e32 v1, v1
.LBB204_980:
	s_or_b64 exec, exec, s[8:9]
.LBB204_981:
	s_mov_b64 s[6:7], -1
.LBB204_982:
	s_mov_b64 s[8:9], 0
.LBB204_983:
	s_and_b64 vcc, exec, s[8:9]
	s_cbranch_vccz .LBB204_1018
; %bb.984:
	v_mov_b32_e32 v1, 22
	v_cmp_gt_i16_sdwa s[8:9], v33, v1 src0_sel:BYTE_0 src1_sel:DWORD
	s_and_b64 vcc, exec, s[8:9]
	s_cbranch_vccz .LBB204_994
; %bb.985:
	v_mov_b32_e32 v1, 24
	v_cmp_lt_i16_sdwa s[6:7], v33, v1 src0_sel:BYTE_0 src1_sel:DWORD
	s_and_b64 vcc, exec, s[6:7]
	s_cbranch_vccnz .LBB204_997
; %bb.986:
	v_cmp_gt_i16_sdwa s[6:7], v33, v1 src0_sel:BYTE_0 src1_sel:DWORD
	s_and_b64 vcc, exec, s[6:7]
	s_cbranch_vccz .LBB204_998
; %bb.987:
	global_load_ubyte v4, v[2:3], off
	s_movk_i32 s6, 0x7f
                                        ; implicit-def: $sgpr12
	s_waitcnt vmcnt(0)
	v_cmp_lt_i16_e32 vcc, s6, v4
	s_mov_b64 s[6:7], 0
	s_and_saveexec_b64 s[8:9], vcc
	s_xor_b64 s[8:9], exec, s[8:9]
	s_cbranch_execz .LBB204_1010
; %bb.988:
	s_movk_i32 s6, 0x80
	v_cmp_eq_u16_e32 vcc, s6, v4
	s_mov_b64 s[6:7], -1
                                        ; implicit-def: $sgpr12
	s_and_saveexec_b64 s[10:11], vcc
; %bb.989:
	s_movk_i32 s12, 0x7e00
	s_xor_b64 s[6:7], exec, -1
; %bb.990:
	s_or_b64 exec, exec, s[10:11]
	s_and_b64 s[6:7], s[6:7], exec
	s_or_saveexec_b64 s[8:9], s[8:9]
	v_mov_b32_e32 v1, s12
	s_xor_b64 exec, exec, s[8:9]
	s_cbranch_execnz .LBB204_1011
.LBB204_991:
	s_or_b64 exec, exec, s[8:9]
	s_and_saveexec_b64 s[8:9], s[6:7]
	s_cbranch_execz .LBB204_993
.LBB204_992:
	v_lshlrev_b32_e32 v1, 24, v4
	v_and_b32_e32 v4, 0xffff, v4
	v_and_b32_e32 v5, 3, v4
	v_ffbh_u32_e32 v7, v5
	v_min_u32_e32 v7, 32, v7
	v_subrev_u32_e32 v8, 29, v7
	v_bfe_u32 v6, v4, 2, 5
	v_lshlrev_b32_e32 v4, v8, v4
	v_sub_u32_e32 v7, 30, v7
	v_and_b32_e32 v4, 3, v4
	v_cmp_eq_u32_e32 vcc, 0, v6
	v_cndmask_b32_e32 v6, v6, v7, vcc
	v_cndmask_b32_e32 v4, v5, v4, vcc
	v_mov_b32_e32 v5, 0x37800000
	v_lshlrev_b32_e32 v4, 21, v4
	v_and_b32_e32 v1, 0x80000000, v1
	v_lshl_add_u32 v5, v6, 23, v5
	v_or3_b32 v1, v1, v5, v4
	v_cvt_f16_f32_e32 v1, v1
.LBB204_993:
	s_or_b64 exec, exec, s[8:9]
	s_mov_b64 s[6:7], 0
	s_branch .LBB204_999
.LBB204_994:
	s_mov_b64 s[8:9], -1
                                        ; implicit-def: $vgpr1
	s_branch .LBB204_1005
.LBB204_995:
	s_or_saveexec_b64 s[8:9], s[8:9]
	v_mov_b32_e32 v1, s12
	s_xor_b64 exec, exec, s[8:9]
	s_cbranch_execz .LBB204_978
.LBB204_996:
	v_cmp_ne_u16_e32 vcc, 0, v4
	s_andn2_b64 s[6:7], s[6:7], exec
	s_and_b64 s[10:11], vcc, exec
	s_or_b64 s[6:7], s[6:7], s[10:11]
	v_mov_b32_e32 v1, v4
	s_or_b64 exec, exec, s[8:9]
	s_and_saveexec_b64 s[8:9], s[6:7]
	s_cbranch_execnz .LBB204_979
	s_branch .LBB204_980
.LBB204_997:
	s_mov_b64 s[6:7], -1
                                        ; implicit-def: $vgpr1
	s_branch .LBB204_1002
.LBB204_998:
	s_mov_b64 s[6:7], -1
                                        ; implicit-def: $vgpr1
.LBB204_999:
	s_and_b64 vcc, exec, s[6:7]
	s_cbranch_vccz .LBB204_1001
; %bb.1000:
	global_load_ubyte v1, v[2:3], off
	s_mov_b32 s6, 0x7f800000
	s_waitcnt vmcnt(0)
	v_lshlrev_b32_e32 v1, 24, v1
	v_and_b32_e32 v4, 0x7f000000, v1
	v_ffbh_u32_e32 v5, v4
	v_min_u32_e32 v5, 32, v5
	v_sub_u32_e64 v5, v5, 4 clamp
	v_lshlrev_b32_e32 v7, v5, v4
	v_lshlrev_b32_e32 v5, 23, v5
	v_lshrrev_b32_e32 v7, 4, v7
	v_add_u32_e32 v6, 0x1000000, v4
	v_sub_u32_e32 v5, v7, v5
	v_ashrrev_i32_e32 v6, 8, v6
	v_add_u32_e32 v5, 0x3c000000, v5
	v_and_or_b32 v5, v6, s6, v5
	v_cmp_ne_u32_e32 vcc, 0, v4
	v_cndmask_b32_e32 v4, 0, v5, vcc
	s_brev_b32 s6, 1
	v_and_or_b32 v1, v1, s6, v4
	v_cvt_f16_f32_e32 v1, v1
.LBB204_1001:
	s_mov_b64 s[6:7], 0
.LBB204_1002:
	s_andn2_b64 vcc, exec, s[6:7]
	s_cbranch_vccnz .LBB204_1004
; %bb.1003:
	global_load_ubyte v1, v[2:3], off
	s_movk_i32 s6, 0x7f00
	s_brev_b32 s7, 16
	s_waitcnt vmcnt(0)
	v_lshlrev_b16_e32 v4, 8, v1
	v_lshlrev_b32_e32 v1, 25, v1
	v_lshrrev_b32_e32 v5, 4, v1
	v_and_or_b32 v6, v4, s6, 0.5
	v_or_b32_e32 v5, 0x70000000, v5
	v_add_f32_e32 v6, -0.5, v6
	v_mul_f32_e32 v5, 0x7800000, v5
	v_cmp_gt_u32_e32 vcc, s7, v1
	v_bfe_i32 v4, v4, 0, 16
	v_cndmask_b32_e32 v1, v5, v6, vcc
	s_brev_b32 s6, 1
	v_and_or_b32 v1, v4, s6, v1
	v_cvt_f16_f32_e32 v1, v1
.LBB204_1004:
	s_mov_b64 s[8:9], 0
	s_mov_b64 s[6:7], -1
.LBB204_1005:
	s_andn2_b64 vcc, exec, s[8:9]
	s_cbranch_vccnz .LBB204_1018
; %bb.1006:
	v_mov_b32_e32 v1, 14
	v_cmp_gt_i16_sdwa s[8:9], v33, v1 src0_sel:BYTE_0 src1_sel:DWORD
	s_and_b64 vcc, exec, s[8:9]
	s_cbranch_vccz .LBB204_1009
; %bb.1007:
	v_mov_b32_e32 v1, 15
	v_cmp_eq_u16_sdwa s[8:9], v33, v1 src0_sel:BYTE_0 src1_sel:DWORD
	s_and_b64 vcc, exec, s[8:9]
	s_cbranch_vccz .LBB204_1012
; %bb.1008:
	global_load_ushort v1, v[2:3], off
	s_mov_b64 s[6:7], -1
	s_mov_b64 s[76:77], 0
	s_waitcnt vmcnt(0)
	v_lshlrev_b32_e32 v1, 16, v1
	v_cvt_f16_f32_e32 v1, v1
	s_branch .LBB204_1013
.LBB204_1009:
	s_mov_b64 s[8:9], -1
                                        ; implicit-def: $vgpr1
	s_branch .LBB204_1014
.LBB204_1010:
	s_or_saveexec_b64 s[8:9], s[8:9]
	v_mov_b32_e32 v1, s12
	s_xor_b64 exec, exec, s[8:9]
	s_cbranch_execz .LBB204_991
.LBB204_1011:
	v_cmp_ne_u16_e32 vcc, 0, v4
	s_andn2_b64 s[6:7], s[6:7], exec
	s_and_b64 s[10:11], vcc, exec
	s_or_b64 s[6:7], s[6:7], s[10:11]
	v_mov_b32_e32 v1, v4
	s_or_b64 exec, exec, s[8:9]
	s_and_saveexec_b64 s[8:9], s[6:7]
	s_cbranch_execnz .LBB204_992
	s_branch .LBB204_993
.LBB204_1012:
	s_mov_b64 s[76:77], -1
                                        ; implicit-def: $vgpr1
.LBB204_1013:
	s_mov_b64 s[8:9], 0
.LBB204_1014:
	s_and_b64 vcc, exec, s[8:9]
	s_cbranch_vccz .LBB204_1018
; %bb.1015:
	v_mov_b32_e32 v1, 11
	v_cmp_eq_u16_sdwa s[8:9], v33, v1 src0_sel:BYTE_0 src1_sel:DWORD
	s_and_b64 vcc, exec, s[8:9]
	s_cbranch_vccz .LBB204_1017
; %bb.1016:
	global_load_ubyte v1, v[2:3], off
	v_mov_b32_e32 v4, 0x3c00
	s_mov_b64 s[6:7], -1
	s_mov_b64 s[76:77], 0
	s_waitcnt vmcnt(0)
	v_cmp_ne_u16_e32 vcc, 0, v1
	v_cndmask_b32_e32 v1, 0, v4, vcc
	s_branch .LBB204_1018
.LBB204_1017:
	s_mov_b64 s[76:77], -1
                                        ; implicit-def: $vgpr1
.LBB204_1018:
	s_mov_b64 s[8:9], 0
.LBB204_1019:
	s_and_b64 vcc, exec, s[8:9]
	s_cbranch_vccz .LBB204_1068
; %bb.1020:
	v_mov_b32_e32 v1, 5
	v_cmp_lt_i16_sdwa s[6:7], v33, v1 src0_sel:BYTE_0 src1_sel:DWORD
	s_and_b64 vcc, exec, s[6:7]
	s_cbranch_vccnz .LBB204_1025
; %bb.1021:
	v_mov_b32_e32 v1, 8
	v_cmp_lt_i16_sdwa s[6:7], v33, v1 src0_sel:BYTE_0 src1_sel:DWORD
	s_and_b64 vcc, exec, s[6:7]
	s_cbranch_vccnz .LBB204_1026
	;; [unrolled: 5-line block ×3, first 2 shown]
; %bb.1023:
	v_cmp_gt_i16_sdwa s[6:7], v33, v1 src0_sel:BYTE_0 src1_sel:DWORD
	s_and_b64 vcc, exec, s[6:7]
	s_cbranch_vccz .LBB204_1028
; %bb.1024:
	global_load_dwordx2 v[4:5], v[2:3], off
	s_mov_b64 s[6:7], 0
	s_waitcnt vmcnt(0)
	v_cvt_f32_f64_e32 v1, v[4:5]
	v_cvt_f16_f32_e32 v1, v1
	s_branch .LBB204_1029
.LBB204_1025:
	s_mov_b64 s[6:7], -1
                                        ; implicit-def: $vgpr1
	s_branch .LBB204_1047
.LBB204_1026:
	s_mov_b64 s[6:7], -1
                                        ; implicit-def: $vgpr1
	s_branch .LBB204_1035
.LBB204_1027:
	s_mov_b64 s[6:7], -1
                                        ; implicit-def: $vgpr1
	s_branch .LBB204_1032
.LBB204_1028:
	s_mov_b64 s[6:7], -1
                                        ; implicit-def: $vgpr1
.LBB204_1029:
	s_andn2_b64 vcc, exec, s[6:7]
	s_cbranch_vccnz .LBB204_1031
; %bb.1030:
	global_load_dword v1, v[2:3], off
	s_waitcnt vmcnt(0)
	v_cvt_f16_f32_e32 v1, v1
.LBB204_1031:
	s_mov_b64 s[6:7], 0
.LBB204_1032:
	s_andn2_b64 vcc, exec, s[6:7]
	s_cbranch_vccnz .LBB204_1034
; %bb.1033:
	global_load_dword v1, v[2:3], off
.LBB204_1034:
	s_mov_b64 s[6:7], 0
.LBB204_1035:
	s_andn2_b64 vcc, exec, s[6:7]
	s_cbranch_vccnz .LBB204_1046
; %bb.1036:
	s_waitcnt vmcnt(0)
	v_mov_b32_e32 v1, 6
	v_cmp_lt_i16_sdwa s[6:7], v33, v1 src0_sel:BYTE_0 src1_sel:DWORD
	s_and_b64 vcc, exec, s[6:7]
	s_cbranch_vccnz .LBB204_1039
; %bb.1037:
	v_cmp_gt_i16_sdwa s[6:7], v33, v1 src0_sel:BYTE_0 src1_sel:DWORD
	s_and_b64 vcc, exec, s[6:7]
	s_cbranch_vccz .LBB204_1040
; %bb.1038:
	global_load_dwordx2 v[4:5], v[2:3], off
	s_mov_b64 s[6:7], 0
	s_waitcnt vmcnt(0)
	v_cvt_f32_f64_e32 v1, v[4:5]
	v_cvt_f16_f32_e32 v1, v1
	s_branch .LBB204_1041
.LBB204_1039:
	s_mov_b64 s[6:7], -1
                                        ; implicit-def: $vgpr1
	s_branch .LBB204_1044
.LBB204_1040:
	s_mov_b64 s[6:7], -1
                                        ; implicit-def: $vgpr1
.LBB204_1041:
	s_andn2_b64 vcc, exec, s[6:7]
	s_cbranch_vccnz .LBB204_1043
; %bb.1042:
	global_load_dword v1, v[2:3], off
	s_waitcnt vmcnt(0)
	v_cvt_f16_f32_e32 v1, v1
.LBB204_1043:
	s_mov_b64 s[6:7], 0
.LBB204_1044:
	s_andn2_b64 vcc, exec, s[6:7]
	s_cbranch_vccnz .LBB204_1046
; %bb.1045:
	global_load_ushort v1, v[2:3], off
.LBB204_1046:
	s_mov_b64 s[6:7], 0
.LBB204_1047:
	s_andn2_b64 vcc, exec, s[6:7]
	s_cbranch_vccnz .LBB204_1067
; %bb.1048:
	s_waitcnt vmcnt(0)
	v_mov_b32_e32 v1, 2
	v_cmp_lt_i16_sdwa s[6:7], v33, v1 src0_sel:BYTE_0 src1_sel:DWORD
	s_and_b64 vcc, exec, s[6:7]
	s_cbranch_vccnz .LBB204_1052
; %bb.1049:
	v_mov_b32_e32 v1, 3
	v_cmp_lt_i16_sdwa s[6:7], v33, v1 src0_sel:BYTE_0 src1_sel:DWORD
	s_and_b64 vcc, exec, s[6:7]
	s_cbranch_vccnz .LBB204_1053
; %bb.1050:
	v_cmp_gt_i16_sdwa s[6:7], v33, v1 src0_sel:BYTE_0 src1_sel:DWORD
	s_and_b64 vcc, exec, s[6:7]
	s_cbranch_vccz .LBB204_1054
; %bb.1051:
	global_load_dwordx2 v[4:5], v[2:3], off
	s_mov_b64 s[6:7], 0
	s_waitcnt vmcnt(0)
	v_xor_b32_e32 v6, v4, v5
	v_ffbh_i32_e32 v1, v5
	v_ashrrev_i32_e32 v6, 31, v6
	v_add_u32_e32 v1, -1, v1
	v_add_u32_e32 v6, 32, v6
	v_min_u32_e32 v1, v1, v6
	v_lshlrev_b64 v[4:5], v1, v[4:5]
	v_min_u32_e32 v4, 1, v4
	v_or_b32_e32 v4, v5, v4
	v_cvt_f32_i32_e32 v4, v4
	v_sub_u32_e32 v1, 32, v1
	v_ldexp_f32 v1, v4, v1
	v_cvt_f16_f32_e32 v1, v1
	s_branch .LBB204_1055
.LBB204_1052:
	s_mov_b64 s[6:7], -1
                                        ; implicit-def: $vgpr1
	s_branch .LBB204_1061
.LBB204_1053:
	s_mov_b64 s[6:7], -1
                                        ; implicit-def: $vgpr1
	s_branch .LBB204_1058
.LBB204_1054:
	s_mov_b64 s[6:7], -1
                                        ; implicit-def: $vgpr1
.LBB204_1055:
	s_andn2_b64 vcc, exec, s[6:7]
	s_cbranch_vccnz .LBB204_1057
; %bb.1056:
	global_load_dword v1, v[2:3], off
	s_waitcnt vmcnt(0)
	v_cvt_f32_i32_e32 v1, v1
	v_cvt_f16_f32_e32 v1, v1
.LBB204_1057:
	s_mov_b64 s[6:7], 0
.LBB204_1058:
	s_andn2_b64 vcc, exec, s[6:7]
	s_cbranch_vccnz .LBB204_1060
; %bb.1059:
	global_load_ushort v1, v[2:3], off
	s_waitcnt vmcnt(0)
	v_cvt_f16_i16_e32 v1, v1
.LBB204_1060:
	s_mov_b64 s[6:7], 0
.LBB204_1061:
	s_andn2_b64 vcc, exec, s[6:7]
	s_cbranch_vccnz .LBB204_1067
; %bb.1062:
	v_mov_b32_e32 v1, 0
	v_cmp_gt_i16_sdwa s[6:7], v33, v1 src0_sel:BYTE_0 src1_sel:DWORD
	s_and_b64 vcc, exec, s[6:7]
	s_cbranch_vccz .LBB204_1064
; %bb.1063:
	global_load_sbyte v1, v[2:3], off
	s_mov_b64 s[6:7], 0
	s_waitcnt vmcnt(0)
	v_cvt_f16_i16_e32 v1, v1
	s_branch .LBB204_1065
.LBB204_1064:
	s_mov_b64 s[6:7], -1
                                        ; implicit-def: $vgpr1
.LBB204_1065:
	s_andn2_b64 vcc, exec, s[6:7]
	s_cbranch_vccnz .LBB204_1067
; %bb.1066:
	global_load_ubyte v1, v[2:3], off
	s_waitcnt vmcnt(0)
	v_cvt_f16_u16_e32 v1, v1
.LBB204_1067:
	s_mov_b64 s[6:7], -1
.LBB204_1068:
	s_andn2_b64 vcc, exec, s[6:7]
	s_cbranch_vccnz .LBB204_1076
; %bb.1069:
	s_mov_b64 s[78:79], s[4:5]
	s_getpc_b64 s[4:5]
	s_add_u32 s4, s4, _ZZZZN2at6native33launch_standard_gamma_grad_kernelERNS_18TensorIteratorBaseEENKUlvE_clEvENKUlvE1_clEvENKUlN3c104HalfES6_E_clES6_S6_@rel32@lo+4
	s_addc_u32 s5, s5, _ZZZZN2at6native33launch_standard_gamma_grad_kernelERNS_18TensorIteratorBaseEENKUlvE_clEvENKUlvE1_clEvENKUlN3c104HalfES6_E_clES6_S6_@rel32@hi+12
	s_swappc_b64 s[30:31], s[4:5]
	v_mov_b32_e32 v1, s25
	v_add_co_u32_e32 v2, vcc, s24, v30
	v_addc_co_u32_e32 v3, vcc, 0, v1, vcc
	v_mov_b32_e32 v1, 11
	v_cmp_lt_i16_sdwa s[4:5], v32, v1 src0_sel:BYTE_0 src1_sel:DWORD
	s_and_b64 vcc, exec, s[4:5]
	s_cbranch_vccnz .LBB204_1077
; %bb.1070:
	v_mov_b32_e32 v1, 25
	v_cmp_gt_i16_sdwa s[4:5], v32, v1 src0_sel:BYTE_0 src1_sel:DWORD
	s_and_b64 vcc, exec, s[4:5]
	s_cbranch_vccz .LBB204_1078
; %bb.1071:
	v_mov_b32_e32 v1, 28
	v_cmp_gt_i16_sdwa s[4:5], v32, v1 src0_sel:BYTE_0 src1_sel:DWORD
	s_and_b64 vcc, exec, s[4:5]
	s_mov_b64 s[4:5], s[78:79]
	s_cbranch_vccz .LBB204_1079
; %bb.1072:
	v_mov_b32_e32 v1, 43
	v_cmp_gt_i16_sdwa s[6:7], v32, v1 src0_sel:BYTE_0 src1_sel:DWORD
	s_and_b64 vcc, exec, s[6:7]
	s_cbranch_vccz .LBB204_1080
; %bb.1073:
	v_mov_b32_e32 v1, 45
	v_cmp_gt_i16_sdwa s[6:7], v32, v1 src0_sel:BYTE_0 src1_sel:DWORD
	s_and_b64 vcc, exec, s[6:7]
	s_cbranch_vccz .LBB204_1081
; %bb.1074:
	v_mov_b32_e32 v1, 46
	v_cmp_eq_u16_sdwa s[8:9], v32, v1 src0_sel:BYTE_0 src1_sel:DWORD
	s_mov_b64 s[10:11], 0
	s_mov_b64 s[6:7], -1
	s_and_b64 vcc, exec, s[8:9]
	s_mov_b64 s[8:9], 0
	s_cbranch_vccz .LBB204_1082
; %bb.1075:
	v_cvt_f32_f16_e32 v1, v0
	s_movk_i32 s6, 0x7fff
	v_mov_b32_e32 v4, 0x7fc0
	v_cmp_o_f16_e32 vcc, v0, v0
	v_bfe_u32 v5, v1, 16, 1
	v_add3_u32 v1, v1, v5, s6
	v_lshrrev_b32_e32 v1, 16, v1
	v_cndmask_b32_e32 v1, v4, v1, vcc
	global_store_dword v[2:3], v1, off
	s_mov_b64 s[8:9], -1
	s_mov_b64 s[6:7], 0
	s_branch .LBB204_1082
.LBB204_1076:
	s_mov_b64 s[12:13], 0
                                        ; implicit-def: $vgpr34
	s_mov_b64 s[6:7], s[68:69]
	s_branch .LBB204_1192
.LBB204_1077:
	s_mov_b64 s[10:11], -1
	s_mov_b64 s[8:9], 0
	s_mov_b64 s[6:7], s[68:69]
	;; [unrolled: 1-line block ×3, first 2 shown]
	s_branch .LBB204_1151
.LBB204_1078:
	s_mov_b64 s[10:11], -1
	s_mov_b64 s[8:9], 0
	s_mov_b64 s[6:7], s[68:69]
	;; [unrolled: 1-line block ×3, first 2 shown]
	s_branch .LBB204_1109
.LBB204_1079:
	s_mov_b64 s[10:11], -1
	s_mov_b64 s[8:9], 0
	s_mov_b64 s[6:7], s[68:69]
	s_branch .LBB204_1092
.LBB204_1080:
	s_mov_b64 s[10:11], -1
	s_mov_b64 s[8:9], 0
	s_mov_b64 s[6:7], s[68:69]
	s_branch .LBB204_1088
.LBB204_1081:
	s_mov_b64 s[10:11], -1
	s_mov_b64 s[8:9], 0
	s_mov_b64 s[6:7], s[68:69]
.LBB204_1082:
	s_and_b64 vcc, exec, s[10:11]
	s_cbranch_vccz .LBB204_1087
; %bb.1083:
	v_mov_b32_e32 v1, 44
	v_cmp_eq_u16_sdwa s[10:11], v32, v1 src0_sel:BYTE_0 src1_sel:DWORD
	s_mov_b64 s[6:7], -1
	s_and_b64 vcc, exec, s[10:11]
	s_cbranch_vccz .LBB204_1087
; %bb.1084:
	v_cvt_f32_f16_e32 v1, v0
	s_movk_i32 s6, 0xff
	v_mov_b32_e32 v5, 0xff
	v_bfe_u32 v4, v1, 23, 8
	v_cmp_ne_u32_e32 vcc, s6, v4
	s_and_saveexec_b64 s[8:9], vcc
; %bb.1085:
	s_mov_b32 s6, 0x3fffff
	v_lshrrev_b32_e32 v5, 23, v1
	v_and_b32_e32 v6, 0x400000, v1
	v_and_or_b32 v1, v1, s6, v4
	v_cmp_ne_u32_e32 vcc, 0, v6
	v_cmp_ne_u32_e64 s[6:7], 0, v1
	s_and_b64 s[6:7], vcc, s[6:7]
	v_cndmask_b32_e64 v1, 0, 1, s[6:7]
	v_add_u32_e32 v5, v5, v1
; %bb.1086:
	s_or_b64 exec, exec, s[8:9]
	s_mov_b64 s[8:9], -1
	s_mov_b64 s[6:7], 0
	global_store_byte v[2:3], v5, off
.LBB204_1087:
	s_mov_b64 s[10:11], 0
.LBB204_1088:
	s_and_b64 vcc, exec, s[10:11]
	s_cbranch_vccz .LBB204_1091
; %bb.1089:
	v_mov_b32_e32 v1, 29
	v_cmp_eq_u16_sdwa s[10:11], v32, v1 src0_sel:BYTE_0 src1_sel:DWORD
	s_mov_b64 s[6:7], -1
	s_and_b64 vcc, exec, s[10:11]
	s_cbranch_vccz .LBB204_1091
; %bb.1090:
	v_cvt_f32_f16_e32 v1, v0
	v_mov_b32_e32 v5, 0
	s_mov_b64 s[8:9], -1
	s_mov_b64 s[6:7], 0
	v_cvt_u32_f32_e32 v4, v1
	s_mov_b64 s[10:11], 0
	global_store_dwordx2 v[2:3], v[4:5], off
	s_branch .LBB204_1092
.LBB204_1091:
	s_mov_b64 s[10:11], 0
.LBB204_1092:
	s_and_b64 vcc, exec, s[10:11]
	s_cbranch_vccz .LBB204_1108
; %bb.1093:
	v_mov_b32_e32 v1, 27
	v_cmp_lt_i16_sdwa s[10:11], v32, v1 src0_sel:BYTE_0 src1_sel:DWORD
	s_mov_b64 s[8:9], -1
	s_and_b64 vcc, exec, s[10:11]
	s_cbranch_vccnz .LBB204_1099
; %bb.1094:
	v_cmp_gt_i16_sdwa s[10:11], v32, v1 src0_sel:BYTE_0 src1_sel:DWORD
	s_and_b64 vcc, exec, s[10:11]
	s_cbranch_vccz .LBB204_1096
; %bb.1095:
	v_cvt_f32_f16_e32 v1, v0
	s_mov_b64 s[8:9], 0
	v_cvt_u32_f32_e32 v1, v1
	global_store_dword v[2:3], v1, off
.LBB204_1096:
	s_andn2_b64 vcc, exec, s[8:9]
	s_cbranch_vccnz .LBB204_1098
; %bb.1097:
	v_cvt_u16_f16_e32 v1, v0
	global_store_short v[2:3], v1, off
.LBB204_1098:
	s_mov_b64 s[8:9], 0
.LBB204_1099:
	s_andn2_b64 vcc, exec, s[8:9]
	s_cbranch_vccnz .LBB204_1107
; %bb.1100:
	v_cvt_f32_f16_e32 v1, v0
	s_mov_b32 s8, 0x43800000
	v_mov_b32_e32 v5, 0x80
	v_and_b32_e32 v4, 0x7fffffff, v1
	v_cmp_gt_u32_e32 vcc, s8, v4
	s_and_saveexec_b64 s[8:9], vcc
	s_cbranch_execz .LBB204_1106
; %bb.1101:
	s_mov_b32 s10, 0x3bffffff
	v_cmp_lt_u32_e32 vcc, s10, v4
	s_mov_b64 s[10:11], 0
                                        ; implicit-def: $vgpr4
	s_and_saveexec_b64 s[12:13], vcc
	s_xor_b64 s[12:13], exec, s[12:13]
	s_cbranch_execz .LBB204_1219
; %bb.1102:
	v_bfe_u32 v4, v1, 20, 1
	s_mov_b32 s14, 0x487ffff
	v_add3_u32 v4, v1, v4, s14
	s_mov_b64 s[10:11], exec
	v_lshrrev_b32_e32 v4, 20, v4
	s_or_saveexec_b64 s[12:13], s[12:13]
                                        ; implicit-def: $sgpr14
	s_xor_b64 exec, exec, s[12:13]
	s_cbranch_execnz .LBB204_1220
.LBB204_1103:
	s_or_b64 exec, exec, s[12:13]
	v_mov_b32_e32 v5, s14
	s_and_saveexec_b64 s[12:13], s[10:11]
.LBB204_1104:
	v_lshrrev_b32_e32 v1, 24, v1
	s_movk_i32 s10, 0x80
	v_and_or_b32 v5, v1, s10, v4
.LBB204_1105:
	s_or_b64 exec, exec, s[12:13]
.LBB204_1106:
	s_or_b64 exec, exec, s[8:9]
	global_store_byte v[2:3], v5, off
.LBB204_1107:
	s_mov_b64 s[8:9], -1
.LBB204_1108:
	s_mov_b64 s[10:11], 0
.LBB204_1109:
	s_and_b64 vcc, exec, s[10:11]
	s_cbranch_vccz .LBB204_1150
; %bb.1110:
	v_mov_b32_e32 v1, 22
	v_cmp_gt_i16_sdwa s[12:13], v32, v1 src0_sel:BYTE_0 src1_sel:DWORD
	s_mov_b64 s[10:11], -1
	s_and_b64 vcc, exec, s[12:13]
	s_cbranch_vccz .LBB204_1142
; %bb.1111:
	v_mov_b32_e32 v1, 24
	v_cmp_lt_i16_sdwa s[10:11], v32, v1 src0_sel:BYTE_0 src1_sel:DWORD
	s_mov_b64 s[8:9], -1
	s_and_b64 vcc, exec, s[10:11]
	s_cbranch_vccnz .LBB204_1131
; %bb.1112:
	v_cmp_gt_i16_sdwa s[10:11], v32, v1 src0_sel:BYTE_0 src1_sel:DWORD
	s_and_b64 vcc, exec, s[10:11]
	s_cbranch_vccz .LBB204_1120
; %bb.1113:
	v_cvt_f32_f16_e32 v1, v0
	s_mov_b32 s8, 0x47800000
	v_mov_b32_e32 v5, 0x80
	v_and_b32_e32 v4, 0x7fffffff, v1
	v_cmp_gt_u32_e32 vcc, s8, v4
	s_and_saveexec_b64 s[8:9], vcc
	s_cbranch_execz .LBB204_1119
; %bb.1114:
	s_mov_b32 s10, 0x37ffffff
	v_cmp_lt_u32_e32 vcc, s10, v4
	s_mov_b64 s[10:11], 0
                                        ; implicit-def: $vgpr4
	s_and_saveexec_b64 s[12:13], vcc
	s_xor_b64 s[12:13], exec, s[12:13]
	s_cbranch_execz .LBB204_2281
; %bb.1115:
	v_bfe_u32 v4, v1, 21, 1
	s_mov_b32 s14, 0x88fffff
	v_add3_u32 v4, v1, v4, s14
	s_mov_b64 s[10:11], exec
	v_lshrrev_b32_e32 v4, 21, v4
	s_or_saveexec_b64 s[12:13], s[12:13]
                                        ; implicit-def: $sgpr14
	s_xor_b64 exec, exec, s[12:13]
	s_cbranch_execnz .LBB204_2282
.LBB204_1116:
	s_or_b64 exec, exec, s[12:13]
	v_mov_b32_e32 v5, s14
	s_and_saveexec_b64 s[12:13], s[10:11]
.LBB204_1117:
	v_lshrrev_b32_e32 v1, 24, v1
	s_movk_i32 s10, 0x80
	v_and_or_b32 v5, v1, s10, v4
.LBB204_1118:
	s_or_b64 exec, exec, s[12:13]
.LBB204_1119:
	s_or_b64 exec, exec, s[8:9]
	s_mov_b64 s[8:9], 0
	global_store_byte v[2:3], v5, off
.LBB204_1120:
	s_and_b64 vcc, exec, s[8:9]
	s_cbranch_vccz .LBB204_1130
; %bb.1121:
	v_cvt_f32_f16_e32 v1, v0
	s_mov_b32 s8, 0x43f00000
                                        ; implicit-def: $vgpr4
	v_and_b32_e32 v5, 0x7fffffff, v1
	v_cmp_gt_u32_e32 vcc, s8, v5
	s_and_saveexec_b64 s[8:9], vcc
	s_xor_b64 s[8:9], exec, s[8:9]
	s_cbranch_execz .LBB204_1127
; %bb.1122:
	s_mov_b32 s10, 0x3c7fffff
	v_cmp_lt_u32_e32 vcc, s10, v5
                                        ; implicit-def: $vgpr4
	s_and_saveexec_b64 s[10:11], vcc
	s_xor_b64 s[10:11], exec, s[10:11]
; %bb.1123:
	v_bfe_u32 v4, v1, 20, 1
	s_mov_b32 s12, 0x407ffff
	v_add3_u32 v4, v1, v4, s12
	v_lshrrev_b32_e32 v5, 20, v4
	v_and_b32_e32 v4, 0xff00000, v4
	s_mov_b32 s12, 0x7f00000
	v_mov_b32_e32 v6, 0x7e
	v_cmp_ne_u32_e32 vcc, s12, v4
	v_cndmask_b32_e32 v4, v6, v5, vcc
; %bb.1124:
	s_andn2_saveexec_b64 s[10:11], s[10:11]
; %bb.1125:
	s_mov_b32 s12, 0x46800000
	v_add_f32_e64 v4, |v1|, s12
; %bb.1126:
	s_or_b64 exec, exec, s[10:11]
                                        ; implicit-def: $vgpr5
.LBB204_1127:
	s_andn2_saveexec_b64 s[8:9], s[8:9]
; %bb.1128:
	s_mov_b32 s10, 0x7f800000
	v_mov_b32_e32 v4, 0x7e
	v_mov_b32_e32 v6, 0x7f
	v_cmp_lt_u32_e32 vcc, s10, v5
	v_cndmask_b32_e32 v4, v4, v6, vcc
; %bb.1129:
	s_or_b64 exec, exec, s[8:9]
	v_lshrrev_b32_e32 v1, 24, v1
	s_movk_i32 s8, 0x80
	v_and_or_b32 v1, v1, s8, v4
	global_store_byte v[2:3], v1, off
.LBB204_1130:
	s_mov_b64 s[8:9], 0
.LBB204_1131:
	s_andn2_b64 vcc, exec, s[8:9]
	s_cbranch_vccnz .LBB204_1141
; %bb.1132:
	v_cvt_f32_f16_e32 v1, v0
	s_mov_b32 s8, 0x47800000
                                        ; implicit-def: $vgpr4
	v_and_b32_e32 v5, 0x7fffffff, v1
	v_cmp_gt_u32_e32 vcc, s8, v5
	s_and_saveexec_b64 s[8:9], vcc
	s_xor_b64 s[8:9], exec, s[8:9]
	s_cbranch_execz .LBB204_1138
; %bb.1133:
	s_mov_b32 s10, 0x387fffff
	v_cmp_lt_u32_e32 vcc, s10, v5
                                        ; implicit-def: $vgpr4
	s_and_saveexec_b64 s[10:11], vcc
	s_xor_b64 s[10:11], exec, s[10:11]
; %bb.1134:
	v_bfe_u32 v4, v1, 21, 1
	s_mov_b32 s12, 0x80fffff
	v_add3_u32 v4, v1, v4, s12
	v_lshrrev_b32_e32 v4, 21, v4
; %bb.1135:
	s_andn2_saveexec_b64 s[10:11], s[10:11]
; %bb.1136:
	s_mov_b32 s12, 0x43000000
	v_add_f32_e64 v4, |v1|, s12
; %bb.1137:
	s_or_b64 exec, exec, s[10:11]
                                        ; implicit-def: $vgpr5
.LBB204_1138:
	s_andn2_saveexec_b64 s[8:9], s[8:9]
; %bb.1139:
	s_mov_b32 s10, 0x7f800000
	v_mov_b32_e32 v4, 0x7c
	v_mov_b32_e32 v6, 0x7f
	v_cmp_lt_u32_e32 vcc, s10, v5
	v_cndmask_b32_e32 v4, v4, v6, vcc
; %bb.1140:
	s_or_b64 exec, exec, s[8:9]
	v_lshrrev_b32_e32 v1, 24, v1
	s_movk_i32 s8, 0x80
	v_and_or_b32 v1, v1, s8, v4
	global_store_byte v[2:3], v1, off
.LBB204_1141:
	s_mov_b64 s[10:11], 0
	s_mov_b64 s[8:9], -1
.LBB204_1142:
	s_andn2_b64 vcc, exec, s[10:11]
	s_cbranch_vccnz .LBB204_1150
; %bb.1143:
	v_mov_b32_e32 v1, 14
	v_cmp_gt_i16_sdwa s[12:13], v32, v1 src0_sel:BYTE_0 src1_sel:DWORD
	s_mov_b64 s[10:11], -1
	s_and_b64 vcc, exec, s[12:13]
	s_cbranch_vccz .LBB204_1147
; %bb.1144:
	v_mov_b32_e32 v1, 15
	v_cmp_eq_u16_sdwa s[10:11], v32, v1 src0_sel:BYTE_0 src1_sel:DWORD
	s_mov_b64 s[6:7], -1
	s_and_b64 vcc, exec, s[10:11]
	s_cbranch_vccz .LBB204_1146
; %bb.1145:
	v_cvt_f32_f16_e32 v1, v0
	s_movk_i32 s6, 0x7fff
	v_mov_b32_e32 v4, 0x7fc0
	v_cmp_o_f16_e32 vcc, v0, v0
	v_bfe_u32 v5, v1, 16, 1
	v_add3_u32 v1, v1, v5, s6
	v_lshrrev_b32_e32 v1, 16, v1
	v_cndmask_b32_e32 v1, v4, v1, vcc
	global_store_short v[2:3], v1, off
	s_mov_b64 s[8:9], -1
	s_mov_b64 s[6:7], 0
.LBB204_1146:
	s_mov_b64 s[10:11], 0
.LBB204_1147:
	s_and_b64 vcc, exec, s[10:11]
	s_cbranch_vccz .LBB204_1150
; %bb.1148:
	v_mov_b32_e32 v1, 11
	v_cmp_eq_u16_sdwa s[10:11], v32, v1 src0_sel:BYTE_0 src1_sel:DWORD
	s_mov_b64 s[6:7], -1
	s_and_b64 vcc, exec, s[10:11]
	s_cbranch_vccz .LBB204_1150
; %bb.1149:
	v_and_b32_e32 v1, 0x7fff, v0
	v_cmp_ne_u16_e32 vcc, 0, v1
	v_cndmask_b32_e64 v1, 0, 1, vcc
	s_mov_b64 s[8:9], -1
	s_mov_b64 s[6:7], 0
	global_store_byte v[2:3], v1, off
.LBB204_1150:
	s_mov_b64 s[10:11], 0
.LBB204_1151:
	s_and_b64 vcc, exec, s[10:11]
	s_cbranch_vccz .LBB204_1190
; %bb.1152:
	v_mov_b32_e32 v1, 5
	v_cmp_lt_i16_sdwa s[10:11], v32, v1 src0_sel:BYTE_0 src1_sel:DWORD
	s_mov_b64 s[8:9], -1
	s_and_b64 vcc, exec, s[10:11]
	s_cbranch_vccnz .LBB204_1173
; %bb.1153:
	v_mov_b32_e32 v1, 8
	v_cmp_lt_i16_sdwa s[10:11], v32, v1 src0_sel:BYTE_0 src1_sel:DWORD
	s_and_b64 vcc, exec, s[10:11]
	s_cbranch_vccnz .LBB204_1163
; %bb.1154:
	v_mov_b32_e32 v1, 9
	v_cmp_lt_i16_sdwa s[10:11], v32, v1 src0_sel:BYTE_0 src1_sel:DWORD
	s_and_b64 vcc, exec, s[10:11]
	s_cbranch_vccnz .LBB204_1160
; %bb.1155:
	v_cmp_gt_i16_sdwa s[10:11], v32, v1 src0_sel:BYTE_0 src1_sel:DWORD
	s_and_b64 vcc, exec, s[10:11]
	s_cbranch_vccz .LBB204_1157
; %bb.1156:
	v_cvt_f32_f16_e32 v1, v0
	v_mov_b32_e32 v6, 0
	v_mov_b32_e32 v7, v6
	s_mov_b64 s[8:9], 0
	v_cvt_f64_f32_e32 v[4:5], v1
	global_store_dwordx4 v[2:3], v[4:7], off
.LBB204_1157:
	s_andn2_b64 vcc, exec, s[8:9]
	s_cbranch_vccnz .LBB204_1159
; %bb.1158:
	v_cvt_f32_f16_e32 v4, v0
	v_mov_b32_e32 v5, 0
	global_store_dwordx2 v[2:3], v[4:5], off
.LBB204_1159:
	s_mov_b64 s[8:9], 0
.LBB204_1160:
	s_andn2_b64 vcc, exec, s[8:9]
	s_cbranch_vccnz .LBB204_1162
; %bb.1161:
	v_and_b32_e32 v1, 0xffff, v0
	global_store_dword v[2:3], v1, off
.LBB204_1162:
	s_mov_b64 s[8:9], 0
.LBB204_1163:
	s_andn2_b64 vcc, exec, s[8:9]
	s_cbranch_vccnz .LBB204_1172
; %bb.1164:
	v_mov_b32_e32 v1, 6
	v_cmp_lt_i16_sdwa s[10:11], v32, v1 src0_sel:BYTE_0 src1_sel:DWORD
	s_mov_b64 s[8:9], -1
	s_and_b64 vcc, exec, s[10:11]
	s_cbranch_vccnz .LBB204_1170
; %bb.1165:
	v_cmp_gt_i16_sdwa s[10:11], v32, v1 src0_sel:BYTE_0 src1_sel:DWORD
	s_and_b64 vcc, exec, s[10:11]
	s_cbranch_vccz .LBB204_1167
; %bb.1166:
	v_cvt_f32_f16_e32 v1, v0
	s_mov_b64 s[8:9], 0
	v_cvt_f64_f32_e32 v[4:5], v1
	global_store_dwordx2 v[2:3], v[4:5], off
.LBB204_1167:
	s_andn2_b64 vcc, exec, s[8:9]
	s_cbranch_vccnz .LBB204_1169
; %bb.1168:
	v_cvt_f32_f16_e32 v1, v0
	global_store_dword v[2:3], v1, off
.LBB204_1169:
	s_mov_b64 s[8:9], 0
.LBB204_1170:
	s_andn2_b64 vcc, exec, s[8:9]
	s_cbranch_vccnz .LBB204_1172
; %bb.1171:
	global_store_short v[2:3], v0, off
.LBB204_1172:
	s_mov_b64 s[8:9], 0
.LBB204_1173:
	s_andn2_b64 vcc, exec, s[8:9]
	s_cbranch_vccnz .LBB204_1189
; %bb.1174:
	v_mov_b32_e32 v1, 2
	v_cmp_lt_i16_sdwa s[10:11], v32, v1 src0_sel:BYTE_0 src1_sel:DWORD
	s_mov_b64 s[8:9], -1
	s_and_b64 vcc, exec, s[10:11]
	s_cbranch_vccnz .LBB204_1184
; %bb.1175:
	v_mov_b32_e32 v1, 3
	v_cmp_lt_i16_sdwa s[10:11], v32, v1 src0_sel:BYTE_0 src1_sel:DWORD
	s_and_b64 vcc, exec, s[10:11]
	s_cbranch_vccnz .LBB204_1181
; %bb.1176:
	v_cmp_gt_i16_sdwa s[10:11], v32, v1 src0_sel:BYTE_0 src1_sel:DWORD
	s_and_b64 vcc, exec, s[10:11]
	s_cbranch_vccz .LBB204_1178
; %bb.1177:
	v_cvt_f32_f16_e32 v1, v0
	s_mov_b64 s[8:9], 0
	v_cvt_i32_f32_e32 v4, v1
	v_ashrrev_i32_e32 v5, 31, v4
	global_store_dwordx2 v[2:3], v[4:5], off
.LBB204_1178:
	s_andn2_b64 vcc, exec, s[8:9]
	s_cbranch_vccnz .LBB204_1180
; %bb.1179:
	v_cvt_f32_f16_e32 v1, v0
	v_cvt_i32_f32_e32 v1, v1
	global_store_dword v[2:3], v1, off
.LBB204_1180:
	s_mov_b64 s[8:9], 0
.LBB204_1181:
	s_andn2_b64 vcc, exec, s[8:9]
	s_cbranch_vccnz .LBB204_1183
; %bb.1182:
	v_cvt_i16_f16_e32 v1, v0
	global_store_short v[2:3], v1, off
.LBB204_1183:
	s_mov_b64 s[8:9], 0
.LBB204_1184:
	s_andn2_b64 vcc, exec, s[8:9]
	s_cbranch_vccnz .LBB204_1189
; %bb.1185:
	v_mov_b32_e32 v1, 0
	v_cmp_gt_i16_sdwa s[10:11], v32, v1 src0_sel:BYTE_0 src1_sel:DWORD
	s_mov_b64 s[8:9], -1
	s_and_b64 vcc, exec, s[10:11]
	s_cbranch_vccz .LBB204_1187
; %bb.1186:
	v_cvt_i16_f16_e32 v1, v0
	s_mov_b64 s[8:9], 0
	global_store_byte v[2:3], v1, off
.LBB204_1187:
	s_andn2_b64 vcc, exec, s[8:9]
	s_cbranch_vccnz .LBB204_1189
; %bb.1188:
	v_cvt_f32_f16_e32 v0, v0
	v_cvt_i32_f32_e32 v0, v0
	global_store_byte v[2:3], v0, off
.LBB204_1189:
	s_mov_b64 s[8:9], -1
.LBB204_1190:
	s_andn2_b64 vcc, exec, s[8:9]
	s_cbranch_vccnz .LBB204_1214
; %bb.1191:
	v_add_u32_e32 v34, 0x80, v34
	s_mov_b64 s[12:13], -1
.LBB204_1192:
	s_andn2_b64 s[8:9], s[68:69], exec
	s_and_b64 s[6:7], s[6:7], exec
	s_or_b64 s[10:11], s[8:9], s[6:7]
	s_andn2_b64 s[6:7], s[66:67], exec
	s_and_b64 s[8:9], s[76:77], exec
	s_or_b64 s[8:9], s[6:7], s[8:9]
	;; [unrolled: 3-line block ×3, first 2 shown]
	s_orn2_b64 s[20:21], s[12:13], exec
.LBB204_1193:
	s_or_b64 exec, exec, s[72:73]
	s_mov_b64 s[14:15], 0
	s_mov_b64 s[16:17], 0
	;; [unrolled: 1-line block ×3, first 2 shown]
                                        ; implicit-def: $vgpr1
                                        ; implicit-def: $vgpr4_vgpr5
                                        ; implicit-def: $vgpr2
                                        ; implicit-def: $vgpr30
                                        ; implicit-def: $vgpr0
	s_and_saveexec_b64 s[12:13], s[20:21]
	s_cbranch_execz .LBB204_1287
; %bb.1194:
	v_cmp_gt_i32_e32 vcc, s82, v34
	s_mov_b64 s[20:21], 0
	s_mov_b64 s[30:31], s[6:7]
	;; [unrolled: 1-line block ×4, first 2 shown]
                                        ; implicit-def: $vgpr1
                                        ; implicit-def: $vgpr4_vgpr5
                                        ; implicit-def: $vgpr2
                                        ; implicit-def: $vgpr30
                                        ; implicit-def: $vgpr0
	s_and_saveexec_b64 s[14:15], vcc
	s_cbranch_execz .LBB204_1286
; %bb.1195:
	s_andn2_b64 vcc, exec, s[34:35]
	s_cbranch_vccnz .LBB204_1202
; %bb.1196:
	s_andn2_b64 vcc, exec, s[54:55]
	v_mov_b32_e32 v2, 0
	s_waitcnt vmcnt(0)
	v_mov_b32_e32 v0, 0
	v_mov_b32_e32 v30, 0
	s_cbranch_vccnz .LBB204_1201
; %bb.1197:
	s_add_i32 s16, s81, 1
	s_and_b32 s18, s16, 30
	s_add_u32 s16, s22, 0xffffffec
	s_addc_u32 s17, s23, -1
	v_mov_b32_e32 v30, 0
	v_mov_b32_e32 v1, v34
	;; [unrolled: 1-line block ×4, first 2 shown]
.LBB204_1198:                           ; =>This Inner Loop Header: Depth=1
	s_mov_b64 s[20:21], s[16:17]
	s_load_dwordx4 s[72:75], s[20:21], 0x18
	s_load_dwordx2 s[30:31], s[20:21], 0x28
	s_load_dwordx2 s[54:55], s[20:21], 0xe8
	s_load_dwordx4 s[76:79], s[20:21], 0xd8
	s_add_u32 s16, s20, 24
	s_waitcnt lgkmcnt(0)
	v_mul_hi_u32 v3, s73, v1
	v_add_u32_e32 v3, v1, v3
	v_lshrrev_b32_e32 v3, s74, v3
	v_mul_lo_u32 v4, v3, s72
	v_mul_hi_u32 v5, s30, v3
	v_sub_u32_e32 v1, v1, v4
	v_add_u32_e32 v4, v3, v5
	v_mul_lo_u32 v5, v1, s76
	v_mul_lo_u32 v6, v1, s77
	;; [unrolled: 1-line block ×3, first 2 shown]
	v_lshrrev_b32_e32 v1, s31, v4
	v_mul_lo_u32 v4, v1, s75
	v_sub_u32_e32 v3, v3, v4
	s_addc_u32 s17, s21, 0
	s_add_i32 s18, s18, -2
	v_mul_lo_u32 v4, v3, s79
	v_mul_lo_u32 v8, v3, s54
	;; [unrolled: 1-line block ×3, first 2 shown]
	s_cmp_eq_u32 s18, 0
	v_add3_u32 v30, v5, v30, v4
	v_add3_u32 v2, v7, v2, v3
	v_add3_u32 v0, v6, v0, v8
	s_cbranch_scc0 .LBB204_1198
; %bb.1199:
	s_bitcmp1_b32 s81, 0
	s_cselect_b64 s[18:19], -1, 0
	s_and_b64 vcc, exec, s[18:19]
	s_cbranch_vccnz .LBB204_1201
; %bb.1200:
	s_load_dwordx2 s[18:19], s[16:17], 0x18
	s_load_dword s20, s[16:17], 0x20
	s_load_dword s21, s[16:17], 0xe0
	s_nop 0
	s_load_dwordx2 s[16:17], s[16:17], 0xd8
	s_waitcnt lgkmcnt(0)
	v_mul_hi_u32 v3, s19, v1
	v_add_u32_e32 v3, v1, v3
	v_lshrrev_b32_e32 v3, s20, v3
	v_mul_lo_u32 v3, v3, s18
	v_sub_u32_e32 v3, v1, v3
	v_mad_u64_u32 v[30:31], s[18:19], v3, s16, v[30:31]
	v_mad_u64_u32 v[0:1], s[16:17], v3, s17, v[0:1]
	;; [unrolled: 1-line block ×3, first 2 shown]
.LBB204_1201:
	s_mov_b64 s[16:17], 0
	s_branch .LBB204_1203
.LBB204_1202:
	s_mov_b64 s[16:17], -1
                                        ; implicit-def: $vgpr2
                                        ; implicit-def: $vgpr0
                                        ; implicit-def: $vgpr30
.LBB204_1203:
	s_andn2_b64 vcc, exec, s[16:17]
	s_cbranch_vccnz .LBB204_1206
; %bb.1204:
	s_waitcnt vmcnt(0) lgkmcnt(0)
	v_mul_hi_u32 v0, s41, v34
	v_add_u32_e32 v0, v34, v0
	v_lshrrev_b32_e32 v1, s42, v0
	v_mul_lo_u32 v0, v1, s40
	v_sub_u32_e32 v0, v34, v0
	v_mul_lo_u32 v30, v0, s36
	v_mul_lo_u32 v2, v0, s38
	s_andn2_b64 vcc, exec, s[52:53]
	v_mul_lo_u32 v0, v0, s37
	s_cbranch_vccnz .LBB204_1206
; %bb.1205:
	v_mul_hi_u32 v3, s50, v1
	v_add_u32_e32 v3, v1, v3
	v_lshrrev_b32_e32 v3, s51, v3
	v_mul_lo_u32 v3, v3, s43
	v_sub_u32_e32 v3, v1, v3
	v_mad_u64_u32 v[30:31], s[16:17], v3, s39, v[30:31]
	v_mad_u64_u32 v[0:1], s[16:17], v3, s48, v[0:1]
	;; [unrolled: 1-line block ×3, first 2 shown]
.LBB204_1206:
	s_waitcnt vmcnt(0) lgkmcnt(0)
	v_mov_b32_e32 v1, s27
	v_add_co_u32_e32 v4, vcc, s26, v0
	v_addc_co_u32_e32 v5, vcc, 0, v1, vcc
	v_and_b32_e32 v1, 0xff, v35
	v_cmp_gt_i16_e32 vcc, 11, v1
	s_cbranch_vccnz .LBB204_1213
; %bb.1207:
	v_cmp_lt_i16_e32 vcc, 25, v1
	s_mov_b64 s[18:19], 0
	s_cbranch_vccz .LBB204_1215
; %bb.1208:
	v_cmp_lt_i16_e32 vcc, 28, v1
	s_cbranch_vccz .LBB204_1216
; %bb.1209:
	v_cmp_lt_i16_e32 vcc, 43, v1
	;; [unrolled: 3-line block ×3, first 2 shown]
	s_cbranch_vccz .LBB204_1218
; %bb.1211:
	v_cmp_eq_u16_e32 vcc, 46, v1
	s_mov_b64 s[26:27], 0
	s_cbranch_vccz .LBB204_1221
; %bb.1212:
	global_load_dword v0, v[4:5], off
	s_mov_b64 s[16:17], 0
	s_mov_b64 s[20:21], -1
	s_waitcnt vmcnt(0)
	v_lshlrev_b32_e32 v0, 16, v0
	v_cvt_f16_f32_e32 v0, v0
	s_branch .LBB204_1222
.LBB204_1213:
	s_mov_b64 s[26:27], -1
	s_mov_b64 s[20:21], 0
	s_mov_b64 s[18:19], 0
	s_mov_b64 s[16:17], s[6:7]
                                        ; implicit-def: $vgpr0
	s_branch .LBB204_1285
.LBB204_1214:
	s_mov_b64 s[12:13], 0
	s_branch .LBB204_945
.LBB204_1215:
	s_mov_b64 s[26:27], -1
	s_mov_b64 s[20:21], 0
	s_mov_b64 s[16:17], s[6:7]
                                        ; implicit-def: $vgpr0
	s_branch .LBB204_1251
.LBB204_1216:
	s_mov_b64 s[26:27], -1
	s_mov_b64 s[20:21], 0
	s_mov_b64 s[16:17], s[6:7]
                                        ; implicit-def: $vgpr0
	s_branch .LBB204_1232
.LBB204_1217:
	s_mov_b64 s[26:27], -1
	s_mov_b64 s[20:21], 0
	s_mov_b64 s[16:17], s[6:7]
                                        ; implicit-def: $vgpr0
	s_branch .LBB204_1227
.LBB204_1218:
	s_mov_b64 s[26:27], -1
	s_mov_b64 s[20:21], 0
	s_mov_b64 s[16:17], s[6:7]
                                        ; implicit-def: $vgpr0
	s_branch .LBB204_1222
.LBB204_1219:
	s_or_saveexec_b64 s[12:13], s[12:13]
                                        ; implicit-def: $sgpr14
	s_xor_b64 exec, exec, s[12:13]
	s_cbranch_execz .LBB204_1103
.LBB204_1220:
	s_mov_b32 s14, 0x46000000
	v_add_f32_e64 v4, |v1|, s14
	v_and_b32_e32 v4, 0xff, v4
	v_cmp_ne_u32_e32 vcc, 0, v4
	s_andn2_b64 s[10:11], s[10:11], exec
	s_and_b64 s[16:17], vcc, exec
	s_mov_b32 s14, 0
	s_or_b64 s[10:11], s[10:11], s[16:17]
	s_or_b64 exec, exec, s[12:13]
	v_mov_b32_e32 v5, s14
	s_and_saveexec_b64 s[12:13], s[10:11]
	s_cbranch_execnz .LBB204_1104
	s_branch .LBB204_1105
.LBB204_1221:
	s_mov_b64 s[16:17], -1
                                        ; implicit-def: $vgpr0
	s_mov_b64 s[20:21], 0
.LBB204_1222:
	s_and_b64 vcc, exec, s[26:27]
	s_cbranch_vccz .LBB204_1226
; %bb.1223:
	v_cmp_eq_u16_e32 vcc, 44, v1
	s_cbranch_vccz .LBB204_1225
; %bb.1224:
	global_load_ubyte v0, v[4:5], off
	s_movk_i32 s20, 0xff
	v_mov_b32_e32 v6, 0x7e00
	s_mov_b64 s[16:17], 0
	s_waitcnt vmcnt(0)
	v_lshlrev_b32_e32 v3, 23, v0
	v_cvt_f16_f32_e32 v3, v3
	v_cmp_ne_u32_e32 vcc, s20, v0
	s_mov_b64 s[20:21], -1
	v_cndmask_b32_e32 v3, v6, v3, vcc
	v_cmp_ne_u32_e32 vcc, 0, v0
	v_cndmask_b32_e32 v0, 0, v3, vcc
	s_branch .LBB204_1226
.LBB204_1225:
	s_mov_b64 s[16:17], -1
                                        ; implicit-def: $vgpr0
.LBB204_1226:
	s_mov_b64 s[26:27], 0
.LBB204_1227:
	s_and_b64 vcc, exec, s[26:27]
	s_cbranch_vccz .LBB204_1231
; %bb.1228:
	v_cmp_eq_u16_e32 vcc, 29, v1
	s_cbranch_vccz .LBB204_1230
; %bb.1229:
	global_load_dwordx2 v[6:7], v[4:5], off
	s_mov_b64 s[16:17], 0
	s_mov_b64 s[20:21], -1
	s_mov_b64 s[26:27], 0
	s_waitcnt vmcnt(0)
	v_ffbh_u32_e32 v0, v7
	v_min_u32_e32 v0, 32, v0
	v_lshlrev_b64 v[6:7], v0, v[6:7]
	v_min_u32_e32 v3, 1, v6
	v_or_b32_e32 v3, v7, v3
	v_cvt_f32_u32_e32 v3, v3
	v_sub_u32_e32 v0, 32, v0
	v_ldexp_f32 v0, v3, v0
	v_cvt_f16_f32_e32 v0, v0
	s_branch .LBB204_1232
.LBB204_1230:
	s_mov_b64 s[16:17], -1
                                        ; implicit-def: $vgpr0
.LBB204_1231:
	s_mov_b64 s[26:27], 0
.LBB204_1232:
	s_and_b64 vcc, exec, s[26:27]
	s_cbranch_vccz .LBB204_1250
; %bb.1233:
	v_cmp_gt_i16_e32 vcc, 27, v1
	s_cbranch_vccnz .LBB204_1236
; %bb.1234:
	v_cmp_lt_i16_e32 vcc, 27, v1
	s_cbranch_vccz .LBB204_1237
; %bb.1235:
	global_load_dword v0, v[4:5], off
	s_mov_b64 s[20:21], 0
	s_waitcnt vmcnt(0)
	v_cvt_f32_u32_e32 v0, v0
	v_cvt_f16_f32_e32 v0, v0
	s_branch .LBB204_1238
.LBB204_1236:
	s_mov_b64 s[20:21], -1
                                        ; implicit-def: $vgpr0
	s_branch .LBB204_1241
.LBB204_1237:
	s_mov_b64 s[20:21], -1
                                        ; implicit-def: $vgpr0
.LBB204_1238:
	s_andn2_b64 vcc, exec, s[20:21]
	s_cbranch_vccnz .LBB204_1240
; %bb.1239:
	global_load_ushort v0, v[4:5], off
	s_waitcnt vmcnt(0)
	v_cvt_f16_u16_e32 v0, v0
.LBB204_1240:
	s_mov_b64 s[20:21], 0
.LBB204_1241:
	s_andn2_b64 vcc, exec, s[20:21]
	s_cbranch_vccnz .LBB204_1249
; %bb.1242:
	global_load_ubyte v3, v[4:5], off
	s_movk_i32 s20, 0x7f
                                        ; implicit-def: $sgpr36
	s_waitcnt vmcnt(0)
	v_cmp_lt_i16_e32 vcc, s20, v3
	s_mov_b64 s[20:21], 0
	s_and_saveexec_b64 s[26:27], vcc
	s_xor_b64 s[26:27], exec, s[26:27]
	s_cbranch_execz .LBB204_1263
; %bb.1243:
	s_movk_i32 s20, 0x80
	v_cmp_eq_u16_e32 vcc, s20, v3
	s_mov_b64 s[20:21], -1
                                        ; implicit-def: $sgpr36
	s_and_saveexec_b64 s[30:31], vcc
; %bb.1244:
	s_movk_i32 s36, 0x7e00
	s_xor_b64 s[20:21], exec, -1
; %bb.1245:
	s_or_b64 exec, exec, s[30:31]
	s_and_b64 s[20:21], s[20:21], exec
	s_or_saveexec_b64 s[26:27], s[26:27]
	v_mov_b32_e32 v0, s36
	s_xor_b64 exec, exec, s[26:27]
	s_cbranch_execnz .LBB204_1264
.LBB204_1246:
	s_or_b64 exec, exec, s[26:27]
	s_and_saveexec_b64 s[26:27], s[20:21]
	s_cbranch_execz .LBB204_1248
.LBB204_1247:
	v_lshlrev_b32_e32 v0, 24, v3
	v_and_b32_e32 v3, 0xffff, v3
	v_and_b32_e32 v6, 7, v3
	v_ffbh_u32_e32 v8, v6
	v_min_u32_e32 v8, 32, v8
	v_subrev_u32_e32 v9, 28, v8
	v_bfe_u32 v7, v3, 3, 4
	v_lshlrev_b32_e32 v3, v9, v3
	v_sub_u32_e32 v8, 29, v8
	v_and_b32_e32 v3, 7, v3
	v_cmp_eq_u32_e32 vcc, 0, v7
	v_cndmask_b32_e32 v7, v7, v8, vcc
	v_cndmask_b32_e32 v3, v6, v3, vcc
	v_mov_b32_e32 v6, 0x3b800000
	v_lshlrev_b32_e32 v3, 20, v3
	v_and_b32_e32 v0, 0x80000000, v0
	v_lshl_add_u32 v6, v7, 23, v6
	v_or3_b32 v0, v0, v6, v3
	v_cvt_f16_f32_e32 v0, v0
.LBB204_1248:
	s_or_b64 exec, exec, s[26:27]
.LBB204_1249:
	s_mov_b64 s[20:21], -1
.LBB204_1250:
	s_mov_b64 s[26:27], 0
.LBB204_1251:
	s_and_b64 vcc, exec, s[26:27]
	s_cbranch_vccz .LBB204_1284
; %bb.1252:
	v_cmp_lt_i16_e32 vcc, 22, v1
	s_cbranch_vccz .LBB204_1262
; %bb.1253:
	v_cmp_gt_i16_e32 vcc, 24, v1
	s_cbranch_vccnz .LBB204_1265
; %bb.1254:
	v_cmp_lt_i16_e32 vcc, 24, v1
	s_cbranch_vccz .LBB204_1266
; %bb.1255:
	global_load_ubyte v3, v[4:5], off
	s_movk_i32 s18, 0x7f
                                        ; implicit-def: $sgpr30
	s_waitcnt vmcnt(0)
	v_cmp_lt_i16_e32 vcc, s18, v3
	s_mov_b64 s[18:19], 0
	s_and_saveexec_b64 s[20:21], vcc
	s_xor_b64 s[20:21], exec, s[20:21]
	s_cbranch_execz .LBB204_1278
; %bb.1256:
	s_movk_i32 s18, 0x80
	v_cmp_eq_u16_e32 vcc, s18, v3
	s_mov_b64 s[18:19], -1
                                        ; implicit-def: $sgpr30
	s_and_saveexec_b64 s[26:27], vcc
; %bb.1257:
	s_movk_i32 s30, 0x7e00
	s_xor_b64 s[18:19], exec, -1
; %bb.1258:
	s_or_b64 exec, exec, s[26:27]
	s_and_b64 s[18:19], s[18:19], exec
	s_or_saveexec_b64 s[20:21], s[20:21]
	v_mov_b32_e32 v0, s30
	s_xor_b64 exec, exec, s[20:21]
	s_cbranch_execnz .LBB204_1279
.LBB204_1259:
	s_or_b64 exec, exec, s[20:21]
	s_and_saveexec_b64 s[20:21], s[18:19]
	s_cbranch_execz .LBB204_1261
.LBB204_1260:
	v_lshlrev_b32_e32 v0, 24, v3
	v_and_b32_e32 v3, 0xffff, v3
	v_and_b32_e32 v6, 3, v3
	v_ffbh_u32_e32 v8, v6
	v_min_u32_e32 v8, 32, v8
	v_subrev_u32_e32 v9, 29, v8
	v_bfe_u32 v7, v3, 2, 5
	v_lshlrev_b32_e32 v3, v9, v3
	v_sub_u32_e32 v8, 30, v8
	v_and_b32_e32 v3, 3, v3
	v_cmp_eq_u32_e32 vcc, 0, v7
	v_cndmask_b32_e32 v7, v7, v8, vcc
	v_cndmask_b32_e32 v3, v6, v3, vcc
	v_mov_b32_e32 v6, 0x37800000
	v_lshlrev_b32_e32 v3, 21, v3
	v_and_b32_e32 v0, 0x80000000, v0
	v_lshl_add_u32 v6, v7, 23, v6
	v_or3_b32 v0, v0, v6, v3
	v_cvt_f16_f32_e32 v0, v0
.LBB204_1261:
	s_or_b64 exec, exec, s[20:21]
	s_mov_b64 s[18:19], 0
	s_branch .LBB204_1267
.LBB204_1262:
	s_mov_b64 s[18:19], -1
                                        ; implicit-def: $vgpr0
	s_branch .LBB204_1273
.LBB204_1263:
	s_or_saveexec_b64 s[26:27], s[26:27]
	v_mov_b32_e32 v0, s36
	s_xor_b64 exec, exec, s[26:27]
	s_cbranch_execz .LBB204_1246
.LBB204_1264:
	v_cmp_ne_u16_e32 vcc, 0, v3
	s_andn2_b64 s[20:21], s[20:21], exec
	s_and_b64 s[30:31], vcc, exec
	s_or_b64 s[20:21], s[20:21], s[30:31]
	v_mov_b32_e32 v0, v3
	s_or_b64 exec, exec, s[26:27]
	s_and_saveexec_b64 s[26:27], s[20:21]
	s_cbranch_execnz .LBB204_1247
	s_branch .LBB204_1248
.LBB204_1265:
	s_mov_b64 s[18:19], -1
                                        ; implicit-def: $vgpr0
	s_branch .LBB204_1270
.LBB204_1266:
	s_mov_b64 s[18:19], -1
                                        ; implicit-def: $vgpr0
.LBB204_1267:
	s_and_b64 vcc, exec, s[18:19]
	s_cbranch_vccz .LBB204_1269
; %bb.1268:
	global_load_ubyte v0, v[4:5], off
	s_mov_b32 s18, 0x7f800000
	s_waitcnt vmcnt(0)
	v_lshlrev_b32_e32 v0, 24, v0
	v_and_b32_e32 v3, 0x7f000000, v0
	v_ffbh_u32_e32 v6, v3
	v_min_u32_e32 v6, 32, v6
	v_sub_u32_e64 v6, v6, 4 clamp
	v_lshlrev_b32_e32 v8, v6, v3
	v_lshlrev_b32_e32 v6, 23, v6
	v_lshrrev_b32_e32 v8, 4, v8
	v_add_u32_e32 v7, 0x1000000, v3
	v_sub_u32_e32 v6, v8, v6
	v_ashrrev_i32_e32 v7, 8, v7
	v_add_u32_e32 v6, 0x3c000000, v6
	v_and_or_b32 v6, v7, s18, v6
	v_cmp_ne_u32_e32 vcc, 0, v3
	v_cndmask_b32_e32 v3, 0, v6, vcc
	s_brev_b32 s18, 1
	v_and_or_b32 v0, v0, s18, v3
	v_cvt_f16_f32_e32 v0, v0
.LBB204_1269:
	s_mov_b64 s[18:19], 0
.LBB204_1270:
	s_andn2_b64 vcc, exec, s[18:19]
	s_cbranch_vccnz .LBB204_1272
; %bb.1271:
	global_load_ubyte v0, v[4:5], off
	s_movk_i32 s18, 0x7f00
	s_brev_b32 s19, 16
	s_waitcnt vmcnt(0)
	v_lshlrev_b16_e32 v3, 8, v0
	v_lshlrev_b32_e32 v0, 25, v0
	v_lshrrev_b32_e32 v6, 4, v0
	v_and_or_b32 v7, v3, s18, 0.5
	v_or_b32_e32 v6, 0x70000000, v6
	v_add_f32_e32 v7, -0.5, v7
	v_mul_f32_e32 v6, 0x7800000, v6
	v_cmp_gt_u32_e32 vcc, s19, v0
	v_bfe_i32 v3, v3, 0, 16
	v_cndmask_b32_e32 v0, v6, v7, vcc
	s_brev_b32 s18, 1
	v_and_or_b32 v0, v3, s18, v0
	v_cvt_f16_f32_e32 v0, v0
.LBB204_1272:
	s_mov_b64 s[18:19], 0
	s_mov_b64 s[20:21], -1
.LBB204_1273:
	s_andn2_b64 vcc, exec, s[18:19]
	s_mov_b64 s[18:19], 0
	s_cbranch_vccnz .LBB204_1284
; %bb.1274:
	v_cmp_lt_i16_e32 vcc, 14, v1
	s_cbranch_vccz .LBB204_1277
; %bb.1275:
	v_cmp_eq_u16_e32 vcc, 15, v1
	s_cbranch_vccz .LBB204_1280
; %bb.1276:
	global_load_ushort v0, v[4:5], off
	s_mov_b64 s[16:17], 0
	s_mov_b64 s[20:21], -1
	s_waitcnt vmcnt(0)
	v_lshlrev_b32_e32 v0, 16, v0
	v_cvt_f16_f32_e32 v0, v0
	s_branch .LBB204_1281
.LBB204_1277:
	s_mov_b64 s[26:27], -1
                                        ; implicit-def: $vgpr0
	s_branch .LBB204_1282
.LBB204_1278:
	s_or_saveexec_b64 s[20:21], s[20:21]
	v_mov_b32_e32 v0, s30
	s_xor_b64 exec, exec, s[20:21]
	s_cbranch_execz .LBB204_1259
.LBB204_1279:
	v_cmp_ne_u16_e32 vcc, 0, v3
	s_andn2_b64 s[18:19], s[18:19], exec
	s_and_b64 s[26:27], vcc, exec
	s_or_b64 s[18:19], s[18:19], s[26:27]
	v_mov_b32_e32 v0, v3
	s_or_b64 exec, exec, s[20:21]
	s_and_saveexec_b64 s[20:21], s[18:19]
	s_cbranch_execnz .LBB204_1260
	s_branch .LBB204_1261
.LBB204_1280:
	s_mov_b64 s[16:17], -1
                                        ; implicit-def: $vgpr0
.LBB204_1281:
	s_mov_b64 s[26:27], 0
.LBB204_1282:
	s_and_b64 vcc, exec, s[26:27]
	s_cbranch_vccz .LBB204_1284
; %bb.1283:
	v_cmp_ne_u16_e32 vcc, 11, v1
	s_andn2_b64 s[16:17], s[16:17], exec
	s_and_b64 s[26:27], vcc, exec
	s_mov_b64 s[18:19], -1
	s_or_b64 s[16:17], s[16:17], s[26:27]
                                        ; implicit-def: $vgpr0
.LBB204_1284:
	s_mov_b64 s[26:27], 0
.LBB204_1285:
	s_and_b64 s[74:75], s[20:21], exec
	s_and_b64 s[20:21], s[18:19], exec
	s_andn2_b64 s[18:19], s[6:7], exec
	s_and_b64 s[16:17], s[16:17], exec
	s_and_b64 s[72:73], s[26:27], exec
	s_or_b64 s[30:31], s[18:19], s[16:17]
.LBB204_1286:
	s_or_b64 exec, exec, s[14:15]
	s_and_b64 s[14:15], s[20:21], exec
	s_andn2_b64 s[6:7], s[6:7], exec
	s_and_b64 s[20:21], s[30:31], exec
	s_and_b64 s[18:19], s[74:75], exec
	;; [unrolled: 1-line block ×3, first 2 shown]
	s_or_b64 s[6:7], s[6:7], s[20:21]
.LBB204_1287:
	s_or_b64 exec, exec, s[12:13]
	s_andn2_b64 s[12:13], s[68:69], exec
	s_and_b64 s[10:11], s[10:11], exec
	s_or_b64 s[68:69], s[12:13], s[10:11]
	s_andn2_b64 s[10:11], s[66:67], exec
	s_and_b64 s[8:9], s[8:9], exec
	s_and_b64 s[12:13], s[14:15], exec
	s_andn2_b64 s[14:15], s[64:65], exec
	s_and_b64 s[6:7], s[6:7], exec
	s_or_b64 s[66:67], s[10:11], s[8:9]
	s_and_b64 s[8:9], s[18:19], exec
	s_and_b64 s[10:11], s[16:17], exec
	s_or_b64 s[64:65], s[14:15], s[6:7]
.LBB204_1288:
	s_or_b64 exec, exec, s[70:71]
	s_andn2_b64 s[6:7], s[56:57], exec
	s_and_b64 s[14:15], s[68:69], exec
	s_or_b64 s[56:57], s[6:7], s[14:15]
	s_andn2_b64 s[6:7], s[58:59], exec
	s_and_b64 s[14:15], s[66:67], exec
	s_or_b64 s[58:59], s[6:7], s[14:15]
	s_and_b64 s[66:67], s[12:13], exec
	s_andn2_b64 s[6:7], s[60:61], exec
	s_and_b64 s[12:13], s[64:65], exec
	s_and_b64 s[8:9], s[8:9], exec
	;; [unrolled: 1-line block ×3, first 2 shown]
	s_or_b64 s[60:61], s[6:7], s[12:13]
	s_or_b64 exec, exec, s[62:63]
	s_waitcnt lgkmcnt(0)
	s_mov_b64 s[26:27], 0
	s_and_saveexec_b64 s[6:7], s[60:61]
	s_cbranch_execz .LBB204_403
.LBB204_1289:
	s_mov_b64 s[26:27], exec
	s_andn2_b64 s[66:67], s[66:67], exec
	s_trap 2
                                        ; implicit-def: $vgpr0
	s_or_b64 exec, exec, s[6:7]
	s_and_saveexec_b64 s[6:7], s[66:67]
	s_xor_b64 s[6:7], exec, s[6:7]
	s_cbranch_execnz .LBB204_404
.LBB204_1290:
	s_or_b64 exec, exec, s[6:7]
	s_and_saveexec_b64 s[6:7], s[10:11]
	s_cbranch_execz .LBB204_1336
.LBB204_1291:
	s_waitcnt vmcnt(0)
	v_cmp_gt_i16_e32 vcc, 5, v1
	s_cbranch_vccnz .LBB204_1296
; %bb.1292:
	v_cmp_gt_i16_e32 vcc, 8, v1
	s_cbranch_vccnz .LBB204_1297
; %bb.1293:
	;; [unrolled: 3-line block ×3, first 2 shown]
	v_cmp_lt_i16_e32 vcc, 9, v1
	s_cbranch_vccz .LBB204_1299
; %bb.1295:
	global_load_dwordx2 v[6:7], v[4:5], off
	s_mov_b64 s[10:11], 0
	s_waitcnt vmcnt(0)
	v_cvt_f32_f64_e32 v0, v[6:7]
	v_cvt_f16_f32_e32 v0, v0
	s_branch .LBB204_1300
.LBB204_1296:
                                        ; implicit-def: $vgpr0
	s_branch .LBB204_1317
.LBB204_1297:
                                        ; implicit-def: $vgpr0
	s_branch .LBB204_1306
.LBB204_1298:
	s_mov_b64 s[10:11], -1
                                        ; implicit-def: $vgpr0
	s_branch .LBB204_1303
.LBB204_1299:
	s_mov_b64 s[10:11], -1
                                        ; implicit-def: $vgpr0
.LBB204_1300:
	s_andn2_b64 vcc, exec, s[10:11]
	s_cbranch_vccnz .LBB204_1302
; %bb.1301:
	global_load_dword v0, v[4:5], off
	s_waitcnt vmcnt(0)
	v_cvt_f16_f32_e32 v0, v0
.LBB204_1302:
	s_mov_b64 s[10:11], 0
.LBB204_1303:
	s_andn2_b64 vcc, exec, s[10:11]
	s_cbranch_vccnz .LBB204_1305
; %bb.1304:
	global_load_dword v0, v[4:5], off
.LBB204_1305:
	s_cbranch_execnz .LBB204_1316
.LBB204_1306:
	v_cmp_gt_i16_e32 vcc, 6, v1
	s_cbranch_vccnz .LBB204_1309
; %bb.1307:
	v_cmp_lt_i16_e32 vcc, 6, v1
	s_cbranch_vccz .LBB204_1310
; %bb.1308:
	global_load_dwordx2 v[6:7], v[4:5], off
	s_mov_b64 s[10:11], 0
	s_waitcnt vmcnt(0)
	v_cvt_f32_f64_e32 v0, v[6:7]
	v_cvt_f16_f32_e32 v0, v0
	s_branch .LBB204_1311
.LBB204_1309:
	s_mov_b64 s[10:11], -1
                                        ; implicit-def: $vgpr0
	s_branch .LBB204_1314
.LBB204_1310:
	s_mov_b64 s[10:11], -1
                                        ; implicit-def: $vgpr0
.LBB204_1311:
	s_andn2_b64 vcc, exec, s[10:11]
	s_cbranch_vccnz .LBB204_1313
; %bb.1312:
	global_load_dword v0, v[4:5], off
	s_waitcnt vmcnt(0)
	v_cvt_f16_f32_e32 v0, v0
.LBB204_1313:
	s_mov_b64 s[10:11], 0
.LBB204_1314:
	s_andn2_b64 vcc, exec, s[10:11]
	s_cbranch_vccnz .LBB204_1316
; %bb.1315:
	global_load_ushort v0, v[4:5], off
.LBB204_1316:
	s_cbranch_execnz .LBB204_1335
.LBB204_1317:
	v_cmp_gt_i16_e32 vcc, 2, v1
	s_cbranch_vccnz .LBB204_1321
; %bb.1318:
	v_cmp_gt_i16_e32 vcc, 3, v1
	s_cbranch_vccnz .LBB204_1322
; %bb.1319:
	v_cmp_lt_i16_e32 vcc, 3, v1
	s_cbranch_vccz .LBB204_1323
; %bb.1320:
	global_load_dwordx2 v[6:7], v[4:5], off
	s_mov_b64 s[10:11], 0
	s_waitcnt vmcnt(0)
	v_xor_b32_e32 v3, v6, v7
	v_ffbh_i32_e32 v0, v7
	v_ashrrev_i32_e32 v3, 31, v3
	v_add_u32_e32 v0, -1, v0
	v_add_u32_e32 v3, 32, v3
	v_min_u32_e32 v0, v0, v3
	v_lshlrev_b64 v[6:7], v0, v[6:7]
	v_min_u32_e32 v3, 1, v6
	v_or_b32_e32 v3, v7, v3
	v_cvt_f32_i32_e32 v3, v3
	v_sub_u32_e32 v0, 32, v0
	v_ldexp_f32 v0, v3, v0
	v_cvt_f16_f32_e32 v0, v0
	s_branch .LBB204_1324
.LBB204_1321:
                                        ; implicit-def: $vgpr0
	s_branch .LBB204_1330
.LBB204_1322:
	s_mov_b64 s[10:11], -1
                                        ; implicit-def: $vgpr0
	s_branch .LBB204_1327
.LBB204_1323:
	s_mov_b64 s[10:11], -1
                                        ; implicit-def: $vgpr0
.LBB204_1324:
	s_andn2_b64 vcc, exec, s[10:11]
	s_cbranch_vccnz .LBB204_1326
; %bb.1325:
	global_load_dword v0, v[4:5], off
	s_waitcnt vmcnt(0)
	v_cvt_f32_i32_e32 v0, v0
	v_cvt_f16_f32_e32 v0, v0
.LBB204_1326:
	s_mov_b64 s[10:11], 0
.LBB204_1327:
	s_andn2_b64 vcc, exec, s[10:11]
	s_cbranch_vccnz .LBB204_1329
; %bb.1328:
	global_load_ushort v0, v[4:5], off
	s_waitcnt vmcnt(0)
	v_cvt_f16_i16_e32 v0, v0
.LBB204_1329:
	s_cbranch_execnz .LBB204_1335
.LBB204_1330:
	v_cmp_lt_i16_e32 vcc, 0, v1
	s_cbranch_vccz .LBB204_1332
; %bb.1331:
	global_load_sbyte v0, v[4:5], off
	s_mov_b64 s[10:11], 0
	s_waitcnt vmcnt(0)
	v_cvt_f16_i16_e32 v0, v0
	s_branch .LBB204_1333
.LBB204_1332:
	s_mov_b64 s[10:11], -1
                                        ; implicit-def: $vgpr0
.LBB204_1333:
	s_andn2_b64 vcc, exec, s[10:11]
	s_cbranch_vccnz .LBB204_1335
; %bb.1334:
	global_load_ubyte v0, v[4:5], off
	s_waitcnt vmcnt(0)
	v_cvt_f16_u16_e32 v0, v0
.LBB204_1335:
	s_or_b64 s[8:9], s[8:9], exec
.LBB204_1336:
	s_or_b64 exec, exec, s[6:7]
	s_mov_b64 s[10:11], 0
	s_mov_b64 s[14:15], 0
	;; [unrolled: 1-line block ×3, first 2 shown]
                                        ; implicit-def: $vgpr3
                                        ; implicit-def: $vgpr4_vgpr5
                                        ; implicit-def: $vgpr1
	s_and_saveexec_b64 s[6:7], s[8:9]
	s_cbranch_execz .LBB204_1344
; %bb.1337:
	s_waitcnt vmcnt(0)
	v_mov_b32_e32 v1, s47
	v_add_co_u32_e32 v4, vcc, s46, v2
	v_addc_co_u32_e32 v5, vcc, 0, v1, vcc
	v_and_b32_e32 v3, 0xff, v33
	v_cmp_gt_i16_e32 vcc, 11, v3
	s_cbranch_vccnz .LBB204_1347
; %bb.1338:
	v_cmp_lt_i16_e32 vcc, 25, v3
	s_cbranch_vccz .LBB204_1348
; %bb.1339:
	v_cmp_lt_i16_e32 vcc, 28, v3
	s_cbranch_vccz .LBB204_1349
	;; [unrolled: 3-line block ×4, first 2 shown]
; %bb.1342:
	v_cmp_eq_u16_e32 vcc, 46, v3
	s_cbranch_vccz .LBB204_1352
; %bb.1343:
	global_load_dword v1, v[4:5], off
	s_mov_b64 s[8:9], 0
	s_mov_b64 s[12:13], -1
	s_waitcnt vmcnt(0)
	v_lshlrev_b32_e32 v1, 16, v1
	v_cvt_f16_f32_e32 v1, v1
	s_branch .LBB204_1354
.LBB204_1344:
	s_or_b64 exec, exec, s[6:7]
	s_and_saveexec_b64 s[6:7], s[58:59]
	s_cbranch_execnz .LBB204_1417
.LBB204_1345:
	s_or_b64 exec, exec, s[6:7]
	s_and_saveexec_b64 s[6:7], s[10:11]
	s_xor_b64 s[6:7], exec, s[6:7]
	s_cbranch_execz .LBB204_1418
.LBB204_1346:
	global_load_ubyte v1, v[4:5], off
	v_mov_b32_e32 v2, 0x3c00
	s_or_b64 s[12:13], s[12:13], exec
	s_waitcnt vmcnt(0)
	v_cmp_ne_u16_e32 vcc, 0, v1
	v_cndmask_b32_e32 v1, 0, v2, vcc
	s_or_b64 exec, exec, s[6:7]
	s_and_saveexec_b64 s[6:7], s[14:15]
	s_cbranch_execz .LBB204_1464
	s_branch .LBB204_1419
.LBB204_1347:
	s_mov_b64 s[14:15], -1
                                        ; implicit-def: $vgpr1
	s_mov_b64 s[8:9], s[58:59]
	s_branch .LBB204_1416
.LBB204_1348:
	s_mov_b64 s[8:9], s[58:59]
                                        ; implicit-def: $vgpr1
	s_cbranch_execnz .LBB204_1383
	s_branch .LBB204_1415
.LBB204_1349:
	s_mov_b64 s[14:15], -1
	s_mov_b64 s[8:9], s[58:59]
                                        ; implicit-def: $vgpr1
	s_branch .LBB204_1364
.LBB204_1350:
	s_mov_b64 s[14:15], -1
	s_mov_b64 s[8:9], s[58:59]
                                        ; implicit-def: $vgpr1
	s_branch .LBB204_1359
.LBB204_1351:
	s_mov_b64 s[14:15], -1
	s_mov_b64 s[8:9], s[58:59]
	s_branch .LBB204_1353
.LBB204_1352:
	s_mov_b64 s[8:9], -1
.LBB204_1353:
                                        ; implicit-def: $vgpr1
.LBB204_1354:
	s_and_b64 vcc, exec, s[14:15]
	s_cbranch_vccz .LBB204_1358
; %bb.1355:
	v_cmp_eq_u16_e32 vcc, 44, v3
	s_cbranch_vccz .LBB204_1357
; %bb.1356:
	global_load_ubyte v1, v[4:5], off
	s_movk_i32 s12, 0xff
	v_mov_b32_e32 v6, 0x7e00
	s_mov_b64 s[8:9], 0
	s_waitcnt vmcnt(0)
	v_lshlrev_b32_e32 v2, 23, v1
	v_cvt_f16_f32_e32 v2, v2
	v_cmp_ne_u32_e32 vcc, s12, v1
	s_mov_b64 s[12:13], -1
	v_cndmask_b32_e32 v2, v6, v2, vcc
	v_cmp_ne_u32_e32 vcc, 0, v1
	v_cndmask_b32_e32 v1, 0, v2, vcc
	s_branch .LBB204_1358
.LBB204_1357:
	s_mov_b64 s[8:9], -1
                                        ; implicit-def: $vgpr1
.LBB204_1358:
	s_mov_b64 s[14:15], 0
.LBB204_1359:
	s_and_b64 vcc, exec, s[14:15]
	s_cbranch_vccz .LBB204_1363
; %bb.1360:
	v_cmp_eq_u16_e32 vcc, 29, v3
	s_cbranch_vccz .LBB204_1362
; %bb.1361:
	global_load_dwordx2 v[6:7], v[4:5], off
	s_mov_b64 s[8:9], 0
	s_mov_b64 s[12:13], -1
	s_mov_b64 s[14:15], 0
	s_waitcnt vmcnt(0)
	v_ffbh_u32_e32 v1, v7
	v_min_u32_e32 v1, 32, v1
	v_lshlrev_b64 v[6:7], v1, v[6:7]
	v_min_u32_e32 v2, 1, v6
	v_or_b32_e32 v2, v7, v2
	v_cvt_f32_u32_e32 v2, v2
	v_sub_u32_e32 v1, 32, v1
	v_ldexp_f32 v1, v2, v1
	v_cvt_f16_f32_e32 v1, v1
	s_branch .LBB204_1364
.LBB204_1362:
	s_mov_b64 s[8:9], -1
                                        ; implicit-def: $vgpr1
.LBB204_1363:
	s_mov_b64 s[14:15], 0
.LBB204_1364:
	s_and_b64 vcc, exec, s[14:15]
	s_cbranch_vccz .LBB204_1382
; %bb.1365:
	v_cmp_gt_i16_e32 vcc, 27, v3
	s_cbranch_vccnz .LBB204_1368
; %bb.1366:
	v_cmp_lt_i16_e32 vcc, 27, v3
	s_cbranch_vccz .LBB204_1369
; %bb.1367:
	global_load_dword v1, v[4:5], off
	s_mov_b64 s[12:13], 0
	s_waitcnt vmcnt(0)
	v_cvt_f32_u32_e32 v1, v1
	v_cvt_f16_f32_e32 v1, v1
	s_branch .LBB204_1370
.LBB204_1368:
	s_mov_b64 s[12:13], -1
                                        ; implicit-def: $vgpr1
	s_branch .LBB204_1373
.LBB204_1369:
	s_mov_b64 s[12:13], -1
                                        ; implicit-def: $vgpr1
.LBB204_1370:
	s_andn2_b64 vcc, exec, s[12:13]
	s_cbranch_vccnz .LBB204_1372
; %bb.1371:
	global_load_ushort v1, v[4:5], off
	s_waitcnt vmcnt(0)
	v_cvt_f16_u16_e32 v1, v1
.LBB204_1372:
	s_mov_b64 s[12:13], 0
.LBB204_1373:
	s_andn2_b64 vcc, exec, s[12:13]
	s_cbranch_vccnz .LBB204_1381
; %bb.1374:
	global_load_ubyte v2, v[4:5], off
	s_movk_i32 s12, 0x7f
                                        ; implicit-def: $sgpr18
	s_waitcnt vmcnt(0)
	v_cmp_lt_i16_e32 vcc, s12, v2
	s_mov_b64 s[12:13], 0
	s_and_saveexec_b64 s[14:15], vcc
	s_xor_b64 s[14:15], exec, s[14:15]
	s_cbranch_execz .LBB204_1394
; %bb.1375:
	s_movk_i32 s12, 0x80
	v_cmp_eq_u16_e32 vcc, s12, v2
	s_mov_b64 s[12:13], -1
                                        ; implicit-def: $sgpr18
	s_and_saveexec_b64 s[16:17], vcc
; %bb.1376:
	s_movk_i32 s18, 0x7e00
	s_xor_b64 s[12:13], exec, -1
; %bb.1377:
	s_or_b64 exec, exec, s[16:17]
	s_and_b64 s[12:13], s[12:13], exec
	s_or_saveexec_b64 s[14:15], s[14:15]
	v_mov_b32_e32 v1, s18
	s_xor_b64 exec, exec, s[14:15]
	s_cbranch_execnz .LBB204_1395
.LBB204_1378:
	s_or_b64 exec, exec, s[14:15]
	s_and_saveexec_b64 s[14:15], s[12:13]
	s_cbranch_execz .LBB204_1380
.LBB204_1379:
	v_lshlrev_b32_e32 v1, 24, v2
	v_and_b32_e32 v2, 0xffff, v2
	v_and_b32_e32 v6, 7, v2
	v_ffbh_u32_e32 v8, v6
	v_min_u32_e32 v8, 32, v8
	v_subrev_u32_e32 v9, 28, v8
	v_bfe_u32 v7, v2, 3, 4
	v_lshlrev_b32_e32 v2, v9, v2
	v_sub_u32_e32 v8, 29, v8
	v_and_b32_e32 v2, 7, v2
	v_cmp_eq_u32_e32 vcc, 0, v7
	v_cndmask_b32_e32 v7, v7, v8, vcc
	v_cndmask_b32_e32 v2, v6, v2, vcc
	v_mov_b32_e32 v6, 0x3b800000
	v_lshlrev_b32_e32 v2, 20, v2
	v_and_b32_e32 v1, 0x80000000, v1
	v_lshl_add_u32 v6, v7, 23, v6
	v_or3_b32 v1, v1, v6, v2
	v_cvt_f16_f32_e32 v1, v1
.LBB204_1380:
	s_or_b64 exec, exec, s[14:15]
.LBB204_1381:
	s_mov_b64 s[12:13], -1
.LBB204_1382:
	s_branch .LBB204_1415
.LBB204_1383:
	v_cmp_lt_i16_e32 vcc, 22, v3
	s_cbranch_vccz .LBB204_1393
; %bb.1384:
	v_cmp_gt_i16_e32 vcc, 24, v3
	s_cbranch_vccnz .LBB204_1396
; %bb.1385:
	v_cmp_lt_i16_e32 vcc, 24, v3
	s_cbranch_vccz .LBB204_1397
; %bb.1386:
	global_load_ubyte v2, v[4:5], off
	s_movk_i32 s10, 0x7f
                                        ; implicit-def: $sgpr16
	s_waitcnt vmcnt(0)
	v_cmp_lt_i16_e32 vcc, s10, v2
	s_mov_b64 s[10:11], 0
	s_and_saveexec_b64 s[12:13], vcc
	s_xor_b64 s[12:13], exec, s[12:13]
	s_cbranch_execz .LBB204_1409
; %bb.1387:
	s_movk_i32 s10, 0x80
	v_cmp_eq_u16_e32 vcc, s10, v2
	s_mov_b64 s[10:11], -1
                                        ; implicit-def: $sgpr16
	s_and_saveexec_b64 s[14:15], vcc
; %bb.1388:
	s_movk_i32 s16, 0x7e00
	s_xor_b64 s[10:11], exec, -1
; %bb.1389:
	s_or_b64 exec, exec, s[14:15]
	s_and_b64 s[10:11], s[10:11], exec
	s_or_saveexec_b64 s[12:13], s[12:13]
	v_mov_b32_e32 v1, s16
	s_xor_b64 exec, exec, s[12:13]
	s_cbranch_execnz .LBB204_1410
.LBB204_1390:
	s_or_b64 exec, exec, s[12:13]
	s_and_saveexec_b64 s[12:13], s[10:11]
	s_cbranch_execz .LBB204_1392
.LBB204_1391:
	v_lshlrev_b32_e32 v1, 24, v2
	v_and_b32_e32 v2, 0xffff, v2
	v_and_b32_e32 v6, 3, v2
	v_ffbh_u32_e32 v8, v6
	v_min_u32_e32 v8, 32, v8
	v_subrev_u32_e32 v9, 29, v8
	v_bfe_u32 v7, v2, 2, 5
	v_lshlrev_b32_e32 v2, v9, v2
	v_sub_u32_e32 v8, 30, v8
	v_and_b32_e32 v2, 3, v2
	v_cmp_eq_u32_e32 vcc, 0, v7
	v_cndmask_b32_e32 v7, v7, v8, vcc
	v_cndmask_b32_e32 v2, v6, v2, vcc
	v_mov_b32_e32 v6, 0x37800000
	v_lshlrev_b32_e32 v2, 21, v2
	v_and_b32_e32 v1, 0x80000000, v1
	v_lshl_add_u32 v6, v7, 23, v6
	v_or3_b32 v1, v1, v6, v2
	v_cvt_f16_f32_e32 v1, v1
.LBB204_1392:
	s_or_b64 exec, exec, s[12:13]
	s_mov_b64 s[10:11], 0
	s_branch .LBB204_1398
.LBB204_1393:
	s_mov_b64 s[10:11], -1
                                        ; implicit-def: $vgpr1
	s_branch .LBB204_1404
.LBB204_1394:
	s_or_saveexec_b64 s[14:15], s[14:15]
	v_mov_b32_e32 v1, s18
	s_xor_b64 exec, exec, s[14:15]
	s_cbranch_execz .LBB204_1378
.LBB204_1395:
	v_cmp_ne_u16_e32 vcc, 0, v2
	s_andn2_b64 s[12:13], s[12:13], exec
	s_and_b64 s[16:17], vcc, exec
	s_or_b64 s[12:13], s[12:13], s[16:17]
	v_mov_b32_e32 v1, v2
	s_or_b64 exec, exec, s[14:15]
	s_and_saveexec_b64 s[14:15], s[12:13]
	s_cbranch_execnz .LBB204_1379
	s_branch .LBB204_1380
.LBB204_1396:
	s_mov_b64 s[10:11], -1
                                        ; implicit-def: $vgpr1
	s_branch .LBB204_1401
.LBB204_1397:
	s_mov_b64 s[10:11], -1
                                        ; implicit-def: $vgpr1
.LBB204_1398:
	s_and_b64 vcc, exec, s[10:11]
	s_cbranch_vccz .LBB204_1400
; %bb.1399:
	global_load_ubyte v1, v[4:5], off
	s_mov_b32 s10, 0x7f800000
	s_waitcnt vmcnt(0)
	v_lshlrev_b32_e32 v1, 24, v1
	v_and_b32_e32 v2, 0x7f000000, v1
	v_ffbh_u32_e32 v6, v2
	v_min_u32_e32 v6, 32, v6
	v_sub_u32_e64 v6, v6, 4 clamp
	v_lshlrev_b32_e32 v8, v6, v2
	v_lshlrev_b32_e32 v6, 23, v6
	v_lshrrev_b32_e32 v8, 4, v8
	v_add_u32_e32 v7, 0x1000000, v2
	v_sub_u32_e32 v6, v8, v6
	v_ashrrev_i32_e32 v7, 8, v7
	v_add_u32_e32 v6, 0x3c000000, v6
	v_and_or_b32 v6, v7, s10, v6
	v_cmp_ne_u32_e32 vcc, 0, v2
	v_cndmask_b32_e32 v2, 0, v6, vcc
	s_brev_b32 s10, 1
	v_and_or_b32 v1, v1, s10, v2
	v_cvt_f16_f32_e32 v1, v1
.LBB204_1400:
	s_mov_b64 s[10:11], 0
.LBB204_1401:
	s_andn2_b64 vcc, exec, s[10:11]
	s_cbranch_vccnz .LBB204_1403
; %bb.1402:
	global_load_ubyte v1, v[4:5], off
	s_movk_i32 s10, 0x7f00
	s_brev_b32 s11, 16
	s_waitcnt vmcnt(0)
	v_lshlrev_b16_e32 v2, 8, v1
	v_lshlrev_b32_e32 v1, 25, v1
	v_lshrrev_b32_e32 v6, 4, v1
	v_and_or_b32 v7, v2, s10, 0.5
	v_or_b32_e32 v6, 0x70000000, v6
	v_add_f32_e32 v7, -0.5, v7
	v_mul_f32_e32 v6, 0x7800000, v6
	v_cmp_gt_u32_e32 vcc, s11, v1
	v_bfe_i32 v2, v2, 0, 16
	v_cndmask_b32_e32 v1, v6, v7, vcc
	s_brev_b32 s10, 1
	v_and_or_b32 v1, v2, s10, v1
	v_cvt_f16_f32_e32 v1, v1
.LBB204_1403:
	s_mov_b64 s[10:11], 0
	s_mov_b64 s[12:13], -1
.LBB204_1404:
	s_andn2_b64 vcc, exec, s[10:11]
	s_mov_b64 s[10:11], 0
	s_cbranch_vccnz .LBB204_1415
; %bb.1405:
	v_cmp_lt_i16_e32 vcc, 14, v3
	s_cbranch_vccz .LBB204_1408
; %bb.1406:
	v_cmp_eq_u16_e32 vcc, 15, v3
	s_cbranch_vccz .LBB204_1411
; %bb.1407:
	global_load_ushort v1, v[4:5], off
	s_mov_b64 s[8:9], 0
	s_mov_b64 s[12:13], -1
	s_waitcnt vmcnt(0)
	v_lshlrev_b32_e32 v1, 16, v1
	v_cvt_f16_f32_e32 v1, v1
	s_branch .LBB204_1412
.LBB204_1408:
	s_mov_b64 s[14:15], -1
                                        ; implicit-def: $vgpr1
	s_branch .LBB204_1413
.LBB204_1409:
	s_or_saveexec_b64 s[12:13], s[12:13]
	v_mov_b32_e32 v1, s16
	s_xor_b64 exec, exec, s[12:13]
	s_cbranch_execz .LBB204_1390
.LBB204_1410:
	v_cmp_ne_u16_e32 vcc, 0, v2
	s_andn2_b64 s[10:11], s[10:11], exec
	s_and_b64 s[14:15], vcc, exec
	s_or_b64 s[10:11], s[10:11], s[14:15]
	v_mov_b32_e32 v1, v2
	s_or_b64 exec, exec, s[12:13]
	s_and_saveexec_b64 s[12:13], s[10:11]
	s_cbranch_execnz .LBB204_1391
	s_branch .LBB204_1392
.LBB204_1411:
	s_mov_b64 s[8:9], -1
                                        ; implicit-def: $vgpr1
.LBB204_1412:
	s_mov_b64 s[14:15], 0
.LBB204_1413:
	s_and_b64 vcc, exec, s[14:15]
	s_cbranch_vccz .LBB204_1415
; %bb.1414:
	v_cmp_ne_u16_e32 vcc, 11, v3
	s_andn2_b64 s[8:9], s[8:9], exec
	s_and_b64 s[14:15], vcc, exec
	s_mov_b64 s[10:11], -1
	s_or_b64 s[8:9], s[8:9], s[14:15]
                                        ; implicit-def: $vgpr1
.LBB204_1415:
	s_mov_b64 s[14:15], 0
.LBB204_1416:
	s_andn2_b64 s[16:17], s[58:59], exec
	s_and_b64 s[8:9], s[8:9], exec
	s_and_b64 s[12:13], s[12:13], exec
	;; [unrolled: 1-line block ×4, first 2 shown]
	s_or_b64 s[58:59], s[16:17], s[8:9]
	s_or_b64 exec, exec, s[6:7]
	s_and_saveexec_b64 s[6:7], s[58:59]
	s_cbranch_execz .LBB204_1345
.LBB204_1417:
	s_or_b64 s[26:27], s[26:27], exec
	s_andn2_b64 s[10:11], s[10:11], exec
	s_trap 2
                                        ; implicit-def: $vgpr1
	s_or_b64 exec, exec, s[6:7]
	s_and_saveexec_b64 s[6:7], s[10:11]
	s_xor_b64 s[6:7], exec, s[6:7]
	s_cbranch_execnz .LBB204_1346
.LBB204_1418:
	s_or_b64 exec, exec, s[6:7]
	s_and_saveexec_b64 s[6:7], s[14:15]
	s_cbranch_execz .LBB204_1464
.LBB204_1419:
	v_cmp_gt_i16_e32 vcc, 5, v3
	s_cbranch_vccnz .LBB204_1424
; %bb.1420:
	v_cmp_gt_i16_e32 vcc, 8, v3
	s_cbranch_vccnz .LBB204_1425
; %bb.1421:
	;; [unrolled: 3-line block ×3, first 2 shown]
	v_cmp_lt_i16_e32 vcc, 9, v3
	s_cbranch_vccz .LBB204_1427
; %bb.1423:
	global_load_dwordx2 v[6:7], v[4:5], off
	s_mov_b64 s[8:9], 0
	s_waitcnt vmcnt(0)
	v_cvt_f32_f64_e32 v1, v[6:7]
	v_cvt_f16_f32_e32 v1, v1
	s_branch .LBB204_1428
.LBB204_1424:
                                        ; implicit-def: $vgpr1
	s_branch .LBB204_1445
.LBB204_1425:
                                        ; implicit-def: $vgpr1
	s_branch .LBB204_1434
.LBB204_1426:
	s_mov_b64 s[8:9], -1
                                        ; implicit-def: $vgpr1
	s_branch .LBB204_1431
.LBB204_1427:
	s_mov_b64 s[8:9], -1
                                        ; implicit-def: $vgpr1
.LBB204_1428:
	s_andn2_b64 vcc, exec, s[8:9]
	s_cbranch_vccnz .LBB204_1430
; %bb.1429:
	global_load_dword v1, v[4:5], off
	s_waitcnt vmcnt(0)
	v_cvt_f16_f32_e32 v1, v1
.LBB204_1430:
	s_mov_b64 s[8:9], 0
.LBB204_1431:
	s_andn2_b64 vcc, exec, s[8:9]
	s_cbranch_vccnz .LBB204_1433
; %bb.1432:
	global_load_dword v1, v[4:5], off
.LBB204_1433:
	s_cbranch_execnz .LBB204_1444
.LBB204_1434:
	v_cmp_gt_i16_e32 vcc, 6, v3
	s_cbranch_vccnz .LBB204_1437
; %bb.1435:
	v_cmp_lt_i16_e32 vcc, 6, v3
	s_cbranch_vccz .LBB204_1438
; %bb.1436:
	global_load_dwordx2 v[6:7], v[4:5], off
	s_mov_b64 s[8:9], 0
	s_waitcnt vmcnt(0)
	v_cvt_f32_f64_e32 v1, v[6:7]
	v_cvt_f16_f32_e32 v1, v1
	s_branch .LBB204_1439
.LBB204_1437:
	s_mov_b64 s[8:9], -1
                                        ; implicit-def: $vgpr1
	s_branch .LBB204_1442
.LBB204_1438:
	s_mov_b64 s[8:9], -1
                                        ; implicit-def: $vgpr1
.LBB204_1439:
	s_andn2_b64 vcc, exec, s[8:9]
	s_cbranch_vccnz .LBB204_1441
; %bb.1440:
	global_load_dword v1, v[4:5], off
	s_waitcnt vmcnt(0)
	v_cvt_f16_f32_e32 v1, v1
.LBB204_1441:
	s_mov_b64 s[8:9], 0
.LBB204_1442:
	s_andn2_b64 vcc, exec, s[8:9]
	s_cbranch_vccnz .LBB204_1444
; %bb.1443:
	global_load_ushort v1, v[4:5], off
.LBB204_1444:
	s_cbranch_execnz .LBB204_1463
.LBB204_1445:
	v_cmp_gt_i16_e32 vcc, 2, v3
	s_cbranch_vccnz .LBB204_1449
; %bb.1446:
	v_cmp_gt_i16_e32 vcc, 3, v3
	s_cbranch_vccnz .LBB204_1450
; %bb.1447:
	v_cmp_lt_i16_e32 vcc, 3, v3
	s_cbranch_vccz .LBB204_1451
; %bb.1448:
	global_load_dwordx2 v[6:7], v[4:5], off
	s_mov_b64 s[8:9], 0
	s_waitcnt vmcnt(0)
	v_xor_b32_e32 v2, v6, v7
	v_ffbh_i32_e32 v1, v7
	v_ashrrev_i32_e32 v2, 31, v2
	v_add_u32_e32 v1, -1, v1
	v_add_u32_e32 v2, 32, v2
	v_min_u32_e32 v1, v1, v2
	v_lshlrev_b64 v[6:7], v1, v[6:7]
	v_min_u32_e32 v2, 1, v6
	v_or_b32_e32 v2, v7, v2
	v_cvt_f32_i32_e32 v2, v2
	v_sub_u32_e32 v1, 32, v1
	v_ldexp_f32 v1, v2, v1
	v_cvt_f16_f32_e32 v1, v1
	s_branch .LBB204_1452
.LBB204_1449:
                                        ; implicit-def: $vgpr1
	s_branch .LBB204_1458
.LBB204_1450:
	s_mov_b64 s[8:9], -1
                                        ; implicit-def: $vgpr1
	s_branch .LBB204_1455
.LBB204_1451:
	s_mov_b64 s[8:9], -1
                                        ; implicit-def: $vgpr1
.LBB204_1452:
	s_andn2_b64 vcc, exec, s[8:9]
	s_cbranch_vccnz .LBB204_1454
; %bb.1453:
	global_load_dword v1, v[4:5], off
	s_waitcnt vmcnt(0)
	v_cvt_f32_i32_e32 v1, v1
	v_cvt_f16_f32_e32 v1, v1
.LBB204_1454:
	s_mov_b64 s[8:9], 0
.LBB204_1455:
	s_andn2_b64 vcc, exec, s[8:9]
	s_cbranch_vccnz .LBB204_1457
; %bb.1456:
	global_load_ushort v1, v[4:5], off
	s_waitcnt vmcnt(0)
	v_cvt_f16_i16_e32 v1, v1
.LBB204_1457:
	s_cbranch_execnz .LBB204_1463
.LBB204_1458:
	v_cmp_lt_i16_e32 vcc, 0, v3
	s_cbranch_vccz .LBB204_1460
; %bb.1459:
	global_load_sbyte v1, v[4:5], off
	s_mov_b64 s[8:9], 0
	s_waitcnt vmcnt(0)
	v_cvt_f16_i16_e32 v1, v1
	s_branch .LBB204_1461
.LBB204_1460:
	s_mov_b64 s[8:9], -1
                                        ; implicit-def: $vgpr1
.LBB204_1461:
	s_andn2_b64 vcc, exec, s[8:9]
	s_cbranch_vccnz .LBB204_1463
; %bb.1462:
	global_load_ubyte v1, v[4:5], off
	s_waitcnt vmcnt(0)
	v_cvt_f16_u16_e32 v1, v1
.LBB204_1463:
	s_or_b64 s[12:13], s[12:13], exec
.LBB204_1464:
	s_or_b64 exec, exec, s[6:7]
	s_mov_b64 s[10:11], 0
	s_mov_b64 s[8:9], 0
                                        ; implicit-def: $vgpr3
                                        ; implicit-def: $vgpr4_vgpr5
                                        ; implicit-def: $vgpr2
	s_and_saveexec_b64 s[36:37], s[12:13]
	s_cbranch_execz .LBB204_1482
; %bb.1465:
	s_mov_b64 s[38:39], s[4:5]
	s_getpc_b64 s[4:5]
	s_add_u32 s4, s4, _ZZZZN2at6native33launch_standard_gamma_grad_kernelERNS_18TensorIteratorBaseEENKUlvE_clEvENKUlvE1_clEvENKUlN3c104HalfES6_E_clES6_S6_@rel32@lo+4
	s_addc_u32 s5, s5, _ZZZZN2at6native33launch_standard_gamma_grad_kernelERNS_18TensorIteratorBaseEENKUlvE_clEvENKUlvE1_clEvENKUlN3c104HalfES6_E_clES6_S6_@rel32@hi+12
	s_swappc_b64 s[30:31], s[4:5]
	v_mov_b32_e32 v2, v0
	v_mov_b32_e32 v0, s25
	v_add_co_u32_e32 v4, vcc, s24, v30
	v_addc_co_u32_e32 v5, vcc, 0, v0, vcc
	v_and_b32_e32 v3, 0xff, v32
	v_cmp_gt_i16_e32 vcc, 11, v3
	s_cbranch_vccnz .LBB204_1485
; %bb.1466:
	v_cmp_lt_i16_e32 vcc, 25, v3
	s_mov_b64 s[10:11], -1
	s_mov_b64 s[6:7], s[56:57]
	s_mov_b64 s[4:5], s[38:39]
	s_cbranch_vccz .LBB204_1503
; %bb.1467:
	v_cmp_lt_i16_e32 vcc, 28, v3
	s_mov_b64 s[8:9], -1
	s_mov_b64 s[6:7], s[56:57]
	s_cbranch_vccz .LBB204_1487
; %bb.1468:
	v_cmp_lt_i16_e32 vcc, 43, v3
	s_mov_b64 s[6:7], s[56:57]
	s_cbranch_vccz .LBB204_1479
; %bb.1469:
	v_cmp_lt_i16_e32 vcc, 45, v3
	s_mov_b64 s[6:7], s[56:57]
	s_cbranch_vccz .LBB204_1473
; %bb.1470:
	v_cmp_eq_u16_e32 vcc, 46, v3
	s_mov_b64 s[6:7], -1
	s_cbranch_vccz .LBB204_1472
; %bb.1471:
	v_cvt_f32_f16_e32 v0, v2
	s_movk_i32 s6, 0x7fff
	v_mov_b32_e32 v1, 0x7fc0
	v_cmp_o_f16_e32 vcc, v2, v2
	v_bfe_u32 v6, v0, 16, 1
	v_add3_u32 v0, v0, v6, s6
	v_lshrrev_b32_e32 v0, 16, v0
	v_cndmask_b32_e32 v0, v1, v0, vcc
	global_store_dword v[4:5], v0, off
	s_mov_b64 s[6:7], 0
.LBB204_1472:
	s_mov_b64 s[8:9], 0
.LBB204_1473:
	s_and_b64 vcc, exec, s[8:9]
	s_cbranch_vccz .LBB204_1478
; %bb.1474:
	v_cmp_eq_u16_e32 vcc, 44, v3
	s_mov_b64 s[6:7], -1
	s_cbranch_vccz .LBB204_1478
; %bb.1475:
	v_cvt_f32_f16_e32 v0, v2
	s_movk_i32 s6, 0xff
	v_mov_b32_e32 v6, 0xff
	v_bfe_u32 v1, v0, 23, 8
	v_cmp_ne_u32_e32 vcc, s6, v1
	s_and_saveexec_b64 s[8:9], vcc
; %bb.1476:
	s_mov_b32 s6, 0x3fffff
	v_lshrrev_b32_e32 v6, 23, v0
	v_and_b32_e32 v7, 0x400000, v0
	v_and_or_b32 v0, v0, s6, v1
	v_cmp_ne_u32_e32 vcc, 0, v7
	v_cmp_ne_u32_e64 s[6:7], 0, v0
	s_and_b64 s[6:7], vcc, s[6:7]
	v_cndmask_b32_e64 v0, 0, 1, s[6:7]
	v_add_u32_e32 v6, v6, v0
; %bb.1477:
	s_or_b64 exec, exec, s[8:9]
	s_mov_b64 s[6:7], 0
	global_store_byte v[4:5], v6, off
.LBB204_1478:
	s_mov_b64 s[8:9], 0
.LBB204_1479:
	s_and_b64 vcc, exec, s[8:9]
	s_cbranch_vccz .LBB204_1486
; %bb.1480:
	v_cmp_eq_u16_e32 vcc, 29, v3
	s_mov_b64 s[6:7], -1
	s_cbranch_vccz .LBB204_1486
; %bb.1481:
	v_cvt_f32_f16_e32 v0, v2
	v_mov_b32_e32 v1, 0
	s_mov_b64 s[6:7], 0
	s_mov_b64 s[8:9], 0
	v_cvt_u32_f32_e32 v0, v0
	global_store_dwordx2 v[4:5], v[0:1], off
	s_branch .LBB204_1487
.LBB204_1482:
	s_or_b64 exec, exec, s[36:37]
	s_and_saveexec_b64 s[6:7], s[56:57]
	s_cbranch_execnz .LBB204_1545
.LBB204_1483:
	s_or_b64 exec, exec, s[6:7]
	s_and_saveexec_b64 s[6:7], s[10:11]
	s_xor_b64 s[6:7], exec, s[6:7]
	s_cbranch_execz .LBB204_1546
.LBB204_1484:
	s_waitcnt vmcnt(0)
	v_and_b32_e32 v0, 0x7fff, v2
	v_cmp_ne_u16_e32 vcc, 0, v0
	v_cndmask_b32_e64 v0, 0, 1, vcc
	global_store_byte v[4:5], v0, off
	s_or_b64 exec, exec, s[6:7]
	s_and_saveexec_b64 s[6:7], s[8:9]
	s_xor_b64 s[6:7], exec, s[6:7]
	s_cbranch_execz .LBB204_1584
	s_branch .LBB204_1547
.LBB204_1485:
	s_mov_b64 s[10:11], 0
	s_mov_b64 s[8:9], -1
	s_mov_b64 s[6:7], s[56:57]
	s_mov_b64 s[4:5], s[38:39]
	s_branch .LBB204_1544
.LBB204_1486:
	s_mov_b64 s[8:9], 0
.LBB204_1487:
	s_and_b64 vcc, exec, s[8:9]
	s_cbranch_vccz .LBB204_1502
; %bb.1488:
	v_cmp_gt_i16_e32 vcc, 27, v3
	s_mov_b64 s[8:9], -1
	s_cbranch_vccnz .LBB204_1494
; %bb.1489:
	v_cmp_lt_i16_e32 vcc, 27, v3
	s_cbranch_vccz .LBB204_1491
; %bb.1490:
	v_cvt_f32_f16_e32 v0, v2
	s_mov_b64 s[8:9], 0
	v_cvt_u32_f32_e32 v0, v0
	global_store_dword v[4:5], v0, off
.LBB204_1491:
	s_andn2_b64 vcc, exec, s[8:9]
	s_cbranch_vccnz .LBB204_1493
; %bb.1492:
	v_cvt_u16_f16_e32 v0, v2
	global_store_short v[4:5], v0, off
.LBB204_1493:
	s_mov_b64 s[8:9], 0
.LBB204_1494:
	s_andn2_b64 vcc, exec, s[8:9]
	s_cbranch_vccnz .LBB204_1502
; %bb.1495:
	v_cvt_f32_f16_e32 v0, v2
	s_mov_b32 s8, 0x43800000
	v_mov_b32_e32 v6, 0x80
	v_and_b32_e32 v1, 0x7fffffff, v0
	v_cmp_gt_u32_e32 vcc, s8, v1
	s_and_saveexec_b64 s[8:9], vcc
	s_cbranch_execz .LBB204_1501
; %bb.1496:
	s_mov_b32 s10, 0x3bffffff
	v_cmp_lt_u32_e32 vcc, s10, v1
	s_mov_b64 s[10:11], 0
                                        ; implicit-def: $vgpr1
	s_and_saveexec_b64 s[12:13], vcc
	s_xor_b64 s[12:13], exec, s[12:13]
	s_cbranch_execz .LBB204_1639
; %bb.1497:
	v_bfe_u32 v1, v0, 20, 1
	s_mov_b32 s14, 0x487ffff
	v_add3_u32 v1, v0, v1, s14
	s_mov_b64 s[10:11], exec
	v_lshrrev_b32_e32 v1, 20, v1
	s_or_saveexec_b64 s[12:13], s[12:13]
                                        ; implicit-def: $sgpr14
	s_xor_b64 exec, exec, s[12:13]
	s_cbranch_execnz .LBB204_1640
.LBB204_1498:
	s_or_b64 exec, exec, s[12:13]
	v_mov_b32_e32 v6, s14
	s_and_saveexec_b64 s[12:13], s[10:11]
.LBB204_1499:
	v_lshrrev_b32_e32 v0, 24, v0
	s_movk_i32 s10, 0x80
	v_and_or_b32 v6, v0, s10, v1
.LBB204_1500:
	s_or_b64 exec, exec, s[12:13]
.LBB204_1501:
	s_or_b64 exec, exec, s[8:9]
	global_store_byte v[4:5], v6, off
.LBB204_1502:
	s_mov_b64 s[10:11], 0
.LBB204_1503:
	s_mov_b64 s[8:9], 0
	s_and_b64 vcc, exec, s[10:11]
	s_cbranch_vccz .LBB204_1543
; %bb.1504:
	v_cmp_lt_i16_e32 vcc, 22, v3
	s_mov_b64 s[10:11], -1
	s_cbranch_vccz .LBB204_1536
; %bb.1505:
	v_cmp_gt_i16_e32 vcc, 24, v3
	s_cbranch_vccnz .LBB204_1525
; %bb.1506:
	v_cmp_lt_i16_e32 vcc, 24, v3
	s_cbranch_vccz .LBB204_1514
; %bb.1507:
	v_cvt_f32_f16_e32 v0, v2
	s_mov_b32 s10, 0x47800000
	v_mov_b32_e32 v6, 0x80
	v_and_b32_e32 v1, 0x7fffffff, v0
	v_cmp_gt_u32_e32 vcc, s10, v1
	s_and_saveexec_b64 s[10:11], vcc
	s_cbranch_execz .LBB204_1513
; %bb.1508:
	s_mov_b32 s12, 0x37ffffff
	v_cmp_lt_u32_e32 vcc, s12, v1
	s_mov_b64 s[12:13], 0
                                        ; implicit-def: $vgpr1
	s_and_saveexec_b64 s[14:15], vcc
	s_xor_b64 s[14:15], exec, s[14:15]
	s_cbranch_execz .LBB204_1764
; %bb.1509:
	v_bfe_u32 v1, v0, 21, 1
	s_mov_b32 s16, 0x88fffff
	v_add3_u32 v1, v0, v1, s16
	s_mov_b64 s[12:13], exec
	v_lshrrev_b32_e32 v1, 21, v1
	s_or_saveexec_b64 s[14:15], s[14:15]
                                        ; implicit-def: $sgpr16
	s_xor_b64 exec, exec, s[14:15]
	s_cbranch_execnz .LBB204_1765
.LBB204_1510:
	s_or_b64 exec, exec, s[14:15]
	v_mov_b32_e32 v6, s16
	s_and_saveexec_b64 s[14:15], s[12:13]
.LBB204_1511:
	v_lshrrev_b32_e32 v0, 24, v0
	s_movk_i32 s12, 0x80
	v_and_or_b32 v6, v0, s12, v1
.LBB204_1512:
	s_or_b64 exec, exec, s[14:15]
.LBB204_1513:
	s_or_b64 exec, exec, s[10:11]
	s_mov_b64 s[10:11], 0
	global_store_byte v[4:5], v6, off
.LBB204_1514:
	s_and_b64 vcc, exec, s[10:11]
	s_cbranch_vccz .LBB204_1524
; %bb.1515:
	v_cvt_f32_f16_e32 v0, v2
	s_mov_b32 s10, 0x43f00000
                                        ; implicit-def: $vgpr1
	v_and_b32_e32 v6, 0x7fffffff, v0
	v_cmp_gt_u32_e32 vcc, s10, v6
	s_and_saveexec_b64 s[10:11], vcc
	s_xor_b64 s[10:11], exec, s[10:11]
	s_cbranch_execz .LBB204_1521
; %bb.1516:
	s_mov_b32 s12, 0x3c7fffff
	v_cmp_lt_u32_e32 vcc, s12, v6
                                        ; implicit-def: $vgpr1
	s_and_saveexec_b64 s[12:13], vcc
	s_xor_b64 s[12:13], exec, s[12:13]
; %bb.1517:
	v_bfe_u32 v1, v0, 20, 1
	s_mov_b32 s14, 0x407ffff
	v_add3_u32 v1, v0, v1, s14
	v_lshrrev_b32_e32 v6, 20, v1
	v_and_b32_e32 v1, 0xff00000, v1
	s_mov_b32 s14, 0x7f00000
	v_mov_b32_e32 v7, 0x7e
	v_cmp_ne_u32_e32 vcc, s14, v1
	v_cndmask_b32_e32 v1, v7, v6, vcc
; %bb.1518:
	s_andn2_saveexec_b64 s[12:13], s[12:13]
; %bb.1519:
	s_mov_b32 s14, 0x46800000
	v_add_f32_e64 v1, |v0|, s14
; %bb.1520:
	s_or_b64 exec, exec, s[12:13]
                                        ; implicit-def: $vgpr6
.LBB204_1521:
	s_andn2_saveexec_b64 s[10:11], s[10:11]
; %bb.1522:
	s_mov_b32 s12, 0x7f800000
	v_mov_b32_e32 v1, 0x7e
	v_mov_b32_e32 v7, 0x7f
	v_cmp_lt_u32_e32 vcc, s12, v6
	v_cndmask_b32_e32 v1, v1, v7, vcc
; %bb.1523:
	s_or_b64 exec, exec, s[10:11]
	v_lshrrev_b32_e32 v0, 24, v0
	s_movk_i32 s10, 0x80
	v_and_or_b32 v0, v0, s10, v1
	global_store_byte v[4:5], v0, off
.LBB204_1524:
	s_mov_b64 s[10:11], 0
.LBB204_1525:
	s_andn2_b64 vcc, exec, s[10:11]
	s_cbranch_vccnz .LBB204_1535
; %bb.1526:
	v_cvt_f32_f16_e32 v0, v2
	s_mov_b32 s10, 0x47800000
                                        ; implicit-def: $vgpr1
	v_and_b32_e32 v6, 0x7fffffff, v0
	v_cmp_gt_u32_e32 vcc, s10, v6
	s_and_saveexec_b64 s[10:11], vcc
	s_xor_b64 s[10:11], exec, s[10:11]
	s_cbranch_execz .LBB204_1532
; %bb.1527:
	s_mov_b32 s12, 0x387fffff
	v_cmp_lt_u32_e32 vcc, s12, v6
                                        ; implicit-def: $vgpr1
	s_and_saveexec_b64 s[12:13], vcc
	s_xor_b64 s[12:13], exec, s[12:13]
; %bb.1528:
	v_bfe_u32 v1, v0, 21, 1
	s_mov_b32 s14, 0x80fffff
	v_add3_u32 v1, v0, v1, s14
	v_lshrrev_b32_e32 v1, 21, v1
; %bb.1529:
	s_andn2_saveexec_b64 s[12:13], s[12:13]
; %bb.1530:
	s_mov_b32 s14, 0x43000000
	v_add_f32_e64 v1, |v0|, s14
; %bb.1531:
	s_or_b64 exec, exec, s[12:13]
                                        ; implicit-def: $vgpr6
.LBB204_1532:
	s_andn2_saveexec_b64 s[10:11], s[10:11]
; %bb.1533:
	s_mov_b32 s12, 0x7f800000
	v_mov_b32_e32 v1, 0x7c
	v_mov_b32_e32 v7, 0x7f
	v_cmp_lt_u32_e32 vcc, s12, v6
	v_cndmask_b32_e32 v1, v1, v7, vcc
; %bb.1534:
	s_or_b64 exec, exec, s[10:11]
	v_lshrrev_b32_e32 v0, 24, v0
	s_movk_i32 s10, 0x80
	v_and_or_b32 v0, v0, s10, v1
	global_store_byte v[4:5], v0, off
.LBB204_1535:
	s_mov_b64 s[10:11], 0
.LBB204_1536:
	s_andn2_b64 vcc, exec, s[10:11]
	s_mov_b64 s[10:11], 0
	s_cbranch_vccnz .LBB204_1544
; %bb.1537:
	v_cmp_lt_i16_e32 vcc, 14, v3
	s_mov_b64 s[12:13], -1
	s_cbranch_vccz .LBB204_1541
; %bb.1538:
	v_cmp_eq_u16_e32 vcc, 15, v3
	s_mov_b64 s[6:7], -1
	s_cbranch_vccz .LBB204_1540
; %bb.1539:
	v_cvt_f32_f16_e32 v0, v2
	s_movk_i32 s6, 0x7fff
	v_mov_b32_e32 v1, 0x7fc0
	v_cmp_o_f16_e32 vcc, v2, v2
	v_bfe_u32 v6, v0, 16, 1
	v_add3_u32 v0, v0, v6, s6
	v_lshrrev_b32_e32 v0, 16, v0
	v_cndmask_b32_e32 v0, v1, v0, vcc
	global_store_short v[4:5], v0, off
	s_mov_b64 s[6:7], 0
.LBB204_1540:
	s_mov_b64 s[12:13], 0
.LBB204_1541:
	s_and_b64 vcc, exec, s[12:13]
	s_cbranch_vccz .LBB204_1544
; %bb.1542:
	v_cmp_ne_u16_e32 vcc, 11, v3
	s_andn2_b64 s[6:7], s[6:7], exec
	s_and_b64 s[12:13], vcc, exec
	s_mov_b64 s[10:11], -1
	s_or_b64 s[6:7], s[6:7], s[12:13]
	s_branch .LBB204_1544
.LBB204_1543:
	s_mov_b64 s[10:11], 0
.LBB204_1544:
	s_andn2_b64 s[12:13], s[56:57], exec
	s_and_b64 s[6:7], s[6:7], exec
	s_and_b64 s[8:9], s[8:9], exec
	;; [unrolled: 1-line block ×3, first 2 shown]
	s_or_b64 s[56:57], s[12:13], s[6:7]
	s_or_b64 exec, exec, s[36:37]
	s_and_saveexec_b64 s[6:7], s[56:57]
	s_cbranch_execz .LBB204_1483
.LBB204_1545:
	s_or_b64 s[26:27], s[26:27], exec
	s_andn2_b64 s[10:11], s[10:11], exec
	s_trap 2
	s_or_b64 exec, exec, s[6:7]
	s_and_saveexec_b64 s[6:7], s[10:11]
	s_xor_b64 s[6:7], exec, s[6:7]
	s_cbranch_execnz .LBB204_1484
.LBB204_1546:
	s_or_b64 exec, exec, s[6:7]
	s_and_saveexec_b64 s[6:7], s[8:9]
	s_xor_b64 s[6:7], exec, s[6:7]
	s_cbranch_execz .LBB204_1584
.LBB204_1547:
	v_cmp_gt_i16_e32 vcc, 5, v3
	s_mov_b64 s[8:9], -1
	s_cbranch_vccnz .LBB204_1568
; %bb.1548:
	v_cmp_gt_i16_e32 vcc, 8, v3
	s_cbranch_vccnz .LBB204_1558
; %bb.1549:
	v_cmp_gt_i16_e32 vcc, 9, v3
	s_cbranch_vccnz .LBB204_1555
; %bb.1550:
	v_cmp_lt_i16_e32 vcc, 9, v3
	s_cbranch_vccz .LBB204_1552
; %bb.1551:
	s_waitcnt vmcnt(0)
	v_cvt_f32_f16_e32 v0, v2
	v_mov_b32_e32 v8, 0
	v_mov_b32_e32 v9, v8
	s_mov_b64 s[8:9], 0
	v_cvt_f64_f32_e32 v[6:7], v0
	global_store_dwordx4 v[4:5], v[6:9], off
.LBB204_1552:
	s_andn2_b64 vcc, exec, s[8:9]
	s_cbranch_vccnz .LBB204_1554
; %bb.1553:
	s_waitcnt vmcnt(0)
	v_cvt_f32_f16_e32 v0, v2
	v_mov_b32_e32 v1, 0
	global_store_dwordx2 v[4:5], v[0:1], off
.LBB204_1554:
	s_mov_b64 s[8:9], 0
.LBB204_1555:
	s_andn2_b64 vcc, exec, s[8:9]
	s_cbranch_vccnz .LBB204_1557
; %bb.1556:
	s_waitcnt vmcnt(0)
	v_and_b32_e32 v0, 0xffff, v2
	global_store_dword v[4:5], v0, off
.LBB204_1557:
	s_mov_b64 s[8:9], 0
.LBB204_1558:
	s_andn2_b64 vcc, exec, s[8:9]
	s_cbranch_vccnz .LBB204_1567
; %bb.1559:
	v_cmp_gt_i16_e32 vcc, 6, v3
	s_mov_b64 s[8:9], -1
	s_cbranch_vccnz .LBB204_1565
; %bb.1560:
	v_cmp_lt_i16_e32 vcc, 6, v3
	s_cbranch_vccz .LBB204_1562
; %bb.1561:
	s_waitcnt vmcnt(0)
	v_cvt_f32_f16_e32 v0, v2
	s_mov_b64 s[8:9], 0
	v_cvt_f64_f32_e32 v[0:1], v0
	global_store_dwordx2 v[4:5], v[0:1], off
.LBB204_1562:
	s_andn2_b64 vcc, exec, s[8:9]
	s_cbranch_vccnz .LBB204_1564
; %bb.1563:
	s_waitcnt vmcnt(0)
	v_cvt_f32_f16_e32 v0, v2
	global_store_dword v[4:5], v0, off
.LBB204_1564:
	s_mov_b64 s[8:9], 0
.LBB204_1565:
	s_andn2_b64 vcc, exec, s[8:9]
	s_cbranch_vccnz .LBB204_1567
; %bb.1566:
	global_store_short v[4:5], v2, off
.LBB204_1567:
	s_mov_b64 s[8:9], 0
.LBB204_1568:
	s_andn2_b64 vcc, exec, s[8:9]
	s_cbranch_vccnz .LBB204_1584
; %bb.1569:
	v_cmp_gt_i16_e32 vcc, 2, v3
	s_mov_b64 s[8:9], -1
	s_cbranch_vccnz .LBB204_1579
; %bb.1570:
	v_cmp_gt_i16_e32 vcc, 3, v3
	s_cbranch_vccnz .LBB204_1576
; %bb.1571:
	v_cmp_lt_i16_e32 vcc, 3, v3
	s_cbranch_vccz .LBB204_1573
; %bb.1572:
	s_waitcnt vmcnt(0)
	v_cvt_f32_f16_e32 v0, v2
	s_mov_b64 s[8:9], 0
	v_cvt_i32_f32_e32 v0, v0
	v_ashrrev_i32_e32 v1, 31, v0
	global_store_dwordx2 v[4:5], v[0:1], off
.LBB204_1573:
	s_andn2_b64 vcc, exec, s[8:9]
	s_cbranch_vccnz .LBB204_1575
; %bb.1574:
	s_waitcnt vmcnt(0)
	v_cvt_f32_f16_e32 v0, v2
	v_cvt_i32_f32_e32 v0, v0
	global_store_dword v[4:5], v0, off
.LBB204_1575:
	s_mov_b64 s[8:9], 0
.LBB204_1576:
	s_andn2_b64 vcc, exec, s[8:9]
	s_cbranch_vccnz .LBB204_1578
; %bb.1577:
	s_waitcnt vmcnt(0)
	v_cvt_i16_f16_e32 v0, v2
	global_store_short v[4:5], v0, off
.LBB204_1578:
	s_mov_b64 s[8:9], 0
.LBB204_1579:
	s_andn2_b64 vcc, exec, s[8:9]
	s_cbranch_vccnz .LBB204_1584
; %bb.1580:
	v_cmp_lt_i16_e32 vcc, 0, v3
	s_mov_b64 s[8:9], -1
	s_cbranch_vccz .LBB204_1582
; %bb.1581:
	s_waitcnt vmcnt(0)
	v_cvt_i16_f16_e32 v0, v2
	s_mov_b64 s[8:9], 0
	global_store_byte v[4:5], v0, off
.LBB204_1582:
	s_andn2_b64 vcc, exec, s[8:9]
	s_cbranch_vccnz .LBB204_1584
; %bb.1583:
	s_waitcnt vmcnt(0)
	v_cvt_f32_f16_e32 v0, v2
	v_cvt_i32_f32_e32 v0, v0
	global_store_byte v[4:5], v0, off
.LBB204_1584:
	s_or_b64 exec, exec, s[6:7]
	s_and_b64 s[36:37], s[26:27], exec
                                        ; implicit-def: $vgpr16
                                        ; implicit-def: $vgpr34
.LBB204_1585:
	s_or_saveexec_b64 s[38:39], s[44:45]
	s_mov_b64 s[8:9], 0
                                        ; implicit-def: $vgpr2_vgpr3
                                        ; implicit-def: $vgpr1
                                        ; implicit-def: $vgpr0
	s_xor_b64 exec, exec, s[38:39]
	s_cbranch_execz .LBB204_3115
; %bb.1586:
	s_waitcnt vmcnt(0)
	v_cndmask_b32_e64 v0, 0, 1, s[34:35]
	v_cmp_ne_u32_e64 s[6:7], 1, v0
	s_andn2_b64 vcc, exec, s[34:35]
	s_cbranch_vccnz .LBB204_1592
; %bb.1587:
	s_cmp_lg_u32 s33, 0
	v_mov_b32_e32 v14, 0
	v_mov_b32_e32 v0, 0
	;; [unrolled: 1-line block ×3, first 2 shown]
	s_cbranch_scc0 .LBB204_1593
; %bb.1588:
	s_min_u32 s10, s80, 15
	s_add_i32 s8, s10, 1
	s_and_b32 s11, s8, 30
	s_add_u32 s8, s22, 0xffffffec
	s_addc_u32 s9, s23, -1
	v_mov_b32_e32 v42, 0
	v_mov_b32_e32 v1, v34
	;; [unrolled: 1-line block ×4, first 2 shown]
.LBB204_1589:                           ; =>This Inner Loop Header: Depth=1
	s_mov_b64 s[20:21], s[8:9]
	s_load_dwordx4 s[12:15], s[20:21], 0x18
	s_load_dwordx2 s[24:25], s[20:21], 0x28
	s_load_dwordx2 s[26:27], s[20:21], 0xe8
	s_load_dwordx4 s[16:19], s[20:21], 0xd8
	s_add_u32 s8, s20, 24
	s_waitcnt lgkmcnt(0)
	v_mul_hi_u32 v2, s13, v1
	v_add_u32_e32 v2, v1, v2
	v_lshrrev_b32_e32 v2, s14, v2
	v_mul_lo_u32 v3, v2, s12
	v_mul_hi_u32 v4, s24, v2
	v_sub_u32_e32 v1, v1, v3
	v_add_u32_e32 v3, v2, v4
	v_mul_lo_u32 v4, v1, s16
	v_mul_lo_u32 v5, v1, s17
	;; [unrolled: 1-line block ×3, first 2 shown]
	v_lshrrev_b32_e32 v1, s25, v3
	v_mul_lo_u32 v3, v1, s15
	v_sub_u32_e32 v2, v2, v3
	s_addc_u32 s9, s21, 0
	s_add_i32 s11, s11, -2
	v_mul_lo_u32 v3, v2, s19
	v_mul_lo_u32 v7, v2, s26
	;; [unrolled: 1-line block ×3, first 2 shown]
	s_cmp_lg_u32 s11, 0
	v_add3_u32 v42, v4, v42, v3
	v_add3_u32 v14, v6, v14, v2
	;; [unrolled: 1-line block ×3, first 2 shown]
	s_cbranch_scc1 .LBB204_1589
; %bb.1590:
	s_bitcmp1_b32 s10, 0
	s_cselect_b64 s[10:11], -1, 0
	s_and_b64 vcc, exec, s[10:11]
	s_cbranch_vccnz .LBB204_1593
; %bb.1591:
	s_load_dwordx2 s[10:11], s[8:9], 0x18
	s_load_dword s14, s[8:9], 0x20
	s_load_dword s15, s[8:9], 0xe0
	s_load_dwordx2 s[12:13], s[8:9], 0xd8
	s_waitcnt lgkmcnt(0)
	v_mul_hi_u32 v2, s11, v1
	v_add_u32_e32 v2, v1, v2
	v_lshrrev_b32_e32 v2, s14, v2
	v_mul_lo_u32 v2, v2, s10
	v_sub_u32_e32 v2, v1, v2
	v_mad_u64_u32 v[42:43], s[8:9], v2, s12, v[42:43]
	v_mad_u64_u32 v[0:1], s[8:9], v2, s13, v[0:1]
	;; [unrolled: 1-line block ×3, first 2 shown]
	s_cbranch_execz .LBB204_1594
	s_branch .LBB204_1596
.LBB204_1592:
                                        ; implicit-def: $vgpr14
                                        ; implicit-def: $vgpr0
                                        ; implicit-def: $vgpr42
	s_branch .LBB204_1594
.LBB204_1593:
	s_cbranch_execnz .LBB204_1596
.LBB204_1594:
	s_load_dwordx4 s[8:11], s[22:23], 0x4
	s_load_dwordx4 s[12:15], s[22:23], 0xc4
	s_cmp_lt_u32 s33, 2
	s_waitcnt lgkmcnt(0)
	v_mul_hi_u32 v0, s9, v34
	v_add_u32_e32 v0, v34, v0
	v_lshrrev_b32_e32 v1, s10, v0
	v_mul_lo_u32 v0, v1, s8
	v_sub_u32_e32 v0, v34, v0
	v_mul_lo_u32 v42, v0, s12
	v_mul_lo_u32 v14, v0, s14
	v_mul_lo_u32 v0, v0, s13
	s_cbranch_scc1 .LBB204_1596
; %bb.1595:
	s_load_dwordx4 s[8:11], s[22:23], 0x10
	s_load_dwordx4 s[12:15], s[22:23], 0xd0
	s_waitcnt lgkmcnt(0)
	v_mul_hi_u32 v2, s9, v1
	v_add_u32_e32 v2, v1, v2
	v_lshrrev_b32_e32 v2, s10, v2
	v_mul_lo_u32 v2, v2, s8
	v_sub_u32_e32 v2, v1, v2
	v_mad_u64_u32 v[42:43], s[8:9], v2, s12, v[42:43]
	v_mad_u64_u32 v[0:1], s[8:9], v2, s13, v[0:1]
	v_mad_u64_u32 v[14:15], s[8:9], v2, s14, v[14:15]
.LBB204_1596:
	s_and_b64 vcc, exec, s[6:7]
	v_add_u32_e32 v1, 0x80, v34
	s_cbranch_vccnz .LBB204_1602
; %bb.1597:
	s_cmp_lg_u32 s33, 0
	v_mov_b32_e32 v10, 0
	v_mov_b32_e32 v12, 0
	;; [unrolled: 1-line block ×3, first 2 shown]
	s_cbranch_scc0 .LBB204_1603
; %bb.1598:
	s_min_u32 s10, s80, 15
	s_add_i32 s8, s10, 1
	s_and_b32 s11, s8, 30
	s_add_u32 s8, s22, 0xffffffec
	s_addc_u32 s9, s23, -1
	v_mov_b32_e32 v40, 0
	v_mov_b32_e32 v2, v1
	;; [unrolled: 1-line block ×4, first 2 shown]
.LBB204_1599:                           ; =>This Inner Loop Header: Depth=1
	s_mov_b64 s[20:21], s[8:9]
	s_load_dwordx4 s[12:15], s[20:21], 0x18
	s_load_dwordx2 s[24:25], s[20:21], 0x28
	s_load_dwordx2 s[26:27], s[20:21], 0xe8
	s_load_dwordx4 s[16:19], s[20:21], 0xd8
	s_add_u32 s8, s20, 24
	s_waitcnt lgkmcnt(0)
	v_mul_hi_u32 v3, s13, v2
	v_add_u32_e32 v3, v2, v3
	v_lshrrev_b32_e32 v3, s14, v3
	v_mul_lo_u32 v4, v3, s12
	v_mul_hi_u32 v5, s24, v3
	v_sub_u32_e32 v2, v2, v4
	v_add_u32_e32 v4, v3, v5
	v_mul_lo_u32 v5, v2, s16
	v_mul_lo_u32 v6, v2, s17
	;; [unrolled: 1-line block ×3, first 2 shown]
	v_lshrrev_b32_e32 v2, s25, v4
	v_mul_lo_u32 v4, v2, s15
	v_sub_u32_e32 v3, v3, v4
	s_addc_u32 s9, s21, 0
	s_add_i32 s11, s11, -2
	v_mul_lo_u32 v4, v3, s19
	v_mul_lo_u32 v8, v3, s26
	;; [unrolled: 1-line block ×3, first 2 shown]
	s_cmp_lg_u32 s11, 0
	v_add3_u32 v40, v5, v40, v4
	v_add3_u32 v10, v7, v10, v3
	;; [unrolled: 1-line block ×3, first 2 shown]
	s_cbranch_scc1 .LBB204_1599
; %bb.1600:
	s_bitcmp1_b32 s10, 0
	s_cselect_b64 s[10:11], -1, 0
	s_and_b64 vcc, exec, s[10:11]
	s_cbranch_vccnz .LBB204_1603
; %bb.1601:
	s_load_dwordx2 s[10:11], s[8:9], 0x18
	s_load_dword s14, s[8:9], 0x20
	s_load_dword s15, s[8:9], 0xe0
	s_load_dwordx2 s[12:13], s[8:9], 0xd8
	s_waitcnt lgkmcnt(0)
	v_mul_hi_u32 v3, s11, v2
	v_add_u32_e32 v3, v2, v3
	v_lshrrev_b32_e32 v3, s14, v3
	v_mul_lo_u32 v3, v3, s10
	v_sub_u32_e32 v2, v2, v3
	v_mad_u64_u32 v[40:41], s[8:9], v2, s12, v[40:41]
	v_mad_u64_u32 v[12:13], s[8:9], v2, s13, v[12:13]
	;; [unrolled: 1-line block ×3, first 2 shown]
	s_cbranch_execz .LBB204_1604
	s_branch .LBB204_1606
.LBB204_1602:
                                        ; implicit-def: $vgpr10
                                        ; implicit-def: $vgpr12
                                        ; implicit-def: $vgpr40
	s_branch .LBB204_1604
.LBB204_1603:
	s_cbranch_execnz .LBB204_1606
.LBB204_1604:
	s_load_dwordx4 s[8:11], s[22:23], 0x4
	s_load_dwordx4 s[12:15], s[22:23], 0xc4
	s_cmp_lt_u32 s33, 2
	s_waitcnt lgkmcnt(0)
	v_mul_hi_u32 v2, s9, v1
	v_add_u32_e32 v2, v1, v2
	v_lshrrev_b32_e32 v2, s10, v2
	v_mul_lo_u32 v3, v2, s8
	v_sub_u32_e32 v1, v1, v3
	v_mul_lo_u32 v40, v1, s12
	v_mul_lo_u32 v10, v1, s14
	;; [unrolled: 1-line block ×3, first 2 shown]
	s_cbranch_scc1 .LBB204_1606
; %bb.1605:
	s_load_dwordx4 s[8:11], s[22:23], 0x10
	s_load_dwordx4 s[12:15], s[22:23], 0xd0
	s_waitcnt lgkmcnt(0)
	v_mul_hi_u32 v1, s9, v2
	v_add_u32_e32 v1, v2, v1
	v_lshrrev_b32_e32 v1, s10, v1
	v_mul_lo_u32 v1, v1, s8
	v_sub_u32_e32 v1, v2, v1
	v_mad_u64_u32 v[40:41], s[8:9], v1, s12, v[40:41]
	v_mad_u64_u32 v[12:13], s[8:9], v1, s13, v[12:13]
	;; [unrolled: 1-line block ×3, first 2 shown]
.LBB204_1606:
	s_and_b64 vcc, exec, s[6:7]
	v_add_u32_e32 v1, 0x100, v34
	s_cbranch_vccnz .LBB204_1612
; %bb.1607:
	s_cmp_lg_u32 s33, 0
	v_mov_b32_e32 v6, 0
	v_mov_b32_e32 v8, 0
	;; [unrolled: 1-line block ×3, first 2 shown]
	s_cbranch_scc0 .LBB204_1613
; %bb.1608:
	s_min_u32 s10, s80, 15
	s_add_i32 s8, s10, 1
	s_and_b32 s11, s8, 30
	s_add_u32 s8, s22, 0xffffffec
	s_addc_u32 s9, s23, -1
	v_mov_b32_e32 v38, 0
	v_mov_b32_e32 v2, v1
	;; [unrolled: 1-line block ×4, first 2 shown]
.LBB204_1609:                           ; =>This Inner Loop Header: Depth=1
	s_mov_b64 s[20:21], s[8:9]
	s_load_dwordx4 s[12:15], s[20:21], 0x18
	s_load_dwordx2 s[24:25], s[20:21], 0x28
	s_load_dwordx2 s[26:27], s[20:21], 0xe8
	s_load_dwordx4 s[16:19], s[20:21], 0xd8
	s_add_u32 s8, s20, 24
	s_waitcnt lgkmcnt(0)
	v_mul_hi_u32 v3, s13, v2
	v_add_u32_e32 v3, v2, v3
	v_lshrrev_b32_e32 v3, s14, v3
	v_mul_lo_u32 v4, v3, s12
	v_mul_hi_u32 v5, s24, v3
	v_sub_u32_e32 v2, v2, v4
	v_add_u32_e32 v4, v3, v5
	v_mul_lo_u32 v5, v2, s16
	v_mul_lo_u32 v7, v2, s17
	;; [unrolled: 1-line block ×3, first 2 shown]
	v_lshrrev_b32_e32 v2, s25, v4
	v_mul_lo_u32 v4, v2, s15
	v_sub_u32_e32 v3, v3, v4
	s_addc_u32 s9, s21, 0
	s_add_i32 s11, s11, -2
	v_mul_lo_u32 v4, v3, s19
	v_mul_lo_u32 v11, v3, s26
	;; [unrolled: 1-line block ×3, first 2 shown]
	s_cmp_lg_u32 s11, 0
	v_add3_u32 v38, v5, v38, v4
	v_add3_u32 v6, v9, v6, v3
	;; [unrolled: 1-line block ×3, first 2 shown]
	s_cbranch_scc1 .LBB204_1609
; %bb.1610:
	s_bitcmp1_b32 s10, 0
	s_cselect_b64 s[10:11], -1, 0
	s_and_b64 vcc, exec, s[10:11]
	s_cbranch_vccnz .LBB204_1613
; %bb.1611:
	s_load_dwordx2 s[10:11], s[8:9], 0x18
	s_load_dword s14, s[8:9], 0x20
	s_load_dword s15, s[8:9], 0xe0
	s_load_dwordx2 s[12:13], s[8:9], 0xd8
	s_waitcnt lgkmcnt(0)
	v_mul_hi_u32 v3, s11, v2
	v_add_u32_e32 v3, v2, v3
	v_lshrrev_b32_e32 v3, s14, v3
	v_mul_lo_u32 v3, v3, s10
	v_sub_u32_e32 v2, v2, v3
	v_mad_u64_u32 v[38:39], s[8:9], v2, s12, v[38:39]
	v_mad_u64_u32 v[8:9], s[8:9], v2, s13, v[8:9]
	;; [unrolled: 1-line block ×3, first 2 shown]
	s_cbranch_execz .LBB204_1614
	s_branch .LBB204_1616
.LBB204_1612:
                                        ; implicit-def: $vgpr6
                                        ; implicit-def: $vgpr8
                                        ; implicit-def: $vgpr38
	s_branch .LBB204_1614
.LBB204_1613:
	s_cbranch_execnz .LBB204_1616
.LBB204_1614:
	s_load_dwordx4 s[8:11], s[22:23], 0x4
	s_load_dwordx4 s[12:15], s[22:23], 0xc4
	s_cmp_lt_u32 s33, 2
	s_waitcnt lgkmcnt(0)
	v_mul_hi_u32 v2, s9, v1
	v_add_u32_e32 v2, v1, v2
	v_lshrrev_b32_e32 v2, s10, v2
	v_mul_lo_u32 v3, v2, s8
	v_sub_u32_e32 v1, v1, v3
	v_mul_lo_u32 v38, v1, s12
	v_mul_lo_u32 v6, v1, s14
	;; [unrolled: 1-line block ×3, first 2 shown]
	s_cbranch_scc1 .LBB204_1616
; %bb.1615:
	s_load_dwordx4 s[8:11], s[22:23], 0x10
	s_load_dwordx4 s[12:15], s[22:23], 0xd0
	s_waitcnt lgkmcnt(0)
	v_mul_hi_u32 v1, s9, v2
	v_add_u32_e32 v1, v2, v1
	v_lshrrev_b32_e32 v1, s10, v1
	v_mul_lo_u32 v1, v1, s8
	v_sub_u32_e32 v1, v2, v1
	v_mad_u64_u32 v[38:39], s[8:9], v1, s12, v[38:39]
	v_mad_u64_u32 v[8:9], s[8:9], v1, s13, v[8:9]
	;; [unrolled: 1-line block ×3, first 2 shown]
.LBB204_1616:
	s_and_b64 vcc, exec, s[6:7]
	s_cbranch_vccnz .LBB204_1622
; %bb.1617:
	s_cmp_lg_u32 s33, 0
	v_mov_b32_e32 v2, 0
	v_mov_b32_e32 v4, 0
	;; [unrolled: 1-line block ×3, first 2 shown]
	s_cbranch_scc0 .LBB204_1623
; %bb.1618:
	s_min_u32 s8, s80, 15
	s_add_i32 s6, s8, 1
	s_and_b32 s9, s6, 30
	s_add_u32 s6, s22, 0xffffffec
	s_addc_u32 s7, s23, -1
	v_mov_b32_e32 v36, 0
	v_mov_b32_e32 v1, v16
	;; [unrolled: 1-line block ×4, first 2 shown]
.LBB204_1619:                           ; =>This Inner Loop Header: Depth=1
	s_mov_b64 s[10:11], s[6:7]
	s_load_dwordx4 s[12:15], s[10:11], 0x18
	s_load_dwordx2 s[20:21], s[10:11], 0x28
	s_load_dwordx2 s[24:25], s[10:11], 0xe8
	s_load_dwordx4 s[16:19], s[10:11], 0xd8
	s_add_u32 s6, s10, 24
	s_waitcnt lgkmcnt(0)
	v_mul_hi_u32 v3, s13, v1
	v_add_u32_e32 v3, v1, v3
	v_lshrrev_b32_e32 v3, s14, v3
	v_mul_lo_u32 v5, v3, s12
	v_mul_hi_u32 v7, s20, v3
	v_sub_u32_e32 v1, v1, v5
	v_add_u32_e32 v5, v3, v7
	v_mul_lo_u32 v7, v1, s16
	v_mul_lo_u32 v9, v1, s17
	;; [unrolled: 1-line block ×3, first 2 shown]
	v_lshrrev_b32_e32 v1, s21, v5
	v_mul_lo_u32 v5, v1, s15
	v_sub_u32_e32 v3, v3, v5
	s_addc_u32 s7, s11, 0
	s_add_i32 s9, s9, -2
	v_mul_lo_u32 v5, v3, s19
	v_mul_lo_u32 v13, v3, s24
	v_mul_lo_u32 v3, v3, s25
	s_cmp_lg_u32 s9, 0
	v_add3_u32 v36, v7, v36, v5
	v_add3_u32 v2, v11, v2, v3
	;; [unrolled: 1-line block ×3, first 2 shown]
	s_cbranch_scc1 .LBB204_1619
; %bb.1620:
	s_bitcmp1_b32 s8, 0
	s_cselect_b64 s[8:9], -1, 0
	s_and_b64 vcc, exec, s[8:9]
	s_cbranch_vccnz .LBB204_1623
; %bb.1621:
	s_load_dwordx2 s[8:9], s[6:7], 0x18
	s_load_dword s12, s[6:7], 0x20
	s_load_dword s13, s[6:7], 0xe0
	s_load_dwordx2 s[10:11], s[6:7], 0xd8
	s_waitcnt lgkmcnt(0)
	v_mul_hi_u32 v3, s9, v1
	v_add_u32_e32 v3, v1, v3
	v_lshrrev_b32_e32 v3, s12, v3
	v_mul_lo_u32 v3, v3, s8
	v_sub_u32_e32 v1, v1, v3
	v_mad_u64_u32 v[36:37], s[6:7], v1, s10, v[36:37]
	v_mad_u64_u32 v[4:5], s[6:7], v1, s11, v[4:5]
	;; [unrolled: 1-line block ×3, first 2 shown]
	s_cbranch_execz .LBB204_1624
	s_branch .LBB204_1626
.LBB204_1622:
                                        ; implicit-def: $vgpr2
                                        ; implicit-def: $vgpr4
                                        ; implicit-def: $vgpr36
	s_branch .LBB204_1624
.LBB204_1623:
	s_cbranch_execnz .LBB204_1626
.LBB204_1624:
	s_load_dwordx4 s[8:11], s[22:23], 0x4
	s_load_dwordx4 s[12:15], s[22:23], 0xc4
	s_cmp_lt_u32 s33, 2
	s_waitcnt lgkmcnt(0)
	v_mul_hi_u32 v1, s9, v16
	v_add_u32_e32 v1, v16, v1
	v_lshrrev_b32_e32 v1, s10, v1
	v_mul_lo_u32 v2, v1, s8
	v_sub_u32_e32 v3, v16, v2
	v_mul_lo_u32 v36, v3, s12
	v_mul_lo_u32 v2, v3, s14
	;; [unrolled: 1-line block ×3, first 2 shown]
	s_cbranch_scc1 .LBB204_1626
; %bb.1625:
	s_load_dwordx4 s[8:11], s[22:23], 0x10
	s_load_dwordx4 s[12:15], s[22:23], 0xd0
	s_waitcnt lgkmcnt(0)
	v_mul_hi_u32 v3, s9, v1
	v_add_u32_e32 v3, v1, v3
	v_lshrrev_b32_e32 v3, s10, v3
	v_mul_lo_u32 v3, v3, s8
	v_sub_u32_e32 v1, v1, v3
	v_mad_u64_u32 v[36:37], s[6:7], v1, s12, v[36:37]
	v_mad_u64_u32 v[4:5], s[6:7], v1, s13, v[4:5]
	;; [unrolled: 1-line block ×3, first 2 shown]
.LBB204_1626:
	s_load_dword s18, s[4:5], 0x1a8
	s_load_dwordx4 s[24:27], s[22:23], 0x188
	s_waitcnt lgkmcnt(0)
	s_lshr_b32 s19, s18, 16
	v_mov_b32_e32 v1, s27
	v_add_co_u32_e32 v16, vcc, s26, v0
	v_mov_b32_e32 v0, 11
	v_addc_co_u32_e32 v17, vcc, 0, v1, vcc
	v_cmp_lt_i16_sdwa s[4:5], s19, v0 src0_sel:BYTE_0 src1_sel:DWORD
	s_and_b64 vcc, exec, s[4:5]
	s_cbranch_vccnz .LBB204_1633
; %bb.1627:
	v_mov_b32_e32 v0, 25
	v_cmp_gt_i16_sdwa s[4:5], s19, v0 src0_sel:BYTE_0 src1_sel:DWORD
	s_mov_b64 s[6:7], 0
	s_and_b64 vcc, exec, s[4:5]
	s_cbranch_vccz .LBB204_1635
; %bb.1628:
	v_mov_b32_e32 v0, 28
	v_cmp_gt_i16_sdwa s[4:5], s19, v0 src0_sel:BYTE_0 src1_sel:DWORD
	s_and_b64 vcc, exec, s[4:5]
	s_cbranch_vccz .LBB204_1636
; %bb.1629:
	v_mov_b32_e32 v0, 43
	v_cmp_gt_i16_sdwa s[4:5], s19, v0 src0_sel:BYTE_0 src1_sel:DWORD
	;; [unrolled: 5-line block ×3, first 2 shown]
	s_and_b64 vcc, exec, s[4:5]
	s_cbranch_vccz .LBB204_1638
; %bb.1631:
	v_mov_b32_e32 v0, 46
	v_cmp_eq_u16_sdwa s[4:5], s19, v0 src0_sel:BYTE_0 src1_sel:DWORD
	s_mov_b64 s[10:11], 0
	s_and_b64 vcc, exec, s[4:5]
	s_cbranch_vccz .LBB204_1641
; %bb.1632:
	global_load_dword v0, v[16:17], off
	s_mov_b64 s[4:5], 0
	s_mov_b64 s[8:9], -1
	s_waitcnt vmcnt(0)
	v_lshlrev_b32_e32 v0, 16, v0
	v_cvt_f16_f32_e32 v0, v0
	s_branch .LBB204_1642
.LBB204_1633:
	s_mov_b64 s[8:9], 0
                                        ; implicit-def: $vgpr0
	s_mov_b64 s[34:35], s[36:37]
	s_cbranch_execnz .LBB204_1705
.LBB204_1634:
	s_andn2_b64 vcc, exec, s[8:9]
	s_cbranch_vccz .LBB204_1750
	s_branch .LBB204_3113
.LBB204_1635:
	s_mov_b64 s[8:9], 0
	s_mov_b64 s[4:5], 0
                                        ; implicit-def: $vgpr0
	s_cbranch_execnz .LBB204_1670
	s_branch .LBB204_1701
.LBB204_1636:
	s_mov_b64 s[10:11], -1
	s_mov_b64 s[8:9], 0
	s_mov_b64 s[4:5], 0
                                        ; implicit-def: $vgpr0
	s_branch .LBB204_1651
.LBB204_1637:
	s_mov_b64 s[8:9], 0
	s_mov_b64 s[4:5], 0
                                        ; implicit-def: $vgpr0
	s_cbranch_execnz .LBB204_1647
	s_branch .LBB204_1650
.LBB204_1638:
	s_mov_b64 s[10:11], -1
	s_mov_b64 s[8:9], 0
	s_mov_b64 s[4:5], 0
                                        ; implicit-def: $vgpr0
	s_branch .LBB204_1642
.LBB204_1639:
	s_or_saveexec_b64 s[12:13], s[12:13]
                                        ; implicit-def: $sgpr14
	s_xor_b64 exec, exec, s[12:13]
	s_cbranch_execz .LBB204_1498
.LBB204_1640:
	s_mov_b32 s14, 0x46000000
	v_add_f32_e64 v1, |v0|, s14
	v_and_b32_e32 v1, 0xff, v1
	v_cmp_ne_u32_e32 vcc, 0, v1
	s_andn2_b64 s[10:11], s[10:11], exec
	s_and_b64 s[16:17], vcc, exec
	s_mov_b32 s14, 0
	s_or_b64 s[10:11], s[10:11], s[16:17]
	s_or_b64 exec, exec, s[12:13]
	v_mov_b32_e32 v6, s14
	s_and_saveexec_b64 s[12:13], s[10:11]
	s_cbranch_execnz .LBB204_1499
	s_branch .LBB204_1500
.LBB204_1641:
	s_mov_b64 s[4:5], -1
                                        ; implicit-def: $vgpr0
	s_mov_b64 s[8:9], 0
.LBB204_1642:
	s_and_b64 vcc, exec, s[10:11]
	s_cbranch_vccz .LBB204_1645
; %bb.1643:
	v_mov_b32_e32 v0, 44
	v_cmp_eq_u16_sdwa s[4:5], s19, v0 src0_sel:BYTE_0 src1_sel:DWORD
	s_and_b64 vcc, exec, s[4:5]
	s_cbranch_vccz .LBB204_1646
; %bb.1644:
	global_load_ubyte v0, v[16:17], off
	s_movk_i32 s8, 0xff
	v_mov_b32_e32 v3, 0x7e00
	s_mov_b64 s[4:5], 0
	s_waitcnt vmcnt(0)
	v_lshlrev_b32_e32 v1, 23, v0
	v_cvt_f16_f32_e32 v1, v1
	v_cmp_ne_u32_e32 vcc, s8, v0
	s_mov_b64 s[8:9], -1
	v_cndmask_b32_e32 v1, v3, v1, vcc
	v_cmp_ne_u32_e32 vcc, 0, v0
	v_cndmask_b32_e32 v0, 0, v1, vcc
.LBB204_1645:
	s_branch .LBB204_1650
.LBB204_1646:
	s_mov_b64 s[4:5], -1
                                        ; implicit-def: $vgpr0
	s_branch .LBB204_1650
.LBB204_1647:
	v_mov_b32_e32 v0, 29
	v_cmp_eq_u16_sdwa s[4:5], s19, v0 src0_sel:BYTE_0 src1_sel:DWORD
	s_and_b64 vcc, exec, s[4:5]
	s_cbranch_vccz .LBB204_1649
; %bb.1648:
	global_load_dwordx2 v[0:1], v[16:17], off
	s_mov_b64 s[4:5], 0
	s_mov_b64 s[8:9], -1
	s_mov_b64 s[10:11], 0
	s_waitcnt vmcnt(0)
	v_ffbh_u32_e32 v3, v1
	v_min_u32_e32 v3, 32, v3
	v_lshlrev_b64 v[0:1], v3, v[0:1]
	v_min_u32_e32 v0, 1, v0
	v_or_b32_e32 v0, v1, v0
	v_cvt_f32_u32_e32 v0, v0
	v_sub_u32_e32 v1, 32, v3
	v_ldexp_f32 v0, v0, v1
	v_cvt_f16_f32_e32 v0, v0
	s_branch .LBB204_1651
.LBB204_1649:
	s_mov_b64 s[4:5], -1
                                        ; implicit-def: $vgpr0
.LBB204_1650:
	s_mov_b64 s[10:11], 0
.LBB204_1651:
	s_and_b64 vcc, exec, s[10:11]
	s_cbranch_vccz .LBB204_1669
; %bb.1652:
	v_mov_b32_e32 v0, 27
	v_cmp_lt_i16_sdwa s[8:9], s19, v0 src0_sel:BYTE_0 src1_sel:DWORD
	s_and_b64 vcc, exec, s[8:9]
	s_cbranch_vccnz .LBB204_1655
; %bb.1653:
	v_cmp_gt_i16_sdwa s[8:9], s19, v0 src0_sel:BYTE_0 src1_sel:DWORD
	s_and_b64 vcc, exec, s[8:9]
	s_cbranch_vccz .LBB204_1656
; %bb.1654:
	global_load_dword v0, v[16:17], off
	s_mov_b64 s[8:9], 0
	s_waitcnt vmcnt(0)
	v_cvt_f32_u32_e32 v0, v0
	v_cvt_f16_f32_e32 v0, v0
	s_branch .LBB204_1657
.LBB204_1655:
	s_mov_b64 s[8:9], -1
                                        ; implicit-def: $vgpr0
	s_branch .LBB204_1660
.LBB204_1656:
	s_mov_b64 s[8:9], -1
                                        ; implicit-def: $vgpr0
.LBB204_1657:
	s_andn2_b64 vcc, exec, s[8:9]
	s_cbranch_vccnz .LBB204_1659
; %bb.1658:
	global_load_ushort v0, v[16:17], off
	s_waitcnt vmcnt(0)
	v_cvt_f16_u16_e32 v0, v0
.LBB204_1659:
	s_mov_b64 s[8:9], 0
.LBB204_1660:
	s_andn2_b64 vcc, exec, s[8:9]
	s_cbranch_vccnz .LBB204_1668
; %bb.1661:
	global_load_ubyte v1, v[16:17], off
	s_movk_i32 s8, 0x7f
                                        ; implicit-def: $sgpr14
	s_waitcnt vmcnt(0)
	v_cmp_lt_i16_e32 vcc, s8, v1
	s_mov_b64 s[8:9], 0
	s_and_saveexec_b64 s[10:11], vcc
	s_xor_b64 s[10:11], exec, s[10:11]
	s_cbranch_execz .LBB204_1681
; %bb.1662:
	s_movk_i32 s8, 0x80
	v_cmp_eq_u16_e32 vcc, s8, v1
	s_mov_b64 s[8:9], -1
                                        ; implicit-def: $sgpr14
	s_and_saveexec_b64 s[12:13], vcc
; %bb.1663:
	s_movk_i32 s14, 0x7e00
	s_xor_b64 s[8:9], exec, -1
; %bb.1664:
	s_or_b64 exec, exec, s[12:13]
	s_and_b64 s[8:9], s[8:9], exec
	s_or_saveexec_b64 s[10:11], s[10:11]
	v_mov_b32_e32 v0, s14
	s_xor_b64 exec, exec, s[10:11]
	s_cbranch_execnz .LBB204_1682
.LBB204_1665:
	s_or_b64 exec, exec, s[10:11]
	s_and_saveexec_b64 s[10:11], s[8:9]
	s_cbranch_execz .LBB204_1667
.LBB204_1666:
	v_lshlrev_b32_e32 v0, 24, v1
	v_and_b32_e32 v1, 0xffff, v1
	v_and_b32_e32 v3, 7, v1
	v_ffbh_u32_e32 v7, v3
	v_min_u32_e32 v7, 32, v7
	v_subrev_u32_e32 v9, 28, v7
	v_bfe_u32 v5, v1, 3, 4
	v_lshlrev_b32_e32 v1, v9, v1
	v_sub_u32_e32 v7, 29, v7
	v_and_b32_e32 v1, 7, v1
	v_cmp_eq_u32_e32 vcc, 0, v5
	v_cndmask_b32_e32 v5, v5, v7, vcc
	v_cndmask_b32_e32 v1, v3, v1, vcc
	v_mov_b32_e32 v3, 0x3b800000
	v_lshlrev_b32_e32 v1, 20, v1
	v_and_b32_e32 v0, 0x80000000, v0
	v_lshl_add_u32 v3, v5, 23, v3
	v_or3_b32 v0, v0, v3, v1
	v_cvt_f16_f32_e32 v0, v0
.LBB204_1667:
	s_or_b64 exec, exec, s[10:11]
.LBB204_1668:
	s_mov_b64 s[8:9], -1
.LBB204_1669:
	s_branch .LBB204_1701
.LBB204_1670:
	v_mov_b32_e32 v0, 22
	v_cmp_gt_i16_sdwa s[6:7], s19, v0 src0_sel:BYTE_0 src1_sel:DWORD
	s_and_b64 vcc, exec, s[6:7]
	s_cbranch_vccz .LBB204_1680
; %bb.1671:
	v_mov_b32_e32 v0, 24
	v_cmp_lt_i16_sdwa s[6:7], s19, v0 src0_sel:BYTE_0 src1_sel:DWORD
	s_and_b64 vcc, exec, s[6:7]
	s_cbranch_vccnz .LBB204_1683
; %bb.1672:
	v_cmp_gt_i16_sdwa s[6:7], s19, v0 src0_sel:BYTE_0 src1_sel:DWORD
	s_and_b64 vcc, exec, s[6:7]
	s_cbranch_vccz .LBB204_1684
; %bb.1673:
	global_load_ubyte v1, v[16:17], off
	s_movk_i32 s6, 0x7f
                                        ; implicit-def: $sgpr12
	s_waitcnt vmcnt(0)
	v_cmp_lt_i16_e32 vcc, s6, v1
	s_mov_b64 s[6:7], 0
	s_and_saveexec_b64 s[8:9], vcc
	s_xor_b64 s[8:9], exec, s[8:9]
	s_cbranch_execz .LBB204_1695
; %bb.1674:
	s_movk_i32 s6, 0x80
	v_cmp_eq_u16_e32 vcc, s6, v1
	s_mov_b64 s[6:7], -1
                                        ; implicit-def: $sgpr12
	s_and_saveexec_b64 s[10:11], vcc
; %bb.1675:
	s_movk_i32 s12, 0x7e00
	s_xor_b64 s[6:7], exec, -1
; %bb.1676:
	s_or_b64 exec, exec, s[10:11]
	s_and_b64 s[6:7], s[6:7], exec
	s_or_saveexec_b64 s[8:9], s[8:9]
	v_mov_b32_e32 v0, s12
	s_xor_b64 exec, exec, s[8:9]
	s_cbranch_execnz .LBB204_1696
.LBB204_1677:
	s_or_b64 exec, exec, s[8:9]
	s_and_saveexec_b64 s[8:9], s[6:7]
	s_cbranch_execz .LBB204_1679
.LBB204_1678:
	v_lshlrev_b32_e32 v0, 24, v1
	v_and_b32_e32 v1, 0xffff, v1
	v_and_b32_e32 v3, 3, v1
	v_ffbh_u32_e32 v7, v3
	v_min_u32_e32 v7, 32, v7
	v_subrev_u32_e32 v9, 29, v7
	v_bfe_u32 v5, v1, 2, 5
	v_lshlrev_b32_e32 v1, v9, v1
	v_sub_u32_e32 v7, 30, v7
	v_and_b32_e32 v1, 3, v1
	v_cmp_eq_u32_e32 vcc, 0, v5
	v_cndmask_b32_e32 v5, v5, v7, vcc
	v_cndmask_b32_e32 v1, v3, v1, vcc
	v_mov_b32_e32 v3, 0x37800000
	v_lshlrev_b32_e32 v1, 21, v1
	v_and_b32_e32 v0, 0x80000000, v0
	v_lshl_add_u32 v3, v5, 23, v3
	v_or3_b32 v0, v0, v3, v1
	v_cvt_f16_f32_e32 v0, v0
.LBB204_1679:
	s_or_b64 exec, exec, s[8:9]
	s_mov_b64 s[6:7], 0
	s_branch .LBB204_1685
.LBB204_1680:
                                        ; implicit-def: $vgpr0
	s_mov_b64 s[6:7], 0
	s_branch .LBB204_1691
.LBB204_1681:
	s_or_saveexec_b64 s[10:11], s[10:11]
	v_mov_b32_e32 v0, s14
	s_xor_b64 exec, exec, s[10:11]
	s_cbranch_execz .LBB204_1665
.LBB204_1682:
	v_cmp_ne_u16_e32 vcc, 0, v1
	s_andn2_b64 s[8:9], s[8:9], exec
	s_and_b64 s[12:13], vcc, exec
	s_or_b64 s[8:9], s[8:9], s[12:13]
	v_mov_b32_e32 v0, v1
	s_or_b64 exec, exec, s[10:11]
	s_and_saveexec_b64 s[10:11], s[8:9]
	s_cbranch_execnz .LBB204_1666
	s_branch .LBB204_1667
.LBB204_1683:
	s_mov_b64 s[6:7], -1
                                        ; implicit-def: $vgpr0
	s_branch .LBB204_1688
.LBB204_1684:
	s_mov_b64 s[6:7], -1
                                        ; implicit-def: $vgpr0
.LBB204_1685:
	s_and_b64 vcc, exec, s[6:7]
	s_cbranch_vccz .LBB204_1687
; %bb.1686:
	global_load_ubyte v0, v[16:17], off
	s_mov_b32 s6, 0x7f800000
	s_waitcnt vmcnt(0)
	v_lshlrev_b32_e32 v0, 24, v0
	v_and_b32_e32 v1, 0x7f000000, v0
	v_ffbh_u32_e32 v3, v1
	v_min_u32_e32 v3, 32, v3
	v_sub_u32_e64 v3, v3, 4 clamp
	v_lshlrev_b32_e32 v7, v3, v1
	v_lshlrev_b32_e32 v3, 23, v3
	v_lshrrev_b32_e32 v7, 4, v7
	v_add_u32_e32 v5, 0x1000000, v1
	v_sub_u32_e32 v3, v7, v3
	v_ashrrev_i32_e32 v5, 8, v5
	v_add_u32_e32 v3, 0x3c000000, v3
	v_and_or_b32 v3, v5, s6, v3
	v_cmp_ne_u32_e32 vcc, 0, v1
	v_cndmask_b32_e32 v1, 0, v3, vcc
	s_brev_b32 s6, 1
	v_and_or_b32 v0, v0, s6, v1
	v_cvt_f16_f32_e32 v0, v0
.LBB204_1687:
	s_mov_b64 s[6:7], 0
.LBB204_1688:
	s_andn2_b64 vcc, exec, s[6:7]
	s_cbranch_vccnz .LBB204_1690
; %bb.1689:
	global_load_ubyte v0, v[16:17], off
	s_movk_i32 s6, 0x7f00
	s_brev_b32 s7, 16
	s_waitcnt vmcnt(0)
	v_lshlrev_b16_e32 v1, 8, v0
	v_lshlrev_b32_e32 v0, 25, v0
	v_lshrrev_b32_e32 v3, 4, v0
	v_and_or_b32 v5, v1, s6, 0.5
	v_or_b32_e32 v3, 0x70000000, v3
	v_add_f32_e32 v5, -0.5, v5
	v_mul_f32_e32 v3, 0x7800000, v3
	v_cmp_gt_u32_e32 vcc, s7, v0
	v_bfe_i32 v1, v1, 0, 16
	v_cndmask_b32_e32 v0, v3, v5, vcc
	s_brev_b32 s6, 1
	v_and_or_b32 v0, v1, s6, v0
	v_cvt_f16_f32_e32 v0, v0
.LBB204_1690:
	s_mov_b64 s[8:9], -1
	s_mov_b64 s[6:7], 0
	s_cbranch_execnz .LBB204_1701
.LBB204_1691:
	v_mov_b32_e32 v0, 14
	v_cmp_gt_i16_sdwa s[6:7], s19, v0 src0_sel:BYTE_0 src1_sel:DWORD
	s_and_b64 vcc, exec, s[6:7]
	s_cbranch_vccz .LBB204_1694
; %bb.1692:
	v_mov_b32_e32 v0, 15
	v_cmp_eq_u16_sdwa s[4:5], s19, v0 src0_sel:BYTE_0 src1_sel:DWORD
	s_and_b64 vcc, exec, s[4:5]
	s_cbranch_vccz .LBB204_1697
; %bb.1693:
	global_load_ushort v0, v[16:17], off
	s_mov_b64 s[4:5], 0
	s_mov_b64 s[8:9], -1
	s_waitcnt vmcnt(0)
	v_lshlrev_b32_e32 v0, 16, v0
	v_cvt_f16_f32_e32 v0, v0
	s_branch .LBB204_1698
.LBB204_1694:
	s_mov_b64 s[10:11], -1
                                        ; implicit-def: $vgpr0
	s_branch .LBB204_1699
.LBB204_1695:
	s_or_saveexec_b64 s[8:9], s[8:9]
	v_mov_b32_e32 v0, s12
	s_xor_b64 exec, exec, s[8:9]
	s_cbranch_execz .LBB204_1677
.LBB204_1696:
	v_cmp_ne_u16_e32 vcc, 0, v1
	s_andn2_b64 s[6:7], s[6:7], exec
	s_and_b64 s[10:11], vcc, exec
	s_or_b64 s[6:7], s[6:7], s[10:11]
	v_mov_b32_e32 v0, v1
	s_or_b64 exec, exec, s[8:9]
	s_and_saveexec_b64 s[8:9], s[6:7]
	s_cbranch_execnz .LBB204_1678
	s_branch .LBB204_1679
.LBB204_1697:
	s_mov_b64 s[4:5], -1
                                        ; implicit-def: $vgpr0
.LBB204_1698:
	s_mov_b64 s[10:11], 0
.LBB204_1699:
	s_mov_b64 s[6:7], 0
	s_and_b64 vcc, exec, s[10:11]
	s_cbranch_vccz .LBB204_1701
; %bb.1700:
	v_mov_b32_e32 v0, 11
	v_cmp_ne_u16_sdwa s[4:5], s19, v0 src0_sel:BYTE_0 src1_sel:DWORD
	s_mov_b64 s[6:7], -1
                                        ; implicit-def: $vgpr0
.LBB204_1701:
	s_and_b64 vcc, exec, s[4:5]
	s_mov_b64 s[34:35], s[36:37]
	s_cbranch_vccnz .LBB204_1762
; %bb.1702:
	s_andn2_b64 vcc, exec, s[6:7]
	s_cbranch_vccnz .LBB204_1704
.LBB204_1703:
	global_load_ubyte v0, v[16:17], off
	v_mov_b32_e32 v1, 0x3c00
	s_mov_b64 s[8:9], -1
	s_waitcnt vmcnt(0)
	v_cmp_ne_u16_e32 vcc, 0, v0
	v_cndmask_b32_e32 v0, 0, v1, vcc
.LBB204_1704:
	s_branch .LBB204_1634
.LBB204_1705:
	v_mov_b32_e32 v0, 5
	v_cmp_lt_i16_sdwa s[4:5], s19, v0 src0_sel:BYTE_0 src1_sel:DWORD
	s_and_b64 vcc, exec, s[4:5]
	s_cbranch_vccnz .LBB204_1710
; %bb.1706:
	v_mov_b32_e32 v0, 8
	v_cmp_lt_i16_sdwa s[4:5], s19, v0 src0_sel:BYTE_0 src1_sel:DWORD
	s_and_b64 vcc, exec, s[4:5]
	s_cbranch_vccnz .LBB204_1711
; %bb.1707:
	;; [unrolled: 5-line block ×3, first 2 shown]
	v_cmp_gt_i16_sdwa s[4:5], s19, v0 src0_sel:BYTE_0 src1_sel:DWORD
	s_and_b64 vcc, exec, s[4:5]
	s_cbranch_vccz .LBB204_1713
; %bb.1709:
	global_load_dwordx2 v[0:1], v[16:17], off
	s_mov_b64 s[4:5], 0
	s_waitcnt vmcnt(0)
	v_cvt_f32_f64_e32 v0, v[0:1]
	v_cvt_f16_f32_e32 v0, v0
	s_branch .LBB204_1714
.LBB204_1710:
                                        ; implicit-def: $vgpr0
	s_branch .LBB204_1731
.LBB204_1711:
                                        ; implicit-def: $vgpr0
	s_branch .LBB204_1720
.LBB204_1712:
	s_mov_b64 s[4:5], -1
                                        ; implicit-def: $vgpr0
	s_branch .LBB204_1717
.LBB204_1713:
	s_mov_b64 s[4:5], -1
                                        ; implicit-def: $vgpr0
.LBB204_1714:
	s_andn2_b64 vcc, exec, s[4:5]
	s_cbranch_vccnz .LBB204_1716
; %bb.1715:
	global_load_dword v0, v[16:17], off
	s_waitcnt vmcnt(0)
	v_cvt_f16_f32_e32 v0, v0
.LBB204_1716:
	s_mov_b64 s[4:5], 0
.LBB204_1717:
	s_andn2_b64 vcc, exec, s[4:5]
	s_cbranch_vccnz .LBB204_1719
; %bb.1718:
	global_load_dword v0, v[16:17], off
.LBB204_1719:
	s_cbranch_execnz .LBB204_1730
.LBB204_1720:
	s_waitcnt vmcnt(0)
	v_mov_b32_e32 v0, 6
	v_cmp_lt_i16_sdwa s[4:5], s19, v0 src0_sel:BYTE_0 src1_sel:DWORD
	s_and_b64 vcc, exec, s[4:5]
	s_cbranch_vccnz .LBB204_1723
; %bb.1721:
	v_cmp_gt_i16_sdwa s[4:5], s19, v0 src0_sel:BYTE_0 src1_sel:DWORD
	s_and_b64 vcc, exec, s[4:5]
	s_cbranch_vccz .LBB204_1724
; %bb.1722:
	global_load_dwordx2 v[0:1], v[16:17], off
	s_mov_b64 s[4:5], 0
	s_waitcnt vmcnt(0)
	v_cvt_f32_f64_e32 v0, v[0:1]
	v_cvt_f16_f32_e32 v0, v0
	s_branch .LBB204_1725
.LBB204_1723:
	s_mov_b64 s[4:5], -1
                                        ; implicit-def: $vgpr0
	s_branch .LBB204_1728
.LBB204_1724:
	s_mov_b64 s[4:5], -1
                                        ; implicit-def: $vgpr0
.LBB204_1725:
	s_andn2_b64 vcc, exec, s[4:5]
	s_cbranch_vccnz .LBB204_1727
; %bb.1726:
	global_load_dword v0, v[16:17], off
	s_waitcnt vmcnt(0)
	v_cvt_f16_f32_e32 v0, v0
.LBB204_1727:
	s_mov_b64 s[4:5], 0
.LBB204_1728:
	s_andn2_b64 vcc, exec, s[4:5]
	s_cbranch_vccnz .LBB204_1730
; %bb.1729:
	global_load_ushort v0, v[16:17], off
.LBB204_1730:
	s_cbranch_execnz .LBB204_1749
.LBB204_1731:
	s_waitcnt vmcnt(0)
	v_mov_b32_e32 v0, 2
	v_cmp_lt_i16_sdwa s[4:5], s19, v0 src0_sel:BYTE_0 src1_sel:DWORD
	s_and_b64 vcc, exec, s[4:5]
	s_cbranch_vccnz .LBB204_1735
; %bb.1732:
	v_mov_b32_e32 v0, 3
	v_cmp_lt_i16_sdwa s[4:5], s19, v0 src0_sel:BYTE_0 src1_sel:DWORD
	s_and_b64 vcc, exec, s[4:5]
	s_cbranch_vccnz .LBB204_1736
; %bb.1733:
	v_cmp_gt_i16_sdwa s[4:5], s19, v0 src0_sel:BYTE_0 src1_sel:DWORD
	s_and_b64 vcc, exec, s[4:5]
	s_cbranch_vccz .LBB204_1737
; %bb.1734:
	global_load_dwordx2 v[0:1], v[16:17], off
	s_mov_b64 s[4:5], 0
	s_waitcnt vmcnt(0)
	v_xor_b32_e32 v5, v0, v1
	v_ffbh_i32_e32 v3, v1
	v_ashrrev_i32_e32 v5, 31, v5
	v_add_u32_e32 v3, -1, v3
	v_add_u32_e32 v5, 32, v5
	v_min_u32_e32 v3, v3, v5
	v_lshlrev_b64 v[0:1], v3, v[0:1]
	v_min_u32_e32 v0, 1, v0
	v_or_b32_e32 v0, v1, v0
	v_cvt_f32_i32_e32 v0, v0
	v_sub_u32_e32 v1, 32, v3
	v_ldexp_f32 v0, v0, v1
	v_cvt_f16_f32_e32 v0, v0
	s_branch .LBB204_1738
.LBB204_1735:
                                        ; implicit-def: $vgpr0
	s_branch .LBB204_1744
.LBB204_1736:
	s_mov_b64 s[4:5], -1
                                        ; implicit-def: $vgpr0
	s_branch .LBB204_1741
.LBB204_1737:
	s_mov_b64 s[4:5], -1
                                        ; implicit-def: $vgpr0
.LBB204_1738:
	s_andn2_b64 vcc, exec, s[4:5]
	s_cbranch_vccnz .LBB204_1740
; %bb.1739:
	global_load_dword v0, v[16:17], off
	s_waitcnt vmcnt(0)
	v_cvt_f32_i32_e32 v0, v0
	v_cvt_f16_f32_e32 v0, v0
.LBB204_1740:
	s_mov_b64 s[4:5], 0
.LBB204_1741:
	s_andn2_b64 vcc, exec, s[4:5]
	s_cbranch_vccnz .LBB204_1743
; %bb.1742:
	global_load_ushort v0, v[16:17], off
	s_waitcnt vmcnt(0)
	v_cvt_f16_i16_e32 v0, v0
.LBB204_1743:
	s_cbranch_execnz .LBB204_1749
.LBB204_1744:
	v_mov_b32_e32 v0, 0
	v_cmp_gt_i16_sdwa s[4:5], s19, v0 src0_sel:BYTE_0 src1_sel:DWORD
	s_and_b64 vcc, exec, s[4:5]
	s_cbranch_vccz .LBB204_1746
; %bb.1745:
	global_load_sbyte v0, v[16:17], off
	s_mov_b64 s[4:5], 0
	s_waitcnt vmcnt(0)
	v_cvt_f16_i16_e32 v0, v0
	s_branch .LBB204_1747
.LBB204_1746:
	s_mov_b64 s[4:5], -1
                                        ; implicit-def: $vgpr0
.LBB204_1747:
	s_andn2_b64 vcc, exec, s[4:5]
	s_cbranch_vccnz .LBB204_1749
; %bb.1748:
	global_load_ubyte v0, v[16:17], off
	s_waitcnt vmcnt(0)
	v_cvt_f16_u16_e32 v0, v0
.LBB204_1749:
.LBB204_1750:
	s_load_dwordx2 s[4:5], s[22:23], 0x198
	s_lshr_b32 s20, s18, 24
	v_cmp_lt_i16_e64 s[6:7], s20, 11
	s_waitcnt lgkmcnt(0)
	v_mov_b32_e32 v1, s5
	v_add_co_u32_e32 v14, vcc, s4, v14
	v_addc_co_u32_e32 v15, vcc, 0, v1, vcc
	s_and_b64 vcc, exec, s[6:7]
	s_cbranch_vccnz .LBB204_1757
; %bb.1751:
	v_cmp_gt_i16_e64 s[8:9], s20, 25
	s_mov_b64 s[10:11], 0
	s_and_b64 vcc, exec, s[8:9]
	s_cbranch_vccz .LBB204_1759
; %bb.1752:
	v_cmp_gt_i16_e64 s[8:9], s20, 28
	s_and_b64 vcc, exec, s[8:9]
	s_cbranch_vccz .LBB204_1760
; %bb.1753:
	v_cmp_gt_i16_e64 s[8:9], s20, 43
	;; [unrolled: 4-line block ×3, first 2 shown]
	s_and_b64 vcc, exec, s[8:9]
	s_cbranch_vccz .LBB204_1763
; %bb.1755:
	v_cmp_eq_u16_e64 s[8:9], s20, 46
	s_mov_b64 s[14:15], 0
	s_and_b64 vcc, exec, s[8:9]
	s_cbranch_vccz .LBB204_1766
; %bb.1756:
	global_load_dword v1, v[14:15], off
	s_mov_b64 s[8:9], 0
	s_mov_b64 s[12:13], -1
	s_waitcnt vmcnt(0)
	v_lshlrev_b32_e32 v1, 16, v1
	v_cvt_f16_f32_e32 v1, v1
	s_branch .LBB204_1767
.LBB204_1757:
	s_mov_b64 s[12:13], 0
                                        ; implicit-def: $vgpr1
	s_cbranch_execnz .LBB204_1832
.LBB204_1758:
	s_andn2_b64 vcc, exec, s[12:13]
	s_cbranch_vccnz .LBB204_3113
	s_branch .LBB204_1879
.LBB204_1759:
	s_mov_b64 s[12:13], 0
	s_mov_b64 s[8:9], 0
                                        ; implicit-def: $vgpr1
	s_cbranch_execnz .LBB204_1796
	s_branch .LBB204_1828
.LBB204_1760:
	s_mov_b64 s[14:15], -1
	s_mov_b64 s[12:13], 0
	s_mov_b64 s[8:9], 0
                                        ; implicit-def: $vgpr1
	s_branch .LBB204_1777
.LBB204_1761:
	s_mov_b64 s[14:15], -1
	s_mov_b64 s[12:13], 0
	s_mov_b64 s[8:9], 0
                                        ; implicit-def: $vgpr1
	s_branch .LBB204_1772
.LBB204_1762:
	s_or_b64 s[34:35], s[36:37], exec
	s_trap 2
                                        ; implicit-def: $vgpr0
	s_cbranch_execz .LBB204_1703
	s_branch .LBB204_1704
.LBB204_1763:
	s_mov_b64 s[14:15], -1
	s_mov_b64 s[12:13], 0
	s_mov_b64 s[8:9], 0
                                        ; implicit-def: $vgpr1
	s_branch .LBB204_1767
.LBB204_1764:
	s_or_saveexec_b64 s[14:15], s[14:15]
                                        ; implicit-def: $sgpr16
	s_xor_b64 exec, exec, s[14:15]
	s_cbranch_execz .LBB204_1510
.LBB204_1765:
	s_mov_b32 s16, 0x42800000
	v_add_f32_e64 v1, |v0|, s16
	v_and_b32_e32 v1, 0xff, v1
	v_cmp_ne_u32_e32 vcc, 0, v1
	s_andn2_b64 s[12:13], s[12:13], exec
	s_and_b64 s[18:19], vcc, exec
	s_mov_b32 s16, 0
	s_or_b64 s[12:13], s[12:13], s[18:19]
	s_or_b64 exec, exec, s[14:15]
	v_mov_b32_e32 v6, s16
	s_and_saveexec_b64 s[14:15], s[12:13]
	s_cbranch_execnz .LBB204_1511
	s_branch .LBB204_1512
.LBB204_1766:
	s_mov_b64 s[8:9], -1
                                        ; implicit-def: $vgpr1
	s_mov_b64 s[12:13], 0
.LBB204_1767:
	s_and_b64 vcc, exec, s[14:15]
	s_cbranch_vccz .LBB204_1771
; %bb.1768:
	v_cmp_eq_u16_e64 s[8:9], s20, 44
	s_and_b64 vcc, exec, s[8:9]
	s_cbranch_vccz .LBB204_1770
; %bb.1769:
	global_load_ubyte v1, v[14:15], off
	s_movk_i32 s12, 0xff
	v_mov_b32_e32 v5, 0x7e00
	s_mov_b64 s[8:9], 0
	s_waitcnt vmcnt(0)
	v_lshlrev_b32_e32 v3, 23, v1
	v_cvt_f16_f32_e32 v3, v3
	v_cmp_ne_u32_e32 vcc, s12, v1
	s_mov_b64 s[12:13], -1
	v_cndmask_b32_e32 v3, v5, v3, vcc
	v_cmp_ne_u32_e32 vcc, 0, v1
	v_cndmask_b32_e32 v1, 0, v3, vcc
	s_branch .LBB204_1771
.LBB204_1770:
	s_mov_b64 s[8:9], -1
                                        ; implicit-def: $vgpr1
.LBB204_1771:
	s_mov_b64 s[14:15], 0
.LBB204_1772:
	s_and_b64 vcc, exec, s[14:15]
	s_cbranch_vccz .LBB204_1776
; %bb.1773:
	v_cmp_eq_u16_e64 s[8:9], s20, 29
	s_and_b64 vcc, exec, s[8:9]
	s_cbranch_vccz .LBB204_1775
; %bb.1774:
	global_load_dwordx2 v[16:17], v[14:15], off
	s_mov_b64 s[8:9], 0
	s_mov_b64 s[12:13], -1
	s_mov_b64 s[14:15], 0
	s_waitcnt vmcnt(0)
	v_ffbh_u32_e32 v1, v17
	v_min_u32_e32 v1, 32, v1
	v_lshlrev_b64 v[16:17], v1, v[16:17]
	v_min_u32_e32 v3, 1, v16
	v_or_b32_e32 v3, v17, v3
	v_cvt_f32_u32_e32 v3, v3
	v_sub_u32_e32 v1, 32, v1
	v_ldexp_f32 v1, v3, v1
	v_cvt_f16_f32_e32 v1, v1
	s_branch .LBB204_1777
.LBB204_1775:
	s_mov_b64 s[8:9], -1
                                        ; implicit-def: $vgpr1
.LBB204_1776:
	s_mov_b64 s[14:15], 0
.LBB204_1777:
	s_and_b64 vcc, exec, s[14:15]
	s_cbranch_vccz .LBB204_1795
; %bb.1778:
	v_cmp_lt_i16_e64 s[12:13], s20, 27
	s_and_b64 vcc, exec, s[12:13]
	s_cbranch_vccnz .LBB204_1781
; %bb.1779:
	v_cmp_gt_i16_e64 s[12:13], s20, 27
	s_and_b64 vcc, exec, s[12:13]
	s_cbranch_vccz .LBB204_1782
; %bb.1780:
	global_load_dword v1, v[14:15], off
	s_mov_b64 s[12:13], 0
	s_waitcnt vmcnt(0)
	v_cvt_f32_u32_e32 v1, v1
	v_cvt_f16_f32_e32 v1, v1
	s_branch .LBB204_1783
.LBB204_1781:
	s_mov_b64 s[12:13], -1
                                        ; implicit-def: $vgpr1
	s_branch .LBB204_1786
.LBB204_1782:
	s_mov_b64 s[12:13], -1
                                        ; implicit-def: $vgpr1
.LBB204_1783:
	s_andn2_b64 vcc, exec, s[12:13]
	s_cbranch_vccnz .LBB204_1785
; %bb.1784:
	global_load_ushort v1, v[14:15], off
	s_waitcnt vmcnt(0)
	v_cvt_f16_u16_e32 v1, v1
.LBB204_1785:
	s_mov_b64 s[12:13], 0
.LBB204_1786:
	s_andn2_b64 vcc, exec, s[12:13]
	s_cbranch_vccnz .LBB204_1794
; %bb.1787:
	global_load_ubyte v3, v[14:15], off
	s_movk_i32 s12, 0x7f
                                        ; implicit-def: $sgpr21
	s_waitcnt vmcnt(0)
	v_cmp_lt_i16_e32 vcc, s12, v3
	s_mov_b64 s[12:13], 0
	s_and_saveexec_b64 s[14:15], vcc
	s_xor_b64 s[14:15], exec, s[14:15]
	s_cbranch_execz .LBB204_1807
; %bb.1788:
	s_movk_i32 s12, 0x80
	v_cmp_eq_u16_e32 vcc, s12, v3
	s_mov_b64 s[12:13], -1
                                        ; implicit-def: $sgpr21
	s_and_saveexec_b64 s[16:17], vcc
; %bb.1789:
	s_movk_i32 s21, 0x7e00
	s_xor_b64 s[12:13], exec, -1
; %bb.1790:
	s_or_b64 exec, exec, s[16:17]
	s_and_b64 s[12:13], s[12:13], exec
	s_or_saveexec_b64 s[14:15], s[14:15]
	v_mov_b32_e32 v1, s21
	s_xor_b64 exec, exec, s[14:15]
	s_cbranch_execnz .LBB204_1808
.LBB204_1791:
	s_or_b64 exec, exec, s[14:15]
	s_and_saveexec_b64 s[14:15], s[12:13]
	s_cbranch_execz .LBB204_1793
.LBB204_1792:
	v_lshlrev_b32_e32 v1, 24, v3
	v_and_b32_e32 v3, 0xffff, v3
	v_and_b32_e32 v5, 7, v3
	v_ffbh_u32_e32 v9, v5
	v_min_u32_e32 v9, 32, v9
	v_subrev_u32_e32 v11, 28, v9
	v_bfe_u32 v7, v3, 3, 4
	v_lshlrev_b32_e32 v3, v11, v3
	v_sub_u32_e32 v9, 29, v9
	v_and_b32_e32 v3, 7, v3
	v_cmp_eq_u32_e32 vcc, 0, v7
	v_cndmask_b32_e32 v7, v7, v9, vcc
	v_cndmask_b32_e32 v3, v5, v3, vcc
	v_mov_b32_e32 v5, 0x3b800000
	v_lshlrev_b32_e32 v3, 20, v3
	v_and_b32_e32 v1, 0x80000000, v1
	v_lshl_add_u32 v5, v7, 23, v5
	v_or3_b32 v1, v1, v5, v3
	v_cvt_f16_f32_e32 v1, v1
.LBB204_1793:
	s_or_b64 exec, exec, s[14:15]
.LBB204_1794:
	s_mov_b64 s[12:13], -1
.LBB204_1795:
	s_branch .LBB204_1828
.LBB204_1796:
	v_cmp_gt_i16_e64 s[10:11], s20, 22
	s_and_b64 vcc, exec, s[10:11]
	s_cbranch_vccz .LBB204_1806
; %bb.1797:
	v_cmp_lt_i16_e64 s[10:11], s20, 24
	s_and_b64 vcc, exec, s[10:11]
	s_cbranch_vccnz .LBB204_1809
; %bb.1798:
	v_cmp_gt_i16_e64 s[10:11], s20, 24
	s_and_b64 vcc, exec, s[10:11]
	s_cbranch_vccz .LBB204_1810
; %bb.1799:
	global_load_ubyte v3, v[14:15], off
	s_movk_i32 s10, 0x7f
                                        ; implicit-def: $sgpr16
	s_waitcnt vmcnt(0)
	v_cmp_lt_i16_e32 vcc, s10, v3
	s_mov_b64 s[10:11], 0
	s_and_saveexec_b64 s[12:13], vcc
	s_xor_b64 s[12:13], exec, s[12:13]
	s_cbranch_execz .LBB204_1822
; %bb.1800:
	s_movk_i32 s10, 0x80
	v_cmp_eq_u16_e32 vcc, s10, v3
	s_mov_b64 s[10:11], -1
                                        ; implicit-def: $sgpr16
	s_and_saveexec_b64 s[14:15], vcc
; %bb.1801:
	s_movk_i32 s16, 0x7e00
	s_xor_b64 s[10:11], exec, -1
; %bb.1802:
	s_or_b64 exec, exec, s[14:15]
	s_and_b64 s[10:11], s[10:11], exec
	s_or_saveexec_b64 s[12:13], s[12:13]
	v_mov_b32_e32 v1, s16
	s_xor_b64 exec, exec, s[12:13]
	s_cbranch_execnz .LBB204_1823
.LBB204_1803:
	s_or_b64 exec, exec, s[12:13]
	s_and_saveexec_b64 s[12:13], s[10:11]
	s_cbranch_execz .LBB204_1805
.LBB204_1804:
	v_lshlrev_b32_e32 v1, 24, v3
	v_and_b32_e32 v3, 0xffff, v3
	v_and_b32_e32 v5, 3, v3
	v_ffbh_u32_e32 v9, v5
	v_min_u32_e32 v9, 32, v9
	v_subrev_u32_e32 v11, 29, v9
	v_bfe_u32 v7, v3, 2, 5
	v_lshlrev_b32_e32 v3, v11, v3
	v_sub_u32_e32 v9, 30, v9
	v_and_b32_e32 v3, 3, v3
	v_cmp_eq_u32_e32 vcc, 0, v7
	v_cndmask_b32_e32 v7, v7, v9, vcc
	v_cndmask_b32_e32 v3, v5, v3, vcc
	v_mov_b32_e32 v5, 0x37800000
	v_lshlrev_b32_e32 v3, 21, v3
	v_and_b32_e32 v1, 0x80000000, v1
	v_lshl_add_u32 v5, v7, 23, v5
	v_or3_b32 v1, v1, v5, v3
	v_cvt_f16_f32_e32 v1, v1
.LBB204_1805:
	s_or_b64 exec, exec, s[12:13]
	s_mov_b64 s[10:11], 0
	s_branch .LBB204_1811
.LBB204_1806:
	s_mov_b64 s[10:11], -1
                                        ; implicit-def: $vgpr1
	s_branch .LBB204_1817
.LBB204_1807:
	s_or_saveexec_b64 s[14:15], s[14:15]
	v_mov_b32_e32 v1, s21
	s_xor_b64 exec, exec, s[14:15]
	s_cbranch_execz .LBB204_1791
.LBB204_1808:
	v_cmp_ne_u16_e32 vcc, 0, v3
	s_andn2_b64 s[12:13], s[12:13], exec
	s_and_b64 s[16:17], vcc, exec
	s_or_b64 s[12:13], s[12:13], s[16:17]
	v_mov_b32_e32 v1, v3
	s_or_b64 exec, exec, s[14:15]
	s_and_saveexec_b64 s[14:15], s[12:13]
	s_cbranch_execnz .LBB204_1792
	s_branch .LBB204_1793
.LBB204_1809:
	s_mov_b64 s[10:11], -1
                                        ; implicit-def: $vgpr1
	s_branch .LBB204_1814
.LBB204_1810:
	s_mov_b64 s[10:11], -1
                                        ; implicit-def: $vgpr1
.LBB204_1811:
	s_and_b64 vcc, exec, s[10:11]
	s_cbranch_vccz .LBB204_1813
; %bb.1812:
	global_load_ubyte v1, v[14:15], off
	s_mov_b32 s10, 0x7f800000
	s_waitcnt vmcnt(0)
	v_lshlrev_b32_e32 v1, 24, v1
	v_and_b32_e32 v3, 0x7f000000, v1
	v_ffbh_u32_e32 v5, v3
	v_min_u32_e32 v5, 32, v5
	v_sub_u32_e64 v5, v5, 4 clamp
	v_lshlrev_b32_e32 v9, v5, v3
	v_lshlrev_b32_e32 v5, 23, v5
	v_lshrrev_b32_e32 v9, 4, v9
	v_add_u32_e32 v7, 0x1000000, v3
	v_sub_u32_e32 v5, v9, v5
	v_ashrrev_i32_e32 v7, 8, v7
	v_add_u32_e32 v5, 0x3c000000, v5
	v_and_or_b32 v5, v7, s10, v5
	v_cmp_ne_u32_e32 vcc, 0, v3
	v_cndmask_b32_e32 v3, 0, v5, vcc
	s_brev_b32 s10, 1
	v_and_or_b32 v1, v1, s10, v3
	v_cvt_f16_f32_e32 v1, v1
.LBB204_1813:
	s_mov_b64 s[10:11], 0
.LBB204_1814:
	s_andn2_b64 vcc, exec, s[10:11]
	s_cbranch_vccnz .LBB204_1816
; %bb.1815:
	global_load_ubyte v1, v[14:15], off
	s_movk_i32 s10, 0x7f00
	s_brev_b32 s11, 16
	s_waitcnt vmcnt(0)
	v_lshlrev_b16_e32 v3, 8, v1
	v_lshlrev_b32_e32 v1, 25, v1
	v_lshrrev_b32_e32 v5, 4, v1
	v_and_or_b32 v7, v3, s10, 0.5
	v_or_b32_e32 v5, 0x70000000, v5
	v_add_f32_e32 v7, -0.5, v7
	v_mul_f32_e32 v5, 0x7800000, v5
	v_cmp_gt_u32_e32 vcc, s11, v1
	v_bfe_i32 v3, v3, 0, 16
	v_cndmask_b32_e32 v1, v5, v7, vcc
	s_brev_b32 s10, 1
	v_and_or_b32 v1, v3, s10, v1
	v_cvt_f16_f32_e32 v1, v1
.LBB204_1816:
	s_mov_b64 s[10:11], 0
	s_mov_b64 s[12:13], -1
.LBB204_1817:
	s_andn2_b64 vcc, exec, s[10:11]
	s_mov_b64 s[10:11], 0
	s_cbranch_vccnz .LBB204_1828
; %bb.1818:
	v_cmp_gt_i16_e64 s[10:11], s20, 14
	s_and_b64 vcc, exec, s[10:11]
	s_cbranch_vccz .LBB204_1821
; %bb.1819:
	v_cmp_eq_u16_e64 s[8:9], s20, 15
	s_and_b64 vcc, exec, s[8:9]
	s_cbranch_vccz .LBB204_1824
; %bb.1820:
	global_load_ushort v1, v[14:15], off
	s_mov_b64 s[8:9], 0
	s_mov_b64 s[12:13], -1
	s_waitcnt vmcnt(0)
	v_lshlrev_b32_e32 v1, 16, v1
	v_cvt_f16_f32_e32 v1, v1
	s_branch .LBB204_1825
.LBB204_1821:
	s_mov_b64 s[14:15], -1
                                        ; implicit-def: $vgpr1
	s_branch .LBB204_1826
.LBB204_1822:
	s_or_saveexec_b64 s[12:13], s[12:13]
	v_mov_b32_e32 v1, s16
	s_xor_b64 exec, exec, s[12:13]
	s_cbranch_execz .LBB204_1803
.LBB204_1823:
	v_cmp_ne_u16_e32 vcc, 0, v3
	s_andn2_b64 s[10:11], s[10:11], exec
	s_and_b64 s[14:15], vcc, exec
	s_or_b64 s[10:11], s[10:11], s[14:15]
	v_mov_b32_e32 v1, v3
	s_or_b64 exec, exec, s[12:13]
	s_and_saveexec_b64 s[12:13], s[10:11]
	s_cbranch_execnz .LBB204_1804
	s_branch .LBB204_1805
.LBB204_1824:
	s_mov_b64 s[8:9], -1
                                        ; implicit-def: $vgpr1
.LBB204_1825:
	s_mov_b64 s[14:15], 0
.LBB204_1826:
	s_mov_b64 s[10:11], 0
	s_and_b64 vcc, exec, s[14:15]
	s_cbranch_vccz .LBB204_1828
; %bb.1827:
	v_cmp_ne_u16_e64 s[8:9], s20, 11
	s_mov_b64 s[10:11], -1
                                        ; implicit-def: $vgpr1
.LBB204_1828:
	s_and_b64 vcc, exec, s[8:9]
	s_cbranch_vccnz .LBB204_1891
; %bb.1829:
	s_andn2_b64 vcc, exec, s[10:11]
	s_cbranch_vccnz .LBB204_1831
.LBB204_1830:
	global_load_ubyte v1, v[14:15], off
	v_mov_b32_e32 v3, 0x3c00
	s_mov_b64 s[12:13], -1
	s_waitcnt vmcnt(0)
	v_cmp_ne_u16_e32 vcc, 0, v1
	v_cndmask_b32_e32 v1, 0, v3, vcc
.LBB204_1831:
	s_branch .LBB204_1758
.LBB204_1832:
	v_cmp_lt_i16_e64 s[8:9], s20, 5
	s_and_b64 vcc, exec, s[8:9]
	s_cbranch_vccnz .LBB204_1837
; %bb.1833:
	v_cmp_lt_i16_e64 s[8:9], s20, 8
	s_and_b64 vcc, exec, s[8:9]
	s_cbranch_vccnz .LBB204_1838
; %bb.1834:
	;; [unrolled: 4-line block ×3, first 2 shown]
	v_cmp_gt_i16_e64 s[8:9], s20, 9
	s_and_b64 vcc, exec, s[8:9]
	s_cbranch_vccz .LBB204_1840
; %bb.1836:
	global_load_dwordx2 v[16:17], v[14:15], off
	s_mov_b64 s[8:9], 0
	s_waitcnt vmcnt(0)
	v_cvt_f32_f64_e32 v1, v[16:17]
	v_cvt_f16_f32_e32 v1, v1
	s_branch .LBB204_1841
.LBB204_1837:
                                        ; implicit-def: $vgpr1
	s_branch .LBB204_1859
.LBB204_1838:
	s_mov_b64 s[8:9], -1
                                        ; implicit-def: $vgpr1
	s_branch .LBB204_1847
.LBB204_1839:
	s_mov_b64 s[8:9], -1
                                        ; implicit-def: $vgpr1
	s_branch .LBB204_1844
.LBB204_1840:
	s_mov_b64 s[8:9], -1
                                        ; implicit-def: $vgpr1
.LBB204_1841:
	s_andn2_b64 vcc, exec, s[8:9]
	s_cbranch_vccnz .LBB204_1843
; %bb.1842:
	global_load_dword v1, v[14:15], off
	s_waitcnt vmcnt(0)
	v_cvt_f16_f32_e32 v1, v1
.LBB204_1843:
	s_mov_b64 s[8:9], 0
.LBB204_1844:
	s_andn2_b64 vcc, exec, s[8:9]
	s_cbranch_vccnz .LBB204_1846
; %bb.1845:
	global_load_dword v1, v[14:15], off
.LBB204_1846:
	s_mov_b64 s[8:9], 0
.LBB204_1847:
	s_andn2_b64 vcc, exec, s[8:9]
	s_cbranch_vccnz .LBB204_1858
; %bb.1848:
	v_cmp_lt_i16_e64 s[8:9], s20, 6
	s_and_b64 vcc, exec, s[8:9]
	s_cbranch_vccnz .LBB204_1851
; %bb.1849:
	v_cmp_gt_i16_e64 s[8:9], s20, 6
	s_and_b64 vcc, exec, s[8:9]
	s_cbranch_vccz .LBB204_1852
; %bb.1850:
	global_load_dwordx2 v[16:17], v[14:15], off
	s_mov_b64 s[8:9], 0
	s_waitcnt vmcnt(0)
	v_cvt_f32_f64_e32 v1, v[16:17]
	v_cvt_f16_f32_e32 v1, v1
	s_branch .LBB204_1853
.LBB204_1851:
	s_mov_b64 s[8:9], -1
                                        ; implicit-def: $vgpr1
	s_branch .LBB204_1856
.LBB204_1852:
	s_mov_b64 s[8:9], -1
                                        ; implicit-def: $vgpr1
.LBB204_1853:
	s_andn2_b64 vcc, exec, s[8:9]
	s_cbranch_vccnz .LBB204_1855
; %bb.1854:
	global_load_dword v1, v[14:15], off
	s_waitcnt vmcnt(0)
	v_cvt_f16_f32_e32 v1, v1
.LBB204_1855:
	s_mov_b64 s[8:9], 0
.LBB204_1856:
	s_andn2_b64 vcc, exec, s[8:9]
	s_cbranch_vccnz .LBB204_1858
; %bb.1857:
	global_load_ushort v1, v[14:15], off
.LBB204_1858:
	s_cbranch_execnz .LBB204_1878
.LBB204_1859:
	v_cmp_lt_i16_e64 s[8:9], s20, 2
	s_and_b64 vcc, exec, s[8:9]
	s_cbranch_vccnz .LBB204_1863
; %bb.1860:
	v_cmp_lt_i16_e64 s[8:9], s20, 3
	s_and_b64 vcc, exec, s[8:9]
	s_cbranch_vccnz .LBB204_1864
; %bb.1861:
	v_cmp_gt_i16_e64 s[8:9], s20, 3
	s_and_b64 vcc, exec, s[8:9]
	s_cbranch_vccz .LBB204_1865
; %bb.1862:
	global_load_dwordx2 v[16:17], v[14:15], off
	s_mov_b64 s[8:9], 0
	s_waitcnt vmcnt(0)
	v_xor_b32_e32 v3, v16, v17
	v_ffbh_i32_e32 v1, v17
	v_ashrrev_i32_e32 v3, 31, v3
	v_add_u32_e32 v1, -1, v1
	v_add_u32_e32 v3, 32, v3
	v_min_u32_e32 v1, v1, v3
	v_lshlrev_b64 v[16:17], v1, v[16:17]
	v_min_u32_e32 v3, 1, v16
	v_or_b32_e32 v3, v17, v3
	v_cvt_f32_i32_e32 v3, v3
	v_sub_u32_e32 v1, 32, v1
	v_ldexp_f32 v1, v3, v1
	v_cvt_f16_f32_e32 v1, v1
	s_branch .LBB204_1866
.LBB204_1863:
	s_mov_b64 s[8:9], -1
                                        ; implicit-def: $vgpr1
	s_branch .LBB204_1872
.LBB204_1864:
	s_mov_b64 s[8:9], -1
                                        ; implicit-def: $vgpr1
	s_branch .LBB204_1869
.LBB204_1865:
	s_mov_b64 s[8:9], -1
                                        ; implicit-def: $vgpr1
.LBB204_1866:
	s_andn2_b64 vcc, exec, s[8:9]
	s_cbranch_vccnz .LBB204_1868
; %bb.1867:
	global_load_dword v1, v[14:15], off
	s_waitcnt vmcnt(0)
	v_cvt_f32_i32_e32 v1, v1
	v_cvt_f16_f32_e32 v1, v1
.LBB204_1868:
	s_mov_b64 s[8:9], 0
.LBB204_1869:
	s_andn2_b64 vcc, exec, s[8:9]
	s_cbranch_vccnz .LBB204_1871
; %bb.1870:
	global_load_ushort v1, v[14:15], off
	s_waitcnt vmcnt(0)
	v_cvt_f16_i16_e32 v1, v1
.LBB204_1871:
	s_mov_b64 s[8:9], 0
.LBB204_1872:
	s_andn2_b64 vcc, exec, s[8:9]
	s_cbranch_vccnz .LBB204_1878
; %bb.1873:
	v_cmp_gt_i16_e64 s[8:9], s20, 0
	s_and_b64 vcc, exec, s[8:9]
	s_cbranch_vccz .LBB204_1875
; %bb.1874:
	global_load_sbyte v1, v[14:15], off
	s_mov_b64 s[8:9], 0
	s_waitcnt vmcnt(0)
	v_cvt_f16_i16_e32 v1, v1
	s_branch .LBB204_1876
.LBB204_1875:
	s_mov_b64 s[8:9], -1
                                        ; implicit-def: $vgpr1
.LBB204_1876:
	s_andn2_b64 vcc, exec, s[8:9]
	s_cbranch_vccnz .LBB204_1878
; %bb.1877:
	global_load_ubyte v1, v[14:15], off
	s_waitcnt vmcnt(0)
	v_cvt_f16_u16_e32 v1, v1
.LBB204_1878:
.LBB204_1879:
	v_mov_b32_e32 v3, s27
	v_add_co_u32_e32 v12, vcc, s26, v12
	v_addc_co_u32_e32 v13, vcc, 0, v3, vcc
	v_mov_b32_e32 v3, 11
	v_cmp_lt_i16_sdwa s[8:9], s19, v3 src0_sel:BYTE_0 src1_sel:DWORD
	s_and_b64 vcc, exec, s[8:9]
	s_cbranch_vccnz .LBB204_1886
; %bb.1880:
	v_mov_b32_e32 v3, 25
	v_cmp_gt_i16_sdwa s[8:9], s19, v3 src0_sel:BYTE_0 src1_sel:DWORD
	s_mov_b64 s[10:11], 0
	s_and_b64 vcc, exec, s[8:9]
	s_cbranch_vccz .LBB204_1888
; %bb.1881:
	v_mov_b32_e32 v3, 28
	v_cmp_gt_i16_sdwa s[8:9], s19, v3 src0_sel:BYTE_0 src1_sel:DWORD
	s_and_b64 vcc, exec, s[8:9]
	s_cbranch_vccz .LBB204_1889
; %bb.1882:
	v_mov_b32_e32 v3, 43
	v_cmp_gt_i16_sdwa s[8:9], s19, v3 src0_sel:BYTE_0 src1_sel:DWORD
	;; [unrolled: 5-line block ×3, first 2 shown]
	s_and_b64 vcc, exec, s[8:9]
	s_cbranch_vccz .LBB204_1892
; %bb.1884:
	v_mov_b32_e32 v3, 46
	v_cmp_eq_u16_sdwa s[8:9], s19, v3 src0_sel:BYTE_0 src1_sel:DWORD
	s_mov_b64 s[14:15], 0
	s_and_b64 vcc, exec, s[8:9]
	s_cbranch_vccz .LBB204_1893
; %bb.1885:
	global_load_dword v3, v[12:13], off
	s_mov_b64 s[8:9], 0
	s_mov_b64 s[12:13], -1
	s_waitcnt vmcnt(0)
	v_lshlrev_b32_e32 v3, 16, v3
	v_cvt_f16_f32_e32 v30, v3
	s_branch .LBB204_1894
.LBB204_1886:
	s_mov_b64 s[12:13], 0
                                        ; implicit-def: $vgpr30
	s_cbranch_execnz .LBB204_1960
.LBB204_1887:
	s_andn2_b64 vcc, exec, s[12:13]
	s_cbranch_vccnz .LBB204_3113
	s_branch .LBB204_2008
.LBB204_1888:
	s_mov_b64 s[14:15], -1
	s_mov_b64 s[12:13], 0
	s_mov_b64 s[8:9], 0
                                        ; implicit-def: $vgpr30
	s_branch .LBB204_1923
.LBB204_1889:
	s_mov_b64 s[14:15], -1
	s_mov_b64 s[12:13], 0
	s_mov_b64 s[8:9], 0
                                        ; implicit-def: $vgpr30
	s_branch .LBB204_1904
.LBB204_1890:
	s_mov_b64 s[14:15], -1
	s_mov_b64 s[12:13], 0
	s_mov_b64 s[8:9], 0
                                        ; implicit-def: $vgpr30
	s_branch .LBB204_1899
.LBB204_1891:
	s_trap 2
	s_or_b64 s[34:35], s[34:35], exec
                                        ; implicit-def: $vgpr1
	s_cbranch_execz .LBB204_1830
	s_branch .LBB204_1831
.LBB204_1892:
	s_mov_b64 s[14:15], -1
	s_mov_b64 s[12:13], 0
	s_mov_b64 s[8:9], 0
                                        ; implicit-def: $vgpr30
	s_branch .LBB204_1894
.LBB204_1893:
	s_mov_b64 s[8:9], -1
                                        ; implicit-def: $vgpr30
	s_mov_b64 s[12:13], 0
.LBB204_1894:
	s_and_b64 vcc, exec, s[14:15]
	s_cbranch_vccz .LBB204_1898
; %bb.1895:
	v_mov_b32_e32 v3, 44
	v_cmp_eq_u16_sdwa s[8:9], s19, v3 src0_sel:BYTE_0 src1_sel:DWORD
	s_and_b64 vcc, exec, s[8:9]
	s_cbranch_vccz .LBB204_1897
; %bb.1896:
	global_load_ubyte v3, v[12:13], off
	s_movk_i32 s12, 0xff
	v_mov_b32_e32 v7, 0x7e00
	s_mov_b64 s[8:9], 0
	s_waitcnt vmcnt(0)
	v_lshlrev_b32_e32 v5, 23, v3
	v_cvt_f16_f32_e32 v5, v5
	v_cmp_ne_u32_e32 vcc, s12, v3
	s_mov_b64 s[12:13], -1
	v_cndmask_b32_e32 v5, v7, v5, vcc
	v_cmp_ne_u32_e32 vcc, 0, v3
	v_cndmask_b32_e32 v30, 0, v5, vcc
	s_branch .LBB204_1898
.LBB204_1897:
	s_mov_b64 s[8:9], -1
                                        ; implicit-def: $vgpr30
.LBB204_1898:
	s_mov_b64 s[14:15], 0
.LBB204_1899:
	s_and_b64 vcc, exec, s[14:15]
	s_cbranch_vccz .LBB204_1903
; %bb.1900:
	v_mov_b32_e32 v3, 29
	v_cmp_eq_u16_sdwa s[8:9], s19, v3 src0_sel:BYTE_0 src1_sel:DWORD
	s_and_b64 vcc, exec, s[8:9]
	s_cbranch_vccz .LBB204_1902
; %bb.1901:
	global_load_dwordx2 v[14:15], v[12:13], off
	s_mov_b64 s[8:9], 0
	s_mov_b64 s[12:13], -1
	s_mov_b64 s[14:15], 0
	s_waitcnt vmcnt(0)
	v_ffbh_u32_e32 v3, v15
	v_min_u32_e32 v3, 32, v3
	v_lshlrev_b64 v[14:15], v3, v[14:15]
	v_min_u32_e32 v5, 1, v14
	v_or_b32_e32 v5, v15, v5
	v_cvt_f32_u32_e32 v5, v5
	v_sub_u32_e32 v3, 32, v3
	v_ldexp_f32 v3, v5, v3
	v_cvt_f16_f32_e32 v30, v3
	s_branch .LBB204_1904
.LBB204_1902:
	s_mov_b64 s[8:9], -1
                                        ; implicit-def: $vgpr30
.LBB204_1903:
	s_mov_b64 s[14:15], 0
.LBB204_1904:
	s_and_b64 vcc, exec, s[14:15]
	s_cbranch_vccz .LBB204_1922
; %bb.1905:
	v_mov_b32_e32 v3, 27
	v_cmp_lt_i16_sdwa s[12:13], s19, v3 src0_sel:BYTE_0 src1_sel:DWORD
	s_and_b64 vcc, exec, s[12:13]
	s_cbranch_vccnz .LBB204_1908
; %bb.1906:
	v_cmp_gt_i16_sdwa s[12:13], s19, v3 src0_sel:BYTE_0 src1_sel:DWORD
	s_and_b64 vcc, exec, s[12:13]
	s_cbranch_vccz .LBB204_1909
; %bb.1907:
	global_load_dword v3, v[12:13], off
	s_mov_b64 s[12:13], 0
	s_waitcnt vmcnt(0)
	v_cvt_f32_u32_e32 v3, v3
	v_cvt_f16_f32_e32 v30, v3
	s_branch .LBB204_1910
.LBB204_1908:
	s_mov_b64 s[12:13], -1
                                        ; implicit-def: $vgpr30
	s_branch .LBB204_1913
.LBB204_1909:
	s_mov_b64 s[12:13], -1
                                        ; implicit-def: $vgpr30
.LBB204_1910:
	s_andn2_b64 vcc, exec, s[12:13]
	s_cbranch_vccnz .LBB204_1912
; %bb.1911:
	global_load_ushort v3, v[12:13], off
	s_waitcnt vmcnt(0)
	v_cvt_f16_u16_e32 v30, v3
.LBB204_1912:
	s_mov_b64 s[12:13], 0
.LBB204_1913:
	s_andn2_b64 vcc, exec, s[12:13]
	s_cbranch_vccnz .LBB204_1921
; %bb.1914:
	global_load_ubyte v3, v[12:13], off
	s_movk_i32 s12, 0x7f
                                        ; implicit-def: $sgpr21
	s_waitcnt vmcnt(0)
	v_cmp_lt_i16_e32 vcc, s12, v3
	s_mov_b64 s[12:13], 0
	s_and_saveexec_b64 s[14:15], vcc
	s_xor_b64 s[14:15], exec, s[14:15]
	s_cbranch_execz .LBB204_1935
; %bb.1915:
	s_movk_i32 s12, 0x80
	v_cmp_eq_u16_e32 vcc, s12, v3
	s_mov_b64 s[12:13], -1
                                        ; implicit-def: $sgpr21
	s_and_saveexec_b64 s[16:17], vcc
; %bb.1916:
	s_movk_i32 s21, 0x7e00
	s_xor_b64 s[12:13], exec, -1
; %bb.1917:
	s_or_b64 exec, exec, s[16:17]
	s_and_b64 s[12:13], s[12:13], exec
	s_or_saveexec_b64 s[14:15], s[14:15]
	v_mov_b32_e32 v30, s21
	s_xor_b64 exec, exec, s[14:15]
	s_cbranch_execnz .LBB204_1936
.LBB204_1918:
	s_or_b64 exec, exec, s[14:15]
	s_and_saveexec_b64 s[14:15], s[12:13]
	s_cbranch_execz .LBB204_1920
.LBB204_1919:
	v_lshlrev_b32_e32 v5, 24, v3
	v_and_b32_e32 v3, 0xffff, v3
	v_and_b32_e32 v7, 7, v3
	v_ffbh_u32_e32 v11, v7
	v_min_u32_e32 v11, 32, v11
	v_subrev_u32_e32 v14, 28, v11
	v_bfe_u32 v9, v3, 3, 4
	v_lshlrev_b32_e32 v3, v14, v3
	v_sub_u32_e32 v11, 29, v11
	v_and_b32_e32 v3, 7, v3
	v_cmp_eq_u32_e32 vcc, 0, v9
	v_cndmask_b32_e32 v9, v9, v11, vcc
	v_cndmask_b32_e32 v3, v7, v3, vcc
	v_mov_b32_e32 v7, 0x3b800000
	v_lshlrev_b32_e32 v3, 20, v3
	v_and_b32_e32 v5, 0x80000000, v5
	v_lshl_add_u32 v7, v9, 23, v7
	v_or3_b32 v3, v5, v7, v3
	v_cvt_f16_f32_e32 v30, v3
.LBB204_1920:
	s_or_b64 exec, exec, s[14:15]
.LBB204_1921:
	s_mov_b64 s[12:13], -1
.LBB204_1922:
	s_mov_b64 s[14:15], 0
.LBB204_1923:
	s_and_b64 vcc, exec, s[14:15]
	s_cbranch_vccz .LBB204_1956
; %bb.1924:
	v_mov_b32_e32 v3, 22
	v_cmp_gt_i16_sdwa s[10:11], s19, v3 src0_sel:BYTE_0 src1_sel:DWORD
	s_and_b64 vcc, exec, s[10:11]
	s_cbranch_vccz .LBB204_1934
; %bb.1925:
	v_mov_b32_e32 v3, 24
	v_cmp_lt_i16_sdwa s[10:11], s19, v3 src0_sel:BYTE_0 src1_sel:DWORD
	s_and_b64 vcc, exec, s[10:11]
	s_cbranch_vccnz .LBB204_1937
; %bb.1926:
	v_cmp_gt_i16_sdwa s[10:11], s19, v3 src0_sel:BYTE_0 src1_sel:DWORD
	s_and_b64 vcc, exec, s[10:11]
	s_cbranch_vccz .LBB204_1938
; %bb.1927:
	global_load_ubyte v3, v[12:13], off
	s_movk_i32 s10, 0x7f
                                        ; implicit-def: $sgpr16
	s_waitcnt vmcnt(0)
	v_cmp_lt_i16_e32 vcc, s10, v3
	s_mov_b64 s[10:11], 0
	s_and_saveexec_b64 s[12:13], vcc
	s_xor_b64 s[12:13], exec, s[12:13]
	s_cbranch_execz .LBB204_1950
; %bb.1928:
	s_movk_i32 s10, 0x80
	v_cmp_eq_u16_e32 vcc, s10, v3
	s_mov_b64 s[10:11], -1
                                        ; implicit-def: $sgpr16
	s_and_saveexec_b64 s[14:15], vcc
; %bb.1929:
	s_movk_i32 s16, 0x7e00
	s_xor_b64 s[10:11], exec, -1
; %bb.1930:
	s_or_b64 exec, exec, s[14:15]
	s_and_b64 s[10:11], s[10:11], exec
	s_or_saveexec_b64 s[12:13], s[12:13]
	v_mov_b32_e32 v30, s16
	s_xor_b64 exec, exec, s[12:13]
	s_cbranch_execnz .LBB204_1951
.LBB204_1931:
	s_or_b64 exec, exec, s[12:13]
	s_and_saveexec_b64 s[12:13], s[10:11]
	s_cbranch_execz .LBB204_1933
.LBB204_1932:
	v_lshlrev_b32_e32 v5, 24, v3
	v_and_b32_e32 v3, 0xffff, v3
	v_and_b32_e32 v7, 3, v3
	v_ffbh_u32_e32 v11, v7
	v_min_u32_e32 v11, 32, v11
	v_subrev_u32_e32 v14, 29, v11
	v_bfe_u32 v9, v3, 2, 5
	v_lshlrev_b32_e32 v3, v14, v3
	v_sub_u32_e32 v11, 30, v11
	v_and_b32_e32 v3, 3, v3
	v_cmp_eq_u32_e32 vcc, 0, v9
	v_cndmask_b32_e32 v9, v9, v11, vcc
	v_cndmask_b32_e32 v3, v7, v3, vcc
	v_mov_b32_e32 v7, 0x37800000
	v_lshlrev_b32_e32 v3, 21, v3
	v_and_b32_e32 v5, 0x80000000, v5
	v_lshl_add_u32 v7, v9, 23, v7
	v_or3_b32 v3, v5, v7, v3
	v_cvt_f16_f32_e32 v30, v3
.LBB204_1933:
	s_or_b64 exec, exec, s[12:13]
	s_mov_b64 s[10:11], 0
	s_branch .LBB204_1939
.LBB204_1934:
	s_mov_b64 s[10:11], -1
                                        ; implicit-def: $vgpr30
	s_branch .LBB204_1945
.LBB204_1935:
	s_or_saveexec_b64 s[14:15], s[14:15]
	v_mov_b32_e32 v30, s21
	s_xor_b64 exec, exec, s[14:15]
	s_cbranch_execz .LBB204_1918
.LBB204_1936:
	v_cmp_ne_u16_e32 vcc, 0, v3
	s_andn2_b64 s[12:13], s[12:13], exec
	s_and_b64 s[16:17], vcc, exec
	s_or_b64 s[12:13], s[12:13], s[16:17]
	v_mov_b32_e32 v30, v3
	s_or_b64 exec, exec, s[14:15]
	s_and_saveexec_b64 s[14:15], s[12:13]
	s_cbranch_execnz .LBB204_1919
	s_branch .LBB204_1920
.LBB204_1937:
	s_mov_b64 s[10:11], -1
                                        ; implicit-def: $vgpr30
	s_branch .LBB204_1942
.LBB204_1938:
	s_mov_b64 s[10:11], -1
                                        ; implicit-def: $vgpr30
.LBB204_1939:
	s_and_b64 vcc, exec, s[10:11]
	s_cbranch_vccz .LBB204_1941
; %bb.1940:
	global_load_ubyte v3, v[12:13], off
	s_mov_b32 s10, 0x7f800000
	s_waitcnt vmcnt(0)
	v_lshlrev_b32_e32 v3, 24, v3
	v_and_b32_e32 v5, 0x7f000000, v3
	v_ffbh_u32_e32 v7, v5
	v_min_u32_e32 v7, 32, v7
	v_sub_u32_e64 v7, v7, 4 clamp
	v_lshlrev_b32_e32 v11, v7, v5
	v_lshlrev_b32_e32 v7, 23, v7
	v_lshrrev_b32_e32 v11, 4, v11
	v_add_u32_e32 v9, 0x1000000, v5
	v_sub_u32_e32 v7, v11, v7
	v_ashrrev_i32_e32 v9, 8, v9
	v_add_u32_e32 v7, 0x3c000000, v7
	v_and_or_b32 v7, v9, s10, v7
	v_cmp_ne_u32_e32 vcc, 0, v5
	v_cndmask_b32_e32 v5, 0, v7, vcc
	s_brev_b32 s10, 1
	v_and_or_b32 v3, v3, s10, v5
	v_cvt_f16_f32_e32 v30, v3
.LBB204_1941:
	s_mov_b64 s[10:11], 0
.LBB204_1942:
	s_andn2_b64 vcc, exec, s[10:11]
	s_cbranch_vccnz .LBB204_1944
; %bb.1943:
	global_load_ubyte v3, v[12:13], off
	s_movk_i32 s10, 0x7f00
	s_brev_b32 s11, 16
	s_waitcnt vmcnt(0)
	v_lshlrev_b16_e32 v5, 8, v3
	v_lshlrev_b32_e32 v3, 25, v3
	v_lshrrev_b32_e32 v7, 4, v3
	v_and_or_b32 v9, v5, s10, 0.5
	v_or_b32_e32 v7, 0x70000000, v7
	v_add_f32_e32 v9, -0.5, v9
	v_mul_f32_e32 v7, 0x7800000, v7
	v_cmp_gt_u32_e32 vcc, s11, v3
	v_bfe_i32 v5, v5, 0, 16
	v_cndmask_b32_e32 v3, v7, v9, vcc
	s_brev_b32 s10, 1
	v_and_or_b32 v3, v5, s10, v3
	v_cvt_f16_f32_e32 v30, v3
.LBB204_1944:
	s_mov_b64 s[10:11], 0
	s_mov_b64 s[12:13], -1
.LBB204_1945:
	s_andn2_b64 vcc, exec, s[10:11]
	s_mov_b64 s[10:11], 0
	s_cbranch_vccnz .LBB204_1956
; %bb.1946:
	v_mov_b32_e32 v3, 14
	v_cmp_gt_i16_sdwa s[10:11], s19, v3 src0_sel:BYTE_0 src1_sel:DWORD
	s_and_b64 vcc, exec, s[10:11]
	s_cbranch_vccz .LBB204_1949
; %bb.1947:
	v_mov_b32_e32 v3, 15
	v_cmp_eq_u16_sdwa s[8:9], s19, v3 src0_sel:BYTE_0 src1_sel:DWORD
	s_and_b64 vcc, exec, s[8:9]
	s_cbranch_vccz .LBB204_1952
; %bb.1948:
	global_load_ushort v3, v[12:13], off
	s_mov_b64 s[8:9], 0
	s_mov_b64 s[12:13], -1
	s_waitcnt vmcnt(0)
	v_lshlrev_b32_e32 v3, 16, v3
	v_cvt_f16_f32_e32 v30, v3
	s_branch .LBB204_1953
.LBB204_1949:
	s_mov_b64 s[14:15], -1
                                        ; implicit-def: $vgpr30
	s_branch .LBB204_1954
.LBB204_1950:
	s_or_saveexec_b64 s[12:13], s[12:13]
	v_mov_b32_e32 v30, s16
	s_xor_b64 exec, exec, s[12:13]
	s_cbranch_execz .LBB204_1931
.LBB204_1951:
	v_cmp_ne_u16_e32 vcc, 0, v3
	s_andn2_b64 s[10:11], s[10:11], exec
	s_and_b64 s[14:15], vcc, exec
	s_or_b64 s[10:11], s[10:11], s[14:15]
	v_mov_b32_e32 v30, v3
	s_or_b64 exec, exec, s[12:13]
	s_and_saveexec_b64 s[12:13], s[10:11]
	s_cbranch_execnz .LBB204_1932
	s_branch .LBB204_1933
.LBB204_1952:
	s_mov_b64 s[8:9], -1
                                        ; implicit-def: $vgpr30
.LBB204_1953:
	s_mov_b64 s[14:15], 0
.LBB204_1954:
	s_mov_b64 s[10:11], 0
	s_and_b64 vcc, exec, s[14:15]
	s_cbranch_vccz .LBB204_1956
; %bb.1955:
	v_mov_b32_e32 v3, 11
	v_cmp_ne_u16_sdwa s[8:9], s19, v3 src0_sel:BYTE_0 src1_sel:DWORD
	s_mov_b64 s[10:11], -1
                                        ; implicit-def: $vgpr30
.LBB204_1956:
	s_and_b64 vcc, exec, s[8:9]
	s_cbranch_vccnz .LBB204_2019
; %bb.1957:
	s_andn2_b64 vcc, exec, s[10:11]
	s_cbranch_vccnz .LBB204_1959
.LBB204_1958:
	global_load_ubyte v3, v[12:13], off
	v_mov_b32_e32 v5, 0x3c00
	s_mov_b64 s[12:13], -1
	s_waitcnt vmcnt(0)
	v_cmp_ne_u16_e32 vcc, 0, v3
	v_cndmask_b32_e32 v30, 0, v5, vcc
.LBB204_1959:
	s_branch .LBB204_1887
.LBB204_1960:
	v_mov_b32_e32 v3, 5
	v_cmp_lt_i16_sdwa s[8:9], s19, v3 src0_sel:BYTE_0 src1_sel:DWORD
	s_and_b64 vcc, exec, s[8:9]
	s_cbranch_vccnz .LBB204_1965
; %bb.1961:
	v_mov_b32_e32 v3, 8
	v_cmp_lt_i16_sdwa s[8:9], s19, v3 src0_sel:BYTE_0 src1_sel:DWORD
	s_and_b64 vcc, exec, s[8:9]
	s_cbranch_vccnz .LBB204_1966
; %bb.1962:
	;; [unrolled: 5-line block ×3, first 2 shown]
	v_cmp_gt_i16_sdwa s[8:9], s19, v3 src0_sel:BYTE_0 src1_sel:DWORD
	s_and_b64 vcc, exec, s[8:9]
	s_cbranch_vccz .LBB204_1968
; %bb.1964:
	global_load_dwordx2 v[14:15], v[12:13], off
	s_mov_b64 s[8:9], 0
	s_waitcnt vmcnt(0)
	v_cvt_f32_f64_e32 v3, v[14:15]
	v_cvt_f16_f32_e32 v30, v3
	s_branch .LBB204_1969
.LBB204_1965:
	s_mov_b64 s[8:9], -1
                                        ; implicit-def: $vgpr30
	s_branch .LBB204_1987
.LBB204_1966:
	s_mov_b64 s[8:9], -1
                                        ; implicit-def: $vgpr30
	s_branch .LBB204_1975
.LBB204_1967:
	s_mov_b64 s[8:9], -1
                                        ; implicit-def: $vgpr30
	s_branch .LBB204_1972
.LBB204_1968:
	s_mov_b64 s[8:9], -1
                                        ; implicit-def: $vgpr30
.LBB204_1969:
	s_andn2_b64 vcc, exec, s[8:9]
	s_cbranch_vccnz .LBB204_1971
; %bb.1970:
	global_load_dword v3, v[12:13], off
	s_waitcnt vmcnt(0)
	v_cvt_f16_f32_e32 v30, v3
.LBB204_1971:
	s_mov_b64 s[8:9], 0
.LBB204_1972:
	s_andn2_b64 vcc, exec, s[8:9]
	s_cbranch_vccnz .LBB204_1974
; %bb.1973:
	global_load_dword v30, v[12:13], off
.LBB204_1974:
	s_mov_b64 s[8:9], 0
.LBB204_1975:
	s_andn2_b64 vcc, exec, s[8:9]
	s_cbranch_vccnz .LBB204_1986
; %bb.1976:
	v_mov_b32_e32 v3, 6
	v_cmp_lt_i16_sdwa s[8:9], s19, v3 src0_sel:BYTE_0 src1_sel:DWORD
	s_and_b64 vcc, exec, s[8:9]
	s_cbranch_vccnz .LBB204_1979
; %bb.1977:
	v_cmp_gt_i16_sdwa s[8:9], s19, v3 src0_sel:BYTE_0 src1_sel:DWORD
	s_and_b64 vcc, exec, s[8:9]
	s_cbranch_vccz .LBB204_1980
; %bb.1978:
	global_load_dwordx2 v[14:15], v[12:13], off
	s_mov_b64 s[8:9], 0
	s_waitcnt vmcnt(0)
	v_cvt_f32_f64_e32 v3, v[14:15]
	v_cvt_f16_f32_e32 v30, v3
	s_branch .LBB204_1981
.LBB204_1979:
	s_mov_b64 s[8:9], -1
                                        ; implicit-def: $vgpr30
	s_branch .LBB204_1984
.LBB204_1980:
	s_mov_b64 s[8:9], -1
                                        ; implicit-def: $vgpr30
.LBB204_1981:
	s_andn2_b64 vcc, exec, s[8:9]
	s_cbranch_vccnz .LBB204_1983
; %bb.1982:
	global_load_dword v3, v[12:13], off
	s_waitcnt vmcnt(0)
	v_cvt_f16_f32_e32 v30, v3
.LBB204_1983:
	s_mov_b64 s[8:9], 0
.LBB204_1984:
	s_andn2_b64 vcc, exec, s[8:9]
	s_cbranch_vccnz .LBB204_1986
; %bb.1985:
	global_load_ushort v30, v[12:13], off
.LBB204_1986:
	s_mov_b64 s[8:9], 0
.LBB204_1987:
	s_andn2_b64 vcc, exec, s[8:9]
	s_cbranch_vccnz .LBB204_2007
; %bb.1988:
	v_mov_b32_e32 v3, 2
	v_cmp_lt_i16_sdwa s[8:9], s19, v3 src0_sel:BYTE_0 src1_sel:DWORD
	s_and_b64 vcc, exec, s[8:9]
	s_cbranch_vccnz .LBB204_1992
; %bb.1989:
	v_mov_b32_e32 v3, 3
	v_cmp_lt_i16_sdwa s[8:9], s19, v3 src0_sel:BYTE_0 src1_sel:DWORD
	s_and_b64 vcc, exec, s[8:9]
	s_cbranch_vccnz .LBB204_1993
; %bb.1990:
	v_cmp_gt_i16_sdwa s[8:9], s19, v3 src0_sel:BYTE_0 src1_sel:DWORD
	s_and_b64 vcc, exec, s[8:9]
	s_cbranch_vccz .LBB204_1994
; %bb.1991:
	global_load_dwordx2 v[14:15], v[12:13], off
	s_mov_b64 s[8:9], 0
	s_waitcnt vmcnt(0)
	v_xor_b32_e32 v5, v14, v15
	v_ffbh_i32_e32 v3, v15
	v_ashrrev_i32_e32 v5, 31, v5
	v_add_u32_e32 v3, -1, v3
	v_add_u32_e32 v5, 32, v5
	v_min_u32_e32 v3, v3, v5
	v_lshlrev_b64 v[14:15], v3, v[14:15]
	v_min_u32_e32 v5, 1, v14
	v_or_b32_e32 v5, v15, v5
	v_cvt_f32_i32_e32 v5, v5
	v_sub_u32_e32 v3, 32, v3
	v_ldexp_f32 v3, v5, v3
	v_cvt_f16_f32_e32 v30, v3
	s_branch .LBB204_1995
.LBB204_1992:
	s_mov_b64 s[8:9], -1
                                        ; implicit-def: $vgpr30
	s_branch .LBB204_2001
.LBB204_1993:
	s_mov_b64 s[8:9], -1
                                        ; implicit-def: $vgpr30
	s_branch .LBB204_1998
.LBB204_1994:
	s_mov_b64 s[8:9], -1
                                        ; implicit-def: $vgpr30
.LBB204_1995:
	s_andn2_b64 vcc, exec, s[8:9]
	s_cbranch_vccnz .LBB204_1997
; %bb.1996:
	global_load_dword v3, v[12:13], off
	s_waitcnt vmcnt(0)
	v_cvt_f32_i32_e32 v3, v3
	v_cvt_f16_f32_e32 v30, v3
.LBB204_1997:
	s_mov_b64 s[8:9], 0
.LBB204_1998:
	s_andn2_b64 vcc, exec, s[8:9]
	s_cbranch_vccnz .LBB204_2000
; %bb.1999:
	global_load_ushort v3, v[12:13], off
	s_waitcnt vmcnt(0)
	v_cvt_f16_i16_e32 v30, v3
.LBB204_2000:
	s_mov_b64 s[8:9], 0
.LBB204_2001:
	s_andn2_b64 vcc, exec, s[8:9]
	s_cbranch_vccnz .LBB204_2007
; %bb.2002:
	v_mov_b32_e32 v3, 0
	v_cmp_gt_i16_sdwa s[8:9], s19, v3 src0_sel:BYTE_0 src1_sel:DWORD
	s_and_b64 vcc, exec, s[8:9]
	s_cbranch_vccz .LBB204_2004
; %bb.2003:
	global_load_sbyte v3, v[12:13], off
	s_mov_b64 s[8:9], 0
	s_waitcnt vmcnt(0)
	v_cvt_f16_i16_e32 v30, v3
	s_branch .LBB204_2005
.LBB204_2004:
	s_mov_b64 s[8:9], -1
                                        ; implicit-def: $vgpr30
.LBB204_2005:
	s_andn2_b64 vcc, exec, s[8:9]
	s_cbranch_vccnz .LBB204_2007
; %bb.2006:
	global_load_ubyte v3, v[12:13], off
	s_waitcnt vmcnt(0)
	v_cvt_f16_u16_e32 v30, v3
.LBB204_2007:
.LBB204_2008:
	v_mov_b32_e32 v3, s5
	v_add_co_u32_e32 v10, vcc, s4, v10
	v_addc_co_u32_e32 v11, vcc, 0, v3, vcc
	s_and_b64 vcc, exec, s[6:7]
	s_cbranch_vccnz .LBB204_2015
; %bb.2009:
	v_cmp_gt_i16_e64 s[8:9], s20, 25
	s_mov_b64 s[10:11], 0
	s_and_b64 vcc, exec, s[8:9]
	s_cbranch_vccz .LBB204_2016
; %bb.2010:
	v_cmp_gt_i16_e64 s[8:9], s20, 28
	s_and_b64 vcc, exec, s[8:9]
	s_cbranch_vccz .LBB204_2017
; %bb.2011:
	v_cmp_gt_i16_e64 s[8:9], s20, 43
	;; [unrolled: 4-line block ×3, first 2 shown]
	s_and_b64 vcc, exec, s[8:9]
	s_cbranch_vccz .LBB204_2020
; %bb.2013:
	v_cmp_eq_u16_e64 s[8:9], s20, 46
	s_mov_b64 s[14:15], 0
	s_and_b64 vcc, exec, s[8:9]
	s_cbranch_vccz .LBB204_2021
; %bb.2014:
	global_load_dword v3, v[10:11], off
	s_mov_b64 s[8:9], 0
	s_mov_b64 s[12:13], -1
	s_waitcnt vmcnt(0)
	v_lshlrev_b32_e32 v3, 16, v3
	v_cvt_f16_f32_e32 v31, v3
	s_branch .LBB204_2022
.LBB204_2015:
	s_mov_b64 s[8:9], -1
	s_mov_b64 s[12:13], 0
                                        ; implicit-def: $vgpr31
	s_branch .LBB204_2088
.LBB204_2016:
	s_mov_b64 s[14:15], -1
	s_mov_b64 s[12:13], 0
	s_mov_b64 s[8:9], 0
                                        ; implicit-def: $vgpr31
	s_branch .LBB204_2051
.LBB204_2017:
	s_mov_b64 s[14:15], -1
	s_mov_b64 s[12:13], 0
	s_mov_b64 s[8:9], 0
                                        ; implicit-def: $vgpr31
	s_branch .LBB204_2032
.LBB204_2018:
	s_mov_b64 s[14:15], -1
	s_mov_b64 s[12:13], 0
	s_mov_b64 s[8:9], 0
                                        ; implicit-def: $vgpr31
	s_branch .LBB204_2027
.LBB204_2019:
	s_trap 2
	s_or_b64 s[34:35], s[34:35], exec
                                        ; implicit-def: $vgpr30
	s_cbranch_execz .LBB204_1958
	s_branch .LBB204_1959
.LBB204_2020:
	s_mov_b64 s[14:15], -1
	s_mov_b64 s[12:13], 0
	s_mov_b64 s[8:9], 0
                                        ; implicit-def: $vgpr31
	s_branch .LBB204_2022
.LBB204_2021:
	s_mov_b64 s[8:9], -1
                                        ; implicit-def: $vgpr31
	s_mov_b64 s[12:13], 0
.LBB204_2022:
	s_and_b64 vcc, exec, s[14:15]
	s_cbranch_vccz .LBB204_2026
; %bb.2023:
	v_cmp_eq_u16_e64 s[8:9], s20, 44
	s_and_b64 vcc, exec, s[8:9]
	s_cbranch_vccz .LBB204_2025
; %bb.2024:
	global_load_ubyte v3, v[10:11], off
	s_movk_i32 s12, 0xff
	v_mov_b32_e32 v7, 0x7e00
	s_mov_b64 s[8:9], 0
	s_waitcnt vmcnt(0)
	v_lshlrev_b32_e32 v5, 23, v3
	v_cvt_f16_f32_e32 v5, v5
	v_cmp_ne_u32_e32 vcc, s12, v3
	s_mov_b64 s[12:13], -1
	v_cndmask_b32_e32 v5, v7, v5, vcc
	v_cmp_ne_u32_e32 vcc, 0, v3
	v_cndmask_b32_e32 v31, 0, v5, vcc
	s_branch .LBB204_2026
.LBB204_2025:
	s_mov_b64 s[8:9], -1
                                        ; implicit-def: $vgpr31
.LBB204_2026:
	s_mov_b64 s[14:15], 0
.LBB204_2027:
	s_and_b64 vcc, exec, s[14:15]
	s_cbranch_vccz .LBB204_2031
; %bb.2028:
	v_cmp_eq_u16_e64 s[8:9], s20, 29
	s_and_b64 vcc, exec, s[8:9]
	s_cbranch_vccz .LBB204_2030
; %bb.2029:
	global_load_dwordx2 v[12:13], v[10:11], off
	s_mov_b64 s[8:9], 0
	s_mov_b64 s[12:13], -1
	s_mov_b64 s[14:15], 0
	s_waitcnt vmcnt(0)
	v_ffbh_u32_e32 v3, v13
	v_min_u32_e32 v3, 32, v3
	v_lshlrev_b64 v[12:13], v3, v[12:13]
	v_min_u32_e32 v5, 1, v12
	v_or_b32_e32 v5, v13, v5
	v_cvt_f32_u32_e32 v5, v5
	v_sub_u32_e32 v3, 32, v3
	v_ldexp_f32 v3, v5, v3
	v_cvt_f16_f32_e32 v31, v3
	s_branch .LBB204_2032
.LBB204_2030:
	s_mov_b64 s[8:9], -1
                                        ; implicit-def: $vgpr31
.LBB204_2031:
	s_mov_b64 s[14:15], 0
.LBB204_2032:
	s_and_b64 vcc, exec, s[14:15]
	s_cbranch_vccz .LBB204_2050
; %bb.2033:
	v_cmp_lt_i16_e64 s[12:13], s20, 27
	s_and_b64 vcc, exec, s[12:13]
	s_cbranch_vccnz .LBB204_2036
; %bb.2034:
	v_cmp_gt_i16_e64 s[12:13], s20, 27
	s_and_b64 vcc, exec, s[12:13]
	s_cbranch_vccz .LBB204_2037
; %bb.2035:
	global_load_dword v3, v[10:11], off
	s_mov_b64 s[12:13], 0
	s_waitcnt vmcnt(0)
	v_cvt_f32_u32_e32 v3, v3
	v_cvt_f16_f32_e32 v31, v3
	s_branch .LBB204_2038
.LBB204_2036:
	s_mov_b64 s[12:13], -1
                                        ; implicit-def: $vgpr31
	s_branch .LBB204_2041
.LBB204_2037:
	s_mov_b64 s[12:13], -1
                                        ; implicit-def: $vgpr31
.LBB204_2038:
	s_andn2_b64 vcc, exec, s[12:13]
	s_cbranch_vccnz .LBB204_2040
; %bb.2039:
	global_load_ushort v3, v[10:11], off
	s_waitcnt vmcnt(0)
	v_cvt_f16_u16_e32 v31, v3
.LBB204_2040:
	s_mov_b64 s[12:13], 0
.LBB204_2041:
	s_andn2_b64 vcc, exec, s[12:13]
	s_cbranch_vccnz .LBB204_2049
; %bb.2042:
	global_load_ubyte v3, v[10:11], off
	s_movk_i32 s12, 0x7f
                                        ; implicit-def: $sgpr21
	s_waitcnt vmcnt(0)
	v_cmp_lt_i16_e32 vcc, s12, v3
	s_mov_b64 s[12:13], 0
	s_and_saveexec_b64 s[14:15], vcc
	s_xor_b64 s[14:15], exec, s[14:15]
	s_cbranch_execz .LBB204_2063
; %bb.2043:
	s_movk_i32 s12, 0x80
	v_cmp_eq_u16_e32 vcc, s12, v3
	s_mov_b64 s[12:13], -1
                                        ; implicit-def: $sgpr21
	s_and_saveexec_b64 s[16:17], vcc
; %bb.2044:
	s_movk_i32 s21, 0x7e00
	s_xor_b64 s[12:13], exec, -1
; %bb.2045:
	s_or_b64 exec, exec, s[16:17]
	s_and_b64 s[12:13], s[12:13], exec
	s_or_saveexec_b64 s[14:15], s[14:15]
	v_mov_b32_e32 v31, s21
	s_xor_b64 exec, exec, s[14:15]
	s_cbranch_execnz .LBB204_2064
.LBB204_2046:
	s_or_b64 exec, exec, s[14:15]
	s_and_saveexec_b64 s[14:15], s[12:13]
	s_cbranch_execz .LBB204_2048
.LBB204_2047:
	v_lshlrev_b32_e32 v5, 24, v3
	v_and_b32_e32 v3, 0xffff, v3
	v_and_b32_e32 v7, 7, v3
	v_ffbh_u32_e32 v12, v7
	v_min_u32_e32 v12, 32, v12
	v_subrev_u32_e32 v13, 28, v12
	v_bfe_u32 v9, v3, 3, 4
	v_lshlrev_b32_e32 v3, v13, v3
	v_sub_u32_e32 v12, 29, v12
	v_and_b32_e32 v3, 7, v3
	v_cmp_eq_u32_e32 vcc, 0, v9
	v_cndmask_b32_e32 v9, v9, v12, vcc
	v_cndmask_b32_e32 v3, v7, v3, vcc
	v_mov_b32_e32 v7, 0x3b800000
	v_lshlrev_b32_e32 v3, 20, v3
	v_and_b32_e32 v5, 0x80000000, v5
	v_lshl_add_u32 v7, v9, 23, v7
	v_or3_b32 v3, v5, v7, v3
	v_cvt_f16_f32_e32 v31, v3
.LBB204_2048:
	s_or_b64 exec, exec, s[14:15]
.LBB204_2049:
	s_mov_b64 s[12:13], -1
.LBB204_2050:
	s_mov_b64 s[14:15], 0
.LBB204_2051:
	s_and_b64 vcc, exec, s[14:15]
	s_cbranch_vccz .LBB204_2084
; %bb.2052:
	v_cmp_gt_i16_e64 s[10:11], s20, 22
	s_and_b64 vcc, exec, s[10:11]
	s_cbranch_vccz .LBB204_2062
; %bb.2053:
	v_cmp_lt_i16_e64 s[10:11], s20, 24
	s_and_b64 vcc, exec, s[10:11]
	s_cbranch_vccnz .LBB204_2065
; %bb.2054:
	v_cmp_gt_i16_e64 s[10:11], s20, 24
	s_and_b64 vcc, exec, s[10:11]
	s_cbranch_vccz .LBB204_2066
; %bb.2055:
	global_load_ubyte v3, v[10:11], off
	s_movk_i32 s10, 0x7f
                                        ; implicit-def: $sgpr16
	s_waitcnt vmcnt(0)
	v_cmp_lt_i16_e32 vcc, s10, v3
	s_mov_b64 s[10:11], 0
	s_and_saveexec_b64 s[12:13], vcc
	s_xor_b64 s[12:13], exec, s[12:13]
	s_cbranch_execz .LBB204_2078
; %bb.2056:
	s_movk_i32 s10, 0x80
	v_cmp_eq_u16_e32 vcc, s10, v3
	s_mov_b64 s[10:11], -1
                                        ; implicit-def: $sgpr16
	s_and_saveexec_b64 s[14:15], vcc
; %bb.2057:
	s_movk_i32 s16, 0x7e00
	s_xor_b64 s[10:11], exec, -1
; %bb.2058:
	s_or_b64 exec, exec, s[14:15]
	s_and_b64 s[10:11], s[10:11], exec
	s_or_saveexec_b64 s[12:13], s[12:13]
	v_mov_b32_e32 v31, s16
	s_xor_b64 exec, exec, s[12:13]
	s_cbranch_execnz .LBB204_2079
.LBB204_2059:
	s_or_b64 exec, exec, s[12:13]
	s_and_saveexec_b64 s[12:13], s[10:11]
	s_cbranch_execz .LBB204_2061
.LBB204_2060:
	v_lshlrev_b32_e32 v5, 24, v3
	v_and_b32_e32 v3, 0xffff, v3
	v_and_b32_e32 v7, 3, v3
	v_ffbh_u32_e32 v12, v7
	v_min_u32_e32 v12, 32, v12
	v_subrev_u32_e32 v13, 29, v12
	v_bfe_u32 v9, v3, 2, 5
	v_lshlrev_b32_e32 v3, v13, v3
	v_sub_u32_e32 v12, 30, v12
	v_and_b32_e32 v3, 3, v3
	v_cmp_eq_u32_e32 vcc, 0, v9
	v_cndmask_b32_e32 v9, v9, v12, vcc
	v_cndmask_b32_e32 v3, v7, v3, vcc
	v_mov_b32_e32 v7, 0x37800000
	v_lshlrev_b32_e32 v3, 21, v3
	v_and_b32_e32 v5, 0x80000000, v5
	v_lshl_add_u32 v7, v9, 23, v7
	v_or3_b32 v3, v5, v7, v3
	v_cvt_f16_f32_e32 v31, v3
.LBB204_2061:
	s_or_b64 exec, exec, s[12:13]
	s_mov_b64 s[10:11], 0
	s_branch .LBB204_2067
.LBB204_2062:
	s_mov_b64 s[10:11], -1
                                        ; implicit-def: $vgpr31
	s_branch .LBB204_2073
.LBB204_2063:
	s_or_saveexec_b64 s[14:15], s[14:15]
	v_mov_b32_e32 v31, s21
	s_xor_b64 exec, exec, s[14:15]
	s_cbranch_execz .LBB204_2046
.LBB204_2064:
	v_cmp_ne_u16_e32 vcc, 0, v3
	s_andn2_b64 s[12:13], s[12:13], exec
	s_and_b64 s[16:17], vcc, exec
	s_or_b64 s[12:13], s[12:13], s[16:17]
	v_mov_b32_e32 v31, v3
	s_or_b64 exec, exec, s[14:15]
	s_and_saveexec_b64 s[14:15], s[12:13]
	s_cbranch_execnz .LBB204_2047
	s_branch .LBB204_2048
.LBB204_2065:
	s_mov_b64 s[10:11], -1
                                        ; implicit-def: $vgpr31
	s_branch .LBB204_2070
.LBB204_2066:
	s_mov_b64 s[10:11], -1
                                        ; implicit-def: $vgpr31
.LBB204_2067:
	s_and_b64 vcc, exec, s[10:11]
	s_cbranch_vccz .LBB204_2069
; %bb.2068:
	global_load_ubyte v3, v[10:11], off
	s_mov_b32 s10, 0x7f800000
	s_waitcnt vmcnt(0)
	v_lshlrev_b32_e32 v3, 24, v3
	v_and_b32_e32 v5, 0x7f000000, v3
	v_ffbh_u32_e32 v7, v5
	v_min_u32_e32 v7, 32, v7
	v_sub_u32_e64 v7, v7, 4 clamp
	v_lshlrev_b32_e32 v12, v7, v5
	v_lshlrev_b32_e32 v7, 23, v7
	v_lshrrev_b32_e32 v12, 4, v12
	v_add_u32_e32 v9, 0x1000000, v5
	v_sub_u32_e32 v7, v12, v7
	v_ashrrev_i32_e32 v9, 8, v9
	v_add_u32_e32 v7, 0x3c000000, v7
	v_and_or_b32 v7, v9, s10, v7
	v_cmp_ne_u32_e32 vcc, 0, v5
	v_cndmask_b32_e32 v5, 0, v7, vcc
	s_brev_b32 s10, 1
	v_and_or_b32 v3, v3, s10, v5
	v_cvt_f16_f32_e32 v31, v3
.LBB204_2069:
	s_mov_b64 s[10:11], 0
.LBB204_2070:
	s_andn2_b64 vcc, exec, s[10:11]
	s_cbranch_vccnz .LBB204_2072
; %bb.2071:
	global_load_ubyte v3, v[10:11], off
	s_movk_i32 s10, 0x7f00
	s_brev_b32 s11, 16
	s_waitcnt vmcnt(0)
	v_lshlrev_b16_e32 v5, 8, v3
	v_lshlrev_b32_e32 v3, 25, v3
	v_lshrrev_b32_e32 v7, 4, v3
	v_and_or_b32 v9, v5, s10, 0.5
	v_or_b32_e32 v7, 0x70000000, v7
	v_add_f32_e32 v9, -0.5, v9
	v_mul_f32_e32 v7, 0x7800000, v7
	v_cmp_gt_u32_e32 vcc, s11, v3
	v_bfe_i32 v5, v5, 0, 16
	v_cndmask_b32_e32 v3, v7, v9, vcc
	s_brev_b32 s10, 1
	v_and_or_b32 v3, v5, s10, v3
	v_cvt_f16_f32_e32 v31, v3
.LBB204_2072:
	s_mov_b64 s[10:11], 0
	s_mov_b64 s[12:13], -1
.LBB204_2073:
	s_andn2_b64 vcc, exec, s[10:11]
	s_mov_b64 s[10:11], 0
	s_cbranch_vccnz .LBB204_2084
; %bb.2074:
	v_cmp_gt_i16_e64 s[10:11], s20, 14
	s_and_b64 vcc, exec, s[10:11]
	s_cbranch_vccz .LBB204_2077
; %bb.2075:
	v_cmp_eq_u16_e64 s[8:9], s20, 15
	s_and_b64 vcc, exec, s[8:9]
	s_cbranch_vccz .LBB204_2080
; %bb.2076:
	global_load_ushort v3, v[10:11], off
	s_mov_b64 s[8:9], 0
	s_mov_b64 s[12:13], -1
	s_waitcnt vmcnt(0)
	v_lshlrev_b32_e32 v3, 16, v3
	v_cvt_f16_f32_e32 v31, v3
	s_branch .LBB204_2081
.LBB204_2077:
	s_mov_b64 s[14:15], -1
                                        ; implicit-def: $vgpr31
	s_branch .LBB204_2082
.LBB204_2078:
	s_or_saveexec_b64 s[12:13], s[12:13]
	v_mov_b32_e32 v31, s16
	s_xor_b64 exec, exec, s[12:13]
	s_cbranch_execz .LBB204_2059
.LBB204_2079:
	v_cmp_ne_u16_e32 vcc, 0, v3
	s_andn2_b64 s[10:11], s[10:11], exec
	s_and_b64 s[14:15], vcc, exec
	s_or_b64 s[10:11], s[10:11], s[14:15]
	v_mov_b32_e32 v31, v3
	s_or_b64 exec, exec, s[12:13]
	s_and_saveexec_b64 s[12:13], s[10:11]
	s_cbranch_execnz .LBB204_2060
	s_branch .LBB204_2061
.LBB204_2080:
	s_mov_b64 s[8:9], -1
                                        ; implicit-def: $vgpr31
.LBB204_2081:
	s_mov_b64 s[14:15], 0
.LBB204_2082:
	s_mov_b64 s[10:11], 0
	s_and_b64 vcc, exec, s[14:15]
	s_cbranch_vccz .LBB204_2084
; %bb.2083:
	v_cmp_ne_u16_e64 s[8:9], s20, 11
	s_mov_b64 s[10:11], -1
                                        ; implicit-def: $vgpr31
.LBB204_2084:
	s_and_b64 vcc, exec, s[8:9]
	s_cbranch_vccnz .LBB204_2149
; %bb.2085:
	s_andn2_b64 vcc, exec, s[10:11]
	s_cbranch_vccnz .LBB204_2087
.LBB204_2086:
	global_load_ubyte v3, v[10:11], off
	v_mov_b32_e32 v5, 0x3c00
	s_mov_b64 s[12:13], -1
	s_waitcnt vmcnt(0)
	v_cmp_ne_u16_e32 vcc, 0, v3
	v_cndmask_b32_e32 v31, 0, v5, vcc
.LBB204_2087:
	s_mov_b64 s[8:9], 0
.LBB204_2088:
	s_and_b64 vcc, exec, s[8:9]
	s_cbranch_vccz .LBB204_2137
; %bb.2089:
	v_cmp_lt_i16_e64 s[8:9], s20, 5
	s_and_b64 vcc, exec, s[8:9]
	s_cbranch_vccnz .LBB204_2094
; %bb.2090:
	v_cmp_lt_i16_e64 s[8:9], s20, 8
	s_and_b64 vcc, exec, s[8:9]
	s_cbranch_vccnz .LBB204_2095
	;; [unrolled: 4-line block ×3, first 2 shown]
; %bb.2092:
	v_cmp_gt_i16_e64 s[8:9], s20, 9
	s_and_b64 vcc, exec, s[8:9]
	s_cbranch_vccz .LBB204_2097
; %bb.2093:
	global_load_dwordx2 v[12:13], v[10:11], off
	s_mov_b64 s[8:9], 0
	s_waitcnt vmcnt(0)
	v_cvt_f32_f64_e32 v3, v[12:13]
	v_cvt_f16_f32_e32 v31, v3
	s_branch .LBB204_2098
.LBB204_2094:
	s_mov_b64 s[8:9], -1
                                        ; implicit-def: $vgpr31
	s_branch .LBB204_2116
.LBB204_2095:
	s_mov_b64 s[8:9], -1
                                        ; implicit-def: $vgpr31
	s_branch .LBB204_2104
.LBB204_2096:
	s_mov_b64 s[8:9], -1
                                        ; implicit-def: $vgpr31
	s_branch .LBB204_2101
.LBB204_2097:
	s_mov_b64 s[8:9], -1
                                        ; implicit-def: $vgpr31
.LBB204_2098:
	s_andn2_b64 vcc, exec, s[8:9]
	s_cbranch_vccnz .LBB204_2100
; %bb.2099:
	global_load_dword v3, v[10:11], off
	s_waitcnt vmcnt(0)
	v_cvt_f16_f32_e32 v31, v3
.LBB204_2100:
	s_mov_b64 s[8:9], 0
.LBB204_2101:
	s_andn2_b64 vcc, exec, s[8:9]
	s_cbranch_vccnz .LBB204_2103
; %bb.2102:
	global_load_dword v31, v[10:11], off
.LBB204_2103:
	s_mov_b64 s[8:9], 0
.LBB204_2104:
	s_andn2_b64 vcc, exec, s[8:9]
	s_cbranch_vccnz .LBB204_2115
; %bb.2105:
	v_cmp_lt_i16_e64 s[8:9], s20, 6
	s_and_b64 vcc, exec, s[8:9]
	s_cbranch_vccnz .LBB204_2108
; %bb.2106:
	v_cmp_gt_i16_e64 s[8:9], s20, 6
	s_and_b64 vcc, exec, s[8:9]
	s_cbranch_vccz .LBB204_2109
; %bb.2107:
	global_load_dwordx2 v[12:13], v[10:11], off
	s_mov_b64 s[8:9], 0
	s_waitcnt vmcnt(0)
	v_cvt_f32_f64_e32 v3, v[12:13]
	v_cvt_f16_f32_e32 v31, v3
	s_branch .LBB204_2110
.LBB204_2108:
	s_mov_b64 s[8:9], -1
                                        ; implicit-def: $vgpr31
	s_branch .LBB204_2113
.LBB204_2109:
	s_mov_b64 s[8:9], -1
                                        ; implicit-def: $vgpr31
.LBB204_2110:
	s_andn2_b64 vcc, exec, s[8:9]
	s_cbranch_vccnz .LBB204_2112
; %bb.2111:
	global_load_dword v3, v[10:11], off
	s_waitcnt vmcnt(0)
	v_cvt_f16_f32_e32 v31, v3
.LBB204_2112:
	s_mov_b64 s[8:9], 0
.LBB204_2113:
	s_andn2_b64 vcc, exec, s[8:9]
	s_cbranch_vccnz .LBB204_2115
; %bb.2114:
	global_load_ushort v31, v[10:11], off
.LBB204_2115:
	s_mov_b64 s[8:9], 0
.LBB204_2116:
	s_andn2_b64 vcc, exec, s[8:9]
	s_cbranch_vccnz .LBB204_2136
; %bb.2117:
	v_cmp_lt_i16_e64 s[8:9], s20, 2
	s_and_b64 vcc, exec, s[8:9]
	s_cbranch_vccnz .LBB204_2121
; %bb.2118:
	v_cmp_lt_i16_e64 s[8:9], s20, 3
	s_and_b64 vcc, exec, s[8:9]
	s_cbranch_vccnz .LBB204_2122
; %bb.2119:
	v_cmp_gt_i16_e64 s[8:9], s20, 3
	s_and_b64 vcc, exec, s[8:9]
	s_cbranch_vccz .LBB204_2123
; %bb.2120:
	global_load_dwordx2 v[12:13], v[10:11], off
	s_mov_b64 s[8:9], 0
	s_waitcnt vmcnt(0)
	v_xor_b32_e32 v5, v12, v13
	v_ffbh_i32_e32 v3, v13
	v_ashrrev_i32_e32 v5, 31, v5
	v_add_u32_e32 v3, -1, v3
	v_add_u32_e32 v5, 32, v5
	v_min_u32_e32 v3, v3, v5
	v_lshlrev_b64 v[12:13], v3, v[12:13]
	v_min_u32_e32 v5, 1, v12
	v_or_b32_e32 v5, v13, v5
	v_cvt_f32_i32_e32 v5, v5
	v_sub_u32_e32 v3, 32, v3
	v_ldexp_f32 v3, v5, v3
	v_cvt_f16_f32_e32 v31, v3
	s_branch .LBB204_2124
.LBB204_2121:
	s_mov_b64 s[8:9], -1
                                        ; implicit-def: $vgpr31
	s_branch .LBB204_2130
.LBB204_2122:
	s_mov_b64 s[8:9], -1
                                        ; implicit-def: $vgpr31
	s_branch .LBB204_2127
.LBB204_2123:
	s_mov_b64 s[8:9], -1
                                        ; implicit-def: $vgpr31
.LBB204_2124:
	s_andn2_b64 vcc, exec, s[8:9]
	s_cbranch_vccnz .LBB204_2126
; %bb.2125:
	global_load_dword v3, v[10:11], off
	s_waitcnt vmcnt(0)
	v_cvt_f32_i32_e32 v3, v3
	v_cvt_f16_f32_e32 v31, v3
.LBB204_2126:
	s_mov_b64 s[8:9], 0
.LBB204_2127:
	s_andn2_b64 vcc, exec, s[8:9]
	s_cbranch_vccnz .LBB204_2129
; %bb.2128:
	global_load_ushort v3, v[10:11], off
	s_waitcnt vmcnt(0)
	v_cvt_f16_i16_e32 v31, v3
.LBB204_2129:
	s_mov_b64 s[8:9], 0
.LBB204_2130:
	s_andn2_b64 vcc, exec, s[8:9]
	s_cbranch_vccnz .LBB204_2136
; %bb.2131:
	v_cmp_gt_i16_e64 s[8:9], s20, 0
	s_and_b64 vcc, exec, s[8:9]
	s_cbranch_vccz .LBB204_2133
; %bb.2132:
	global_load_sbyte v3, v[10:11], off
	s_mov_b64 s[8:9], 0
	s_waitcnt vmcnt(0)
	v_cvt_f16_i16_e32 v31, v3
	s_branch .LBB204_2134
.LBB204_2133:
	s_mov_b64 s[8:9], -1
                                        ; implicit-def: $vgpr31
.LBB204_2134:
	s_andn2_b64 vcc, exec, s[8:9]
	s_cbranch_vccnz .LBB204_2136
; %bb.2135:
	global_load_ubyte v3, v[10:11], off
	s_waitcnt vmcnt(0)
	v_cvt_f16_u16_e32 v31, v3
.LBB204_2136:
	s_mov_b64 s[12:13], -1
.LBB204_2137:
	s_andn2_b64 vcc, exec, s[12:13]
	s_cbranch_vccnz .LBB204_3113
; %bb.2138:
	v_mov_b32_e32 v3, s27
	v_add_co_u32_e32 v8, vcc, s26, v8
	v_addc_co_u32_e32 v9, vcc, 0, v3, vcc
	v_mov_b32_e32 v3, 11
	v_cmp_lt_i16_sdwa s[8:9], s19, v3 src0_sel:BYTE_0 src1_sel:DWORD
	s_and_b64 vcc, exec, s[8:9]
	s_cbranch_vccnz .LBB204_2145
; %bb.2139:
	v_mov_b32_e32 v3, 25
	v_cmp_gt_i16_sdwa s[8:9], s19, v3 src0_sel:BYTE_0 src1_sel:DWORD
	s_mov_b64 s[10:11], 0
	s_and_b64 vcc, exec, s[8:9]
	s_cbranch_vccz .LBB204_2146
; %bb.2140:
	v_mov_b32_e32 v3, 28
	v_cmp_gt_i16_sdwa s[8:9], s19, v3 src0_sel:BYTE_0 src1_sel:DWORD
	s_and_b64 vcc, exec, s[8:9]
	s_cbranch_vccz .LBB204_2147
; %bb.2141:
	v_mov_b32_e32 v3, 43
	v_cmp_gt_i16_sdwa s[8:9], s19, v3 src0_sel:BYTE_0 src1_sel:DWORD
	;; [unrolled: 5-line block ×3, first 2 shown]
	s_and_b64 vcc, exec, s[8:9]
	s_cbranch_vccz .LBB204_2150
; %bb.2143:
	v_mov_b32_e32 v3, 46
	v_cmp_eq_u16_sdwa s[8:9], s19, v3 src0_sel:BYTE_0 src1_sel:DWORD
	s_mov_b64 s[14:15], 0
	s_and_b64 vcc, exec, s[8:9]
	s_cbranch_vccz .LBB204_2151
; %bb.2144:
	global_load_dword v3, v[8:9], off
	s_mov_b64 s[8:9], 0
	s_mov_b64 s[12:13], -1
	s_waitcnt vmcnt(0)
	v_lshlrev_b32_e32 v3, 16, v3
	v_cvt_f16_f32_e32 v32, v3
	s_branch .LBB204_2152
.LBB204_2145:
	s_mov_b64 s[8:9], -1
	s_mov_b64 s[12:13], 0
                                        ; implicit-def: $vgpr32
	s_branch .LBB204_2218
.LBB204_2146:
	s_mov_b64 s[14:15], -1
	s_mov_b64 s[12:13], 0
	s_mov_b64 s[8:9], 0
                                        ; implicit-def: $vgpr32
	s_branch .LBB204_2181
.LBB204_2147:
	s_mov_b64 s[14:15], -1
	s_mov_b64 s[12:13], 0
	s_mov_b64 s[8:9], 0
                                        ; implicit-def: $vgpr32
	s_branch .LBB204_2162
.LBB204_2148:
	s_mov_b64 s[14:15], -1
	s_mov_b64 s[12:13], 0
	s_mov_b64 s[8:9], 0
                                        ; implicit-def: $vgpr32
	s_branch .LBB204_2157
.LBB204_2149:
	s_trap 2
	s_or_b64 s[34:35], s[34:35], exec
                                        ; implicit-def: $vgpr31
	s_cbranch_execz .LBB204_2086
	s_branch .LBB204_2087
.LBB204_2150:
	s_mov_b64 s[14:15], -1
	s_mov_b64 s[12:13], 0
	s_mov_b64 s[8:9], 0
                                        ; implicit-def: $vgpr32
	s_branch .LBB204_2152
.LBB204_2151:
	s_mov_b64 s[8:9], -1
                                        ; implicit-def: $vgpr32
	s_mov_b64 s[12:13], 0
.LBB204_2152:
	s_and_b64 vcc, exec, s[14:15]
	s_cbranch_vccz .LBB204_2156
; %bb.2153:
	v_mov_b32_e32 v3, 44
	v_cmp_eq_u16_sdwa s[8:9], s19, v3 src0_sel:BYTE_0 src1_sel:DWORD
	s_and_b64 vcc, exec, s[8:9]
	s_cbranch_vccz .LBB204_2155
; %bb.2154:
	global_load_ubyte v3, v[8:9], off
	s_movk_i32 s12, 0xff
	v_mov_b32_e32 v7, 0x7e00
	s_mov_b64 s[8:9], 0
	s_waitcnt vmcnt(0)
	v_lshlrev_b32_e32 v5, 23, v3
	v_cvt_f16_f32_e32 v5, v5
	v_cmp_ne_u32_e32 vcc, s12, v3
	s_mov_b64 s[12:13], -1
	v_cndmask_b32_e32 v5, v7, v5, vcc
	v_cmp_ne_u32_e32 vcc, 0, v3
	v_cndmask_b32_e32 v32, 0, v5, vcc
	s_branch .LBB204_2156
.LBB204_2155:
	s_mov_b64 s[8:9], -1
                                        ; implicit-def: $vgpr32
.LBB204_2156:
	s_mov_b64 s[14:15], 0
.LBB204_2157:
	s_and_b64 vcc, exec, s[14:15]
	s_cbranch_vccz .LBB204_2161
; %bb.2158:
	v_mov_b32_e32 v3, 29
	v_cmp_eq_u16_sdwa s[8:9], s19, v3 src0_sel:BYTE_0 src1_sel:DWORD
	s_and_b64 vcc, exec, s[8:9]
	s_cbranch_vccz .LBB204_2160
; %bb.2159:
	global_load_dwordx2 v[10:11], v[8:9], off
	s_mov_b64 s[8:9], 0
	s_mov_b64 s[12:13], -1
	s_mov_b64 s[14:15], 0
	s_waitcnt vmcnt(0)
	v_ffbh_u32_e32 v3, v11
	v_min_u32_e32 v3, 32, v3
	v_lshlrev_b64 v[10:11], v3, v[10:11]
	v_min_u32_e32 v5, 1, v10
	v_or_b32_e32 v5, v11, v5
	v_cvt_f32_u32_e32 v5, v5
	v_sub_u32_e32 v3, 32, v3
	v_ldexp_f32 v3, v5, v3
	v_cvt_f16_f32_e32 v32, v3
	s_branch .LBB204_2162
.LBB204_2160:
	s_mov_b64 s[8:9], -1
                                        ; implicit-def: $vgpr32
.LBB204_2161:
	s_mov_b64 s[14:15], 0
.LBB204_2162:
	s_and_b64 vcc, exec, s[14:15]
	s_cbranch_vccz .LBB204_2180
; %bb.2163:
	v_mov_b32_e32 v3, 27
	v_cmp_lt_i16_sdwa s[12:13], s19, v3 src0_sel:BYTE_0 src1_sel:DWORD
	s_and_b64 vcc, exec, s[12:13]
	s_cbranch_vccnz .LBB204_2166
; %bb.2164:
	v_cmp_gt_i16_sdwa s[12:13], s19, v3 src0_sel:BYTE_0 src1_sel:DWORD
	s_and_b64 vcc, exec, s[12:13]
	s_cbranch_vccz .LBB204_2167
; %bb.2165:
	global_load_dword v3, v[8:9], off
	s_mov_b64 s[12:13], 0
	s_waitcnt vmcnt(0)
	v_cvt_f32_u32_e32 v3, v3
	v_cvt_f16_f32_e32 v32, v3
	s_branch .LBB204_2168
.LBB204_2166:
	s_mov_b64 s[12:13], -1
                                        ; implicit-def: $vgpr32
	s_branch .LBB204_2171
.LBB204_2167:
	s_mov_b64 s[12:13], -1
                                        ; implicit-def: $vgpr32
.LBB204_2168:
	s_andn2_b64 vcc, exec, s[12:13]
	s_cbranch_vccnz .LBB204_2170
; %bb.2169:
	global_load_ushort v3, v[8:9], off
	s_waitcnt vmcnt(0)
	v_cvt_f16_u16_e32 v32, v3
.LBB204_2170:
	s_mov_b64 s[12:13], 0
.LBB204_2171:
	s_andn2_b64 vcc, exec, s[12:13]
	s_cbranch_vccnz .LBB204_2179
; %bb.2172:
	global_load_ubyte v3, v[8:9], off
	s_movk_i32 s12, 0x7f
                                        ; implicit-def: $sgpr21
	s_waitcnt vmcnt(0)
	v_cmp_lt_i16_e32 vcc, s12, v3
	s_mov_b64 s[12:13], 0
	s_and_saveexec_b64 s[14:15], vcc
	s_xor_b64 s[14:15], exec, s[14:15]
	s_cbranch_execz .LBB204_2193
; %bb.2173:
	s_movk_i32 s12, 0x80
	v_cmp_eq_u16_e32 vcc, s12, v3
	s_mov_b64 s[12:13], -1
                                        ; implicit-def: $sgpr21
	s_and_saveexec_b64 s[16:17], vcc
; %bb.2174:
	s_movk_i32 s21, 0x7e00
	s_xor_b64 s[12:13], exec, -1
; %bb.2175:
	s_or_b64 exec, exec, s[16:17]
	s_and_b64 s[12:13], s[12:13], exec
	s_or_saveexec_b64 s[14:15], s[14:15]
	v_mov_b32_e32 v32, s21
	s_xor_b64 exec, exec, s[14:15]
	s_cbranch_execnz .LBB204_2194
.LBB204_2176:
	s_or_b64 exec, exec, s[14:15]
	s_and_saveexec_b64 s[14:15], s[12:13]
	s_cbranch_execz .LBB204_2178
.LBB204_2177:
	v_lshlrev_b32_e32 v5, 24, v3
	v_and_b32_e32 v3, 0xffff, v3
	v_and_b32_e32 v7, 7, v3
	v_ffbh_u32_e32 v11, v7
	v_min_u32_e32 v11, 32, v11
	v_subrev_u32_e32 v12, 28, v11
	v_bfe_u32 v10, v3, 3, 4
	v_lshlrev_b32_e32 v3, v12, v3
	v_sub_u32_e32 v11, 29, v11
	v_and_b32_e32 v3, 7, v3
	v_cmp_eq_u32_e32 vcc, 0, v10
	v_cndmask_b32_e32 v10, v10, v11, vcc
	v_cndmask_b32_e32 v3, v7, v3, vcc
	v_mov_b32_e32 v7, 0x3b800000
	v_lshlrev_b32_e32 v3, 20, v3
	v_and_b32_e32 v5, 0x80000000, v5
	v_lshl_add_u32 v7, v10, 23, v7
	v_or3_b32 v3, v5, v7, v3
	v_cvt_f16_f32_e32 v32, v3
.LBB204_2178:
	s_or_b64 exec, exec, s[14:15]
.LBB204_2179:
	s_mov_b64 s[12:13], -1
.LBB204_2180:
	s_mov_b64 s[14:15], 0
.LBB204_2181:
	s_and_b64 vcc, exec, s[14:15]
	s_cbranch_vccz .LBB204_2214
; %bb.2182:
	v_mov_b32_e32 v3, 22
	v_cmp_gt_i16_sdwa s[10:11], s19, v3 src0_sel:BYTE_0 src1_sel:DWORD
	s_and_b64 vcc, exec, s[10:11]
	s_cbranch_vccz .LBB204_2192
; %bb.2183:
	v_mov_b32_e32 v3, 24
	v_cmp_lt_i16_sdwa s[10:11], s19, v3 src0_sel:BYTE_0 src1_sel:DWORD
	s_and_b64 vcc, exec, s[10:11]
	s_cbranch_vccnz .LBB204_2195
; %bb.2184:
	v_cmp_gt_i16_sdwa s[10:11], s19, v3 src0_sel:BYTE_0 src1_sel:DWORD
	s_and_b64 vcc, exec, s[10:11]
	s_cbranch_vccz .LBB204_2196
; %bb.2185:
	global_load_ubyte v3, v[8:9], off
	s_movk_i32 s10, 0x7f
                                        ; implicit-def: $sgpr16
	s_waitcnt vmcnt(0)
	v_cmp_lt_i16_e32 vcc, s10, v3
	s_mov_b64 s[10:11], 0
	s_and_saveexec_b64 s[12:13], vcc
	s_xor_b64 s[12:13], exec, s[12:13]
	s_cbranch_execz .LBB204_2208
; %bb.2186:
	s_movk_i32 s10, 0x80
	v_cmp_eq_u16_e32 vcc, s10, v3
	s_mov_b64 s[10:11], -1
                                        ; implicit-def: $sgpr16
	s_and_saveexec_b64 s[14:15], vcc
; %bb.2187:
	s_movk_i32 s16, 0x7e00
	s_xor_b64 s[10:11], exec, -1
; %bb.2188:
	s_or_b64 exec, exec, s[14:15]
	s_and_b64 s[10:11], s[10:11], exec
	s_or_saveexec_b64 s[12:13], s[12:13]
	v_mov_b32_e32 v32, s16
	s_xor_b64 exec, exec, s[12:13]
	s_cbranch_execnz .LBB204_2209
.LBB204_2189:
	s_or_b64 exec, exec, s[12:13]
	s_and_saveexec_b64 s[12:13], s[10:11]
	s_cbranch_execz .LBB204_2191
.LBB204_2190:
	v_lshlrev_b32_e32 v5, 24, v3
	v_and_b32_e32 v3, 0xffff, v3
	v_and_b32_e32 v7, 3, v3
	v_ffbh_u32_e32 v11, v7
	v_min_u32_e32 v11, 32, v11
	v_subrev_u32_e32 v12, 29, v11
	v_bfe_u32 v10, v3, 2, 5
	v_lshlrev_b32_e32 v3, v12, v3
	v_sub_u32_e32 v11, 30, v11
	v_and_b32_e32 v3, 3, v3
	v_cmp_eq_u32_e32 vcc, 0, v10
	v_cndmask_b32_e32 v10, v10, v11, vcc
	v_cndmask_b32_e32 v3, v7, v3, vcc
	v_mov_b32_e32 v7, 0x37800000
	v_lshlrev_b32_e32 v3, 21, v3
	v_and_b32_e32 v5, 0x80000000, v5
	v_lshl_add_u32 v7, v10, 23, v7
	v_or3_b32 v3, v5, v7, v3
	v_cvt_f16_f32_e32 v32, v3
.LBB204_2191:
	s_or_b64 exec, exec, s[12:13]
	s_mov_b64 s[10:11], 0
	s_branch .LBB204_2197
.LBB204_2192:
	s_mov_b64 s[10:11], -1
                                        ; implicit-def: $vgpr32
	s_branch .LBB204_2203
.LBB204_2193:
	s_or_saveexec_b64 s[14:15], s[14:15]
	v_mov_b32_e32 v32, s21
	s_xor_b64 exec, exec, s[14:15]
	s_cbranch_execz .LBB204_2176
.LBB204_2194:
	v_cmp_ne_u16_e32 vcc, 0, v3
	s_andn2_b64 s[12:13], s[12:13], exec
	s_and_b64 s[16:17], vcc, exec
	s_or_b64 s[12:13], s[12:13], s[16:17]
	v_mov_b32_e32 v32, v3
	s_or_b64 exec, exec, s[14:15]
	s_and_saveexec_b64 s[14:15], s[12:13]
	s_cbranch_execnz .LBB204_2177
	s_branch .LBB204_2178
.LBB204_2195:
	s_mov_b64 s[10:11], -1
                                        ; implicit-def: $vgpr32
	s_branch .LBB204_2200
.LBB204_2196:
	s_mov_b64 s[10:11], -1
                                        ; implicit-def: $vgpr32
.LBB204_2197:
	s_and_b64 vcc, exec, s[10:11]
	s_cbranch_vccz .LBB204_2199
; %bb.2198:
	global_load_ubyte v3, v[8:9], off
	s_mov_b32 s10, 0x7f800000
	s_waitcnt vmcnt(0)
	v_lshlrev_b32_e32 v3, 24, v3
	v_and_b32_e32 v5, 0x7f000000, v3
	v_ffbh_u32_e32 v7, v5
	v_min_u32_e32 v7, 32, v7
	v_sub_u32_e64 v7, v7, 4 clamp
	v_lshlrev_b32_e32 v11, v7, v5
	v_lshlrev_b32_e32 v7, 23, v7
	v_lshrrev_b32_e32 v11, 4, v11
	v_add_u32_e32 v10, 0x1000000, v5
	v_sub_u32_e32 v7, v11, v7
	v_ashrrev_i32_e32 v10, 8, v10
	v_add_u32_e32 v7, 0x3c000000, v7
	v_and_or_b32 v7, v10, s10, v7
	v_cmp_ne_u32_e32 vcc, 0, v5
	v_cndmask_b32_e32 v5, 0, v7, vcc
	s_brev_b32 s10, 1
	v_and_or_b32 v3, v3, s10, v5
	v_cvt_f16_f32_e32 v32, v3
.LBB204_2199:
	s_mov_b64 s[10:11], 0
.LBB204_2200:
	s_andn2_b64 vcc, exec, s[10:11]
	s_cbranch_vccnz .LBB204_2202
; %bb.2201:
	global_load_ubyte v3, v[8:9], off
	s_movk_i32 s10, 0x7f00
	s_brev_b32 s11, 16
	s_waitcnt vmcnt(0)
	v_lshlrev_b16_e32 v5, 8, v3
	v_lshlrev_b32_e32 v3, 25, v3
	v_lshrrev_b32_e32 v7, 4, v3
	v_and_or_b32 v10, v5, s10, 0.5
	v_or_b32_e32 v7, 0x70000000, v7
	v_add_f32_e32 v10, -0.5, v10
	v_mul_f32_e32 v7, 0x7800000, v7
	v_cmp_gt_u32_e32 vcc, s11, v3
	v_bfe_i32 v5, v5, 0, 16
	v_cndmask_b32_e32 v3, v7, v10, vcc
	s_brev_b32 s10, 1
	v_and_or_b32 v3, v5, s10, v3
	v_cvt_f16_f32_e32 v32, v3
.LBB204_2202:
	s_mov_b64 s[10:11], 0
	s_mov_b64 s[12:13], -1
.LBB204_2203:
	s_andn2_b64 vcc, exec, s[10:11]
	s_mov_b64 s[10:11], 0
	s_cbranch_vccnz .LBB204_2214
; %bb.2204:
	v_mov_b32_e32 v3, 14
	v_cmp_gt_i16_sdwa s[10:11], s19, v3 src0_sel:BYTE_0 src1_sel:DWORD
	s_and_b64 vcc, exec, s[10:11]
	s_cbranch_vccz .LBB204_2207
; %bb.2205:
	v_mov_b32_e32 v3, 15
	v_cmp_eq_u16_sdwa s[8:9], s19, v3 src0_sel:BYTE_0 src1_sel:DWORD
	s_and_b64 vcc, exec, s[8:9]
	s_cbranch_vccz .LBB204_2210
; %bb.2206:
	global_load_ushort v3, v[8:9], off
	s_mov_b64 s[8:9], 0
	s_mov_b64 s[12:13], -1
	s_waitcnt vmcnt(0)
	v_lshlrev_b32_e32 v3, 16, v3
	v_cvt_f16_f32_e32 v32, v3
	s_branch .LBB204_2211
.LBB204_2207:
	s_mov_b64 s[14:15], -1
                                        ; implicit-def: $vgpr32
	s_branch .LBB204_2212
.LBB204_2208:
	s_or_saveexec_b64 s[12:13], s[12:13]
	v_mov_b32_e32 v32, s16
	s_xor_b64 exec, exec, s[12:13]
	s_cbranch_execz .LBB204_2189
.LBB204_2209:
	v_cmp_ne_u16_e32 vcc, 0, v3
	s_andn2_b64 s[10:11], s[10:11], exec
	s_and_b64 s[14:15], vcc, exec
	s_or_b64 s[10:11], s[10:11], s[14:15]
	v_mov_b32_e32 v32, v3
	s_or_b64 exec, exec, s[12:13]
	s_and_saveexec_b64 s[12:13], s[10:11]
	s_cbranch_execnz .LBB204_2190
	s_branch .LBB204_2191
.LBB204_2210:
	s_mov_b64 s[8:9], -1
                                        ; implicit-def: $vgpr32
.LBB204_2211:
	s_mov_b64 s[14:15], 0
.LBB204_2212:
	s_mov_b64 s[10:11], 0
	s_and_b64 vcc, exec, s[14:15]
	s_cbranch_vccz .LBB204_2214
; %bb.2213:
	v_mov_b32_e32 v3, 11
	v_cmp_ne_u16_sdwa s[8:9], s19, v3 src0_sel:BYTE_0 src1_sel:DWORD
	s_mov_b64 s[10:11], -1
                                        ; implicit-def: $vgpr32
.LBB204_2214:
	s_and_b64 vcc, exec, s[8:9]
	s_cbranch_vccnz .LBB204_2279
; %bb.2215:
	s_andn2_b64 vcc, exec, s[10:11]
	s_cbranch_vccnz .LBB204_2217
.LBB204_2216:
	global_load_ubyte v3, v[8:9], off
	v_mov_b32_e32 v5, 0x3c00
	s_mov_b64 s[12:13], -1
	s_waitcnt vmcnt(0)
	v_cmp_ne_u16_e32 vcc, 0, v3
	v_cndmask_b32_e32 v32, 0, v5, vcc
.LBB204_2217:
	s_mov_b64 s[8:9], 0
.LBB204_2218:
	s_and_b64 vcc, exec, s[8:9]
	s_cbranch_vccz .LBB204_2267
; %bb.2219:
	v_mov_b32_e32 v3, 5
	v_cmp_lt_i16_sdwa s[8:9], s19, v3 src0_sel:BYTE_0 src1_sel:DWORD
	s_and_b64 vcc, exec, s[8:9]
	s_cbranch_vccnz .LBB204_2224
; %bb.2220:
	v_mov_b32_e32 v3, 8
	v_cmp_lt_i16_sdwa s[8:9], s19, v3 src0_sel:BYTE_0 src1_sel:DWORD
	s_and_b64 vcc, exec, s[8:9]
	s_cbranch_vccnz .LBB204_2225
	;; [unrolled: 5-line block ×3, first 2 shown]
; %bb.2222:
	v_cmp_gt_i16_sdwa s[8:9], s19, v3 src0_sel:BYTE_0 src1_sel:DWORD
	s_and_b64 vcc, exec, s[8:9]
	s_cbranch_vccz .LBB204_2227
; %bb.2223:
	global_load_dwordx2 v[10:11], v[8:9], off
	s_mov_b64 s[8:9], 0
	s_waitcnt vmcnt(0)
	v_cvt_f32_f64_e32 v3, v[10:11]
	v_cvt_f16_f32_e32 v32, v3
	s_branch .LBB204_2228
.LBB204_2224:
	s_mov_b64 s[8:9], -1
                                        ; implicit-def: $vgpr32
	s_branch .LBB204_2246
.LBB204_2225:
	s_mov_b64 s[8:9], -1
                                        ; implicit-def: $vgpr32
	s_branch .LBB204_2234
.LBB204_2226:
	s_mov_b64 s[8:9], -1
                                        ; implicit-def: $vgpr32
	s_branch .LBB204_2231
.LBB204_2227:
	s_mov_b64 s[8:9], -1
                                        ; implicit-def: $vgpr32
.LBB204_2228:
	s_andn2_b64 vcc, exec, s[8:9]
	s_cbranch_vccnz .LBB204_2230
; %bb.2229:
	global_load_dword v3, v[8:9], off
	s_waitcnt vmcnt(0)
	v_cvt_f16_f32_e32 v32, v3
.LBB204_2230:
	s_mov_b64 s[8:9], 0
.LBB204_2231:
	s_andn2_b64 vcc, exec, s[8:9]
	s_cbranch_vccnz .LBB204_2233
; %bb.2232:
	global_load_dword v32, v[8:9], off
.LBB204_2233:
	s_mov_b64 s[8:9], 0
.LBB204_2234:
	s_andn2_b64 vcc, exec, s[8:9]
	s_cbranch_vccnz .LBB204_2245
; %bb.2235:
	v_mov_b32_e32 v3, 6
	v_cmp_lt_i16_sdwa s[8:9], s19, v3 src0_sel:BYTE_0 src1_sel:DWORD
	s_and_b64 vcc, exec, s[8:9]
	s_cbranch_vccnz .LBB204_2238
; %bb.2236:
	v_cmp_gt_i16_sdwa s[8:9], s19, v3 src0_sel:BYTE_0 src1_sel:DWORD
	s_and_b64 vcc, exec, s[8:9]
	s_cbranch_vccz .LBB204_2239
; %bb.2237:
	global_load_dwordx2 v[10:11], v[8:9], off
	s_mov_b64 s[8:9], 0
	s_waitcnt vmcnt(0)
	v_cvt_f32_f64_e32 v3, v[10:11]
	v_cvt_f16_f32_e32 v32, v3
	s_branch .LBB204_2240
.LBB204_2238:
	s_mov_b64 s[8:9], -1
                                        ; implicit-def: $vgpr32
	s_branch .LBB204_2243
.LBB204_2239:
	s_mov_b64 s[8:9], -1
                                        ; implicit-def: $vgpr32
.LBB204_2240:
	s_andn2_b64 vcc, exec, s[8:9]
	s_cbranch_vccnz .LBB204_2242
; %bb.2241:
	global_load_dword v3, v[8:9], off
	s_waitcnt vmcnt(0)
	v_cvt_f16_f32_e32 v32, v3
.LBB204_2242:
	s_mov_b64 s[8:9], 0
.LBB204_2243:
	s_andn2_b64 vcc, exec, s[8:9]
	s_cbranch_vccnz .LBB204_2245
; %bb.2244:
	global_load_ushort v32, v[8:9], off
.LBB204_2245:
	s_mov_b64 s[8:9], 0
.LBB204_2246:
	s_andn2_b64 vcc, exec, s[8:9]
	s_cbranch_vccnz .LBB204_2266
; %bb.2247:
	v_mov_b32_e32 v3, 2
	v_cmp_lt_i16_sdwa s[8:9], s19, v3 src0_sel:BYTE_0 src1_sel:DWORD
	s_and_b64 vcc, exec, s[8:9]
	s_cbranch_vccnz .LBB204_2251
; %bb.2248:
	v_mov_b32_e32 v3, 3
	v_cmp_lt_i16_sdwa s[8:9], s19, v3 src0_sel:BYTE_0 src1_sel:DWORD
	s_and_b64 vcc, exec, s[8:9]
	s_cbranch_vccnz .LBB204_2252
; %bb.2249:
	v_cmp_gt_i16_sdwa s[8:9], s19, v3 src0_sel:BYTE_0 src1_sel:DWORD
	s_and_b64 vcc, exec, s[8:9]
	s_cbranch_vccz .LBB204_2253
; %bb.2250:
	global_load_dwordx2 v[10:11], v[8:9], off
	s_mov_b64 s[8:9], 0
	s_waitcnt vmcnt(0)
	v_xor_b32_e32 v5, v10, v11
	v_ffbh_i32_e32 v3, v11
	v_ashrrev_i32_e32 v5, 31, v5
	v_add_u32_e32 v3, -1, v3
	v_add_u32_e32 v5, 32, v5
	v_min_u32_e32 v3, v3, v5
	v_lshlrev_b64 v[10:11], v3, v[10:11]
	v_min_u32_e32 v5, 1, v10
	v_or_b32_e32 v5, v11, v5
	v_cvt_f32_i32_e32 v5, v5
	v_sub_u32_e32 v3, 32, v3
	v_ldexp_f32 v3, v5, v3
	v_cvt_f16_f32_e32 v32, v3
	s_branch .LBB204_2254
.LBB204_2251:
	s_mov_b64 s[8:9], -1
                                        ; implicit-def: $vgpr32
	s_branch .LBB204_2260
.LBB204_2252:
	s_mov_b64 s[8:9], -1
                                        ; implicit-def: $vgpr32
	s_branch .LBB204_2257
.LBB204_2253:
	s_mov_b64 s[8:9], -1
                                        ; implicit-def: $vgpr32
.LBB204_2254:
	s_andn2_b64 vcc, exec, s[8:9]
	s_cbranch_vccnz .LBB204_2256
; %bb.2255:
	global_load_dword v3, v[8:9], off
	s_waitcnt vmcnt(0)
	v_cvt_f32_i32_e32 v3, v3
	v_cvt_f16_f32_e32 v32, v3
.LBB204_2256:
	s_mov_b64 s[8:9], 0
.LBB204_2257:
	s_andn2_b64 vcc, exec, s[8:9]
	s_cbranch_vccnz .LBB204_2259
; %bb.2258:
	global_load_ushort v3, v[8:9], off
	s_waitcnt vmcnt(0)
	v_cvt_f16_i16_e32 v32, v3
.LBB204_2259:
	s_mov_b64 s[8:9], 0
.LBB204_2260:
	s_andn2_b64 vcc, exec, s[8:9]
	s_cbranch_vccnz .LBB204_2266
; %bb.2261:
	v_mov_b32_e32 v3, 0
	v_cmp_gt_i16_sdwa s[8:9], s19, v3 src0_sel:BYTE_0 src1_sel:DWORD
	s_and_b64 vcc, exec, s[8:9]
	s_cbranch_vccz .LBB204_2263
; %bb.2262:
	global_load_sbyte v3, v[8:9], off
	s_mov_b64 s[8:9], 0
	s_waitcnt vmcnt(0)
	v_cvt_f16_i16_e32 v32, v3
	s_branch .LBB204_2264
.LBB204_2263:
	s_mov_b64 s[8:9], -1
                                        ; implicit-def: $vgpr32
.LBB204_2264:
	s_andn2_b64 vcc, exec, s[8:9]
	s_cbranch_vccnz .LBB204_2266
; %bb.2265:
	global_load_ubyte v3, v[8:9], off
	s_waitcnt vmcnt(0)
	v_cvt_f16_u16_e32 v32, v3
.LBB204_2266:
	s_mov_b64 s[12:13], -1
.LBB204_2267:
	s_andn2_b64 vcc, exec, s[12:13]
	s_cbranch_vccnz .LBB204_3113
; %bb.2268:
	v_mov_b32_e32 v3, s5
	v_add_co_u32_e32 v6, vcc, s4, v6
	v_addc_co_u32_e32 v7, vcc, 0, v3, vcc
	s_and_b64 vcc, exec, s[6:7]
	s_cbranch_vccnz .LBB204_2275
; %bb.2269:
	v_cmp_gt_i16_e64 s[8:9], s20, 25
	s_mov_b64 s[10:11], 0
	s_and_b64 vcc, exec, s[8:9]
	s_cbranch_vccz .LBB204_2276
; %bb.2270:
	v_cmp_gt_i16_e64 s[8:9], s20, 28
	s_and_b64 vcc, exec, s[8:9]
	s_cbranch_vccz .LBB204_2277
; %bb.2271:
	v_cmp_gt_i16_e64 s[8:9], s20, 43
	;; [unrolled: 4-line block ×3, first 2 shown]
	s_and_b64 vcc, exec, s[8:9]
	s_cbranch_vccz .LBB204_2280
; %bb.2273:
	v_cmp_eq_u16_e64 s[8:9], s20, 46
	s_mov_b64 s[14:15], 0
	s_and_b64 vcc, exec, s[8:9]
	s_cbranch_vccz .LBB204_2283
; %bb.2274:
	global_load_dword v3, v[6:7], off
	s_mov_b64 s[8:9], 0
	s_mov_b64 s[12:13], -1
	s_waitcnt vmcnt(0)
	v_lshlrev_b32_e32 v3, 16, v3
	v_cvt_f16_f32_e32 v33, v3
	s_branch .LBB204_2284
.LBB204_2275:
	s_mov_b64 s[8:9], -1
	s_mov_b64 s[12:13], 0
                                        ; implicit-def: $vgpr33
	s_branch .LBB204_2350
.LBB204_2276:
	s_mov_b64 s[14:15], -1
	s_mov_b64 s[12:13], 0
	s_mov_b64 s[8:9], 0
                                        ; implicit-def: $vgpr33
	s_branch .LBB204_2313
.LBB204_2277:
	s_mov_b64 s[14:15], -1
	s_mov_b64 s[12:13], 0
	s_mov_b64 s[8:9], 0
                                        ; implicit-def: $vgpr33
	s_branch .LBB204_2294
.LBB204_2278:
	s_mov_b64 s[14:15], -1
	s_mov_b64 s[12:13], 0
	s_mov_b64 s[8:9], 0
                                        ; implicit-def: $vgpr33
	s_branch .LBB204_2289
.LBB204_2279:
	s_trap 2
	s_or_b64 s[34:35], s[34:35], exec
                                        ; implicit-def: $vgpr32
	s_cbranch_execz .LBB204_2216
	s_branch .LBB204_2217
.LBB204_2280:
	s_mov_b64 s[14:15], -1
	s_mov_b64 s[12:13], 0
	s_mov_b64 s[8:9], 0
                                        ; implicit-def: $vgpr33
	s_branch .LBB204_2284
.LBB204_2281:
	s_or_saveexec_b64 s[12:13], s[12:13]
                                        ; implicit-def: $sgpr14
	s_xor_b64 exec, exec, s[12:13]
	s_cbranch_execz .LBB204_1116
.LBB204_2282:
	s_mov_b32 s14, 0x42800000
	v_add_f32_e64 v4, |v1|, s14
	v_and_b32_e32 v4, 0xff, v4
	v_cmp_ne_u32_e32 vcc, 0, v4
	s_andn2_b64 s[10:11], s[10:11], exec
	s_and_b64 s[16:17], vcc, exec
	s_mov_b32 s14, 0
	s_or_b64 s[10:11], s[10:11], s[16:17]
	s_or_b64 exec, exec, s[12:13]
	v_mov_b32_e32 v5, s14
	s_and_saveexec_b64 s[12:13], s[10:11]
	s_cbranch_execnz .LBB204_1117
	s_branch .LBB204_1118
.LBB204_2283:
	s_mov_b64 s[8:9], -1
                                        ; implicit-def: $vgpr33
	s_mov_b64 s[12:13], 0
.LBB204_2284:
	s_and_b64 vcc, exec, s[14:15]
	s_cbranch_vccz .LBB204_2288
; %bb.2285:
	v_cmp_eq_u16_e64 s[8:9], s20, 44
	s_and_b64 vcc, exec, s[8:9]
	s_cbranch_vccz .LBB204_2287
; %bb.2286:
	global_load_ubyte v3, v[6:7], off
	s_movk_i32 s12, 0xff
	v_mov_b32_e32 v8, 0x7e00
	s_mov_b64 s[8:9], 0
	s_waitcnt vmcnt(0)
	v_lshlrev_b32_e32 v5, 23, v3
	v_cvt_f16_f32_e32 v5, v5
	v_cmp_ne_u32_e32 vcc, s12, v3
	s_mov_b64 s[12:13], -1
	v_cndmask_b32_e32 v5, v8, v5, vcc
	v_cmp_ne_u32_e32 vcc, 0, v3
	v_cndmask_b32_e32 v33, 0, v5, vcc
	s_branch .LBB204_2288
.LBB204_2287:
	s_mov_b64 s[8:9], -1
                                        ; implicit-def: $vgpr33
.LBB204_2288:
	s_mov_b64 s[14:15], 0
.LBB204_2289:
	s_and_b64 vcc, exec, s[14:15]
	s_cbranch_vccz .LBB204_2293
; %bb.2290:
	v_cmp_eq_u16_e64 s[8:9], s20, 29
	s_and_b64 vcc, exec, s[8:9]
	s_cbranch_vccz .LBB204_2292
; %bb.2291:
	global_load_dwordx2 v[8:9], v[6:7], off
	s_mov_b64 s[8:9], 0
	s_mov_b64 s[12:13], -1
	s_mov_b64 s[14:15], 0
	s_waitcnt vmcnt(0)
	v_ffbh_u32_e32 v3, v9
	v_min_u32_e32 v3, 32, v3
	v_lshlrev_b64 v[8:9], v3, v[8:9]
	v_min_u32_e32 v5, 1, v8
	v_or_b32_e32 v5, v9, v5
	v_cvt_f32_u32_e32 v5, v5
	v_sub_u32_e32 v3, 32, v3
	v_ldexp_f32 v3, v5, v3
	v_cvt_f16_f32_e32 v33, v3
	s_branch .LBB204_2294
.LBB204_2292:
	s_mov_b64 s[8:9], -1
                                        ; implicit-def: $vgpr33
.LBB204_2293:
	s_mov_b64 s[14:15], 0
.LBB204_2294:
	s_and_b64 vcc, exec, s[14:15]
	s_cbranch_vccz .LBB204_2312
; %bb.2295:
	v_cmp_lt_i16_e64 s[12:13], s20, 27
	s_and_b64 vcc, exec, s[12:13]
	s_cbranch_vccnz .LBB204_2298
; %bb.2296:
	v_cmp_gt_i16_e64 s[12:13], s20, 27
	s_and_b64 vcc, exec, s[12:13]
	s_cbranch_vccz .LBB204_2299
; %bb.2297:
	global_load_dword v3, v[6:7], off
	s_mov_b64 s[12:13], 0
	s_waitcnt vmcnt(0)
	v_cvt_f32_u32_e32 v3, v3
	v_cvt_f16_f32_e32 v33, v3
	s_branch .LBB204_2300
.LBB204_2298:
	s_mov_b64 s[12:13], -1
                                        ; implicit-def: $vgpr33
	s_branch .LBB204_2303
.LBB204_2299:
	s_mov_b64 s[12:13], -1
                                        ; implicit-def: $vgpr33
.LBB204_2300:
	s_andn2_b64 vcc, exec, s[12:13]
	s_cbranch_vccnz .LBB204_2302
; %bb.2301:
	global_load_ushort v3, v[6:7], off
	s_waitcnt vmcnt(0)
	v_cvt_f16_u16_e32 v33, v3
.LBB204_2302:
	s_mov_b64 s[12:13], 0
.LBB204_2303:
	s_andn2_b64 vcc, exec, s[12:13]
	s_cbranch_vccnz .LBB204_2311
; %bb.2304:
	global_load_ubyte v3, v[6:7], off
	s_movk_i32 s12, 0x7f
                                        ; implicit-def: $sgpr21
	s_waitcnt vmcnt(0)
	v_cmp_lt_i16_e32 vcc, s12, v3
	s_mov_b64 s[12:13], 0
	s_and_saveexec_b64 s[14:15], vcc
	s_xor_b64 s[14:15], exec, s[14:15]
	s_cbranch_execz .LBB204_2325
; %bb.2305:
	s_movk_i32 s12, 0x80
	v_cmp_eq_u16_e32 vcc, s12, v3
	s_mov_b64 s[12:13], -1
                                        ; implicit-def: $sgpr21
	s_and_saveexec_b64 s[16:17], vcc
; %bb.2306:
	s_movk_i32 s21, 0x7e00
	s_xor_b64 s[12:13], exec, -1
; %bb.2307:
	s_or_b64 exec, exec, s[16:17]
	s_and_b64 s[12:13], s[12:13], exec
	s_or_saveexec_b64 s[14:15], s[14:15]
	v_mov_b32_e32 v33, s21
	s_xor_b64 exec, exec, s[14:15]
	s_cbranch_execnz .LBB204_2326
.LBB204_2308:
	s_or_b64 exec, exec, s[14:15]
	s_and_saveexec_b64 s[14:15], s[12:13]
	s_cbranch_execz .LBB204_2310
.LBB204_2309:
	v_lshlrev_b32_e32 v5, 24, v3
	v_and_b32_e32 v3, 0xffff, v3
	v_and_b32_e32 v8, 7, v3
	v_ffbh_u32_e32 v10, v8
	v_min_u32_e32 v10, 32, v10
	v_subrev_u32_e32 v11, 28, v10
	v_bfe_u32 v9, v3, 3, 4
	v_lshlrev_b32_e32 v3, v11, v3
	v_sub_u32_e32 v10, 29, v10
	v_and_b32_e32 v3, 7, v3
	v_cmp_eq_u32_e32 vcc, 0, v9
	v_cndmask_b32_e32 v9, v9, v10, vcc
	v_cndmask_b32_e32 v3, v8, v3, vcc
	v_mov_b32_e32 v8, 0x3b800000
	v_lshlrev_b32_e32 v3, 20, v3
	v_and_b32_e32 v5, 0x80000000, v5
	v_lshl_add_u32 v8, v9, 23, v8
	v_or3_b32 v3, v5, v8, v3
	v_cvt_f16_f32_e32 v33, v3
.LBB204_2310:
	s_or_b64 exec, exec, s[14:15]
.LBB204_2311:
	s_mov_b64 s[12:13], -1
.LBB204_2312:
	s_mov_b64 s[14:15], 0
.LBB204_2313:
	s_and_b64 vcc, exec, s[14:15]
	s_cbranch_vccz .LBB204_2346
; %bb.2314:
	v_cmp_gt_i16_e64 s[10:11], s20, 22
	s_and_b64 vcc, exec, s[10:11]
	s_cbranch_vccz .LBB204_2324
; %bb.2315:
	v_cmp_lt_i16_e64 s[10:11], s20, 24
	s_and_b64 vcc, exec, s[10:11]
	s_cbranch_vccnz .LBB204_2327
; %bb.2316:
	v_cmp_gt_i16_e64 s[10:11], s20, 24
	s_and_b64 vcc, exec, s[10:11]
	s_cbranch_vccz .LBB204_2328
; %bb.2317:
	global_load_ubyte v3, v[6:7], off
	s_movk_i32 s10, 0x7f
                                        ; implicit-def: $sgpr16
	s_waitcnt vmcnt(0)
	v_cmp_lt_i16_e32 vcc, s10, v3
	s_mov_b64 s[10:11], 0
	s_and_saveexec_b64 s[12:13], vcc
	s_xor_b64 s[12:13], exec, s[12:13]
	s_cbranch_execz .LBB204_2340
; %bb.2318:
	s_movk_i32 s10, 0x80
	v_cmp_eq_u16_e32 vcc, s10, v3
	s_mov_b64 s[10:11], -1
                                        ; implicit-def: $sgpr16
	s_and_saveexec_b64 s[14:15], vcc
; %bb.2319:
	s_movk_i32 s16, 0x7e00
	s_xor_b64 s[10:11], exec, -1
; %bb.2320:
	s_or_b64 exec, exec, s[14:15]
	s_and_b64 s[10:11], s[10:11], exec
	s_or_saveexec_b64 s[12:13], s[12:13]
	v_mov_b32_e32 v33, s16
	s_xor_b64 exec, exec, s[12:13]
	s_cbranch_execnz .LBB204_2341
.LBB204_2321:
	s_or_b64 exec, exec, s[12:13]
	s_and_saveexec_b64 s[12:13], s[10:11]
	s_cbranch_execz .LBB204_2323
.LBB204_2322:
	v_lshlrev_b32_e32 v5, 24, v3
	v_and_b32_e32 v3, 0xffff, v3
	v_and_b32_e32 v8, 3, v3
	v_ffbh_u32_e32 v10, v8
	v_min_u32_e32 v10, 32, v10
	v_subrev_u32_e32 v11, 29, v10
	v_bfe_u32 v9, v3, 2, 5
	v_lshlrev_b32_e32 v3, v11, v3
	v_sub_u32_e32 v10, 30, v10
	v_and_b32_e32 v3, 3, v3
	v_cmp_eq_u32_e32 vcc, 0, v9
	v_cndmask_b32_e32 v9, v9, v10, vcc
	v_cndmask_b32_e32 v3, v8, v3, vcc
	v_mov_b32_e32 v8, 0x37800000
	v_lshlrev_b32_e32 v3, 21, v3
	v_and_b32_e32 v5, 0x80000000, v5
	v_lshl_add_u32 v8, v9, 23, v8
	v_or3_b32 v3, v5, v8, v3
	v_cvt_f16_f32_e32 v33, v3
.LBB204_2323:
	s_or_b64 exec, exec, s[12:13]
	s_mov_b64 s[10:11], 0
	s_branch .LBB204_2329
.LBB204_2324:
	s_mov_b64 s[10:11], -1
                                        ; implicit-def: $vgpr33
	s_branch .LBB204_2335
.LBB204_2325:
	s_or_saveexec_b64 s[14:15], s[14:15]
	v_mov_b32_e32 v33, s21
	s_xor_b64 exec, exec, s[14:15]
	s_cbranch_execz .LBB204_2308
.LBB204_2326:
	v_cmp_ne_u16_e32 vcc, 0, v3
	s_andn2_b64 s[12:13], s[12:13], exec
	s_and_b64 s[16:17], vcc, exec
	s_or_b64 s[12:13], s[12:13], s[16:17]
	v_mov_b32_e32 v33, v3
	s_or_b64 exec, exec, s[14:15]
	s_and_saveexec_b64 s[14:15], s[12:13]
	s_cbranch_execnz .LBB204_2309
	s_branch .LBB204_2310
.LBB204_2327:
	s_mov_b64 s[10:11], -1
                                        ; implicit-def: $vgpr33
	s_branch .LBB204_2332
.LBB204_2328:
	s_mov_b64 s[10:11], -1
                                        ; implicit-def: $vgpr33
.LBB204_2329:
	s_and_b64 vcc, exec, s[10:11]
	s_cbranch_vccz .LBB204_2331
; %bb.2330:
	global_load_ubyte v3, v[6:7], off
	s_mov_b32 s10, 0x7f800000
	s_waitcnt vmcnt(0)
	v_lshlrev_b32_e32 v3, 24, v3
	v_and_b32_e32 v5, 0x7f000000, v3
	v_ffbh_u32_e32 v8, v5
	v_min_u32_e32 v8, 32, v8
	v_sub_u32_e64 v8, v8, 4 clamp
	v_lshlrev_b32_e32 v10, v8, v5
	v_lshlrev_b32_e32 v8, 23, v8
	v_lshrrev_b32_e32 v10, 4, v10
	v_add_u32_e32 v9, 0x1000000, v5
	v_sub_u32_e32 v8, v10, v8
	v_ashrrev_i32_e32 v9, 8, v9
	v_add_u32_e32 v8, 0x3c000000, v8
	v_and_or_b32 v8, v9, s10, v8
	v_cmp_ne_u32_e32 vcc, 0, v5
	v_cndmask_b32_e32 v5, 0, v8, vcc
	s_brev_b32 s10, 1
	v_and_or_b32 v3, v3, s10, v5
	v_cvt_f16_f32_e32 v33, v3
.LBB204_2331:
	s_mov_b64 s[10:11], 0
.LBB204_2332:
	s_andn2_b64 vcc, exec, s[10:11]
	s_cbranch_vccnz .LBB204_2334
; %bb.2333:
	global_load_ubyte v3, v[6:7], off
	s_movk_i32 s10, 0x7f00
	s_brev_b32 s11, 16
	s_waitcnt vmcnt(0)
	v_lshlrev_b16_e32 v5, 8, v3
	v_lshlrev_b32_e32 v3, 25, v3
	v_lshrrev_b32_e32 v8, 4, v3
	v_and_or_b32 v9, v5, s10, 0.5
	v_or_b32_e32 v8, 0x70000000, v8
	v_add_f32_e32 v9, -0.5, v9
	v_mul_f32_e32 v8, 0x7800000, v8
	v_cmp_gt_u32_e32 vcc, s11, v3
	v_bfe_i32 v5, v5, 0, 16
	v_cndmask_b32_e32 v3, v8, v9, vcc
	s_brev_b32 s10, 1
	v_and_or_b32 v3, v5, s10, v3
	v_cvt_f16_f32_e32 v33, v3
.LBB204_2334:
	s_mov_b64 s[10:11], 0
	s_mov_b64 s[12:13], -1
.LBB204_2335:
	s_andn2_b64 vcc, exec, s[10:11]
	s_mov_b64 s[10:11], 0
	s_cbranch_vccnz .LBB204_2346
; %bb.2336:
	v_cmp_gt_i16_e64 s[10:11], s20, 14
	s_and_b64 vcc, exec, s[10:11]
	s_cbranch_vccz .LBB204_2339
; %bb.2337:
	v_cmp_eq_u16_e64 s[8:9], s20, 15
	s_and_b64 vcc, exec, s[8:9]
	s_cbranch_vccz .LBB204_2342
; %bb.2338:
	global_load_ushort v3, v[6:7], off
	s_mov_b64 s[8:9], 0
	s_mov_b64 s[12:13], -1
	s_waitcnt vmcnt(0)
	v_lshlrev_b32_e32 v3, 16, v3
	v_cvt_f16_f32_e32 v33, v3
	s_branch .LBB204_2343
.LBB204_2339:
	s_mov_b64 s[14:15], -1
                                        ; implicit-def: $vgpr33
	s_branch .LBB204_2344
.LBB204_2340:
	s_or_saveexec_b64 s[12:13], s[12:13]
	v_mov_b32_e32 v33, s16
	s_xor_b64 exec, exec, s[12:13]
	s_cbranch_execz .LBB204_2321
.LBB204_2341:
	v_cmp_ne_u16_e32 vcc, 0, v3
	s_andn2_b64 s[10:11], s[10:11], exec
	s_and_b64 s[14:15], vcc, exec
	s_or_b64 s[10:11], s[10:11], s[14:15]
	v_mov_b32_e32 v33, v3
	s_or_b64 exec, exec, s[12:13]
	s_and_saveexec_b64 s[12:13], s[10:11]
	s_cbranch_execnz .LBB204_2322
	s_branch .LBB204_2323
.LBB204_2342:
	s_mov_b64 s[8:9], -1
                                        ; implicit-def: $vgpr33
.LBB204_2343:
	s_mov_b64 s[14:15], 0
.LBB204_2344:
	s_mov_b64 s[10:11], 0
	s_and_b64 vcc, exec, s[14:15]
	s_cbranch_vccz .LBB204_2346
; %bb.2345:
	v_cmp_ne_u16_e64 s[8:9], s20, 11
	s_mov_b64 s[10:11], -1
                                        ; implicit-def: $vgpr33
.LBB204_2346:
	s_and_b64 vcc, exec, s[8:9]
	s_cbranch_vccnz .LBB204_2411
; %bb.2347:
	s_andn2_b64 vcc, exec, s[10:11]
	s_cbranch_vccnz .LBB204_2349
.LBB204_2348:
	global_load_ubyte v3, v[6:7], off
	v_mov_b32_e32 v5, 0x3c00
	s_mov_b64 s[12:13], -1
	s_waitcnt vmcnt(0)
	v_cmp_ne_u16_e32 vcc, 0, v3
	v_cndmask_b32_e32 v33, 0, v5, vcc
.LBB204_2349:
	s_mov_b64 s[8:9], 0
.LBB204_2350:
	s_and_b64 vcc, exec, s[8:9]
	s_cbranch_vccz .LBB204_2399
; %bb.2351:
	v_cmp_lt_i16_e64 s[8:9], s20, 5
	s_and_b64 vcc, exec, s[8:9]
	s_cbranch_vccnz .LBB204_2356
; %bb.2352:
	v_cmp_lt_i16_e64 s[8:9], s20, 8
	s_and_b64 vcc, exec, s[8:9]
	s_cbranch_vccnz .LBB204_2357
	;; [unrolled: 4-line block ×3, first 2 shown]
; %bb.2354:
	v_cmp_gt_i16_e64 s[8:9], s20, 9
	s_and_b64 vcc, exec, s[8:9]
	s_cbranch_vccz .LBB204_2359
; %bb.2355:
	global_load_dwordx2 v[8:9], v[6:7], off
	s_mov_b64 s[8:9], 0
	s_waitcnt vmcnt(0)
	v_cvt_f32_f64_e32 v3, v[8:9]
	v_cvt_f16_f32_e32 v33, v3
	s_branch .LBB204_2360
.LBB204_2356:
	s_mov_b64 s[8:9], -1
                                        ; implicit-def: $vgpr33
	s_branch .LBB204_2378
.LBB204_2357:
	s_mov_b64 s[8:9], -1
                                        ; implicit-def: $vgpr33
	s_branch .LBB204_2366
.LBB204_2358:
	s_mov_b64 s[8:9], -1
                                        ; implicit-def: $vgpr33
	s_branch .LBB204_2363
.LBB204_2359:
	s_mov_b64 s[8:9], -1
                                        ; implicit-def: $vgpr33
.LBB204_2360:
	s_andn2_b64 vcc, exec, s[8:9]
	s_cbranch_vccnz .LBB204_2362
; %bb.2361:
	global_load_dword v3, v[6:7], off
	s_waitcnt vmcnt(0)
	v_cvt_f16_f32_e32 v33, v3
.LBB204_2362:
	s_mov_b64 s[8:9], 0
.LBB204_2363:
	s_andn2_b64 vcc, exec, s[8:9]
	s_cbranch_vccnz .LBB204_2365
; %bb.2364:
	global_load_dword v33, v[6:7], off
.LBB204_2365:
	s_mov_b64 s[8:9], 0
.LBB204_2366:
	s_andn2_b64 vcc, exec, s[8:9]
	s_cbranch_vccnz .LBB204_2377
; %bb.2367:
	v_cmp_lt_i16_e64 s[8:9], s20, 6
	s_and_b64 vcc, exec, s[8:9]
	s_cbranch_vccnz .LBB204_2370
; %bb.2368:
	v_cmp_gt_i16_e64 s[8:9], s20, 6
	s_and_b64 vcc, exec, s[8:9]
	s_cbranch_vccz .LBB204_2371
; %bb.2369:
	global_load_dwordx2 v[8:9], v[6:7], off
	s_mov_b64 s[8:9], 0
	s_waitcnt vmcnt(0)
	v_cvt_f32_f64_e32 v3, v[8:9]
	v_cvt_f16_f32_e32 v33, v3
	s_branch .LBB204_2372
.LBB204_2370:
	s_mov_b64 s[8:9], -1
                                        ; implicit-def: $vgpr33
	s_branch .LBB204_2375
.LBB204_2371:
	s_mov_b64 s[8:9], -1
                                        ; implicit-def: $vgpr33
.LBB204_2372:
	s_andn2_b64 vcc, exec, s[8:9]
	s_cbranch_vccnz .LBB204_2374
; %bb.2373:
	global_load_dword v3, v[6:7], off
	s_waitcnt vmcnt(0)
	v_cvt_f16_f32_e32 v33, v3
.LBB204_2374:
	s_mov_b64 s[8:9], 0
.LBB204_2375:
	s_andn2_b64 vcc, exec, s[8:9]
	s_cbranch_vccnz .LBB204_2377
; %bb.2376:
	global_load_ushort v33, v[6:7], off
.LBB204_2377:
	s_mov_b64 s[8:9], 0
.LBB204_2378:
	s_andn2_b64 vcc, exec, s[8:9]
	s_cbranch_vccnz .LBB204_2398
; %bb.2379:
	v_cmp_lt_i16_e64 s[8:9], s20, 2
	s_and_b64 vcc, exec, s[8:9]
	s_cbranch_vccnz .LBB204_2383
; %bb.2380:
	v_cmp_lt_i16_e64 s[8:9], s20, 3
	s_and_b64 vcc, exec, s[8:9]
	s_cbranch_vccnz .LBB204_2384
; %bb.2381:
	v_cmp_gt_i16_e64 s[8:9], s20, 3
	s_and_b64 vcc, exec, s[8:9]
	s_cbranch_vccz .LBB204_2385
; %bb.2382:
	global_load_dwordx2 v[8:9], v[6:7], off
	s_mov_b64 s[8:9], 0
	s_waitcnt vmcnt(0)
	v_xor_b32_e32 v5, v8, v9
	v_ffbh_i32_e32 v3, v9
	v_ashrrev_i32_e32 v5, 31, v5
	v_add_u32_e32 v3, -1, v3
	v_add_u32_e32 v5, 32, v5
	v_min_u32_e32 v3, v3, v5
	v_lshlrev_b64 v[8:9], v3, v[8:9]
	v_min_u32_e32 v5, 1, v8
	v_or_b32_e32 v5, v9, v5
	v_cvt_f32_i32_e32 v5, v5
	v_sub_u32_e32 v3, 32, v3
	v_ldexp_f32 v3, v5, v3
	v_cvt_f16_f32_e32 v33, v3
	s_branch .LBB204_2386
.LBB204_2383:
	s_mov_b64 s[8:9], -1
                                        ; implicit-def: $vgpr33
	s_branch .LBB204_2392
.LBB204_2384:
	s_mov_b64 s[8:9], -1
                                        ; implicit-def: $vgpr33
	s_branch .LBB204_2389
.LBB204_2385:
	s_mov_b64 s[8:9], -1
                                        ; implicit-def: $vgpr33
.LBB204_2386:
	s_andn2_b64 vcc, exec, s[8:9]
	s_cbranch_vccnz .LBB204_2388
; %bb.2387:
	global_load_dword v3, v[6:7], off
	s_waitcnt vmcnt(0)
	v_cvt_f32_i32_e32 v3, v3
	v_cvt_f16_f32_e32 v33, v3
.LBB204_2388:
	s_mov_b64 s[8:9], 0
.LBB204_2389:
	s_andn2_b64 vcc, exec, s[8:9]
	s_cbranch_vccnz .LBB204_2391
; %bb.2390:
	global_load_ushort v3, v[6:7], off
	s_waitcnt vmcnt(0)
	v_cvt_f16_i16_e32 v33, v3
.LBB204_2391:
	s_mov_b64 s[8:9], 0
.LBB204_2392:
	s_andn2_b64 vcc, exec, s[8:9]
	s_cbranch_vccnz .LBB204_2398
; %bb.2393:
	v_cmp_gt_i16_e64 s[8:9], s20, 0
	s_and_b64 vcc, exec, s[8:9]
	s_cbranch_vccz .LBB204_2395
; %bb.2394:
	global_load_sbyte v3, v[6:7], off
	s_mov_b64 s[8:9], 0
	s_waitcnt vmcnt(0)
	v_cvt_f16_i16_e32 v33, v3
	s_branch .LBB204_2396
.LBB204_2395:
	s_mov_b64 s[8:9], -1
                                        ; implicit-def: $vgpr33
.LBB204_2396:
	s_andn2_b64 vcc, exec, s[8:9]
	s_cbranch_vccnz .LBB204_2398
; %bb.2397:
	global_load_ubyte v3, v[6:7], off
	s_waitcnt vmcnt(0)
	v_cvt_f16_u16_e32 v33, v3
.LBB204_2398:
	s_mov_b64 s[12:13], -1
.LBB204_2399:
	s_andn2_b64 vcc, exec, s[12:13]
	s_cbranch_vccnz .LBB204_3113
; %bb.2400:
	v_mov_b32_e32 v3, s27
	v_add_co_u32_e32 v4, vcc, s26, v4
	v_addc_co_u32_e32 v5, vcc, 0, v3, vcc
	v_mov_b32_e32 v3, 11
	v_cmp_lt_i16_sdwa s[8:9], s19, v3 src0_sel:BYTE_0 src1_sel:DWORD
	s_and_b64 vcc, exec, s[8:9]
	s_cbranch_vccnz .LBB204_2407
; %bb.2401:
	v_mov_b32_e32 v3, 25
	v_cmp_gt_i16_sdwa s[8:9], s19, v3 src0_sel:BYTE_0 src1_sel:DWORD
	s_mov_b64 s[10:11], 0
	s_and_b64 vcc, exec, s[8:9]
	s_cbranch_vccz .LBB204_2408
; %bb.2402:
	v_mov_b32_e32 v3, 28
	v_cmp_gt_i16_sdwa s[8:9], s19, v3 src0_sel:BYTE_0 src1_sel:DWORD
	s_and_b64 vcc, exec, s[8:9]
	s_cbranch_vccz .LBB204_2409
; %bb.2403:
	v_mov_b32_e32 v3, 43
	v_cmp_gt_i16_sdwa s[8:9], s19, v3 src0_sel:BYTE_0 src1_sel:DWORD
	;; [unrolled: 5-line block ×3, first 2 shown]
	s_and_b64 vcc, exec, s[8:9]
	s_cbranch_vccz .LBB204_2412
; %bb.2405:
	v_mov_b32_e32 v3, 46
	v_cmp_eq_u16_sdwa s[8:9], s19, v3 src0_sel:BYTE_0 src1_sel:DWORD
	s_mov_b64 s[14:15], 0
	s_and_b64 vcc, exec, s[8:9]
	s_cbranch_vccz .LBB204_2413
; %bb.2406:
	global_load_dword v3, v[4:5], off
	s_mov_b64 s[8:9], 0
	s_mov_b64 s[12:13], -1
	s_waitcnt vmcnt(0)
	v_lshlrev_b32_e32 v3, 16, v3
	v_cvt_f16_f32_e32 v34, v3
	s_branch .LBB204_2414
.LBB204_2407:
	s_mov_b64 s[8:9], -1
	s_mov_b64 s[12:13], 0
                                        ; implicit-def: $vgpr34
	s_branch .LBB204_2480
.LBB204_2408:
	s_mov_b64 s[14:15], -1
	s_mov_b64 s[12:13], 0
	s_mov_b64 s[8:9], 0
                                        ; implicit-def: $vgpr34
	s_branch .LBB204_2443
.LBB204_2409:
	s_mov_b64 s[14:15], -1
	s_mov_b64 s[12:13], 0
	s_mov_b64 s[8:9], 0
                                        ; implicit-def: $vgpr34
	s_branch .LBB204_2424
.LBB204_2410:
	s_mov_b64 s[14:15], -1
	s_mov_b64 s[12:13], 0
	s_mov_b64 s[8:9], 0
                                        ; implicit-def: $vgpr34
	s_branch .LBB204_2419
.LBB204_2411:
	s_trap 2
	s_or_b64 s[34:35], s[34:35], exec
                                        ; implicit-def: $vgpr33
	s_cbranch_execz .LBB204_2348
	s_branch .LBB204_2349
.LBB204_2412:
	s_mov_b64 s[14:15], -1
	s_mov_b64 s[12:13], 0
	s_mov_b64 s[8:9], 0
                                        ; implicit-def: $vgpr34
	s_branch .LBB204_2414
.LBB204_2413:
	s_mov_b64 s[8:9], -1
                                        ; implicit-def: $vgpr34
	s_mov_b64 s[12:13], 0
.LBB204_2414:
	s_and_b64 vcc, exec, s[14:15]
	s_cbranch_vccz .LBB204_2418
; %bb.2415:
	v_mov_b32_e32 v3, 44
	v_cmp_eq_u16_sdwa s[8:9], s19, v3 src0_sel:BYTE_0 src1_sel:DWORD
	s_and_b64 vcc, exec, s[8:9]
	s_cbranch_vccz .LBB204_2417
; %bb.2416:
	global_load_ubyte v3, v[4:5], off
	s_movk_i32 s12, 0xff
	v_mov_b32_e32 v7, 0x7e00
	s_mov_b64 s[8:9], 0
	s_waitcnt vmcnt(0)
	v_lshlrev_b32_e32 v6, 23, v3
	v_cvt_f16_f32_e32 v6, v6
	v_cmp_ne_u32_e32 vcc, s12, v3
	s_mov_b64 s[12:13], -1
	v_cndmask_b32_e32 v6, v7, v6, vcc
	v_cmp_ne_u32_e32 vcc, 0, v3
	v_cndmask_b32_e32 v34, 0, v6, vcc
	s_branch .LBB204_2418
.LBB204_2417:
	s_mov_b64 s[8:9], -1
                                        ; implicit-def: $vgpr34
.LBB204_2418:
	s_mov_b64 s[14:15], 0
.LBB204_2419:
	s_and_b64 vcc, exec, s[14:15]
	s_cbranch_vccz .LBB204_2423
; %bb.2420:
	v_mov_b32_e32 v3, 29
	v_cmp_eq_u16_sdwa s[8:9], s19, v3 src0_sel:BYTE_0 src1_sel:DWORD
	s_and_b64 vcc, exec, s[8:9]
	s_cbranch_vccz .LBB204_2422
; %bb.2421:
	global_load_dwordx2 v[6:7], v[4:5], off
	s_mov_b64 s[8:9], 0
	s_mov_b64 s[12:13], -1
	s_mov_b64 s[14:15], 0
	s_waitcnt vmcnt(0)
	v_ffbh_u32_e32 v3, v7
	v_min_u32_e32 v3, 32, v3
	v_lshlrev_b64 v[6:7], v3, v[6:7]
	v_min_u32_e32 v6, 1, v6
	v_or_b32_e32 v6, v7, v6
	v_cvt_f32_u32_e32 v6, v6
	v_sub_u32_e32 v3, 32, v3
	v_ldexp_f32 v3, v6, v3
	v_cvt_f16_f32_e32 v34, v3
	s_branch .LBB204_2424
.LBB204_2422:
	s_mov_b64 s[8:9], -1
                                        ; implicit-def: $vgpr34
.LBB204_2423:
	s_mov_b64 s[14:15], 0
.LBB204_2424:
	s_and_b64 vcc, exec, s[14:15]
	s_cbranch_vccz .LBB204_2442
; %bb.2425:
	v_mov_b32_e32 v3, 27
	v_cmp_lt_i16_sdwa s[12:13], s19, v3 src0_sel:BYTE_0 src1_sel:DWORD
	s_and_b64 vcc, exec, s[12:13]
	s_cbranch_vccnz .LBB204_2428
; %bb.2426:
	v_cmp_gt_i16_sdwa s[12:13], s19, v3 src0_sel:BYTE_0 src1_sel:DWORD
	s_and_b64 vcc, exec, s[12:13]
	s_cbranch_vccz .LBB204_2429
; %bb.2427:
	global_load_dword v3, v[4:5], off
	s_mov_b64 s[12:13], 0
	s_waitcnt vmcnt(0)
	v_cvt_f32_u32_e32 v3, v3
	v_cvt_f16_f32_e32 v34, v3
	s_branch .LBB204_2430
.LBB204_2428:
	s_mov_b64 s[12:13], -1
                                        ; implicit-def: $vgpr34
	s_branch .LBB204_2433
.LBB204_2429:
	s_mov_b64 s[12:13], -1
                                        ; implicit-def: $vgpr34
.LBB204_2430:
	s_andn2_b64 vcc, exec, s[12:13]
	s_cbranch_vccnz .LBB204_2432
; %bb.2431:
	global_load_ushort v3, v[4:5], off
	s_waitcnt vmcnt(0)
	v_cvt_f16_u16_e32 v34, v3
.LBB204_2432:
	s_mov_b64 s[12:13], 0
.LBB204_2433:
	s_andn2_b64 vcc, exec, s[12:13]
	s_cbranch_vccnz .LBB204_2441
; %bb.2434:
	global_load_ubyte v3, v[4:5], off
	s_movk_i32 s12, 0x7f
                                        ; implicit-def: $sgpr21
	s_waitcnt vmcnt(0)
	v_cmp_lt_i16_e32 vcc, s12, v3
	s_mov_b64 s[12:13], 0
	s_and_saveexec_b64 s[14:15], vcc
	s_xor_b64 s[14:15], exec, s[14:15]
	s_cbranch_execz .LBB204_2455
; %bb.2435:
	s_movk_i32 s12, 0x80
	v_cmp_eq_u16_e32 vcc, s12, v3
	s_mov_b64 s[12:13], -1
                                        ; implicit-def: $sgpr21
	s_and_saveexec_b64 s[16:17], vcc
; %bb.2436:
	s_movk_i32 s21, 0x7e00
	s_xor_b64 s[12:13], exec, -1
; %bb.2437:
	s_or_b64 exec, exec, s[16:17]
	s_and_b64 s[12:13], s[12:13], exec
	s_or_saveexec_b64 s[14:15], s[14:15]
	v_mov_b32_e32 v34, s21
	s_xor_b64 exec, exec, s[14:15]
	s_cbranch_execnz .LBB204_2456
.LBB204_2438:
	s_or_b64 exec, exec, s[14:15]
	s_and_saveexec_b64 s[14:15], s[12:13]
	s_cbranch_execz .LBB204_2440
.LBB204_2439:
	v_lshlrev_b32_e32 v6, 24, v3
	v_and_b32_e32 v3, 0xffff, v3
	v_and_b32_e32 v7, 7, v3
	v_ffbh_u32_e32 v9, v7
	v_min_u32_e32 v9, 32, v9
	v_subrev_u32_e32 v10, 28, v9
	v_bfe_u32 v8, v3, 3, 4
	v_lshlrev_b32_e32 v3, v10, v3
	v_sub_u32_e32 v9, 29, v9
	v_and_b32_e32 v3, 7, v3
	v_cmp_eq_u32_e32 vcc, 0, v8
	v_cndmask_b32_e32 v8, v8, v9, vcc
	v_cndmask_b32_e32 v3, v7, v3, vcc
	v_mov_b32_e32 v7, 0x3b800000
	v_lshlrev_b32_e32 v3, 20, v3
	v_and_b32_e32 v6, 0x80000000, v6
	v_lshl_add_u32 v7, v8, 23, v7
	v_or3_b32 v3, v6, v7, v3
	v_cvt_f16_f32_e32 v34, v3
.LBB204_2440:
	s_or_b64 exec, exec, s[14:15]
.LBB204_2441:
	s_mov_b64 s[12:13], -1
.LBB204_2442:
	s_mov_b64 s[14:15], 0
.LBB204_2443:
	s_and_b64 vcc, exec, s[14:15]
	s_cbranch_vccz .LBB204_2476
; %bb.2444:
	v_mov_b32_e32 v3, 22
	v_cmp_gt_i16_sdwa s[10:11], s19, v3 src0_sel:BYTE_0 src1_sel:DWORD
	s_and_b64 vcc, exec, s[10:11]
	s_cbranch_vccz .LBB204_2454
; %bb.2445:
	v_mov_b32_e32 v3, 24
	v_cmp_lt_i16_sdwa s[10:11], s19, v3 src0_sel:BYTE_0 src1_sel:DWORD
	s_and_b64 vcc, exec, s[10:11]
	s_cbranch_vccnz .LBB204_2457
; %bb.2446:
	v_cmp_gt_i16_sdwa s[10:11], s19, v3 src0_sel:BYTE_0 src1_sel:DWORD
	s_and_b64 vcc, exec, s[10:11]
	s_cbranch_vccz .LBB204_2458
; %bb.2447:
	global_load_ubyte v3, v[4:5], off
	s_movk_i32 s10, 0x7f
                                        ; implicit-def: $sgpr16
	s_waitcnt vmcnt(0)
	v_cmp_lt_i16_e32 vcc, s10, v3
	s_mov_b64 s[10:11], 0
	s_and_saveexec_b64 s[12:13], vcc
	s_xor_b64 s[12:13], exec, s[12:13]
	s_cbranch_execz .LBB204_2470
; %bb.2448:
	s_movk_i32 s10, 0x80
	v_cmp_eq_u16_e32 vcc, s10, v3
	s_mov_b64 s[10:11], -1
                                        ; implicit-def: $sgpr16
	s_and_saveexec_b64 s[14:15], vcc
; %bb.2449:
	s_movk_i32 s16, 0x7e00
	s_xor_b64 s[10:11], exec, -1
; %bb.2450:
	s_or_b64 exec, exec, s[14:15]
	s_and_b64 s[10:11], s[10:11], exec
	s_or_saveexec_b64 s[12:13], s[12:13]
	v_mov_b32_e32 v34, s16
	s_xor_b64 exec, exec, s[12:13]
	s_cbranch_execnz .LBB204_2471
.LBB204_2451:
	s_or_b64 exec, exec, s[12:13]
	s_and_saveexec_b64 s[12:13], s[10:11]
	s_cbranch_execz .LBB204_2453
.LBB204_2452:
	v_lshlrev_b32_e32 v6, 24, v3
	v_and_b32_e32 v3, 0xffff, v3
	v_and_b32_e32 v7, 3, v3
	v_ffbh_u32_e32 v9, v7
	v_min_u32_e32 v9, 32, v9
	v_subrev_u32_e32 v10, 29, v9
	v_bfe_u32 v8, v3, 2, 5
	v_lshlrev_b32_e32 v3, v10, v3
	v_sub_u32_e32 v9, 30, v9
	v_and_b32_e32 v3, 3, v3
	v_cmp_eq_u32_e32 vcc, 0, v8
	v_cndmask_b32_e32 v8, v8, v9, vcc
	v_cndmask_b32_e32 v3, v7, v3, vcc
	v_mov_b32_e32 v7, 0x37800000
	v_lshlrev_b32_e32 v3, 21, v3
	v_and_b32_e32 v6, 0x80000000, v6
	v_lshl_add_u32 v7, v8, 23, v7
	v_or3_b32 v3, v6, v7, v3
	v_cvt_f16_f32_e32 v34, v3
.LBB204_2453:
	s_or_b64 exec, exec, s[12:13]
	s_mov_b64 s[10:11], 0
	s_branch .LBB204_2459
.LBB204_2454:
	s_mov_b64 s[10:11], -1
                                        ; implicit-def: $vgpr34
	s_branch .LBB204_2465
.LBB204_2455:
	s_or_saveexec_b64 s[14:15], s[14:15]
	v_mov_b32_e32 v34, s21
	s_xor_b64 exec, exec, s[14:15]
	s_cbranch_execz .LBB204_2438
.LBB204_2456:
	v_cmp_ne_u16_e32 vcc, 0, v3
	s_andn2_b64 s[12:13], s[12:13], exec
	s_and_b64 s[16:17], vcc, exec
	s_or_b64 s[12:13], s[12:13], s[16:17]
	v_mov_b32_e32 v34, v3
	s_or_b64 exec, exec, s[14:15]
	s_and_saveexec_b64 s[14:15], s[12:13]
	s_cbranch_execnz .LBB204_2439
	s_branch .LBB204_2440
.LBB204_2457:
	s_mov_b64 s[10:11], -1
                                        ; implicit-def: $vgpr34
	s_branch .LBB204_2462
.LBB204_2458:
	s_mov_b64 s[10:11], -1
                                        ; implicit-def: $vgpr34
.LBB204_2459:
	s_and_b64 vcc, exec, s[10:11]
	s_cbranch_vccz .LBB204_2461
; %bb.2460:
	global_load_ubyte v3, v[4:5], off
	s_mov_b32 s10, 0x7f800000
	s_waitcnt vmcnt(0)
	v_lshlrev_b32_e32 v3, 24, v3
	v_and_b32_e32 v6, 0x7f000000, v3
	v_ffbh_u32_e32 v7, v6
	v_min_u32_e32 v7, 32, v7
	v_sub_u32_e64 v7, v7, 4 clamp
	v_lshlrev_b32_e32 v9, v7, v6
	v_lshlrev_b32_e32 v7, 23, v7
	v_lshrrev_b32_e32 v9, 4, v9
	v_add_u32_e32 v8, 0x1000000, v6
	v_sub_u32_e32 v7, v9, v7
	v_ashrrev_i32_e32 v8, 8, v8
	v_add_u32_e32 v7, 0x3c000000, v7
	v_and_or_b32 v7, v8, s10, v7
	v_cmp_ne_u32_e32 vcc, 0, v6
	v_cndmask_b32_e32 v6, 0, v7, vcc
	s_brev_b32 s10, 1
	v_and_or_b32 v3, v3, s10, v6
	v_cvt_f16_f32_e32 v34, v3
.LBB204_2461:
	s_mov_b64 s[10:11], 0
.LBB204_2462:
	s_andn2_b64 vcc, exec, s[10:11]
	s_cbranch_vccnz .LBB204_2464
; %bb.2463:
	global_load_ubyte v3, v[4:5], off
	s_movk_i32 s10, 0x7f00
	s_brev_b32 s11, 16
	s_waitcnt vmcnt(0)
	v_lshlrev_b16_e32 v6, 8, v3
	v_lshlrev_b32_e32 v3, 25, v3
	v_lshrrev_b32_e32 v7, 4, v3
	v_and_or_b32 v8, v6, s10, 0.5
	v_or_b32_e32 v7, 0x70000000, v7
	v_add_f32_e32 v8, -0.5, v8
	v_mul_f32_e32 v7, 0x7800000, v7
	v_cmp_gt_u32_e32 vcc, s11, v3
	v_bfe_i32 v6, v6, 0, 16
	v_cndmask_b32_e32 v3, v7, v8, vcc
	s_brev_b32 s10, 1
	v_and_or_b32 v3, v6, s10, v3
	v_cvt_f16_f32_e32 v34, v3
.LBB204_2464:
	s_mov_b64 s[10:11], 0
	s_mov_b64 s[12:13], -1
.LBB204_2465:
	s_andn2_b64 vcc, exec, s[10:11]
	s_mov_b64 s[10:11], 0
	s_cbranch_vccnz .LBB204_2476
; %bb.2466:
	v_mov_b32_e32 v3, 14
	v_cmp_gt_i16_sdwa s[10:11], s19, v3 src0_sel:BYTE_0 src1_sel:DWORD
	s_and_b64 vcc, exec, s[10:11]
	s_cbranch_vccz .LBB204_2469
; %bb.2467:
	v_mov_b32_e32 v3, 15
	v_cmp_eq_u16_sdwa s[8:9], s19, v3 src0_sel:BYTE_0 src1_sel:DWORD
	s_and_b64 vcc, exec, s[8:9]
	s_cbranch_vccz .LBB204_2472
; %bb.2468:
	global_load_ushort v3, v[4:5], off
	s_mov_b64 s[8:9], 0
	s_mov_b64 s[12:13], -1
	s_waitcnt vmcnt(0)
	v_lshlrev_b32_e32 v3, 16, v3
	v_cvt_f16_f32_e32 v34, v3
	s_branch .LBB204_2473
.LBB204_2469:
	s_mov_b64 s[14:15], -1
                                        ; implicit-def: $vgpr34
	s_branch .LBB204_2474
.LBB204_2470:
	s_or_saveexec_b64 s[12:13], s[12:13]
	v_mov_b32_e32 v34, s16
	s_xor_b64 exec, exec, s[12:13]
	s_cbranch_execz .LBB204_2451
.LBB204_2471:
	v_cmp_ne_u16_e32 vcc, 0, v3
	s_andn2_b64 s[10:11], s[10:11], exec
	s_and_b64 s[14:15], vcc, exec
	s_or_b64 s[10:11], s[10:11], s[14:15]
	v_mov_b32_e32 v34, v3
	s_or_b64 exec, exec, s[12:13]
	s_and_saveexec_b64 s[12:13], s[10:11]
	s_cbranch_execnz .LBB204_2452
	s_branch .LBB204_2453
.LBB204_2472:
	s_mov_b64 s[8:9], -1
                                        ; implicit-def: $vgpr34
.LBB204_2473:
	s_mov_b64 s[14:15], 0
.LBB204_2474:
	s_mov_b64 s[10:11], 0
	s_and_b64 vcc, exec, s[14:15]
	s_cbranch_vccz .LBB204_2476
; %bb.2475:
	v_mov_b32_e32 v3, 11
	v_cmp_ne_u16_sdwa s[8:9], s19, v3 src0_sel:BYTE_0 src1_sel:DWORD
	s_mov_b64 s[10:11], -1
                                        ; implicit-def: $vgpr34
.LBB204_2476:
	s_and_b64 vcc, exec, s[8:9]
	s_cbranch_vccnz .LBB204_2541
; %bb.2477:
	s_andn2_b64 vcc, exec, s[10:11]
	s_cbranch_vccnz .LBB204_2479
.LBB204_2478:
	global_load_ubyte v3, v[4:5], off
	v_mov_b32_e32 v6, 0x3c00
	s_mov_b64 s[12:13], -1
	s_waitcnt vmcnt(0)
	v_cmp_ne_u16_e32 vcc, 0, v3
	v_cndmask_b32_e32 v34, 0, v6, vcc
.LBB204_2479:
	s_mov_b64 s[8:9], 0
.LBB204_2480:
	s_and_b64 vcc, exec, s[8:9]
	s_cbranch_vccz .LBB204_2529
; %bb.2481:
	v_mov_b32_e32 v3, 5
	v_cmp_lt_i16_sdwa s[8:9], s19, v3 src0_sel:BYTE_0 src1_sel:DWORD
	s_and_b64 vcc, exec, s[8:9]
	s_cbranch_vccnz .LBB204_2486
; %bb.2482:
	v_mov_b32_e32 v3, 8
	v_cmp_lt_i16_sdwa s[8:9], s19, v3 src0_sel:BYTE_0 src1_sel:DWORD
	s_and_b64 vcc, exec, s[8:9]
	s_cbranch_vccnz .LBB204_2487
; %bb.2483:
	v_mov_b32_e32 v3, 9
	v_cmp_lt_i16_sdwa s[8:9], s19, v3 src0_sel:BYTE_0 src1_sel:DWORD
	s_and_b64 vcc, exec, s[8:9]
	s_cbranch_vccnz .LBB204_2488
; %bb.2484:
	v_cmp_gt_i16_sdwa s[8:9], s19, v3 src0_sel:BYTE_0 src1_sel:DWORD
	s_and_b64 vcc, exec, s[8:9]
	s_cbranch_vccz .LBB204_2489
; %bb.2485:
	global_load_dwordx2 v[6:7], v[4:5], off
	s_mov_b64 s[8:9], 0
	s_waitcnt vmcnt(0)
	v_cvt_f32_f64_e32 v3, v[6:7]
	v_cvt_f16_f32_e32 v34, v3
	s_branch .LBB204_2490
.LBB204_2486:
	s_mov_b64 s[8:9], -1
                                        ; implicit-def: $vgpr34
	s_branch .LBB204_2508
.LBB204_2487:
	s_mov_b64 s[8:9], -1
                                        ; implicit-def: $vgpr34
	s_branch .LBB204_2496
.LBB204_2488:
	s_mov_b64 s[8:9], -1
                                        ; implicit-def: $vgpr34
	s_branch .LBB204_2493
.LBB204_2489:
	s_mov_b64 s[8:9], -1
                                        ; implicit-def: $vgpr34
.LBB204_2490:
	s_andn2_b64 vcc, exec, s[8:9]
	s_cbranch_vccnz .LBB204_2492
; %bb.2491:
	global_load_dword v3, v[4:5], off
	s_waitcnt vmcnt(0)
	v_cvt_f16_f32_e32 v34, v3
.LBB204_2492:
	s_mov_b64 s[8:9], 0
.LBB204_2493:
	s_andn2_b64 vcc, exec, s[8:9]
	s_cbranch_vccnz .LBB204_2495
; %bb.2494:
	global_load_dword v34, v[4:5], off
.LBB204_2495:
	s_mov_b64 s[8:9], 0
.LBB204_2496:
	s_andn2_b64 vcc, exec, s[8:9]
	s_cbranch_vccnz .LBB204_2507
; %bb.2497:
	v_mov_b32_e32 v3, 6
	v_cmp_lt_i16_sdwa s[8:9], s19, v3 src0_sel:BYTE_0 src1_sel:DWORD
	s_and_b64 vcc, exec, s[8:9]
	s_cbranch_vccnz .LBB204_2500
; %bb.2498:
	v_cmp_gt_i16_sdwa s[8:9], s19, v3 src0_sel:BYTE_0 src1_sel:DWORD
	s_and_b64 vcc, exec, s[8:9]
	s_cbranch_vccz .LBB204_2501
; %bb.2499:
	global_load_dwordx2 v[6:7], v[4:5], off
	s_mov_b64 s[8:9], 0
	s_waitcnt vmcnt(0)
	v_cvt_f32_f64_e32 v3, v[6:7]
	v_cvt_f16_f32_e32 v34, v3
	s_branch .LBB204_2502
.LBB204_2500:
	s_mov_b64 s[8:9], -1
                                        ; implicit-def: $vgpr34
	s_branch .LBB204_2505
.LBB204_2501:
	s_mov_b64 s[8:9], -1
                                        ; implicit-def: $vgpr34
.LBB204_2502:
	s_andn2_b64 vcc, exec, s[8:9]
	s_cbranch_vccnz .LBB204_2504
; %bb.2503:
	global_load_dword v3, v[4:5], off
	s_waitcnt vmcnt(0)
	v_cvt_f16_f32_e32 v34, v3
.LBB204_2504:
	s_mov_b64 s[8:9], 0
.LBB204_2505:
	s_andn2_b64 vcc, exec, s[8:9]
	s_cbranch_vccnz .LBB204_2507
; %bb.2506:
	global_load_ushort v34, v[4:5], off
.LBB204_2507:
	s_mov_b64 s[8:9], 0
.LBB204_2508:
	s_andn2_b64 vcc, exec, s[8:9]
	s_cbranch_vccnz .LBB204_2528
; %bb.2509:
	v_mov_b32_e32 v3, 2
	v_cmp_lt_i16_sdwa s[8:9], s19, v3 src0_sel:BYTE_0 src1_sel:DWORD
	s_and_b64 vcc, exec, s[8:9]
	s_cbranch_vccnz .LBB204_2513
; %bb.2510:
	v_mov_b32_e32 v3, 3
	v_cmp_lt_i16_sdwa s[8:9], s19, v3 src0_sel:BYTE_0 src1_sel:DWORD
	s_and_b64 vcc, exec, s[8:9]
	s_cbranch_vccnz .LBB204_2514
; %bb.2511:
	v_cmp_gt_i16_sdwa s[8:9], s19, v3 src0_sel:BYTE_0 src1_sel:DWORD
	s_and_b64 vcc, exec, s[8:9]
	s_cbranch_vccz .LBB204_2515
; %bb.2512:
	global_load_dwordx2 v[6:7], v[4:5], off
	s_mov_b64 s[8:9], 0
	s_waitcnt vmcnt(0)
	v_xor_b32_e32 v8, v6, v7
	v_ffbh_i32_e32 v3, v7
	v_ashrrev_i32_e32 v8, 31, v8
	v_add_u32_e32 v3, -1, v3
	v_add_u32_e32 v8, 32, v8
	v_min_u32_e32 v3, v3, v8
	v_lshlrev_b64 v[6:7], v3, v[6:7]
	v_min_u32_e32 v6, 1, v6
	v_or_b32_e32 v6, v7, v6
	v_cvt_f32_i32_e32 v6, v6
	v_sub_u32_e32 v3, 32, v3
	v_ldexp_f32 v3, v6, v3
	v_cvt_f16_f32_e32 v34, v3
	s_branch .LBB204_2516
.LBB204_2513:
	s_mov_b64 s[8:9], -1
                                        ; implicit-def: $vgpr34
	s_branch .LBB204_2522
.LBB204_2514:
	s_mov_b64 s[8:9], -1
                                        ; implicit-def: $vgpr34
	s_branch .LBB204_2519
.LBB204_2515:
	s_mov_b64 s[8:9], -1
                                        ; implicit-def: $vgpr34
.LBB204_2516:
	s_andn2_b64 vcc, exec, s[8:9]
	s_cbranch_vccnz .LBB204_2518
; %bb.2517:
	global_load_dword v3, v[4:5], off
	s_waitcnt vmcnt(0)
	v_cvt_f32_i32_e32 v3, v3
	v_cvt_f16_f32_e32 v34, v3
.LBB204_2518:
	s_mov_b64 s[8:9], 0
.LBB204_2519:
	s_andn2_b64 vcc, exec, s[8:9]
	s_cbranch_vccnz .LBB204_2521
; %bb.2520:
	global_load_ushort v3, v[4:5], off
	s_waitcnt vmcnt(0)
	v_cvt_f16_i16_e32 v34, v3
.LBB204_2521:
	s_mov_b64 s[8:9], 0
.LBB204_2522:
	s_andn2_b64 vcc, exec, s[8:9]
	s_cbranch_vccnz .LBB204_2528
; %bb.2523:
	v_mov_b32_e32 v3, 0
	v_cmp_gt_i16_sdwa s[8:9], s19, v3 src0_sel:BYTE_0 src1_sel:DWORD
	s_and_b64 vcc, exec, s[8:9]
	s_cbranch_vccz .LBB204_2525
; %bb.2524:
	global_load_sbyte v3, v[4:5], off
	s_mov_b64 s[8:9], 0
	s_waitcnt vmcnt(0)
	v_cvt_f16_i16_e32 v34, v3
	s_branch .LBB204_2526
.LBB204_2525:
	s_mov_b64 s[8:9], -1
                                        ; implicit-def: $vgpr34
.LBB204_2526:
	s_andn2_b64 vcc, exec, s[8:9]
	s_cbranch_vccnz .LBB204_2528
; %bb.2527:
	global_load_ubyte v3, v[4:5], off
	s_waitcnt vmcnt(0)
	v_cvt_f16_u16_e32 v34, v3
.LBB204_2528:
	s_mov_b64 s[12:13], -1
.LBB204_2529:
	s_andn2_b64 vcc, exec, s[12:13]
	s_cbranch_vccnz .LBB204_3113
; %bb.2530:
	v_mov_b32_e32 v3, s5
	v_add_co_u32_e32 v2, vcc, s4, v2
	v_addc_co_u32_e32 v3, vcc, 0, v3, vcc
	s_and_b64 vcc, exec, s[6:7]
	s_cbranch_vccnz .LBB204_2537
; %bb.2531:
	v_cmp_gt_i16_e64 s[4:5], s20, 25
	s_mov_b64 s[6:7], 0
	s_and_b64 vcc, exec, s[4:5]
	s_cbranch_vccz .LBB204_2538
; %bb.2532:
	v_cmp_gt_i16_e64 s[4:5], s20, 28
	s_and_b64 vcc, exec, s[4:5]
	s_cbranch_vccz .LBB204_2539
; %bb.2533:
	v_cmp_gt_i16_e64 s[4:5], s20, 43
	;; [unrolled: 4-line block ×3, first 2 shown]
	s_and_b64 vcc, exec, s[4:5]
	s_cbranch_vccz .LBB204_2542
; %bb.2535:
	v_cmp_eq_u16_e64 s[4:5], s20, 46
	s_mov_b64 s[10:11], 0
	s_and_b64 vcc, exec, s[4:5]
	s_cbranch_vccz .LBB204_2543
; %bb.2536:
	global_load_dword v4, v[2:3], off
	s_mov_b64 s[4:5], 0
	s_mov_b64 s[8:9], -1
	s_waitcnt vmcnt(0)
	v_lshlrev_b32_e32 v4, 16, v4
	v_cvt_f16_f32_e32 v35, v4
	s_branch .LBB204_2544
.LBB204_2537:
	s_mov_b64 s[4:5], -1
	s_mov_b64 s[8:9], 0
                                        ; implicit-def: $vgpr35
	s_branch .LBB204_2610
.LBB204_2538:
	s_mov_b64 s[10:11], -1
	s_mov_b64 s[8:9], 0
	s_mov_b64 s[4:5], 0
                                        ; implicit-def: $vgpr35
	s_branch .LBB204_2573
.LBB204_2539:
	s_mov_b64 s[10:11], -1
	s_mov_b64 s[8:9], 0
	s_mov_b64 s[4:5], 0
                                        ; implicit-def: $vgpr35
	s_branch .LBB204_2554
.LBB204_2540:
	s_mov_b64 s[10:11], -1
	s_mov_b64 s[8:9], 0
	s_mov_b64 s[4:5], 0
                                        ; implicit-def: $vgpr35
	s_branch .LBB204_2549
.LBB204_2541:
	s_trap 2
	s_or_b64 s[34:35], s[34:35], exec
                                        ; implicit-def: $vgpr34
	s_cbranch_execz .LBB204_2478
	s_branch .LBB204_2479
.LBB204_2542:
	s_mov_b64 s[10:11], -1
	s_mov_b64 s[8:9], 0
	s_mov_b64 s[4:5], 0
                                        ; implicit-def: $vgpr35
	s_branch .LBB204_2544
.LBB204_2543:
	s_mov_b64 s[4:5], -1
                                        ; implicit-def: $vgpr35
	s_mov_b64 s[8:9], 0
.LBB204_2544:
	s_and_b64 vcc, exec, s[10:11]
	s_cbranch_vccz .LBB204_2548
; %bb.2545:
	v_cmp_eq_u16_e64 s[4:5], s20, 44
	s_and_b64 vcc, exec, s[4:5]
	s_cbranch_vccz .LBB204_2547
; %bb.2546:
	global_load_ubyte v4, v[2:3], off
	s_movk_i32 s8, 0xff
	v_mov_b32_e32 v6, 0x7e00
	s_mov_b64 s[4:5], 0
	s_waitcnt vmcnt(0)
	v_lshlrev_b32_e32 v5, 23, v4
	v_cvt_f16_f32_e32 v5, v5
	v_cmp_ne_u32_e32 vcc, s8, v4
	s_mov_b64 s[8:9], -1
	v_cndmask_b32_e32 v5, v6, v5, vcc
	v_cmp_ne_u32_e32 vcc, 0, v4
	v_cndmask_b32_e32 v35, 0, v5, vcc
	s_branch .LBB204_2548
.LBB204_2547:
	s_mov_b64 s[4:5], -1
                                        ; implicit-def: $vgpr35
.LBB204_2548:
	s_mov_b64 s[10:11], 0
.LBB204_2549:
	s_and_b64 vcc, exec, s[10:11]
	s_cbranch_vccz .LBB204_2553
; %bb.2550:
	v_cmp_eq_u16_e64 s[4:5], s20, 29
	s_and_b64 vcc, exec, s[4:5]
	s_cbranch_vccz .LBB204_2552
; %bb.2551:
	global_load_dwordx2 v[4:5], v[2:3], off
	s_mov_b64 s[4:5], 0
	s_mov_b64 s[8:9], -1
	s_mov_b64 s[10:11], 0
	s_waitcnt vmcnt(0)
	v_ffbh_u32_e32 v6, v5
	v_min_u32_e32 v6, 32, v6
	v_lshlrev_b64 v[4:5], v6, v[4:5]
	v_min_u32_e32 v4, 1, v4
	v_or_b32_e32 v4, v5, v4
	v_cvt_f32_u32_e32 v4, v4
	v_sub_u32_e32 v5, 32, v6
	v_ldexp_f32 v4, v4, v5
	v_cvt_f16_f32_e32 v35, v4
	s_branch .LBB204_2554
.LBB204_2552:
	s_mov_b64 s[4:5], -1
                                        ; implicit-def: $vgpr35
.LBB204_2553:
	s_mov_b64 s[10:11], 0
.LBB204_2554:
	s_and_b64 vcc, exec, s[10:11]
	s_cbranch_vccz .LBB204_2572
; %bb.2555:
	v_cmp_lt_i16_e64 s[8:9], s20, 27
	s_and_b64 vcc, exec, s[8:9]
	s_cbranch_vccnz .LBB204_2558
; %bb.2556:
	v_cmp_gt_i16_e64 s[8:9], s20, 27
	s_and_b64 vcc, exec, s[8:9]
	s_cbranch_vccz .LBB204_2559
; %bb.2557:
	global_load_dword v4, v[2:3], off
	s_mov_b64 s[8:9], 0
	s_waitcnt vmcnt(0)
	v_cvt_f32_u32_e32 v4, v4
	v_cvt_f16_f32_e32 v35, v4
	s_branch .LBB204_2560
.LBB204_2558:
	s_mov_b64 s[8:9], -1
                                        ; implicit-def: $vgpr35
	s_branch .LBB204_2563
.LBB204_2559:
	s_mov_b64 s[8:9], -1
                                        ; implicit-def: $vgpr35
.LBB204_2560:
	s_andn2_b64 vcc, exec, s[8:9]
	s_cbranch_vccnz .LBB204_2562
; %bb.2561:
	global_load_ushort v4, v[2:3], off
	s_waitcnt vmcnt(0)
	v_cvt_f16_u16_e32 v35, v4
.LBB204_2562:
	s_mov_b64 s[8:9], 0
.LBB204_2563:
	s_andn2_b64 vcc, exec, s[8:9]
	s_cbranch_vccnz .LBB204_2571
; %bb.2564:
	global_load_ubyte v4, v[2:3], off
	s_movk_i32 s8, 0x7f
                                        ; implicit-def: $sgpr14
	s_waitcnt vmcnt(0)
	v_cmp_lt_i16_e32 vcc, s8, v4
	s_mov_b64 s[8:9], 0
	s_and_saveexec_b64 s[10:11], vcc
	s_xor_b64 s[10:11], exec, s[10:11]
	s_cbranch_execz .LBB204_2585
; %bb.2565:
	s_movk_i32 s8, 0x80
	v_cmp_eq_u16_e32 vcc, s8, v4
	s_mov_b64 s[8:9], -1
                                        ; implicit-def: $sgpr14
	s_and_saveexec_b64 s[12:13], vcc
; %bb.2566:
	s_movk_i32 s14, 0x7e00
	s_xor_b64 s[8:9], exec, -1
; %bb.2567:
	s_or_b64 exec, exec, s[12:13]
	s_and_b64 s[8:9], s[8:9], exec
	s_or_saveexec_b64 s[10:11], s[10:11]
	v_mov_b32_e32 v35, s14
	s_xor_b64 exec, exec, s[10:11]
	s_cbranch_execnz .LBB204_2586
.LBB204_2568:
	s_or_b64 exec, exec, s[10:11]
	s_and_saveexec_b64 s[10:11], s[8:9]
	s_cbranch_execz .LBB204_2570
.LBB204_2569:
	v_lshlrev_b32_e32 v5, 24, v4
	v_and_b32_e32 v4, 0xffff, v4
	v_and_b32_e32 v6, 7, v4
	v_ffbh_u32_e32 v8, v6
	v_min_u32_e32 v8, 32, v8
	v_subrev_u32_e32 v9, 28, v8
	v_bfe_u32 v7, v4, 3, 4
	v_lshlrev_b32_e32 v4, v9, v4
	v_sub_u32_e32 v8, 29, v8
	v_and_b32_e32 v4, 7, v4
	v_cmp_eq_u32_e32 vcc, 0, v7
	v_cndmask_b32_e32 v7, v7, v8, vcc
	v_cndmask_b32_e32 v4, v6, v4, vcc
	v_mov_b32_e32 v6, 0x3b800000
	v_lshlrev_b32_e32 v4, 20, v4
	v_and_b32_e32 v5, 0x80000000, v5
	v_lshl_add_u32 v6, v7, 23, v6
	v_or3_b32 v4, v5, v6, v4
	v_cvt_f16_f32_e32 v35, v4
.LBB204_2570:
	s_or_b64 exec, exec, s[10:11]
.LBB204_2571:
	s_mov_b64 s[8:9], -1
.LBB204_2572:
	s_mov_b64 s[10:11], 0
.LBB204_2573:
	s_and_b64 vcc, exec, s[10:11]
	s_cbranch_vccz .LBB204_2606
; %bb.2574:
	v_cmp_gt_i16_e64 s[6:7], s20, 22
	s_and_b64 vcc, exec, s[6:7]
	s_cbranch_vccz .LBB204_2584
; %bb.2575:
	v_cmp_lt_i16_e64 s[6:7], s20, 24
	s_and_b64 vcc, exec, s[6:7]
	s_cbranch_vccnz .LBB204_2587
; %bb.2576:
	v_cmp_gt_i16_e64 s[6:7], s20, 24
	s_and_b64 vcc, exec, s[6:7]
	s_cbranch_vccz .LBB204_2588
; %bb.2577:
	global_load_ubyte v4, v[2:3], off
	s_movk_i32 s6, 0x7f
                                        ; implicit-def: $sgpr12
	s_waitcnt vmcnt(0)
	v_cmp_lt_i16_e32 vcc, s6, v4
	s_mov_b64 s[6:7], 0
	s_and_saveexec_b64 s[8:9], vcc
	s_xor_b64 s[8:9], exec, s[8:9]
	s_cbranch_execz .LBB204_2600
; %bb.2578:
	s_movk_i32 s6, 0x80
	v_cmp_eq_u16_e32 vcc, s6, v4
	s_mov_b64 s[6:7], -1
                                        ; implicit-def: $sgpr12
	s_and_saveexec_b64 s[10:11], vcc
; %bb.2579:
	s_movk_i32 s12, 0x7e00
	s_xor_b64 s[6:7], exec, -1
; %bb.2580:
	s_or_b64 exec, exec, s[10:11]
	s_and_b64 s[6:7], s[6:7], exec
	s_or_saveexec_b64 s[8:9], s[8:9]
	v_mov_b32_e32 v35, s12
	s_xor_b64 exec, exec, s[8:9]
	s_cbranch_execnz .LBB204_2601
.LBB204_2581:
	s_or_b64 exec, exec, s[8:9]
	s_and_saveexec_b64 s[8:9], s[6:7]
	s_cbranch_execz .LBB204_2583
.LBB204_2582:
	v_lshlrev_b32_e32 v5, 24, v4
	v_and_b32_e32 v4, 0xffff, v4
	v_and_b32_e32 v6, 3, v4
	v_ffbh_u32_e32 v8, v6
	v_min_u32_e32 v8, 32, v8
	v_subrev_u32_e32 v9, 29, v8
	v_bfe_u32 v7, v4, 2, 5
	v_lshlrev_b32_e32 v4, v9, v4
	v_sub_u32_e32 v8, 30, v8
	v_and_b32_e32 v4, 3, v4
	v_cmp_eq_u32_e32 vcc, 0, v7
	v_cndmask_b32_e32 v7, v7, v8, vcc
	v_cndmask_b32_e32 v4, v6, v4, vcc
	v_mov_b32_e32 v6, 0x37800000
	v_lshlrev_b32_e32 v4, 21, v4
	v_and_b32_e32 v5, 0x80000000, v5
	v_lshl_add_u32 v6, v7, 23, v6
	v_or3_b32 v4, v5, v6, v4
	v_cvt_f16_f32_e32 v35, v4
.LBB204_2583:
	s_or_b64 exec, exec, s[8:9]
	s_mov_b64 s[6:7], 0
	s_branch .LBB204_2589
.LBB204_2584:
	s_mov_b64 s[6:7], -1
                                        ; implicit-def: $vgpr35
	s_branch .LBB204_2595
.LBB204_2585:
	s_or_saveexec_b64 s[10:11], s[10:11]
	v_mov_b32_e32 v35, s14
	s_xor_b64 exec, exec, s[10:11]
	s_cbranch_execz .LBB204_2568
.LBB204_2586:
	v_cmp_ne_u16_e32 vcc, 0, v4
	s_andn2_b64 s[8:9], s[8:9], exec
	s_and_b64 s[12:13], vcc, exec
	s_or_b64 s[8:9], s[8:9], s[12:13]
	v_mov_b32_e32 v35, v4
	s_or_b64 exec, exec, s[10:11]
	s_and_saveexec_b64 s[10:11], s[8:9]
	s_cbranch_execnz .LBB204_2569
	s_branch .LBB204_2570
.LBB204_2587:
	s_mov_b64 s[6:7], -1
                                        ; implicit-def: $vgpr35
	s_branch .LBB204_2592
.LBB204_2588:
	s_mov_b64 s[6:7], -1
                                        ; implicit-def: $vgpr35
.LBB204_2589:
	s_and_b64 vcc, exec, s[6:7]
	s_cbranch_vccz .LBB204_2591
; %bb.2590:
	global_load_ubyte v4, v[2:3], off
	s_mov_b32 s6, 0x7f800000
	s_waitcnt vmcnt(0)
	v_lshlrev_b32_e32 v4, 24, v4
	v_and_b32_e32 v5, 0x7f000000, v4
	v_ffbh_u32_e32 v6, v5
	v_min_u32_e32 v6, 32, v6
	v_sub_u32_e64 v6, v6, 4 clamp
	v_lshlrev_b32_e32 v8, v6, v5
	v_lshlrev_b32_e32 v6, 23, v6
	v_lshrrev_b32_e32 v8, 4, v8
	v_add_u32_e32 v7, 0x1000000, v5
	v_sub_u32_e32 v6, v8, v6
	v_ashrrev_i32_e32 v7, 8, v7
	v_add_u32_e32 v6, 0x3c000000, v6
	v_and_or_b32 v6, v7, s6, v6
	v_cmp_ne_u32_e32 vcc, 0, v5
	v_cndmask_b32_e32 v5, 0, v6, vcc
	s_brev_b32 s6, 1
	v_and_or_b32 v4, v4, s6, v5
	v_cvt_f16_f32_e32 v35, v4
.LBB204_2591:
	s_mov_b64 s[6:7], 0
.LBB204_2592:
	s_andn2_b64 vcc, exec, s[6:7]
	s_cbranch_vccnz .LBB204_2594
; %bb.2593:
	global_load_ubyte v4, v[2:3], off
	s_movk_i32 s6, 0x7f00
	s_brev_b32 s7, 16
	s_waitcnt vmcnt(0)
	v_lshlrev_b16_e32 v5, 8, v4
	v_lshlrev_b32_e32 v4, 25, v4
	v_lshrrev_b32_e32 v6, 4, v4
	v_and_or_b32 v7, v5, s6, 0.5
	v_or_b32_e32 v6, 0x70000000, v6
	v_add_f32_e32 v7, -0.5, v7
	v_mul_f32_e32 v6, 0x7800000, v6
	v_cmp_gt_u32_e32 vcc, s7, v4
	v_bfe_i32 v5, v5, 0, 16
	v_cndmask_b32_e32 v4, v6, v7, vcc
	s_brev_b32 s6, 1
	v_and_or_b32 v4, v5, s6, v4
	v_cvt_f16_f32_e32 v35, v4
.LBB204_2594:
	s_mov_b64 s[6:7], 0
	s_mov_b64 s[8:9], -1
.LBB204_2595:
	s_andn2_b64 vcc, exec, s[6:7]
	s_mov_b64 s[6:7], 0
	s_cbranch_vccnz .LBB204_2606
; %bb.2596:
	v_cmp_gt_i16_e64 s[6:7], s20, 14
	s_and_b64 vcc, exec, s[6:7]
	s_cbranch_vccz .LBB204_2599
; %bb.2597:
	v_cmp_eq_u16_e64 s[4:5], s20, 15
	s_and_b64 vcc, exec, s[4:5]
	s_cbranch_vccz .LBB204_2602
; %bb.2598:
	global_load_ushort v4, v[2:3], off
	s_mov_b64 s[4:5], 0
	s_mov_b64 s[8:9], -1
	s_waitcnt vmcnt(0)
	v_lshlrev_b32_e32 v4, 16, v4
	v_cvt_f16_f32_e32 v35, v4
	s_branch .LBB204_2603
.LBB204_2599:
	s_mov_b64 s[10:11], -1
                                        ; implicit-def: $vgpr35
	s_branch .LBB204_2604
.LBB204_2600:
	s_or_saveexec_b64 s[8:9], s[8:9]
	v_mov_b32_e32 v35, s12
	s_xor_b64 exec, exec, s[8:9]
	s_cbranch_execz .LBB204_2581
.LBB204_2601:
	v_cmp_ne_u16_e32 vcc, 0, v4
	s_andn2_b64 s[6:7], s[6:7], exec
	s_and_b64 s[10:11], vcc, exec
	s_or_b64 s[6:7], s[6:7], s[10:11]
	v_mov_b32_e32 v35, v4
	s_or_b64 exec, exec, s[8:9]
	s_and_saveexec_b64 s[8:9], s[6:7]
	s_cbranch_execnz .LBB204_2582
	s_branch .LBB204_2583
.LBB204_2602:
	s_mov_b64 s[4:5], -1
                                        ; implicit-def: $vgpr35
.LBB204_2603:
	s_mov_b64 s[10:11], 0
.LBB204_2604:
	s_mov_b64 s[6:7], 0
	s_and_b64 vcc, exec, s[10:11]
	s_cbranch_vccz .LBB204_2606
; %bb.2605:
	v_cmp_ne_u16_e64 s[4:5], s20, 11
	s_mov_b64 s[6:7], -1
                                        ; implicit-def: $vgpr35
.LBB204_2606:
	s_and_b64 vcc, exec, s[4:5]
	s_cbranch_vccnz .LBB204_2670
; %bb.2607:
	s_andn2_b64 vcc, exec, s[6:7]
	s_cbranch_vccnz .LBB204_2609
.LBB204_2608:
	global_load_ubyte v4, v[2:3], off
	v_mov_b32_e32 v5, 0x3c00
	s_mov_b64 s[8:9], -1
	s_waitcnt vmcnt(0)
	v_cmp_ne_u16_e32 vcc, 0, v4
	v_cndmask_b32_e32 v35, 0, v5, vcc
.LBB204_2609:
	s_mov_b64 s[4:5], 0
.LBB204_2610:
	s_and_b64 vcc, exec, s[4:5]
	s_cbranch_vccz .LBB204_2659
; %bb.2611:
	v_cmp_lt_i16_e64 s[4:5], s20, 5
	s_and_b64 vcc, exec, s[4:5]
	s_cbranch_vccnz .LBB204_2616
; %bb.2612:
	v_cmp_lt_i16_e64 s[4:5], s20, 8
	s_and_b64 vcc, exec, s[4:5]
	s_cbranch_vccnz .LBB204_2617
	;; [unrolled: 4-line block ×3, first 2 shown]
; %bb.2614:
	v_cmp_gt_i16_e64 s[4:5], s20, 9
	s_and_b64 vcc, exec, s[4:5]
	s_cbranch_vccz .LBB204_2619
; %bb.2615:
	global_load_dwordx2 v[4:5], v[2:3], off
	s_mov_b64 s[4:5], 0
	s_waitcnt vmcnt(0)
	v_cvt_f32_f64_e32 v4, v[4:5]
	v_cvt_f16_f32_e32 v35, v4
	s_branch .LBB204_2620
.LBB204_2616:
	s_mov_b64 s[4:5], -1
                                        ; implicit-def: $vgpr35
	s_branch .LBB204_2638
.LBB204_2617:
	s_mov_b64 s[4:5], -1
                                        ; implicit-def: $vgpr35
	s_branch .LBB204_2626
.LBB204_2618:
	s_mov_b64 s[4:5], -1
                                        ; implicit-def: $vgpr35
	s_branch .LBB204_2623
.LBB204_2619:
	s_mov_b64 s[4:5], -1
                                        ; implicit-def: $vgpr35
.LBB204_2620:
	s_andn2_b64 vcc, exec, s[4:5]
	s_cbranch_vccnz .LBB204_2622
; %bb.2621:
	global_load_dword v4, v[2:3], off
	s_waitcnt vmcnt(0)
	v_cvt_f16_f32_e32 v35, v4
.LBB204_2622:
	s_mov_b64 s[4:5], 0
.LBB204_2623:
	s_andn2_b64 vcc, exec, s[4:5]
	s_cbranch_vccnz .LBB204_2625
; %bb.2624:
	global_load_dword v35, v[2:3], off
.LBB204_2625:
	s_mov_b64 s[4:5], 0
.LBB204_2626:
	s_andn2_b64 vcc, exec, s[4:5]
	s_cbranch_vccnz .LBB204_2637
; %bb.2627:
	v_cmp_lt_i16_e64 s[4:5], s20, 6
	s_and_b64 vcc, exec, s[4:5]
	s_cbranch_vccnz .LBB204_2630
; %bb.2628:
	v_cmp_gt_i16_e64 s[4:5], s20, 6
	s_and_b64 vcc, exec, s[4:5]
	s_cbranch_vccz .LBB204_2631
; %bb.2629:
	global_load_dwordx2 v[4:5], v[2:3], off
	s_mov_b64 s[4:5], 0
	s_waitcnt vmcnt(0)
	v_cvt_f32_f64_e32 v4, v[4:5]
	v_cvt_f16_f32_e32 v35, v4
	s_branch .LBB204_2632
.LBB204_2630:
	s_mov_b64 s[4:5], -1
                                        ; implicit-def: $vgpr35
	s_branch .LBB204_2635
.LBB204_2631:
	s_mov_b64 s[4:5], -1
                                        ; implicit-def: $vgpr35
.LBB204_2632:
	s_andn2_b64 vcc, exec, s[4:5]
	s_cbranch_vccnz .LBB204_2634
; %bb.2633:
	global_load_dword v4, v[2:3], off
	s_waitcnt vmcnt(0)
	v_cvt_f16_f32_e32 v35, v4
.LBB204_2634:
	s_mov_b64 s[4:5], 0
.LBB204_2635:
	s_andn2_b64 vcc, exec, s[4:5]
	s_cbranch_vccnz .LBB204_2637
; %bb.2636:
	global_load_ushort v35, v[2:3], off
.LBB204_2637:
	s_mov_b64 s[4:5], 0
.LBB204_2638:
	s_andn2_b64 vcc, exec, s[4:5]
	s_cbranch_vccnz .LBB204_2658
; %bb.2639:
	v_cmp_lt_i16_e64 s[4:5], s20, 2
	s_and_b64 vcc, exec, s[4:5]
	s_cbranch_vccnz .LBB204_2643
; %bb.2640:
	v_cmp_lt_i16_e64 s[4:5], s20, 3
	s_and_b64 vcc, exec, s[4:5]
	s_cbranch_vccnz .LBB204_2644
; %bb.2641:
	v_cmp_gt_i16_e64 s[4:5], s20, 3
	s_and_b64 vcc, exec, s[4:5]
	s_cbranch_vccz .LBB204_2645
; %bb.2642:
	global_load_dwordx2 v[4:5], v[2:3], off
	s_mov_b64 s[4:5], 0
	s_waitcnt vmcnt(0)
	v_xor_b32_e32 v7, v4, v5
	v_ffbh_i32_e32 v6, v5
	v_ashrrev_i32_e32 v7, 31, v7
	v_add_u32_e32 v6, -1, v6
	v_add_u32_e32 v7, 32, v7
	v_min_u32_e32 v6, v6, v7
	v_lshlrev_b64 v[4:5], v6, v[4:5]
	v_min_u32_e32 v4, 1, v4
	v_or_b32_e32 v4, v5, v4
	v_cvt_f32_i32_e32 v4, v4
	v_sub_u32_e32 v5, 32, v6
	v_ldexp_f32 v4, v4, v5
	v_cvt_f16_f32_e32 v35, v4
	s_branch .LBB204_2646
.LBB204_2643:
	s_mov_b64 s[4:5], -1
                                        ; implicit-def: $vgpr35
	s_branch .LBB204_2652
.LBB204_2644:
	s_mov_b64 s[4:5], -1
                                        ; implicit-def: $vgpr35
	s_branch .LBB204_2649
.LBB204_2645:
	s_mov_b64 s[4:5], -1
                                        ; implicit-def: $vgpr35
.LBB204_2646:
	s_andn2_b64 vcc, exec, s[4:5]
	s_cbranch_vccnz .LBB204_2648
; %bb.2647:
	global_load_dword v4, v[2:3], off
	s_waitcnt vmcnt(0)
	v_cvt_f32_i32_e32 v4, v4
	v_cvt_f16_f32_e32 v35, v4
.LBB204_2648:
	s_mov_b64 s[4:5], 0
.LBB204_2649:
	s_andn2_b64 vcc, exec, s[4:5]
	s_cbranch_vccnz .LBB204_2651
; %bb.2650:
	global_load_ushort v4, v[2:3], off
	s_waitcnt vmcnt(0)
	v_cvt_f16_i16_e32 v35, v4
.LBB204_2651:
	s_mov_b64 s[4:5], 0
.LBB204_2652:
	s_andn2_b64 vcc, exec, s[4:5]
	s_cbranch_vccnz .LBB204_2658
; %bb.2653:
	v_cmp_gt_i16_e64 s[4:5], s20, 0
	s_and_b64 vcc, exec, s[4:5]
	s_cbranch_vccz .LBB204_2655
; %bb.2654:
	global_load_sbyte v4, v[2:3], off
	s_mov_b64 s[4:5], 0
	s_waitcnt vmcnt(0)
	v_cvt_f16_i16_e32 v35, v4
	s_branch .LBB204_2656
.LBB204_2655:
	s_mov_b64 s[4:5], -1
                                        ; implicit-def: $vgpr35
.LBB204_2656:
	s_andn2_b64 vcc, exec, s[4:5]
	s_cbranch_vccnz .LBB204_2658
; %bb.2657:
	global_load_ubyte v2, v[2:3], off
	s_waitcnt vmcnt(0)
	v_cvt_f16_u16_e32 v35, v2
.LBB204_2658:
	s_mov_b64 s[8:9], -1
.LBB204_2659:
	s_andn2_b64 vcc, exec, s[8:9]
	s_cbranch_vccnz .LBB204_3113
; %bb.2660:
	s_lshr_b32 s22, s18, 8
	s_getpc_b64 s[4:5]
	s_add_u32 s4, s4, _ZZZZN2at6native33launch_standard_gamma_grad_kernelERNS_18TensorIteratorBaseEENKUlvE_clEvENKUlvE1_clEvENKUlN3c104HalfES6_E_clES6_S6_@rel32@lo+4
	s_addc_u32 s5, s5, _ZZZZN2at6native33launch_standard_gamma_grad_kernelERNS_18TensorIteratorBaseEENKUlvE_clEvENKUlvE1_clEvENKUlN3c104HalfES6_E_clES6_S6_@rel32@hi+12
	s_swappc_b64 s[30:31], s[4:5]
	v_mov_b32_e32 v1, s25
	v_add_co_u32_e32 v2, vcc, s24, v42
	v_addc_co_u32_e32 v3, vcc, 0, v1, vcc
	v_mov_b32_e32 v1, 11
	v_cmp_lt_i16_sdwa s[4:5], s22, v1 src0_sel:BYTE_0 src1_sel:DWORD
	s_and_b64 vcc, exec, s[4:5]
	s_cbranch_vccnz .LBB204_2667
; %bb.2661:
	v_mov_b32_e32 v1, 25
	v_cmp_gt_i16_sdwa s[4:5], s22, v1 src0_sel:BYTE_0 src1_sel:DWORD
	s_mov_b64 s[10:11], -1
	s_mov_b64 s[6:7], 0
	s_and_b64 vcc, exec, s[4:5]
	s_mov_b64 s[8:9], 0
	s_mov_b64 s[4:5], 0
	s_cbranch_vccz .LBB204_2699
; %bb.2662:
	v_mov_b32_e32 v1, 28
	v_cmp_gt_i16_sdwa s[4:5], s22, v1 src0_sel:BYTE_0 src1_sel:DWORD
	s_and_b64 vcc, exec, s[4:5]
	s_cbranch_vccz .LBB204_2668
; %bb.2663:
	v_mov_b32_e32 v1, 43
	v_cmp_gt_i16_sdwa s[4:5], s22, v1 src0_sel:BYTE_0 src1_sel:DWORD
	s_and_b64 vcc, exec, s[4:5]
	;; [unrolled: 5-line block ×3, first 2 shown]
	s_cbranch_vccz .LBB204_2671
; %bb.2665:
	v_mov_b32_e32 v1, 46
	v_cmp_eq_u16_sdwa s[8:9], s22, v1 src0_sel:BYTE_0 src1_sel:DWORD
	s_mov_b64 s[4:5], -1
	s_mov_b64 s[10:11], 0
	s_and_b64 vcc, exec, s[8:9]
	s_mov_b64 s[8:9], 0
	s_cbranch_vccz .LBB204_2672
; %bb.2666:
	v_cvt_f32_f16_e32 v1, v0
	s_movk_i32 s4, 0x7fff
	v_mov_b32_e32 v4, 0x7fc0
	v_cmp_o_f16_e32 vcc, v0, v0
	v_bfe_u32 v5, v1, 16, 1
	v_add3_u32 v1, v1, v5, s4
	v_lshrrev_b32_e32 v1, 16, v1
	v_cndmask_b32_e32 v1, v4, v1, vcc
	global_store_dword v[2:3], v1, off
	s_mov_b64 s[4:5], 0
	s_mov_b64 s[8:9], -1
	s_branch .LBB204_2672
.LBB204_2667:
	s_mov_b64 s[4:5], -1
	s_mov_b64 s[8:9], 0
	s_branch .LBB204_2743
.LBB204_2668:
	s_mov_b64 s[4:5], 0
	s_branch .LBB204_2682
.LBB204_2669:
	s_mov_b64 s[4:5], 0
	s_branch .LBB204_2678
.LBB204_2670:
	s_trap 2
	s_or_b64 s[34:35], s[34:35], exec
                                        ; implicit-def: $vgpr35
	s_cbranch_execz .LBB204_2608
	s_branch .LBB204_2609
.LBB204_2671:
	s_mov_b64 s[4:5], 0
.LBB204_2672:
	s_and_b64 vcc, exec, s[10:11]
	s_cbranch_vccz .LBB204_2677
; %bb.2673:
	v_mov_b32_e32 v1, 44
	v_cmp_eq_u16_sdwa s[10:11], s22, v1 src0_sel:BYTE_0 src1_sel:DWORD
	s_mov_b64 s[4:5], -1
	s_and_b64 vcc, exec, s[10:11]
	s_cbranch_vccz .LBB204_2677
; %bb.2674:
	v_cvt_f32_f16_e32 v1, v0
	s_movk_i32 s4, 0xff
	v_mov_b32_e32 v5, 0xff
	v_bfe_u32 v4, v1, 23, 8
	v_cmp_ne_u32_e32 vcc, s4, v4
	s_and_saveexec_b64 s[8:9], vcc
; %bb.2675:
	s_mov_b32 s4, 0x3fffff
	v_lshrrev_b32_e32 v5, 23, v1
	v_and_b32_e32 v6, 0x400000, v1
	v_and_or_b32 v1, v1, s4, v4
	v_cmp_ne_u32_e32 vcc, 0, v6
	v_cmp_ne_u32_e64 s[4:5], 0, v1
	s_and_b64 s[4:5], vcc, s[4:5]
	v_cndmask_b32_e64 v1, 0, 1, s[4:5]
	v_add_u32_e32 v5, v5, v1
; %bb.2676:
	s_or_b64 exec, exec, s[8:9]
	s_mov_b64 s[4:5], 0
	s_mov_b64 s[8:9], -1
	global_store_byte v[2:3], v5, off
.LBB204_2677:
	s_mov_b64 s[10:11], 0
.LBB204_2678:
	s_and_b64 vcc, exec, s[10:11]
	s_cbranch_vccz .LBB204_2681
; %bb.2679:
	v_mov_b32_e32 v1, 29
	v_cmp_eq_u16_sdwa s[10:11], s22, v1 src0_sel:BYTE_0 src1_sel:DWORD
	s_mov_b64 s[4:5], -1
	s_and_b64 vcc, exec, s[10:11]
	s_cbranch_vccz .LBB204_2681
; %bb.2680:
	v_cvt_f32_f16_e32 v1, v0
	v_mov_b32_e32 v5, 0
	s_mov_b64 s[4:5], 0
	s_mov_b64 s[8:9], -1
	v_cvt_u32_f32_e32 v4, v1
	s_mov_b64 s[10:11], 0
	global_store_dwordx2 v[2:3], v[4:5], off
	s_branch .LBB204_2682
.LBB204_2681:
	s_mov_b64 s[10:11], 0
.LBB204_2682:
	s_and_b64 vcc, exec, s[10:11]
	s_cbranch_vccz .LBB204_2698
; %bb.2683:
	v_mov_b32_e32 v1, 27
	v_cmp_lt_i16_sdwa s[10:11], s22, v1 src0_sel:BYTE_0 src1_sel:DWORD
	s_mov_b64 s[8:9], -1
	s_and_b64 vcc, exec, s[10:11]
	s_cbranch_vccnz .LBB204_2689
; %bb.2684:
	v_cmp_gt_i16_sdwa s[10:11], s22, v1 src0_sel:BYTE_0 src1_sel:DWORD
	s_and_b64 vcc, exec, s[10:11]
	s_cbranch_vccz .LBB204_2686
; %bb.2685:
	v_cvt_f32_f16_e32 v1, v0
	s_mov_b64 s[8:9], 0
	v_cvt_u32_f32_e32 v1, v1
	global_store_dword v[2:3], v1, off
.LBB204_2686:
	s_andn2_b64 vcc, exec, s[8:9]
	s_cbranch_vccnz .LBB204_2688
; %bb.2687:
	v_cvt_u16_f16_e32 v1, v0
	global_store_short v[2:3], v1, off
.LBB204_2688:
	s_mov_b64 s[8:9], 0
.LBB204_2689:
	s_andn2_b64 vcc, exec, s[8:9]
	s_cbranch_vccnz .LBB204_2697
; %bb.2690:
	v_cvt_f32_f16_e32 v1, v0
	s_mov_b32 s8, 0x43800000
	v_mov_b32_e32 v5, 0x80
	v_and_b32_e32 v4, 0x7fffffff, v1
	v_cmp_gt_u32_e32 vcc, s8, v4
	s_and_saveexec_b64 s[8:9], vcc
	s_cbranch_execz .LBB204_2696
; %bb.2691:
	s_mov_b32 s10, 0x3bffffff
	v_cmp_lt_u32_e32 vcc, s10, v4
	s_mov_b64 s[10:11], 0
                                        ; implicit-def: $vgpr4
	s_and_saveexec_b64 s[12:13], vcc
	s_xor_b64 s[12:13], exec, s[12:13]
	s_cbranch_execz .LBB204_2792
; %bb.2692:
	v_bfe_u32 v4, v1, 20, 1
	s_mov_b32 s14, 0x487ffff
	v_add3_u32 v4, v1, v4, s14
	s_mov_b64 s[10:11], exec
	v_lshrrev_b32_e32 v4, 20, v4
	s_or_saveexec_b64 s[12:13], s[12:13]
                                        ; implicit-def: $sgpr14
	s_xor_b64 exec, exec, s[12:13]
	s_cbranch_execnz .LBB204_2793
.LBB204_2693:
	s_or_b64 exec, exec, s[12:13]
	v_mov_b32_e32 v5, s14
	s_and_saveexec_b64 s[12:13], s[10:11]
.LBB204_2694:
	v_lshrrev_b32_e32 v1, 24, v1
	s_movk_i32 s10, 0x80
	v_and_or_b32 v5, v1, s10, v4
.LBB204_2695:
	s_or_b64 exec, exec, s[12:13]
.LBB204_2696:
	s_or_b64 exec, exec, s[8:9]
	global_store_byte v[2:3], v5, off
.LBB204_2697:
	s_mov_b64 s[8:9], -1
.LBB204_2698:
	s_mov_b64 s[10:11], 0
.LBB204_2699:
	s_and_b64 vcc, exec, s[10:11]
	s_cbranch_vccz .LBB204_2739
; %bb.2700:
	v_mov_b32_e32 v1, 22
	v_cmp_gt_i16_sdwa s[10:11], s22, v1 src0_sel:BYTE_0 src1_sel:DWORD
	s_mov_b64 s[6:7], -1
	s_and_b64 vcc, exec, s[10:11]
	s_cbranch_vccz .LBB204_2732
; %bb.2701:
	v_mov_b32_e32 v1, 24
	v_cmp_lt_i16_sdwa s[8:9], s22, v1 src0_sel:BYTE_0 src1_sel:DWORD
	s_and_b64 vcc, exec, s[8:9]
	s_cbranch_vccnz .LBB204_2721
; %bb.2702:
	v_cmp_gt_i16_sdwa s[8:9], s22, v1 src0_sel:BYTE_0 src1_sel:DWORD
	s_and_b64 vcc, exec, s[8:9]
	s_cbranch_vccz .LBB204_2710
; %bb.2703:
	v_cvt_f32_f16_e32 v1, v0
	s_mov_b32 s6, 0x47800000
	v_mov_b32_e32 v5, 0x80
	v_and_b32_e32 v4, 0x7fffffff, v1
	v_cmp_gt_u32_e32 vcc, s6, v4
	s_and_saveexec_b64 s[6:7], vcc
	s_cbranch_execz .LBB204_2709
; %bb.2704:
	s_mov_b32 s8, 0x37ffffff
	v_cmp_lt_u32_e32 vcc, s8, v4
	s_mov_b64 s[8:9], 0
                                        ; implicit-def: $vgpr4
	s_and_saveexec_b64 s[10:11], vcc
	s_xor_b64 s[10:11], exec, s[10:11]
	s_cbranch_execz .LBB204_2796
; %bb.2705:
	v_bfe_u32 v4, v1, 21, 1
	s_mov_b32 s12, 0x88fffff
	v_add3_u32 v4, v1, v4, s12
	s_mov_b64 s[8:9], exec
	v_lshrrev_b32_e32 v4, 21, v4
	s_or_saveexec_b64 s[10:11], s[10:11]
                                        ; implicit-def: $sgpr12
	s_xor_b64 exec, exec, s[10:11]
	s_cbranch_execnz .LBB204_2797
.LBB204_2706:
	s_or_b64 exec, exec, s[10:11]
	v_mov_b32_e32 v5, s12
	s_and_saveexec_b64 s[10:11], s[8:9]
.LBB204_2707:
	v_lshrrev_b32_e32 v1, 24, v1
	s_movk_i32 s8, 0x80
	v_and_or_b32 v5, v1, s8, v4
.LBB204_2708:
	s_or_b64 exec, exec, s[10:11]
.LBB204_2709:
	s_or_b64 exec, exec, s[6:7]
	s_mov_b64 s[6:7], 0
	global_store_byte v[2:3], v5, off
.LBB204_2710:
	s_and_b64 vcc, exec, s[6:7]
	s_cbranch_vccz .LBB204_2720
; %bb.2711:
	v_cvt_f32_f16_e32 v1, v0
	s_mov_b32 s6, 0x43f00000
                                        ; implicit-def: $vgpr4
	v_and_b32_e32 v5, 0x7fffffff, v1
	v_cmp_gt_u32_e32 vcc, s6, v5
	s_and_saveexec_b64 s[6:7], vcc
	s_xor_b64 s[6:7], exec, s[6:7]
	s_cbranch_execz .LBB204_2717
; %bb.2712:
	s_mov_b32 s8, 0x3c7fffff
	v_cmp_lt_u32_e32 vcc, s8, v5
                                        ; implicit-def: $vgpr4
	s_and_saveexec_b64 s[8:9], vcc
	s_xor_b64 s[8:9], exec, s[8:9]
; %bb.2713:
	v_bfe_u32 v4, v1, 20, 1
	s_mov_b32 s10, 0x407ffff
	v_add3_u32 v4, v1, v4, s10
	v_lshrrev_b32_e32 v5, 20, v4
	v_and_b32_e32 v4, 0xff00000, v4
	s_mov_b32 s10, 0x7f00000
	v_mov_b32_e32 v6, 0x7e
	v_cmp_ne_u32_e32 vcc, s10, v4
	v_cndmask_b32_e32 v4, v6, v5, vcc
; %bb.2714:
	s_andn2_saveexec_b64 s[8:9], s[8:9]
; %bb.2715:
	s_mov_b32 s10, 0x46800000
	v_add_f32_e64 v4, |v1|, s10
; %bb.2716:
	s_or_b64 exec, exec, s[8:9]
                                        ; implicit-def: $vgpr5
.LBB204_2717:
	s_andn2_saveexec_b64 s[6:7], s[6:7]
; %bb.2718:
	s_mov_b32 s8, 0x7f800000
	v_mov_b32_e32 v4, 0x7e
	v_mov_b32_e32 v6, 0x7f
	v_cmp_lt_u32_e32 vcc, s8, v5
	v_cndmask_b32_e32 v4, v4, v6, vcc
; %bb.2719:
	s_or_b64 exec, exec, s[6:7]
	v_lshrrev_b32_e32 v1, 24, v1
	s_movk_i32 s6, 0x80
	v_and_or_b32 v1, v1, s6, v4
	global_store_byte v[2:3], v1, off
.LBB204_2720:
	s_mov_b64 s[6:7], 0
.LBB204_2721:
	s_andn2_b64 vcc, exec, s[6:7]
	s_cbranch_vccnz .LBB204_2731
; %bb.2722:
	v_cvt_f32_f16_e32 v1, v0
	s_mov_b32 s6, 0x47800000
                                        ; implicit-def: $vgpr4
	v_and_b32_e32 v5, 0x7fffffff, v1
	v_cmp_gt_u32_e32 vcc, s6, v5
	s_and_saveexec_b64 s[6:7], vcc
	s_xor_b64 s[6:7], exec, s[6:7]
	s_cbranch_execz .LBB204_2728
; %bb.2723:
	s_mov_b32 s8, 0x387fffff
	v_cmp_lt_u32_e32 vcc, s8, v5
                                        ; implicit-def: $vgpr4
	s_and_saveexec_b64 s[8:9], vcc
	s_xor_b64 s[8:9], exec, s[8:9]
; %bb.2724:
	v_bfe_u32 v4, v1, 21, 1
	s_mov_b32 s10, 0x80fffff
	v_add3_u32 v4, v1, v4, s10
	v_lshrrev_b32_e32 v4, 21, v4
; %bb.2725:
	s_andn2_saveexec_b64 s[8:9], s[8:9]
; %bb.2726:
	s_mov_b32 s10, 0x43000000
	v_add_f32_e64 v4, |v1|, s10
; %bb.2727:
	s_or_b64 exec, exec, s[8:9]
                                        ; implicit-def: $vgpr5
.LBB204_2728:
	s_andn2_saveexec_b64 s[6:7], s[6:7]
; %bb.2729:
	s_mov_b32 s8, 0x7f800000
	v_mov_b32_e32 v4, 0x7c
	v_mov_b32_e32 v6, 0x7f
	v_cmp_lt_u32_e32 vcc, s8, v5
	v_cndmask_b32_e32 v4, v4, v6, vcc
; %bb.2730:
	s_or_b64 exec, exec, s[6:7]
	v_lshrrev_b32_e32 v1, 24, v1
	s_movk_i32 s6, 0x80
	v_and_or_b32 v1, v1, s6, v4
	global_store_byte v[2:3], v1, off
.LBB204_2731:
	s_mov_b64 s[6:7], 0
	s_mov_b64 s[8:9], -1
.LBB204_2732:
	s_andn2_b64 vcc, exec, s[6:7]
	s_mov_b64 s[6:7], 0
	s_cbranch_vccnz .LBB204_2739
; %bb.2733:
	v_mov_b32_e32 v1, 14
	v_cmp_gt_i16_sdwa s[6:7], s22, v1 src0_sel:BYTE_0 src1_sel:DWORD
	s_mov_b64 s[10:11], -1
	s_and_b64 vcc, exec, s[6:7]
	s_cbranch_vccz .LBB204_2737
; %bb.2734:
	v_mov_b32_e32 v1, 15
	v_cmp_eq_u16_sdwa s[6:7], s22, v1 src0_sel:BYTE_0 src1_sel:DWORD
	s_mov_b64 s[4:5], -1
	s_and_b64 vcc, exec, s[6:7]
	s_cbranch_vccz .LBB204_2736
; %bb.2735:
	v_cvt_f32_f16_e32 v1, v0
	s_movk_i32 s4, 0x7fff
	v_mov_b32_e32 v4, 0x7fc0
	v_cmp_o_f16_e32 vcc, v0, v0
	v_bfe_u32 v5, v1, 16, 1
	v_add3_u32 v1, v1, v5, s4
	v_lshrrev_b32_e32 v1, 16, v1
	v_cndmask_b32_e32 v1, v4, v1, vcc
	global_store_short v[2:3], v1, off
	s_mov_b64 s[4:5], 0
	s_mov_b64 s[8:9], -1
.LBB204_2736:
	s_mov_b64 s[10:11], 0
.LBB204_2737:
	s_mov_b64 s[6:7], 0
	s_and_b64 vcc, exec, s[10:11]
	s_cbranch_vccz .LBB204_2739
; %bb.2738:
	v_mov_b32_e32 v1, 11
	v_cmp_ne_u16_sdwa s[4:5], s22, v1 src0_sel:BYTE_0 src1_sel:DWORD
	s_mov_b64 s[6:7], -1
.LBB204_2739:
	s_and_b64 vcc, exec, s[4:5]
	s_cbranch_vccnz .LBB204_2795
; %bb.2740:
	s_andn2_b64 vcc, exec, s[6:7]
	s_cbranch_vccnz .LBB204_2742
.LBB204_2741:
	v_and_b32_e32 v1, 0x7fff, v0
	v_cmp_ne_u16_e32 vcc, 0, v1
	v_cndmask_b32_e64 v1, 0, 1, vcc
	s_mov_b64 s[8:9], -1
	global_store_byte v[2:3], v1, off
.LBB204_2742:
	s_mov_b64 s[4:5], 0
.LBB204_2743:
	s_and_b64 vcc, exec, s[4:5]
	s_cbranch_vccz .LBB204_2782
; %bb.2744:
	v_mov_b32_e32 v1, 5
	v_cmp_lt_i16_sdwa s[6:7], s22, v1 src0_sel:BYTE_0 src1_sel:DWORD
	s_mov_b64 s[4:5], -1
	s_and_b64 vcc, exec, s[6:7]
	s_cbranch_vccnz .LBB204_2765
; %bb.2745:
	v_mov_b32_e32 v1, 8
	v_cmp_lt_i16_sdwa s[6:7], s22, v1 src0_sel:BYTE_0 src1_sel:DWORD
	s_and_b64 vcc, exec, s[6:7]
	s_cbranch_vccnz .LBB204_2755
; %bb.2746:
	v_mov_b32_e32 v1, 9
	v_cmp_lt_i16_sdwa s[6:7], s22, v1 src0_sel:BYTE_0 src1_sel:DWORD
	s_and_b64 vcc, exec, s[6:7]
	s_cbranch_vccnz .LBB204_2752
; %bb.2747:
	v_cmp_gt_i16_sdwa s[6:7], s22, v1 src0_sel:BYTE_0 src1_sel:DWORD
	s_and_b64 vcc, exec, s[6:7]
	s_cbranch_vccz .LBB204_2749
; %bb.2748:
	v_cvt_f32_f16_e32 v1, v0
	v_mov_b32_e32 v6, 0
	v_mov_b32_e32 v7, v6
	s_mov_b64 s[4:5], 0
	v_cvt_f64_f32_e32 v[4:5], v1
	global_store_dwordx4 v[2:3], v[4:7], off
.LBB204_2749:
	s_andn2_b64 vcc, exec, s[4:5]
	s_cbranch_vccnz .LBB204_2751
; %bb.2750:
	v_cvt_f32_f16_e32 v4, v0
	v_mov_b32_e32 v5, 0
	global_store_dwordx2 v[2:3], v[4:5], off
.LBB204_2751:
	s_mov_b64 s[4:5], 0
.LBB204_2752:
	s_andn2_b64 vcc, exec, s[4:5]
	s_cbranch_vccnz .LBB204_2754
; %bb.2753:
	v_and_b32_e32 v1, 0xffff, v0
	global_store_dword v[2:3], v1, off
.LBB204_2754:
	s_mov_b64 s[4:5], 0
.LBB204_2755:
	s_andn2_b64 vcc, exec, s[4:5]
	s_cbranch_vccnz .LBB204_2764
; %bb.2756:
	v_mov_b32_e32 v1, 6
	v_cmp_lt_i16_sdwa s[6:7], s22, v1 src0_sel:BYTE_0 src1_sel:DWORD
	s_mov_b64 s[4:5], -1
	s_and_b64 vcc, exec, s[6:7]
	s_cbranch_vccnz .LBB204_2762
; %bb.2757:
	v_cmp_gt_i16_sdwa s[6:7], s22, v1 src0_sel:BYTE_0 src1_sel:DWORD
	s_and_b64 vcc, exec, s[6:7]
	s_cbranch_vccz .LBB204_2759
; %bb.2758:
	v_cvt_f32_f16_e32 v1, v0
	s_mov_b64 s[4:5], 0
	v_cvt_f64_f32_e32 v[4:5], v1
	global_store_dwordx2 v[2:3], v[4:5], off
.LBB204_2759:
	s_andn2_b64 vcc, exec, s[4:5]
	s_cbranch_vccnz .LBB204_2761
; %bb.2760:
	v_cvt_f32_f16_e32 v1, v0
	global_store_dword v[2:3], v1, off
.LBB204_2761:
	s_mov_b64 s[4:5], 0
.LBB204_2762:
	s_andn2_b64 vcc, exec, s[4:5]
	s_cbranch_vccnz .LBB204_2764
; %bb.2763:
	global_store_short v[2:3], v0, off
.LBB204_2764:
	s_mov_b64 s[4:5], 0
.LBB204_2765:
	s_andn2_b64 vcc, exec, s[4:5]
	s_cbranch_vccnz .LBB204_2781
; %bb.2766:
	v_mov_b32_e32 v1, 2
	v_cmp_lt_i16_sdwa s[6:7], s22, v1 src0_sel:BYTE_0 src1_sel:DWORD
	s_mov_b64 s[4:5], -1
	s_and_b64 vcc, exec, s[6:7]
	s_cbranch_vccnz .LBB204_2776
; %bb.2767:
	v_mov_b32_e32 v1, 3
	v_cmp_lt_i16_sdwa s[6:7], s22, v1 src0_sel:BYTE_0 src1_sel:DWORD
	s_and_b64 vcc, exec, s[6:7]
	s_cbranch_vccnz .LBB204_2773
; %bb.2768:
	v_cmp_gt_i16_sdwa s[6:7], s22, v1 src0_sel:BYTE_0 src1_sel:DWORD
	s_and_b64 vcc, exec, s[6:7]
	s_cbranch_vccz .LBB204_2770
; %bb.2769:
	v_cvt_f32_f16_e32 v1, v0
	s_mov_b64 s[4:5], 0
	v_cvt_i32_f32_e32 v4, v1
	v_ashrrev_i32_e32 v5, 31, v4
	global_store_dwordx2 v[2:3], v[4:5], off
.LBB204_2770:
	s_andn2_b64 vcc, exec, s[4:5]
	s_cbranch_vccnz .LBB204_2772
; %bb.2771:
	v_cvt_f32_f16_e32 v1, v0
	v_cvt_i32_f32_e32 v1, v1
	global_store_dword v[2:3], v1, off
.LBB204_2772:
	s_mov_b64 s[4:5], 0
.LBB204_2773:
	s_andn2_b64 vcc, exec, s[4:5]
	s_cbranch_vccnz .LBB204_2775
; %bb.2774:
	v_cvt_i16_f16_e32 v1, v0
	global_store_short v[2:3], v1, off
.LBB204_2775:
	s_mov_b64 s[4:5], 0
.LBB204_2776:
	s_andn2_b64 vcc, exec, s[4:5]
	s_cbranch_vccnz .LBB204_2781
; %bb.2777:
	v_mov_b32_e32 v1, 0
	v_cmp_gt_i16_sdwa s[6:7], s22, v1 src0_sel:BYTE_0 src1_sel:DWORD
	s_mov_b64 s[4:5], -1
	s_and_b64 vcc, exec, s[6:7]
	s_cbranch_vccz .LBB204_2779
; %bb.2778:
	v_cvt_i16_f16_e32 v1, v0
	global_store_byte v[2:3], v1, off
	s_mov_b64 s[4:5], 0
.LBB204_2779:
	s_andn2_b64 vcc, exec, s[4:5]
	s_cbranch_vccnz .LBB204_2781
; %bb.2780:
	v_cvt_f32_f16_e32 v0, v0
	v_cvt_i32_f32_e32 v0, v0
	global_store_byte v[2:3], v0, off
.LBB204_2781:
	s_mov_b64 s[8:9], -1
.LBB204_2782:
	s_andn2_b64 vcc, exec, s[8:9]
	s_cbranch_vccnz .LBB204_3113
; %bb.2783:
	v_mov_b32_e32 v0, v30
	v_mov_b32_e32 v1, v31
	s_getpc_b64 s[4:5]
	s_add_u32 s4, s4, _ZZZZN2at6native33launch_standard_gamma_grad_kernelERNS_18TensorIteratorBaseEENKUlvE_clEvENKUlvE1_clEvENKUlN3c104HalfES6_E_clES6_S6_@rel32@lo+4
	s_addc_u32 s5, s5, _ZZZZN2at6native33launch_standard_gamma_grad_kernelERNS_18TensorIteratorBaseEENKUlvE_clEvENKUlvE1_clEvENKUlN3c104HalfES6_E_clES6_S6_@rel32@hi+12
	s_swappc_b64 s[30:31], s[4:5]
	v_mov_b32_e32 v1, s25
	v_add_co_u32_e32 v2, vcc, s24, v40
	v_addc_co_u32_e32 v3, vcc, 0, v1, vcc
	v_mov_b32_e32 v1, 11
	v_cmp_lt_i16_sdwa s[4:5], s22, v1 src0_sel:BYTE_0 src1_sel:DWORD
	s_and_b64 vcc, exec, s[4:5]
	s_cbranch_vccnz .LBB204_2790
; %bb.2784:
	v_mov_b32_e32 v1, 25
	v_cmp_gt_i16_sdwa s[4:5], s22, v1 src0_sel:BYTE_0 src1_sel:DWORD
	s_mov_b64 s[10:11], -1
	s_mov_b64 s[6:7], 0
	s_and_b64 vcc, exec, s[4:5]
	s_mov_b64 s[8:9], 0
	s_mov_b64 s[4:5], 0
	s_cbranch_vccz .LBB204_2826
; %bb.2785:
	v_mov_b32_e32 v1, 28
	v_cmp_gt_i16_sdwa s[4:5], s22, v1 src0_sel:BYTE_0 src1_sel:DWORD
	s_and_b64 vcc, exec, s[4:5]
	s_cbranch_vccz .LBB204_2791
; %bb.2786:
	v_mov_b32_e32 v1, 43
	v_cmp_gt_i16_sdwa s[4:5], s22, v1 src0_sel:BYTE_0 src1_sel:DWORD
	s_and_b64 vcc, exec, s[4:5]
	;; [unrolled: 5-line block ×3, first 2 shown]
	s_cbranch_vccz .LBB204_2798
; %bb.2788:
	v_mov_b32_e32 v1, 46
	v_cmp_eq_u16_sdwa s[8:9], s22, v1 src0_sel:BYTE_0 src1_sel:DWORD
	s_mov_b64 s[4:5], -1
	s_mov_b64 s[10:11], 0
	s_and_b64 vcc, exec, s[8:9]
	s_mov_b64 s[8:9], 0
	s_cbranch_vccz .LBB204_2799
; %bb.2789:
	v_cvt_f32_f16_e32 v1, v0
	s_movk_i32 s4, 0x7fff
	v_mov_b32_e32 v4, 0x7fc0
	v_cmp_o_f16_e32 vcc, v0, v0
	v_bfe_u32 v5, v1, 16, 1
	v_add3_u32 v1, v1, v5, s4
	v_lshrrev_b32_e32 v1, 16, v1
	v_cndmask_b32_e32 v1, v4, v1, vcc
	global_store_dword v[2:3], v1, off
	s_mov_b64 s[4:5], 0
	s_mov_b64 s[8:9], -1
	s_branch .LBB204_2799
.LBB204_2790:
	s_mov_b64 s[4:5], -1
	s_mov_b64 s[8:9], 0
	s_branch .LBB204_2870
.LBB204_2791:
	s_mov_b64 s[4:5], 0
	s_branch .LBB204_2809
.LBB204_2792:
	s_or_saveexec_b64 s[12:13], s[12:13]
                                        ; implicit-def: $sgpr14
	s_xor_b64 exec, exec, s[12:13]
	s_cbranch_execz .LBB204_2693
.LBB204_2793:
	s_mov_b32 s14, 0x46000000
	v_add_f32_e64 v4, |v1|, s14
	v_and_b32_e32 v4, 0xff, v4
	v_cmp_ne_u32_e32 vcc, 0, v4
	s_andn2_b64 s[10:11], s[10:11], exec
	s_and_b64 s[16:17], vcc, exec
	s_mov_b32 s14, 0
	s_or_b64 s[10:11], s[10:11], s[16:17]
	s_or_b64 exec, exec, s[12:13]
	v_mov_b32_e32 v5, s14
	s_and_saveexec_b64 s[12:13], s[10:11]
	s_cbranch_execnz .LBB204_2694
	s_branch .LBB204_2695
.LBB204_2794:
	s_mov_b64 s[4:5], 0
	s_branch .LBB204_2805
.LBB204_2795:
	s_trap 2
	s_or_b64 s[34:35], s[34:35], exec
	s_cbranch_execz .LBB204_2741
	s_branch .LBB204_2742
.LBB204_2796:
	s_or_saveexec_b64 s[10:11], s[10:11]
                                        ; implicit-def: $sgpr12
	s_xor_b64 exec, exec, s[10:11]
	s_cbranch_execz .LBB204_2706
.LBB204_2797:
	s_mov_b32 s12, 0x42800000
	v_add_f32_e64 v4, |v1|, s12
	v_and_b32_e32 v4, 0xff, v4
	v_cmp_ne_u32_e32 vcc, 0, v4
	s_andn2_b64 s[8:9], s[8:9], exec
	s_and_b64 s[14:15], vcc, exec
	s_mov_b32 s12, 0
	s_or_b64 s[8:9], s[8:9], s[14:15]
	s_or_b64 exec, exec, s[10:11]
	v_mov_b32_e32 v5, s12
	s_and_saveexec_b64 s[10:11], s[8:9]
	s_cbranch_execnz .LBB204_2707
	s_branch .LBB204_2708
.LBB204_2798:
	s_mov_b64 s[4:5], 0
.LBB204_2799:
	s_and_b64 vcc, exec, s[10:11]
	s_cbranch_vccz .LBB204_2804
; %bb.2800:
	v_mov_b32_e32 v1, 44
	v_cmp_eq_u16_sdwa s[10:11], s22, v1 src0_sel:BYTE_0 src1_sel:DWORD
	s_mov_b64 s[4:5], -1
	s_and_b64 vcc, exec, s[10:11]
	s_cbranch_vccz .LBB204_2804
; %bb.2801:
	v_cvt_f32_f16_e32 v1, v0
	s_movk_i32 s4, 0xff
	v_mov_b32_e32 v5, 0xff
	v_bfe_u32 v4, v1, 23, 8
	v_cmp_ne_u32_e32 vcc, s4, v4
	s_and_saveexec_b64 s[8:9], vcc
; %bb.2802:
	s_mov_b32 s4, 0x3fffff
	v_lshrrev_b32_e32 v5, 23, v1
	v_and_b32_e32 v6, 0x400000, v1
	v_and_or_b32 v1, v1, s4, v4
	v_cmp_ne_u32_e32 vcc, 0, v6
	v_cmp_ne_u32_e64 s[4:5], 0, v1
	s_and_b64 s[4:5], vcc, s[4:5]
	v_cndmask_b32_e64 v1, 0, 1, s[4:5]
	v_add_u32_e32 v5, v5, v1
; %bb.2803:
	s_or_b64 exec, exec, s[8:9]
	s_mov_b64 s[4:5], 0
	s_mov_b64 s[8:9], -1
	global_store_byte v[2:3], v5, off
.LBB204_2804:
	s_mov_b64 s[10:11], 0
.LBB204_2805:
	s_and_b64 vcc, exec, s[10:11]
	s_cbranch_vccz .LBB204_2808
; %bb.2806:
	v_mov_b32_e32 v1, 29
	v_cmp_eq_u16_sdwa s[10:11], s22, v1 src0_sel:BYTE_0 src1_sel:DWORD
	s_mov_b64 s[4:5], -1
	s_and_b64 vcc, exec, s[10:11]
	s_cbranch_vccz .LBB204_2808
; %bb.2807:
	v_cvt_f32_f16_e32 v1, v0
	v_mov_b32_e32 v5, 0
	s_mov_b64 s[4:5], 0
	s_mov_b64 s[8:9], -1
	v_cvt_u32_f32_e32 v4, v1
	s_mov_b64 s[10:11], 0
	global_store_dwordx2 v[2:3], v[4:5], off
	s_branch .LBB204_2809
.LBB204_2808:
	s_mov_b64 s[10:11], 0
.LBB204_2809:
	s_and_b64 vcc, exec, s[10:11]
	s_cbranch_vccz .LBB204_2825
; %bb.2810:
	v_mov_b32_e32 v1, 27
	v_cmp_lt_i16_sdwa s[10:11], s22, v1 src0_sel:BYTE_0 src1_sel:DWORD
	s_mov_b64 s[8:9], -1
	s_and_b64 vcc, exec, s[10:11]
	s_cbranch_vccnz .LBB204_2816
; %bb.2811:
	v_cmp_gt_i16_sdwa s[10:11], s22, v1 src0_sel:BYTE_0 src1_sel:DWORD
	s_and_b64 vcc, exec, s[10:11]
	s_cbranch_vccz .LBB204_2813
; %bb.2812:
	v_cvt_f32_f16_e32 v1, v0
	s_mov_b64 s[8:9], 0
	v_cvt_u32_f32_e32 v1, v1
	global_store_dword v[2:3], v1, off
.LBB204_2813:
	s_andn2_b64 vcc, exec, s[8:9]
	s_cbranch_vccnz .LBB204_2815
; %bb.2814:
	v_cvt_u16_f16_e32 v1, v0
	global_store_short v[2:3], v1, off
.LBB204_2815:
	s_mov_b64 s[8:9], 0
.LBB204_2816:
	s_andn2_b64 vcc, exec, s[8:9]
	s_cbranch_vccnz .LBB204_2824
; %bb.2817:
	v_cvt_f32_f16_e32 v1, v0
	s_mov_b32 s8, 0x43800000
	v_mov_b32_e32 v5, 0x80
	v_and_b32_e32 v4, 0x7fffffff, v1
	v_cmp_gt_u32_e32 vcc, s8, v4
	s_and_saveexec_b64 s[8:9], vcc
	s_cbranch_execz .LBB204_2823
; %bb.2818:
	s_mov_b32 s10, 0x3bffffff
	v_cmp_lt_u32_e32 vcc, s10, v4
	s_mov_b64 s[10:11], 0
                                        ; implicit-def: $vgpr4
	s_and_saveexec_b64 s[12:13], vcc
	s_xor_b64 s[12:13], exec, s[12:13]
	s_cbranch_execz .LBB204_2919
; %bb.2819:
	v_bfe_u32 v4, v1, 20, 1
	s_mov_b32 s14, 0x487ffff
	v_add3_u32 v4, v1, v4, s14
	s_mov_b64 s[10:11], exec
	v_lshrrev_b32_e32 v4, 20, v4
	s_or_saveexec_b64 s[12:13], s[12:13]
                                        ; implicit-def: $sgpr14
	s_xor_b64 exec, exec, s[12:13]
	s_cbranch_execnz .LBB204_2920
.LBB204_2820:
	s_or_b64 exec, exec, s[12:13]
	v_mov_b32_e32 v5, s14
	s_and_saveexec_b64 s[12:13], s[10:11]
.LBB204_2821:
	v_lshrrev_b32_e32 v1, 24, v1
	s_movk_i32 s10, 0x80
	v_and_or_b32 v5, v1, s10, v4
.LBB204_2822:
	s_or_b64 exec, exec, s[12:13]
.LBB204_2823:
	s_or_b64 exec, exec, s[8:9]
	global_store_byte v[2:3], v5, off
.LBB204_2824:
	s_mov_b64 s[8:9], -1
.LBB204_2825:
	s_mov_b64 s[10:11], 0
.LBB204_2826:
	s_and_b64 vcc, exec, s[10:11]
	s_cbranch_vccz .LBB204_2866
; %bb.2827:
	v_mov_b32_e32 v1, 22
	v_cmp_gt_i16_sdwa s[10:11], s22, v1 src0_sel:BYTE_0 src1_sel:DWORD
	s_mov_b64 s[6:7], -1
	s_and_b64 vcc, exec, s[10:11]
	s_cbranch_vccz .LBB204_2859
; %bb.2828:
	v_mov_b32_e32 v1, 24
	v_cmp_lt_i16_sdwa s[8:9], s22, v1 src0_sel:BYTE_0 src1_sel:DWORD
	s_and_b64 vcc, exec, s[8:9]
	s_cbranch_vccnz .LBB204_2848
; %bb.2829:
	v_cmp_gt_i16_sdwa s[8:9], s22, v1 src0_sel:BYTE_0 src1_sel:DWORD
	s_and_b64 vcc, exec, s[8:9]
	s_cbranch_vccz .LBB204_2837
; %bb.2830:
	v_cvt_f32_f16_e32 v1, v0
	s_mov_b32 s6, 0x47800000
	v_mov_b32_e32 v5, 0x80
	v_and_b32_e32 v4, 0x7fffffff, v1
	v_cmp_gt_u32_e32 vcc, s6, v4
	s_and_saveexec_b64 s[6:7], vcc
	s_cbranch_execz .LBB204_2836
; %bb.2831:
	s_mov_b32 s8, 0x37ffffff
	v_cmp_lt_u32_e32 vcc, s8, v4
	s_mov_b64 s[8:9], 0
                                        ; implicit-def: $vgpr4
	s_and_saveexec_b64 s[10:11], vcc
	s_xor_b64 s[10:11], exec, s[10:11]
	s_cbranch_execz .LBB204_2923
; %bb.2832:
	v_bfe_u32 v4, v1, 21, 1
	s_mov_b32 s12, 0x88fffff
	v_add3_u32 v4, v1, v4, s12
	s_mov_b64 s[8:9], exec
	v_lshrrev_b32_e32 v4, 21, v4
	s_or_saveexec_b64 s[10:11], s[10:11]
                                        ; implicit-def: $sgpr12
	s_xor_b64 exec, exec, s[10:11]
	s_cbranch_execnz .LBB204_2924
.LBB204_2833:
	s_or_b64 exec, exec, s[10:11]
	v_mov_b32_e32 v5, s12
	s_and_saveexec_b64 s[10:11], s[8:9]
.LBB204_2834:
	v_lshrrev_b32_e32 v1, 24, v1
	s_movk_i32 s8, 0x80
	v_and_or_b32 v5, v1, s8, v4
.LBB204_2835:
	s_or_b64 exec, exec, s[10:11]
.LBB204_2836:
	s_or_b64 exec, exec, s[6:7]
	s_mov_b64 s[6:7], 0
	global_store_byte v[2:3], v5, off
.LBB204_2837:
	s_and_b64 vcc, exec, s[6:7]
	s_cbranch_vccz .LBB204_2847
; %bb.2838:
	v_cvt_f32_f16_e32 v1, v0
	s_mov_b32 s6, 0x43f00000
                                        ; implicit-def: $vgpr4
	v_and_b32_e32 v5, 0x7fffffff, v1
	v_cmp_gt_u32_e32 vcc, s6, v5
	s_and_saveexec_b64 s[6:7], vcc
	s_xor_b64 s[6:7], exec, s[6:7]
	s_cbranch_execz .LBB204_2844
; %bb.2839:
	s_mov_b32 s8, 0x3c7fffff
	v_cmp_lt_u32_e32 vcc, s8, v5
                                        ; implicit-def: $vgpr4
	s_and_saveexec_b64 s[8:9], vcc
	s_xor_b64 s[8:9], exec, s[8:9]
; %bb.2840:
	v_bfe_u32 v4, v1, 20, 1
	s_mov_b32 s10, 0x407ffff
	v_add3_u32 v4, v1, v4, s10
	v_lshrrev_b32_e32 v5, 20, v4
	v_and_b32_e32 v4, 0xff00000, v4
	s_mov_b32 s10, 0x7f00000
	v_mov_b32_e32 v6, 0x7e
	v_cmp_ne_u32_e32 vcc, s10, v4
	v_cndmask_b32_e32 v4, v6, v5, vcc
; %bb.2841:
	s_andn2_saveexec_b64 s[8:9], s[8:9]
; %bb.2842:
	s_mov_b32 s10, 0x46800000
	v_add_f32_e64 v4, |v1|, s10
; %bb.2843:
	s_or_b64 exec, exec, s[8:9]
                                        ; implicit-def: $vgpr5
.LBB204_2844:
	s_andn2_saveexec_b64 s[6:7], s[6:7]
; %bb.2845:
	s_mov_b32 s8, 0x7f800000
	v_mov_b32_e32 v4, 0x7e
	v_mov_b32_e32 v6, 0x7f
	v_cmp_lt_u32_e32 vcc, s8, v5
	v_cndmask_b32_e32 v4, v4, v6, vcc
; %bb.2846:
	s_or_b64 exec, exec, s[6:7]
	v_lshrrev_b32_e32 v1, 24, v1
	s_movk_i32 s6, 0x80
	v_and_or_b32 v1, v1, s6, v4
	global_store_byte v[2:3], v1, off
.LBB204_2847:
	s_mov_b64 s[6:7], 0
.LBB204_2848:
	s_andn2_b64 vcc, exec, s[6:7]
	s_cbranch_vccnz .LBB204_2858
; %bb.2849:
	v_cvt_f32_f16_e32 v1, v0
	s_mov_b32 s6, 0x47800000
                                        ; implicit-def: $vgpr4
	v_and_b32_e32 v5, 0x7fffffff, v1
	v_cmp_gt_u32_e32 vcc, s6, v5
	s_and_saveexec_b64 s[6:7], vcc
	s_xor_b64 s[6:7], exec, s[6:7]
	s_cbranch_execz .LBB204_2855
; %bb.2850:
	s_mov_b32 s8, 0x387fffff
	v_cmp_lt_u32_e32 vcc, s8, v5
                                        ; implicit-def: $vgpr4
	s_and_saveexec_b64 s[8:9], vcc
	s_xor_b64 s[8:9], exec, s[8:9]
; %bb.2851:
	v_bfe_u32 v4, v1, 21, 1
	s_mov_b32 s10, 0x80fffff
	v_add3_u32 v4, v1, v4, s10
	v_lshrrev_b32_e32 v4, 21, v4
; %bb.2852:
	s_andn2_saveexec_b64 s[8:9], s[8:9]
; %bb.2853:
	s_mov_b32 s10, 0x43000000
	v_add_f32_e64 v4, |v1|, s10
; %bb.2854:
	s_or_b64 exec, exec, s[8:9]
                                        ; implicit-def: $vgpr5
.LBB204_2855:
	s_andn2_saveexec_b64 s[6:7], s[6:7]
; %bb.2856:
	s_mov_b32 s8, 0x7f800000
	v_mov_b32_e32 v4, 0x7c
	v_mov_b32_e32 v6, 0x7f
	v_cmp_lt_u32_e32 vcc, s8, v5
	v_cndmask_b32_e32 v4, v4, v6, vcc
; %bb.2857:
	s_or_b64 exec, exec, s[6:7]
	v_lshrrev_b32_e32 v1, 24, v1
	s_movk_i32 s6, 0x80
	v_and_or_b32 v1, v1, s6, v4
	global_store_byte v[2:3], v1, off
.LBB204_2858:
	s_mov_b64 s[6:7], 0
	s_mov_b64 s[8:9], -1
.LBB204_2859:
	s_andn2_b64 vcc, exec, s[6:7]
	s_mov_b64 s[6:7], 0
	s_cbranch_vccnz .LBB204_2866
; %bb.2860:
	v_mov_b32_e32 v1, 14
	v_cmp_gt_i16_sdwa s[6:7], s22, v1 src0_sel:BYTE_0 src1_sel:DWORD
	s_mov_b64 s[10:11], -1
	s_and_b64 vcc, exec, s[6:7]
	s_cbranch_vccz .LBB204_2864
; %bb.2861:
	v_mov_b32_e32 v1, 15
	v_cmp_eq_u16_sdwa s[6:7], s22, v1 src0_sel:BYTE_0 src1_sel:DWORD
	s_mov_b64 s[4:5], -1
	s_and_b64 vcc, exec, s[6:7]
	s_cbranch_vccz .LBB204_2863
; %bb.2862:
	v_cvt_f32_f16_e32 v1, v0
	s_movk_i32 s4, 0x7fff
	v_mov_b32_e32 v4, 0x7fc0
	v_cmp_o_f16_e32 vcc, v0, v0
	v_bfe_u32 v5, v1, 16, 1
	v_add3_u32 v1, v1, v5, s4
	v_lshrrev_b32_e32 v1, 16, v1
	v_cndmask_b32_e32 v1, v4, v1, vcc
	global_store_short v[2:3], v1, off
	s_mov_b64 s[4:5], 0
	s_mov_b64 s[8:9], -1
.LBB204_2863:
	s_mov_b64 s[10:11], 0
.LBB204_2864:
	s_mov_b64 s[6:7], 0
	s_and_b64 vcc, exec, s[10:11]
	s_cbranch_vccz .LBB204_2866
; %bb.2865:
	v_mov_b32_e32 v1, 11
	v_cmp_ne_u16_sdwa s[4:5], s22, v1 src0_sel:BYTE_0 src1_sel:DWORD
	s_mov_b64 s[6:7], -1
.LBB204_2866:
	s_and_b64 vcc, exec, s[4:5]
	s_cbranch_vccnz .LBB204_2922
; %bb.2867:
	s_andn2_b64 vcc, exec, s[6:7]
	s_cbranch_vccnz .LBB204_2869
.LBB204_2868:
	v_and_b32_e32 v1, 0x7fff, v0
	v_cmp_ne_u16_e32 vcc, 0, v1
	v_cndmask_b32_e64 v1, 0, 1, vcc
	s_mov_b64 s[8:9], -1
	global_store_byte v[2:3], v1, off
.LBB204_2869:
	s_mov_b64 s[4:5], 0
.LBB204_2870:
	s_and_b64 vcc, exec, s[4:5]
	s_cbranch_vccz .LBB204_2909
; %bb.2871:
	v_mov_b32_e32 v1, 5
	v_cmp_lt_i16_sdwa s[6:7], s22, v1 src0_sel:BYTE_0 src1_sel:DWORD
	s_mov_b64 s[4:5], -1
	s_and_b64 vcc, exec, s[6:7]
	s_cbranch_vccnz .LBB204_2892
; %bb.2872:
	v_mov_b32_e32 v1, 8
	v_cmp_lt_i16_sdwa s[6:7], s22, v1 src0_sel:BYTE_0 src1_sel:DWORD
	s_and_b64 vcc, exec, s[6:7]
	s_cbranch_vccnz .LBB204_2882
; %bb.2873:
	v_mov_b32_e32 v1, 9
	v_cmp_lt_i16_sdwa s[6:7], s22, v1 src0_sel:BYTE_0 src1_sel:DWORD
	s_and_b64 vcc, exec, s[6:7]
	s_cbranch_vccnz .LBB204_2879
; %bb.2874:
	v_cmp_gt_i16_sdwa s[6:7], s22, v1 src0_sel:BYTE_0 src1_sel:DWORD
	s_and_b64 vcc, exec, s[6:7]
	s_cbranch_vccz .LBB204_2876
; %bb.2875:
	v_cvt_f32_f16_e32 v1, v0
	v_mov_b32_e32 v6, 0
	v_mov_b32_e32 v7, v6
	s_mov_b64 s[4:5], 0
	v_cvt_f64_f32_e32 v[4:5], v1
	global_store_dwordx4 v[2:3], v[4:7], off
.LBB204_2876:
	s_andn2_b64 vcc, exec, s[4:5]
	s_cbranch_vccnz .LBB204_2878
; %bb.2877:
	v_cvt_f32_f16_e32 v4, v0
	v_mov_b32_e32 v5, 0
	global_store_dwordx2 v[2:3], v[4:5], off
.LBB204_2878:
	s_mov_b64 s[4:5], 0
.LBB204_2879:
	s_andn2_b64 vcc, exec, s[4:5]
	s_cbranch_vccnz .LBB204_2881
; %bb.2880:
	v_and_b32_e32 v1, 0xffff, v0
	global_store_dword v[2:3], v1, off
.LBB204_2881:
	s_mov_b64 s[4:5], 0
.LBB204_2882:
	s_andn2_b64 vcc, exec, s[4:5]
	s_cbranch_vccnz .LBB204_2891
; %bb.2883:
	v_mov_b32_e32 v1, 6
	v_cmp_lt_i16_sdwa s[6:7], s22, v1 src0_sel:BYTE_0 src1_sel:DWORD
	s_mov_b64 s[4:5], -1
	s_and_b64 vcc, exec, s[6:7]
	s_cbranch_vccnz .LBB204_2889
; %bb.2884:
	v_cmp_gt_i16_sdwa s[6:7], s22, v1 src0_sel:BYTE_0 src1_sel:DWORD
	s_and_b64 vcc, exec, s[6:7]
	s_cbranch_vccz .LBB204_2886
; %bb.2885:
	v_cvt_f32_f16_e32 v1, v0
	s_mov_b64 s[4:5], 0
	v_cvt_f64_f32_e32 v[4:5], v1
	global_store_dwordx2 v[2:3], v[4:5], off
.LBB204_2886:
	s_andn2_b64 vcc, exec, s[4:5]
	s_cbranch_vccnz .LBB204_2888
; %bb.2887:
	v_cvt_f32_f16_e32 v1, v0
	global_store_dword v[2:3], v1, off
.LBB204_2888:
	s_mov_b64 s[4:5], 0
.LBB204_2889:
	s_andn2_b64 vcc, exec, s[4:5]
	s_cbranch_vccnz .LBB204_2891
; %bb.2890:
	global_store_short v[2:3], v0, off
.LBB204_2891:
	s_mov_b64 s[4:5], 0
.LBB204_2892:
	s_andn2_b64 vcc, exec, s[4:5]
	s_cbranch_vccnz .LBB204_2908
; %bb.2893:
	v_mov_b32_e32 v1, 2
	v_cmp_lt_i16_sdwa s[6:7], s22, v1 src0_sel:BYTE_0 src1_sel:DWORD
	s_mov_b64 s[4:5], -1
	s_and_b64 vcc, exec, s[6:7]
	s_cbranch_vccnz .LBB204_2903
; %bb.2894:
	v_mov_b32_e32 v1, 3
	v_cmp_lt_i16_sdwa s[6:7], s22, v1 src0_sel:BYTE_0 src1_sel:DWORD
	s_and_b64 vcc, exec, s[6:7]
	s_cbranch_vccnz .LBB204_2900
; %bb.2895:
	v_cmp_gt_i16_sdwa s[6:7], s22, v1 src0_sel:BYTE_0 src1_sel:DWORD
	s_and_b64 vcc, exec, s[6:7]
	s_cbranch_vccz .LBB204_2897
; %bb.2896:
	v_cvt_f32_f16_e32 v1, v0
	s_mov_b64 s[4:5], 0
	v_cvt_i32_f32_e32 v4, v1
	v_ashrrev_i32_e32 v5, 31, v4
	global_store_dwordx2 v[2:3], v[4:5], off
.LBB204_2897:
	s_andn2_b64 vcc, exec, s[4:5]
	s_cbranch_vccnz .LBB204_2899
; %bb.2898:
	v_cvt_f32_f16_e32 v1, v0
	v_cvt_i32_f32_e32 v1, v1
	global_store_dword v[2:3], v1, off
.LBB204_2899:
	s_mov_b64 s[4:5], 0
.LBB204_2900:
	s_andn2_b64 vcc, exec, s[4:5]
	s_cbranch_vccnz .LBB204_2902
; %bb.2901:
	v_cvt_i16_f16_e32 v1, v0
	global_store_short v[2:3], v1, off
.LBB204_2902:
	s_mov_b64 s[4:5], 0
.LBB204_2903:
	s_andn2_b64 vcc, exec, s[4:5]
	s_cbranch_vccnz .LBB204_2908
; %bb.2904:
	v_mov_b32_e32 v1, 0
	v_cmp_gt_i16_sdwa s[6:7], s22, v1 src0_sel:BYTE_0 src1_sel:DWORD
	s_mov_b64 s[4:5], -1
	s_and_b64 vcc, exec, s[6:7]
	s_cbranch_vccz .LBB204_2906
; %bb.2905:
	v_cvt_i16_f16_e32 v1, v0
	global_store_byte v[2:3], v1, off
	s_mov_b64 s[4:5], 0
.LBB204_2906:
	s_andn2_b64 vcc, exec, s[4:5]
	s_cbranch_vccnz .LBB204_2908
; %bb.2907:
	v_cvt_f32_f16_e32 v0, v0
	v_cvt_i32_f32_e32 v0, v0
	global_store_byte v[2:3], v0, off
.LBB204_2908:
	s_mov_b64 s[8:9], -1
.LBB204_2909:
	s_andn2_b64 vcc, exec, s[8:9]
	s_cbranch_vccnz .LBB204_3113
; %bb.2910:
	v_mov_b32_e32 v0, v32
	v_mov_b32_e32 v1, v33
	s_getpc_b64 s[4:5]
	s_add_u32 s4, s4, _ZZZZN2at6native33launch_standard_gamma_grad_kernelERNS_18TensorIteratorBaseEENKUlvE_clEvENKUlvE1_clEvENKUlN3c104HalfES6_E_clES6_S6_@rel32@lo+4
	s_addc_u32 s5, s5, _ZZZZN2at6native33launch_standard_gamma_grad_kernelERNS_18TensorIteratorBaseEENKUlvE_clEvENKUlvE1_clEvENKUlN3c104HalfES6_E_clES6_S6_@rel32@hi+12
	s_swappc_b64 s[30:31], s[4:5]
	v_mov_b32_e32 v1, s25
	v_add_co_u32_e32 v2, vcc, s24, v38
	v_addc_co_u32_e32 v3, vcc, 0, v1, vcc
	v_mov_b32_e32 v1, 11
	v_cmp_lt_i16_sdwa s[4:5], s22, v1 src0_sel:BYTE_0 src1_sel:DWORD
	s_and_b64 vcc, exec, s[4:5]
	s_cbranch_vccnz .LBB204_2917
; %bb.2911:
	v_mov_b32_e32 v1, 25
	v_cmp_gt_i16_sdwa s[4:5], s22, v1 src0_sel:BYTE_0 src1_sel:DWORD
	s_mov_b64 s[10:11], -1
	s_mov_b64 s[6:7], 0
	s_and_b64 vcc, exec, s[4:5]
	s_mov_b64 s[8:9], 0
	s_mov_b64 s[4:5], 0
	s_cbranch_vccz .LBB204_2953
; %bb.2912:
	v_mov_b32_e32 v1, 28
	v_cmp_gt_i16_sdwa s[4:5], s22, v1 src0_sel:BYTE_0 src1_sel:DWORD
	s_and_b64 vcc, exec, s[4:5]
	s_cbranch_vccz .LBB204_2918
; %bb.2913:
	v_mov_b32_e32 v1, 43
	v_cmp_gt_i16_sdwa s[4:5], s22, v1 src0_sel:BYTE_0 src1_sel:DWORD
	s_and_b64 vcc, exec, s[4:5]
	;; [unrolled: 5-line block ×3, first 2 shown]
	s_cbranch_vccz .LBB204_2925
; %bb.2915:
	v_mov_b32_e32 v1, 46
	v_cmp_eq_u16_sdwa s[8:9], s22, v1 src0_sel:BYTE_0 src1_sel:DWORD
	s_mov_b64 s[4:5], -1
	s_mov_b64 s[10:11], 0
	s_and_b64 vcc, exec, s[8:9]
	s_mov_b64 s[8:9], 0
	s_cbranch_vccz .LBB204_2926
; %bb.2916:
	v_cvt_f32_f16_e32 v1, v0
	s_movk_i32 s4, 0x7fff
	v_mov_b32_e32 v4, 0x7fc0
	v_cmp_o_f16_e32 vcc, v0, v0
	v_bfe_u32 v5, v1, 16, 1
	v_add3_u32 v1, v1, v5, s4
	v_lshrrev_b32_e32 v1, 16, v1
	v_cndmask_b32_e32 v1, v4, v1, vcc
	global_store_dword v[2:3], v1, off
	s_mov_b64 s[4:5], 0
	s_mov_b64 s[8:9], -1
	s_branch .LBB204_2926
.LBB204_2917:
	s_mov_b64 s[4:5], -1
	s_mov_b64 s[8:9], 0
	s_branch .LBB204_2997
.LBB204_2918:
	s_mov_b64 s[4:5], 0
	s_branch .LBB204_2936
.LBB204_2919:
	s_or_saveexec_b64 s[12:13], s[12:13]
                                        ; implicit-def: $sgpr14
	s_xor_b64 exec, exec, s[12:13]
	s_cbranch_execz .LBB204_2820
.LBB204_2920:
	s_mov_b32 s14, 0x46000000
	v_add_f32_e64 v4, |v1|, s14
	v_and_b32_e32 v4, 0xff, v4
	v_cmp_ne_u32_e32 vcc, 0, v4
	s_andn2_b64 s[10:11], s[10:11], exec
	s_and_b64 s[16:17], vcc, exec
	s_mov_b32 s14, 0
	s_or_b64 s[10:11], s[10:11], s[16:17]
	s_or_b64 exec, exec, s[12:13]
	v_mov_b32_e32 v5, s14
	s_and_saveexec_b64 s[12:13], s[10:11]
	s_cbranch_execnz .LBB204_2821
	s_branch .LBB204_2822
.LBB204_2921:
	s_mov_b64 s[4:5], 0
	s_branch .LBB204_2932
.LBB204_2922:
	s_trap 2
	s_or_b64 s[34:35], s[34:35], exec
	s_cbranch_execz .LBB204_2868
	s_branch .LBB204_2869
.LBB204_2923:
	s_or_saveexec_b64 s[10:11], s[10:11]
                                        ; implicit-def: $sgpr12
	s_xor_b64 exec, exec, s[10:11]
	s_cbranch_execz .LBB204_2833
.LBB204_2924:
	s_mov_b32 s12, 0x42800000
	v_add_f32_e64 v4, |v1|, s12
	v_and_b32_e32 v4, 0xff, v4
	v_cmp_ne_u32_e32 vcc, 0, v4
	s_andn2_b64 s[8:9], s[8:9], exec
	s_and_b64 s[14:15], vcc, exec
	s_mov_b32 s12, 0
	s_or_b64 s[8:9], s[8:9], s[14:15]
	s_or_b64 exec, exec, s[10:11]
	v_mov_b32_e32 v5, s12
	s_and_saveexec_b64 s[10:11], s[8:9]
	s_cbranch_execnz .LBB204_2834
	s_branch .LBB204_2835
.LBB204_2925:
	s_mov_b64 s[4:5], 0
.LBB204_2926:
	s_and_b64 vcc, exec, s[10:11]
	s_cbranch_vccz .LBB204_2931
; %bb.2927:
	v_mov_b32_e32 v1, 44
	v_cmp_eq_u16_sdwa s[10:11], s22, v1 src0_sel:BYTE_0 src1_sel:DWORD
	s_mov_b64 s[4:5], -1
	s_and_b64 vcc, exec, s[10:11]
	s_cbranch_vccz .LBB204_2931
; %bb.2928:
	v_cvt_f32_f16_e32 v1, v0
	s_movk_i32 s4, 0xff
	v_mov_b32_e32 v5, 0xff
	v_bfe_u32 v4, v1, 23, 8
	v_cmp_ne_u32_e32 vcc, s4, v4
	s_and_saveexec_b64 s[8:9], vcc
; %bb.2929:
	s_mov_b32 s4, 0x3fffff
	v_lshrrev_b32_e32 v5, 23, v1
	v_and_b32_e32 v6, 0x400000, v1
	v_and_or_b32 v1, v1, s4, v4
	v_cmp_ne_u32_e32 vcc, 0, v6
	v_cmp_ne_u32_e64 s[4:5], 0, v1
	s_and_b64 s[4:5], vcc, s[4:5]
	v_cndmask_b32_e64 v1, 0, 1, s[4:5]
	v_add_u32_e32 v5, v5, v1
; %bb.2930:
	s_or_b64 exec, exec, s[8:9]
	s_mov_b64 s[4:5], 0
	s_mov_b64 s[8:9], -1
	global_store_byte v[2:3], v5, off
.LBB204_2931:
	s_mov_b64 s[10:11], 0
.LBB204_2932:
	s_and_b64 vcc, exec, s[10:11]
	s_cbranch_vccz .LBB204_2935
; %bb.2933:
	v_mov_b32_e32 v1, 29
	v_cmp_eq_u16_sdwa s[10:11], s22, v1 src0_sel:BYTE_0 src1_sel:DWORD
	s_mov_b64 s[4:5], -1
	s_and_b64 vcc, exec, s[10:11]
	s_cbranch_vccz .LBB204_2935
; %bb.2934:
	v_cvt_f32_f16_e32 v1, v0
	v_mov_b32_e32 v5, 0
	s_mov_b64 s[4:5], 0
	s_mov_b64 s[8:9], -1
	v_cvt_u32_f32_e32 v4, v1
	s_mov_b64 s[10:11], 0
	global_store_dwordx2 v[2:3], v[4:5], off
	s_branch .LBB204_2936
.LBB204_2935:
	s_mov_b64 s[10:11], 0
.LBB204_2936:
	s_and_b64 vcc, exec, s[10:11]
	s_cbranch_vccz .LBB204_2952
; %bb.2937:
	v_mov_b32_e32 v1, 27
	v_cmp_lt_i16_sdwa s[10:11], s22, v1 src0_sel:BYTE_0 src1_sel:DWORD
	s_mov_b64 s[8:9], -1
	s_and_b64 vcc, exec, s[10:11]
	s_cbranch_vccnz .LBB204_2943
; %bb.2938:
	v_cmp_gt_i16_sdwa s[10:11], s22, v1 src0_sel:BYTE_0 src1_sel:DWORD
	s_and_b64 vcc, exec, s[10:11]
	s_cbranch_vccz .LBB204_2940
; %bb.2939:
	v_cvt_f32_f16_e32 v1, v0
	s_mov_b64 s[8:9], 0
	v_cvt_u32_f32_e32 v1, v1
	global_store_dword v[2:3], v1, off
.LBB204_2940:
	s_andn2_b64 vcc, exec, s[8:9]
	s_cbranch_vccnz .LBB204_2942
; %bb.2941:
	v_cvt_u16_f16_e32 v1, v0
	global_store_short v[2:3], v1, off
.LBB204_2942:
	s_mov_b64 s[8:9], 0
.LBB204_2943:
	s_andn2_b64 vcc, exec, s[8:9]
	s_cbranch_vccnz .LBB204_2951
; %bb.2944:
	v_cvt_f32_f16_e32 v1, v0
	s_mov_b32 s8, 0x43800000
	v_mov_b32_e32 v5, 0x80
	v_and_b32_e32 v4, 0x7fffffff, v1
	v_cmp_gt_u32_e32 vcc, s8, v4
	s_and_saveexec_b64 s[8:9], vcc
	s_cbranch_execz .LBB204_2950
; %bb.2945:
	s_mov_b32 s10, 0x3bffffff
	v_cmp_lt_u32_e32 vcc, s10, v4
	s_mov_b64 s[10:11], 0
                                        ; implicit-def: $vgpr4
	s_and_saveexec_b64 s[12:13], vcc
	s_xor_b64 s[12:13], exec, s[12:13]
	s_cbranch_execz .LBB204_3159
; %bb.2946:
	v_bfe_u32 v4, v1, 20, 1
	s_mov_b32 s14, 0x487ffff
	v_add3_u32 v4, v1, v4, s14
	s_mov_b64 s[10:11], exec
	v_lshrrev_b32_e32 v4, 20, v4
	s_or_saveexec_b64 s[12:13], s[12:13]
                                        ; implicit-def: $sgpr14
	s_xor_b64 exec, exec, s[12:13]
	s_cbranch_execnz .LBB204_3160
.LBB204_2947:
	s_or_b64 exec, exec, s[12:13]
	v_mov_b32_e32 v5, s14
	s_and_saveexec_b64 s[12:13], s[10:11]
.LBB204_2948:
	v_lshrrev_b32_e32 v1, 24, v1
	s_movk_i32 s10, 0x80
	v_and_or_b32 v5, v1, s10, v4
.LBB204_2949:
	s_or_b64 exec, exec, s[12:13]
.LBB204_2950:
	s_or_b64 exec, exec, s[8:9]
	global_store_byte v[2:3], v5, off
.LBB204_2951:
	s_mov_b64 s[8:9], -1
.LBB204_2952:
	s_mov_b64 s[10:11], 0
.LBB204_2953:
	s_and_b64 vcc, exec, s[10:11]
	s_cbranch_vccz .LBB204_2993
; %bb.2954:
	v_mov_b32_e32 v1, 22
	v_cmp_gt_i16_sdwa s[10:11], s22, v1 src0_sel:BYTE_0 src1_sel:DWORD
	s_mov_b64 s[6:7], -1
	s_and_b64 vcc, exec, s[10:11]
	s_cbranch_vccz .LBB204_2986
; %bb.2955:
	v_mov_b32_e32 v1, 24
	v_cmp_lt_i16_sdwa s[8:9], s22, v1 src0_sel:BYTE_0 src1_sel:DWORD
	s_and_b64 vcc, exec, s[8:9]
	s_cbranch_vccnz .LBB204_2975
; %bb.2956:
	v_cmp_gt_i16_sdwa s[8:9], s22, v1 src0_sel:BYTE_0 src1_sel:DWORD
	s_and_b64 vcc, exec, s[8:9]
	s_cbranch_vccz .LBB204_2964
; %bb.2957:
	v_cvt_f32_f16_e32 v1, v0
	s_mov_b32 s6, 0x47800000
	v_mov_b32_e32 v5, 0x80
	v_and_b32_e32 v4, 0x7fffffff, v1
	v_cmp_gt_u32_e32 vcc, s6, v4
	s_and_saveexec_b64 s[6:7], vcc
	s_cbranch_execz .LBB204_2963
; %bb.2958:
	s_mov_b32 s8, 0x37ffffff
	v_cmp_lt_u32_e32 vcc, s8, v4
	s_mov_b64 s[8:9], 0
                                        ; implicit-def: $vgpr4
	s_and_saveexec_b64 s[10:11], vcc
	s_xor_b64 s[10:11], exec, s[10:11]
	s_cbranch_execz .LBB204_3162
; %bb.2959:
	v_bfe_u32 v4, v1, 21, 1
	s_mov_b32 s12, 0x88fffff
	v_add3_u32 v4, v1, v4, s12
	s_mov_b64 s[8:9], exec
	v_lshrrev_b32_e32 v4, 21, v4
	s_or_saveexec_b64 s[10:11], s[10:11]
                                        ; implicit-def: $sgpr12
	s_xor_b64 exec, exec, s[10:11]
	s_cbranch_execnz .LBB204_3163
.LBB204_2960:
	s_or_b64 exec, exec, s[10:11]
	v_mov_b32_e32 v5, s12
	s_and_saveexec_b64 s[10:11], s[8:9]
.LBB204_2961:
	v_lshrrev_b32_e32 v1, 24, v1
	s_movk_i32 s8, 0x80
	v_and_or_b32 v5, v1, s8, v4
.LBB204_2962:
	s_or_b64 exec, exec, s[10:11]
.LBB204_2963:
	s_or_b64 exec, exec, s[6:7]
	s_mov_b64 s[6:7], 0
	global_store_byte v[2:3], v5, off
.LBB204_2964:
	s_and_b64 vcc, exec, s[6:7]
	s_cbranch_vccz .LBB204_2974
; %bb.2965:
	v_cvt_f32_f16_e32 v1, v0
	s_mov_b32 s6, 0x43f00000
                                        ; implicit-def: $vgpr4
	v_and_b32_e32 v5, 0x7fffffff, v1
	v_cmp_gt_u32_e32 vcc, s6, v5
	s_and_saveexec_b64 s[6:7], vcc
	s_xor_b64 s[6:7], exec, s[6:7]
	s_cbranch_execz .LBB204_2971
; %bb.2966:
	s_mov_b32 s8, 0x3c7fffff
	v_cmp_lt_u32_e32 vcc, s8, v5
                                        ; implicit-def: $vgpr4
	s_and_saveexec_b64 s[8:9], vcc
	s_xor_b64 s[8:9], exec, s[8:9]
; %bb.2967:
	v_bfe_u32 v4, v1, 20, 1
	s_mov_b32 s10, 0x407ffff
	v_add3_u32 v4, v1, v4, s10
	v_lshrrev_b32_e32 v5, 20, v4
	v_and_b32_e32 v4, 0xff00000, v4
	s_mov_b32 s10, 0x7f00000
	v_mov_b32_e32 v6, 0x7e
	v_cmp_ne_u32_e32 vcc, s10, v4
	v_cndmask_b32_e32 v4, v6, v5, vcc
; %bb.2968:
	s_andn2_saveexec_b64 s[8:9], s[8:9]
; %bb.2969:
	s_mov_b32 s10, 0x46800000
	v_add_f32_e64 v4, |v1|, s10
; %bb.2970:
	s_or_b64 exec, exec, s[8:9]
                                        ; implicit-def: $vgpr5
.LBB204_2971:
	s_andn2_saveexec_b64 s[6:7], s[6:7]
; %bb.2972:
	s_mov_b32 s8, 0x7f800000
	v_mov_b32_e32 v4, 0x7e
	v_mov_b32_e32 v6, 0x7f
	v_cmp_lt_u32_e32 vcc, s8, v5
	v_cndmask_b32_e32 v4, v4, v6, vcc
; %bb.2973:
	s_or_b64 exec, exec, s[6:7]
	v_lshrrev_b32_e32 v1, 24, v1
	s_movk_i32 s6, 0x80
	v_and_or_b32 v1, v1, s6, v4
	global_store_byte v[2:3], v1, off
.LBB204_2974:
	s_mov_b64 s[6:7], 0
.LBB204_2975:
	s_andn2_b64 vcc, exec, s[6:7]
	s_cbranch_vccnz .LBB204_2985
; %bb.2976:
	v_cvt_f32_f16_e32 v1, v0
	s_mov_b32 s6, 0x47800000
                                        ; implicit-def: $vgpr4
	v_and_b32_e32 v5, 0x7fffffff, v1
	v_cmp_gt_u32_e32 vcc, s6, v5
	s_and_saveexec_b64 s[6:7], vcc
	s_xor_b64 s[6:7], exec, s[6:7]
	s_cbranch_execz .LBB204_2982
; %bb.2977:
	s_mov_b32 s8, 0x387fffff
	v_cmp_lt_u32_e32 vcc, s8, v5
                                        ; implicit-def: $vgpr4
	s_and_saveexec_b64 s[8:9], vcc
	s_xor_b64 s[8:9], exec, s[8:9]
; %bb.2978:
	v_bfe_u32 v4, v1, 21, 1
	s_mov_b32 s10, 0x80fffff
	v_add3_u32 v4, v1, v4, s10
	v_lshrrev_b32_e32 v4, 21, v4
; %bb.2979:
	s_andn2_saveexec_b64 s[8:9], s[8:9]
; %bb.2980:
	s_mov_b32 s10, 0x43000000
	v_add_f32_e64 v4, |v1|, s10
; %bb.2981:
	s_or_b64 exec, exec, s[8:9]
                                        ; implicit-def: $vgpr5
.LBB204_2982:
	s_andn2_saveexec_b64 s[6:7], s[6:7]
; %bb.2983:
	s_mov_b32 s8, 0x7f800000
	v_mov_b32_e32 v4, 0x7c
	v_mov_b32_e32 v6, 0x7f
	v_cmp_lt_u32_e32 vcc, s8, v5
	v_cndmask_b32_e32 v4, v4, v6, vcc
; %bb.2984:
	s_or_b64 exec, exec, s[6:7]
	v_lshrrev_b32_e32 v1, 24, v1
	s_movk_i32 s6, 0x80
	v_and_or_b32 v1, v1, s6, v4
	global_store_byte v[2:3], v1, off
.LBB204_2985:
	s_mov_b64 s[6:7], 0
	s_mov_b64 s[8:9], -1
.LBB204_2986:
	s_andn2_b64 vcc, exec, s[6:7]
	s_mov_b64 s[6:7], 0
	s_cbranch_vccnz .LBB204_2993
; %bb.2987:
	v_mov_b32_e32 v1, 14
	v_cmp_gt_i16_sdwa s[6:7], s22, v1 src0_sel:BYTE_0 src1_sel:DWORD
	s_mov_b64 s[10:11], -1
	s_and_b64 vcc, exec, s[6:7]
	s_cbranch_vccz .LBB204_2991
; %bb.2988:
	v_mov_b32_e32 v1, 15
	v_cmp_eq_u16_sdwa s[6:7], s22, v1 src0_sel:BYTE_0 src1_sel:DWORD
	s_mov_b64 s[4:5], -1
	s_and_b64 vcc, exec, s[6:7]
	s_cbranch_vccz .LBB204_2990
; %bb.2989:
	v_cvt_f32_f16_e32 v1, v0
	s_movk_i32 s4, 0x7fff
	v_mov_b32_e32 v4, 0x7fc0
	v_cmp_o_f16_e32 vcc, v0, v0
	v_bfe_u32 v5, v1, 16, 1
	v_add3_u32 v1, v1, v5, s4
	v_lshrrev_b32_e32 v1, 16, v1
	v_cndmask_b32_e32 v1, v4, v1, vcc
	global_store_short v[2:3], v1, off
	s_mov_b64 s[4:5], 0
	s_mov_b64 s[8:9], -1
.LBB204_2990:
	s_mov_b64 s[10:11], 0
.LBB204_2991:
	s_mov_b64 s[6:7], 0
	s_and_b64 vcc, exec, s[10:11]
	s_cbranch_vccz .LBB204_2993
; %bb.2992:
	v_mov_b32_e32 v1, 11
	v_cmp_ne_u16_sdwa s[4:5], s22, v1 src0_sel:BYTE_0 src1_sel:DWORD
	s_mov_b64 s[6:7], -1
.LBB204_2993:
	s_and_b64 vcc, exec, s[4:5]
	s_cbranch_vccnz .LBB204_3161
; %bb.2994:
	s_andn2_b64 vcc, exec, s[6:7]
	s_cbranch_vccnz .LBB204_2996
.LBB204_2995:
	v_and_b32_e32 v1, 0x7fff, v0
	v_cmp_ne_u16_e32 vcc, 0, v1
	v_cndmask_b32_e64 v1, 0, 1, vcc
	s_mov_b64 s[8:9], -1
	global_store_byte v[2:3], v1, off
.LBB204_2996:
	s_mov_b64 s[4:5], 0
.LBB204_2997:
	s_and_b64 vcc, exec, s[4:5]
	s_cbranch_vccz .LBB204_3036
; %bb.2998:
	v_mov_b32_e32 v1, 5
	v_cmp_lt_i16_sdwa s[6:7], s22, v1 src0_sel:BYTE_0 src1_sel:DWORD
	s_mov_b64 s[4:5], -1
	s_and_b64 vcc, exec, s[6:7]
	s_cbranch_vccnz .LBB204_3019
; %bb.2999:
	v_mov_b32_e32 v1, 8
	v_cmp_lt_i16_sdwa s[6:7], s22, v1 src0_sel:BYTE_0 src1_sel:DWORD
	s_and_b64 vcc, exec, s[6:7]
	s_cbranch_vccnz .LBB204_3009
; %bb.3000:
	v_mov_b32_e32 v1, 9
	v_cmp_lt_i16_sdwa s[6:7], s22, v1 src0_sel:BYTE_0 src1_sel:DWORD
	s_and_b64 vcc, exec, s[6:7]
	s_cbranch_vccnz .LBB204_3006
; %bb.3001:
	v_cmp_gt_i16_sdwa s[6:7], s22, v1 src0_sel:BYTE_0 src1_sel:DWORD
	s_and_b64 vcc, exec, s[6:7]
	s_cbranch_vccz .LBB204_3003
; %bb.3002:
	v_cvt_f32_f16_e32 v1, v0
	v_mov_b32_e32 v6, 0
	v_mov_b32_e32 v7, v6
	s_mov_b64 s[4:5], 0
	v_cvt_f64_f32_e32 v[4:5], v1
	global_store_dwordx4 v[2:3], v[4:7], off
.LBB204_3003:
	s_andn2_b64 vcc, exec, s[4:5]
	s_cbranch_vccnz .LBB204_3005
; %bb.3004:
	v_cvt_f32_f16_e32 v4, v0
	v_mov_b32_e32 v5, 0
	global_store_dwordx2 v[2:3], v[4:5], off
.LBB204_3005:
	s_mov_b64 s[4:5], 0
.LBB204_3006:
	s_andn2_b64 vcc, exec, s[4:5]
	s_cbranch_vccnz .LBB204_3008
; %bb.3007:
	v_and_b32_e32 v1, 0xffff, v0
	global_store_dword v[2:3], v1, off
.LBB204_3008:
	s_mov_b64 s[4:5], 0
.LBB204_3009:
	s_andn2_b64 vcc, exec, s[4:5]
	s_cbranch_vccnz .LBB204_3018
; %bb.3010:
	v_mov_b32_e32 v1, 6
	v_cmp_lt_i16_sdwa s[6:7], s22, v1 src0_sel:BYTE_0 src1_sel:DWORD
	s_mov_b64 s[4:5], -1
	s_and_b64 vcc, exec, s[6:7]
	s_cbranch_vccnz .LBB204_3016
; %bb.3011:
	v_cmp_gt_i16_sdwa s[6:7], s22, v1 src0_sel:BYTE_0 src1_sel:DWORD
	s_and_b64 vcc, exec, s[6:7]
	s_cbranch_vccz .LBB204_3013
; %bb.3012:
	v_cvt_f32_f16_e32 v1, v0
	s_mov_b64 s[4:5], 0
	v_cvt_f64_f32_e32 v[4:5], v1
	global_store_dwordx2 v[2:3], v[4:5], off
.LBB204_3013:
	s_andn2_b64 vcc, exec, s[4:5]
	s_cbranch_vccnz .LBB204_3015
; %bb.3014:
	v_cvt_f32_f16_e32 v1, v0
	global_store_dword v[2:3], v1, off
.LBB204_3015:
	s_mov_b64 s[4:5], 0
.LBB204_3016:
	s_andn2_b64 vcc, exec, s[4:5]
	s_cbranch_vccnz .LBB204_3018
; %bb.3017:
	global_store_short v[2:3], v0, off
.LBB204_3018:
	s_mov_b64 s[4:5], 0
.LBB204_3019:
	s_andn2_b64 vcc, exec, s[4:5]
	s_cbranch_vccnz .LBB204_3035
; %bb.3020:
	v_mov_b32_e32 v1, 2
	v_cmp_lt_i16_sdwa s[6:7], s22, v1 src0_sel:BYTE_0 src1_sel:DWORD
	s_mov_b64 s[4:5], -1
	s_and_b64 vcc, exec, s[6:7]
	s_cbranch_vccnz .LBB204_3030
; %bb.3021:
	v_mov_b32_e32 v1, 3
	v_cmp_lt_i16_sdwa s[6:7], s22, v1 src0_sel:BYTE_0 src1_sel:DWORD
	s_and_b64 vcc, exec, s[6:7]
	s_cbranch_vccnz .LBB204_3027
; %bb.3022:
	v_cmp_gt_i16_sdwa s[6:7], s22, v1 src0_sel:BYTE_0 src1_sel:DWORD
	s_and_b64 vcc, exec, s[6:7]
	s_cbranch_vccz .LBB204_3024
; %bb.3023:
	v_cvt_f32_f16_e32 v1, v0
	s_mov_b64 s[4:5], 0
	v_cvt_i32_f32_e32 v4, v1
	v_ashrrev_i32_e32 v5, 31, v4
	global_store_dwordx2 v[2:3], v[4:5], off
.LBB204_3024:
	s_andn2_b64 vcc, exec, s[4:5]
	s_cbranch_vccnz .LBB204_3026
; %bb.3025:
	v_cvt_f32_f16_e32 v1, v0
	v_cvt_i32_f32_e32 v1, v1
	global_store_dword v[2:3], v1, off
.LBB204_3026:
	s_mov_b64 s[4:5], 0
.LBB204_3027:
	s_andn2_b64 vcc, exec, s[4:5]
	s_cbranch_vccnz .LBB204_3029
; %bb.3028:
	v_cvt_i16_f16_e32 v1, v0
	global_store_short v[2:3], v1, off
.LBB204_3029:
	s_mov_b64 s[4:5], 0
.LBB204_3030:
	s_andn2_b64 vcc, exec, s[4:5]
	s_cbranch_vccnz .LBB204_3035
; %bb.3031:
	v_mov_b32_e32 v1, 0
	v_cmp_gt_i16_sdwa s[6:7], s22, v1 src0_sel:BYTE_0 src1_sel:DWORD
	s_mov_b64 s[4:5], -1
	s_and_b64 vcc, exec, s[6:7]
	s_cbranch_vccz .LBB204_3033
; %bb.3032:
	v_cvt_i16_f16_e32 v1, v0
	global_store_byte v[2:3], v1, off
	s_mov_b64 s[4:5], 0
.LBB204_3033:
	s_andn2_b64 vcc, exec, s[4:5]
	s_cbranch_vccnz .LBB204_3035
; %bb.3034:
	v_cvt_f32_f16_e32 v0, v0
	v_cvt_i32_f32_e32 v0, v0
	global_store_byte v[2:3], v0, off
.LBB204_3035:
	s_mov_b64 s[8:9], -1
.LBB204_3036:
	s_andn2_b64 vcc, exec, s[8:9]
	s_cbranch_vccnz .LBB204_3113
; %bb.3037:
	v_mov_b32_e32 v0, v34
	v_mov_b32_e32 v1, v35
	s_getpc_b64 s[4:5]
	s_add_u32 s4, s4, _ZZZZN2at6native33launch_standard_gamma_grad_kernelERNS_18TensorIteratorBaseEENKUlvE_clEvENKUlvE1_clEvENKUlN3c104HalfES6_E_clES6_S6_@rel32@lo+4
	s_addc_u32 s5, s5, _ZZZZN2at6native33launch_standard_gamma_grad_kernelERNS_18TensorIteratorBaseEENKUlvE_clEvENKUlvE1_clEvENKUlN3c104HalfES6_E_clES6_S6_@rel32@hi+12
	s_swappc_b64 s[30:31], s[4:5]
	v_mov_b32_e32 v1, 0xff
	v_mov_b32_e32 v3, s25
	v_add_co_u32_e32 v2, vcc, s24, v36
	v_and_b32_e32 v1, s22, v1
	v_addc_co_u32_e32 v3, vcc, 0, v3, vcc
	v_cmp_gt_i16_e32 vcc, 11, v1
	s_cbranch_vccnz .LBB204_3158
; %bb.3038:
	v_cmp_lt_i16_e32 vcc, 25, v1
	s_mov_b64 s[8:9], -1
	s_mov_b64 s[6:7], 0
	s_mov_b64 s[4:5], 0
	s_cbranch_vccz .LBB204_3071
; %bb.3039:
	v_cmp_lt_i16_e32 vcc, 28, v1
	s_cbranch_vccz .LBB204_3055
; %bb.3040:
	v_cmp_lt_i16_e32 vcc, 43, v1
	;; [unrolled: 3-line block ×3, first 2 shown]
	s_cbranch_vccz .LBB204_3045
; %bb.3042:
	v_cmp_eq_u16_e32 vcc, 46, v1
	s_mov_b64 s[4:5], -1
	s_cbranch_vccz .LBB204_3044
; %bb.3043:
	v_cvt_f32_f16_e32 v4, v0
	s_movk_i32 s4, 0x7fff
	v_mov_b32_e32 v5, 0x7fc0
	v_cmp_o_f16_e32 vcc, v0, v0
	v_bfe_u32 v6, v4, 16, 1
	v_add3_u32 v4, v4, v6, s4
	v_lshrrev_b32_e32 v4, 16, v4
	v_cndmask_b32_e32 v4, v5, v4, vcc
	global_store_dword v[2:3], v4, off
	s_mov_b64 s[4:5], 0
.LBB204_3044:
	s_mov_b64 s[8:9], 0
.LBB204_3045:
	s_and_b64 vcc, exec, s[8:9]
	s_cbranch_vccz .LBB204_3050
; %bb.3046:
	v_cmp_eq_u16_e32 vcc, 44, v1
	s_mov_b64 s[4:5], -1
	s_cbranch_vccz .LBB204_3050
; %bb.3047:
	v_cvt_f32_f16_e32 v4, v0
	s_movk_i32 s4, 0xff
	v_mov_b32_e32 v6, 0xff
	v_bfe_u32 v5, v4, 23, 8
	v_cmp_ne_u32_e32 vcc, s4, v5
	s_and_saveexec_b64 s[8:9], vcc
; %bb.3048:
	s_mov_b32 s4, 0x3fffff
	v_lshrrev_b32_e32 v6, 23, v4
	v_and_b32_e32 v7, 0x400000, v4
	v_and_or_b32 v4, v4, s4, v5
	v_cmp_ne_u32_e32 vcc, 0, v7
	v_cmp_ne_u32_e64 s[4:5], 0, v4
	s_and_b64 s[4:5], vcc, s[4:5]
	v_cndmask_b32_e64 v4, 0, 1, s[4:5]
	v_add_u32_e32 v6, v6, v4
; %bb.3049:
	s_or_b64 exec, exec, s[8:9]
	s_mov_b64 s[4:5], 0
	global_store_byte v[2:3], v6, off
.LBB204_3050:
	s_mov_b64 s[8:9], 0
.LBB204_3051:
	s_and_b64 vcc, exec, s[8:9]
	s_cbranch_vccz .LBB204_3054
; %bb.3052:
	v_cmp_eq_u16_e32 vcc, 29, v1
	s_mov_b64 s[4:5], -1
	s_cbranch_vccz .LBB204_3054
; %bb.3053:
	v_cvt_f32_f16_e32 v4, v0
	v_mov_b32_e32 v5, 0
	s_mov_b64 s[4:5], 0
	v_cvt_u32_f32_e32 v4, v4
	global_store_dwordx2 v[2:3], v[4:5], off
.LBB204_3054:
	s_mov_b64 s[8:9], 0
.LBB204_3055:
	s_and_b64 vcc, exec, s[8:9]
	s_cbranch_vccz .LBB204_3070
; %bb.3056:
	v_cmp_gt_i16_e32 vcc, 27, v1
	s_mov_b64 s[8:9], -1
	s_cbranch_vccnz .LBB204_3062
; %bb.3057:
	v_cmp_lt_i16_e32 vcc, 27, v1
	s_cbranch_vccz .LBB204_3059
; %bb.3058:
	v_cvt_f32_f16_e32 v4, v0
	s_mov_b64 s[8:9], 0
	v_cvt_u32_f32_e32 v4, v4
	global_store_dword v[2:3], v4, off
.LBB204_3059:
	s_andn2_b64 vcc, exec, s[8:9]
	s_cbranch_vccnz .LBB204_3061
; %bb.3060:
	v_cvt_u16_f16_e32 v4, v0
	global_store_short v[2:3], v4, off
.LBB204_3061:
	s_mov_b64 s[8:9], 0
.LBB204_3062:
	s_andn2_b64 vcc, exec, s[8:9]
	s_cbranch_vccnz .LBB204_3070
; %bb.3063:
	v_cvt_f32_f16_e32 v4, v0
	s_mov_b32 s8, 0x43800000
	v_mov_b32_e32 v6, 0x80
	v_and_b32_e32 v5, 0x7fffffff, v4
	v_cmp_gt_u32_e32 vcc, s8, v5
	s_and_saveexec_b64 s[8:9], vcc
	s_cbranch_execz .LBB204_3069
; %bb.3064:
	s_mov_b32 s10, 0x3bffffff
	v_cmp_lt_u32_e32 vcc, s10, v5
	s_mov_b64 s[10:11], 0
                                        ; implicit-def: $vgpr5
	s_and_saveexec_b64 s[12:13], vcc
	s_xor_b64 s[12:13], exec, s[12:13]
	s_cbranch_execz .LBB204_3164
; %bb.3065:
	v_bfe_u32 v5, v4, 20, 1
	s_mov_b32 s14, 0x487ffff
	v_add3_u32 v5, v4, v5, s14
	s_mov_b64 s[10:11], exec
	v_lshrrev_b32_e32 v5, 20, v5
	s_or_saveexec_b64 s[12:13], s[12:13]
                                        ; implicit-def: $sgpr14
	s_xor_b64 exec, exec, s[12:13]
	s_cbranch_execnz .LBB204_3165
.LBB204_3066:
	s_or_b64 exec, exec, s[12:13]
	v_mov_b32_e32 v6, s14
	s_and_saveexec_b64 s[12:13], s[10:11]
.LBB204_3067:
	v_lshrrev_b32_e32 v4, 24, v4
	s_movk_i32 s10, 0x80
	v_and_or_b32 v6, v4, s10, v5
.LBB204_3068:
	s_or_b64 exec, exec, s[12:13]
.LBB204_3069:
	s_or_b64 exec, exec, s[8:9]
	global_store_byte v[2:3], v6, off
.LBB204_3070:
	s_mov_b64 s[8:9], 0
.LBB204_3071:
	s_and_b64 vcc, exec, s[8:9]
	s_cbranch_vccz .LBB204_3111
; %bb.3072:
	v_cmp_lt_i16_e32 vcc, 22, v1
	s_mov_b64 s[6:7], -1
	s_cbranch_vccz .LBB204_3104
; %bb.3073:
	v_cmp_gt_i16_e32 vcc, 24, v1
	s_cbranch_vccnz .LBB204_3093
; %bb.3074:
	v_cmp_lt_i16_e32 vcc, 24, v1
	s_cbranch_vccz .LBB204_3082
; %bb.3075:
	v_cvt_f32_f16_e32 v4, v0
	s_mov_b32 s6, 0x47800000
	v_mov_b32_e32 v6, 0x80
	v_and_b32_e32 v5, 0x7fffffff, v4
	v_cmp_gt_u32_e32 vcc, s6, v5
	s_and_saveexec_b64 s[6:7], vcc
	s_cbranch_execz .LBB204_3081
; %bb.3076:
	s_mov_b32 s8, 0x37ffffff
	v_cmp_lt_u32_e32 vcc, s8, v5
	s_mov_b64 s[8:9], 0
                                        ; implicit-def: $vgpr5
	s_and_saveexec_b64 s[10:11], vcc
	s_xor_b64 s[10:11], exec, s[10:11]
	s_cbranch_execz .LBB204_3167
; %bb.3077:
	v_bfe_u32 v5, v4, 21, 1
	s_mov_b32 s12, 0x88fffff
	v_add3_u32 v5, v4, v5, s12
	s_mov_b64 s[8:9], exec
	v_lshrrev_b32_e32 v5, 21, v5
	s_or_saveexec_b64 s[10:11], s[10:11]
                                        ; implicit-def: $sgpr12
	s_xor_b64 exec, exec, s[10:11]
	s_cbranch_execnz .LBB204_3168
.LBB204_3078:
	s_or_b64 exec, exec, s[10:11]
	v_mov_b32_e32 v6, s12
	s_and_saveexec_b64 s[10:11], s[8:9]
.LBB204_3079:
	v_lshrrev_b32_e32 v4, 24, v4
	s_movk_i32 s8, 0x80
	v_and_or_b32 v6, v4, s8, v5
.LBB204_3080:
	s_or_b64 exec, exec, s[10:11]
.LBB204_3081:
	s_or_b64 exec, exec, s[6:7]
	s_mov_b64 s[6:7], 0
	global_store_byte v[2:3], v6, off
.LBB204_3082:
	s_and_b64 vcc, exec, s[6:7]
	s_cbranch_vccz .LBB204_3092
; %bb.3083:
	v_cvt_f32_f16_e32 v4, v0
	s_mov_b32 s6, 0x43f00000
                                        ; implicit-def: $vgpr5
	v_and_b32_e32 v6, 0x7fffffff, v4
	v_cmp_gt_u32_e32 vcc, s6, v6
	s_and_saveexec_b64 s[6:7], vcc
	s_xor_b64 s[6:7], exec, s[6:7]
	s_cbranch_execz .LBB204_3089
; %bb.3084:
	s_mov_b32 s8, 0x3c7fffff
	v_cmp_lt_u32_e32 vcc, s8, v6
                                        ; implicit-def: $vgpr5
	s_and_saveexec_b64 s[8:9], vcc
	s_xor_b64 s[8:9], exec, s[8:9]
; %bb.3085:
	v_bfe_u32 v5, v4, 20, 1
	s_mov_b32 s10, 0x407ffff
	v_add3_u32 v5, v4, v5, s10
	v_lshrrev_b32_e32 v6, 20, v5
	v_and_b32_e32 v5, 0xff00000, v5
	s_mov_b32 s10, 0x7f00000
	v_mov_b32_e32 v7, 0x7e
	v_cmp_ne_u32_e32 vcc, s10, v5
	v_cndmask_b32_e32 v5, v7, v6, vcc
; %bb.3086:
	s_andn2_saveexec_b64 s[8:9], s[8:9]
; %bb.3087:
	s_mov_b32 s10, 0x46800000
	v_add_f32_e64 v5, |v4|, s10
; %bb.3088:
	s_or_b64 exec, exec, s[8:9]
                                        ; implicit-def: $vgpr6
.LBB204_3089:
	s_andn2_saveexec_b64 s[6:7], s[6:7]
; %bb.3090:
	s_mov_b32 s8, 0x7f800000
	v_mov_b32_e32 v5, 0x7e
	v_mov_b32_e32 v7, 0x7f
	v_cmp_lt_u32_e32 vcc, s8, v6
	v_cndmask_b32_e32 v5, v5, v7, vcc
; %bb.3091:
	s_or_b64 exec, exec, s[6:7]
	v_lshrrev_b32_e32 v4, 24, v4
	s_movk_i32 s6, 0x80
	v_and_or_b32 v4, v4, s6, v5
	global_store_byte v[2:3], v4, off
.LBB204_3092:
	s_mov_b64 s[6:7], 0
.LBB204_3093:
	s_andn2_b64 vcc, exec, s[6:7]
	s_cbranch_vccnz .LBB204_3103
; %bb.3094:
	v_cvt_f32_f16_e32 v4, v0
	s_mov_b32 s6, 0x47800000
                                        ; implicit-def: $vgpr5
	v_and_b32_e32 v6, 0x7fffffff, v4
	v_cmp_gt_u32_e32 vcc, s6, v6
	s_and_saveexec_b64 s[6:7], vcc
	s_xor_b64 s[6:7], exec, s[6:7]
	s_cbranch_execz .LBB204_3100
; %bb.3095:
	s_mov_b32 s8, 0x387fffff
	v_cmp_lt_u32_e32 vcc, s8, v6
                                        ; implicit-def: $vgpr5
	s_and_saveexec_b64 s[8:9], vcc
	s_xor_b64 s[8:9], exec, s[8:9]
; %bb.3096:
	v_bfe_u32 v5, v4, 21, 1
	s_mov_b32 s10, 0x80fffff
	v_add3_u32 v5, v4, v5, s10
	v_lshrrev_b32_e32 v5, 21, v5
; %bb.3097:
	s_andn2_saveexec_b64 s[8:9], s[8:9]
; %bb.3098:
	s_mov_b32 s10, 0x43000000
	v_add_f32_e64 v5, |v4|, s10
; %bb.3099:
	s_or_b64 exec, exec, s[8:9]
                                        ; implicit-def: $vgpr6
.LBB204_3100:
	s_andn2_saveexec_b64 s[6:7], s[6:7]
; %bb.3101:
	s_mov_b32 s8, 0x7f800000
	v_mov_b32_e32 v5, 0x7c
	v_mov_b32_e32 v7, 0x7f
	v_cmp_lt_u32_e32 vcc, s8, v6
	v_cndmask_b32_e32 v5, v5, v7, vcc
; %bb.3102:
	s_or_b64 exec, exec, s[6:7]
	v_lshrrev_b32_e32 v4, 24, v4
	s_movk_i32 s6, 0x80
	v_and_or_b32 v4, v4, s6, v5
	global_store_byte v[2:3], v4, off
.LBB204_3103:
	s_mov_b64 s[6:7], 0
.LBB204_3104:
	s_andn2_b64 vcc, exec, s[6:7]
	s_mov_b64 s[6:7], 0
	s_cbranch_vccnz .LBB204_3111
; %bb.3105:
	v_cmp_lt_i16_e32 vcc, 14, v1
	s_mov_b64 s[8:9], -1
	s_cbranch_vccz .LBB204_3109
; %bb.3106:
	v_cmp_eq_u16_e32 vcc, 15, v1
	s_mov_b64 s[4:5], -1
	s_cbranch_vccz .LBB204_3108
; %bb.3107:
	v_cvt_f32_f16_e32 v4, v0
	s_movk_i32 s4, 0x7fff
	v_mov_b32_e32 v5, 0x7fc0
	v_cmp_o_f16_e32 vcc, v0, v0
	v_bfe_u32 v6, v4, 16, 1
	v_add3_u32 v4, v4, v6, s4
	v_lshrrev_b32_e32 v4, 16, v4
	v_cndmask_b32_e32 v4, v5, v4, vcc
	global_store_short v[2:3], v4, off
	s_mov_b64 s[4:5], 0
.LBB204_3108:
	s_mov_b64 s[8:9], 0
.LBB204_3109:
	s_and_b64 vcc, exec, s[8:9]
	s_cbranch_vccz .LBB204_3111
; %bb.3110:
	v_cmp_ne_u16_e64 s[4:5], 11, v1
	s_mov_b64 s[6:7], -1
.LBB204_3111:
	s_and_b64 vcc, exec, s[4:5]
	s_cbranch_vccnz .LBB204_3166
.LBB204_3112:
	s_mov_b64 s[4:5], 0
	s_branch .LBB204_3114
.LBB204_3113:
	s_mov_b64 s[4:5], 0
	s_mov_b64 s[6:7], 0
                                        ; implicit-def: $vgpr2_vgpr3
                                        ; implicit-def: $vgpr1
                                        ; implicit-def: $vgpr0
.LBB204_3114:
	s_and_b64 s[8:9], s[4:5], exec
	s_and_b64 s[28:29], s[6:7], exec
	s_andn2_b64 s[4:5], s[36:37], exec
	s_and_b64 s[6:7], s[34:35], exec
	s_or_b64 s[36:37], s[4:5], s[6:7]
.LBB204_3115:
	s_or_b64 exec, exec, s[38:39]
	s_and_saveexec_b64 s[4:5], s[36:37]
	s_cbranch_execz .LBB204_3118
; %bb.3116:
	; divergent unreachable
	s_or_b64 exec, exec, s[4:5]
	s_and_saveexec_b64 s[4:5], s[28:29]
	s_xor_b64 s[4:5], exec, s[4:5]
	s_cbranch_execnz .LBB204_3119
.LBB204_3117:
	s_or_b64 exec, exec, s[4:5]
	s_and_saveexec_b64 s[4:5], s[8:9]
	s_cbranch_execnz .LBB204_3120
	s_branch .LBB204_3157
.LBB204_3118:
	s_or_b64 exec, exec, s[4:5]
	s_and_saveexec_b64 s[4:5], s[28:29]
	s_xor_b64 s[4:5], exec, s[4:5]
	s_cbranch_execz .LBB204_3117
.LBB204_3119:
	s_waitcnt vmcnt(0)
	v_and_b32_e32 v4, 0x7fff, v0
	v_cmp_ne_u16_e32 vcc, 0, v4
	v_cndmask_b32_e64 v4, 0, 1, vcc
	global_store_byte v[2:3], v4, off
	s_or_b64 exec, exec, s[4:5]
	s_and_saveexec_b64 s[4:5], s[8:9]
	s_cbranch_execz .LBB204_3157
.LBB204_3120:
	s_waitcnt vmcnt(0)
	v_cmp_gt_i16_e32 vcc, 5, v1
	s_mov_b64 s[4:5], -1
	s_cbranch_vccnz .LBB204_3141
; %bb.3121:
	v_cmp_gt_i16_e32 vcc, 8, v1
	s_cbranch_vccnz .LBB204_3131
; %bb.3122:
	v_cmp_gt_i16_e32 vcc, 9, v1
	s_cbranch_vccnz .LBB204_3128
; %bb.3123:
	v_cmp_lt_i16_e32 vcc, 9, v1
	s_cbranch_vccz .LBB204_3125
; %bb.3124:
	v_cvt_f32_f16_e32 v4, v0
	v_mov_b32_e32 v6, 0
	v_mov_b32_e32 v7, v6
	s_mov_b64 s[4:5], 0
	v_cvt_f64_f32_e32 v[4:5], v4
	global_store_dwordx4 v[2:3], v[4:7], off
.LBB204_3125:
	s_andn2_b64 vcc, exec, s[4:5]
	s_cbranch_vccnz .LBB204_3127
; %bb.3126:
	v_cvt_f32_f16_e32 v4, v0
	v_mov_b32_e32 v5, 0
	global_store_dwordx2 v[2:3], v[4:5], off
.LBB204_3127:
	s_mov_b64 s[4:5], 0
.LBB204_3128:
	s_andn2_b64 vcc, exec, s[4:5]
	s_cbranch_vccnz .LBB204_3130
; %bb.3129:
	v_and_b32_e32 v4, 0xffff, v0
	global_store_dword v[2:3], v4, off
.LBB204_3130:
	s_mov_b64 s[4:5], 0
.LBB204_3131:
	s_andn2_b64 vcc, exec, s[4:5]
	s_cbranch_vccnz .LBB204_3140
; %bb.3132:
	v_cmp_gt_i16_e32 vcc, 6, v1
	s_mov_b64 s[4:5], -1
	s_cbranch_vccnz .LBB204_3138
; %bb.3133:
	v_cmp_lt_i16_e32 vcc, 6, v1
	s_cbranch_vccz .LBB204_3135
; %bb.3134:
	v_cvt_f32_f16_e32 v4, v0
	s_mov_b64 s[4:5], 0
	v_cvt_f64_f32_e32 v[4:5], v4
	global_store_dwordx2 v[2:3], v[4:5], off
.LBB204_3135:
	s_andn2_b64 vcc, exec, s[4:5]
	s_cbranch_vccnz .LBB204_3137
; %bb.3136:
	v_cvt_f32_f16_e32 v4, v0
	global_store_dword v[2:3], v4, off
.LBB204_3137:
	s_mov_b64 s[4:5], 0
.LBB204_3138:
	s_andn2_b64 vcc, exec, s[4:5]
	s_cbranch_vccnz .LBB204_3140
; %bb.3139:
	global_store_short v[2:3], v0, off
.LBB204_3140:
	s_mov_b64 s[4:5], 0
.LBB204_3141:
	s_andn2_b64 vcc, exec, s[4:5]
	s_cbranch_vccnz .LBB204_3157
; %bb.3142:
	v_cmp_gt_i16_e32 vcc, 2, v1
	s_mov_b64 s[4:5], -1
	s_cbranch_vccnz .LBB204_3152
; %bb.3143:
	v_cmp_gt_i16_e32 vcc, 3, v1
	s_cbranch_vccnz .LBB204_3149
; %bb.3144:
	v_cmp_lt_i16_e32 vcc, 3, v1
	s_cbranch_vccz .LBB204_3146
; %bb.3145:
	v_cvt_f32_f16_e32 v4, v0
	s_mov_b64 s[4:5], 0
	v_cvt_i32_f32_e32 v4, v4
	v_ashrrev_i32_e32 v5, 31, v4
	global_store_dwordx2 v[2:3], v[4:5], off
.LBB204_3146:
	s_andn2_b64 vcc, exec, s[4:5]
	s_cbranch_vccnz .LBB204_3148
; %bb.3147:
	v_cvt_f32_f16_e32 v4, v0
	v_cvt_i32_f32_e32 v4, v4
	global_store_dword v[2:3], v4, off
.LBB204_3148:
	s_mov_b64 s[4:5], 0
.LBB204_3149:
	s_andn2_b64 vcc, exec, s[4:5]
	s_cbranch_vccnz .LBB204_3151
; %bb.3150:
	v_cvt_i16_f16_e32 v4, v0
	global_store_short v[2:3], v4, off
.LBB204_3151:
	s_mov_b64 s[4:5], 0
.LBB204_3152:
	s_andn2_b64 vcc, exec, s[4:5]
	s_cbranch_vccnz .LBB204_3157
; %bb.3153:
	v_cmp_lt_i16_e32 vcc, 0, v1
	s_mov_b64 s[4:5], -1
	s_cbranch_vccz .LBB204_3155
; %bb.3154:
	v_cvt_i16_f16_e32 v1, v0
	global_store_byte v[2:3], v1, off
	s_mov_b64 s[4:5], 0
.LBB204_3155:
	s_andn2_b64 vcc, exec, s[4:5]
	s_cbranch_vccnz .LBB204_3157
; %bb.3156:
	v_cvt_f32_f16_e32 v0, v0
	v_cvt_i32_f32_e32 v0, v0
	global_store_byte v[2:3], v0, off
	s_endpgm
.LBB204_3157:
	s_endpgm
.LBB204_3158:
	s_mov_b64 s[6:7], 0
	s_mov_b64 s[4:5], -1
	s_branch .LBB204_3114
.LBB204_3159:
	s_or_saveexec_b64 s[12:13], s[12:13]
                                        ; implicit-def: $sgpr14
	s_xor_b64 exec, exec, s[12:13]
	s_cbranch_execz .LBB204_2947
.LBB204_3160:
	s_mov_b32 s14, 0x46000000
	v_add_f32_e64 v4, |v1|, s14
	v_and_b32_e32 v4, 0xff, v4
	v_cmp_ne_u32_e32 vcc, 0, v4
	s_andn2_b64 s[10:11], s[10:11], exec
	s_and_b64 s[16:17], vcc, exec
	s_mov_b32 s14, 0
	s_or_b64 s[10:11], s[10:11], s[16:17]
	s_or_b64 exec, exec, s[12:13]
	v_mov_b32_e32 v5, s14
	s_and_saveexec_b64 s[12:13], s[10:11]
	s_cbranch_execnz .LBB204_2948
	s_branch .LBB204_2949
.LBB204_3161:
	s_trap 2
	s_or_b64 s[34:35], s[34:35], exec
	s_cbranch_execz .LBB204_2995
	s_branch .LBB204_2996
.LBB204_3162:
	s_or_saveexec_b64 s[10:11], s[10:11]
                                        ; implicit-def: $sgpr12
	s_xor_b64 exec, exec, s[10:11]
	s_cbranch_execz .LBB204_2960
.LBB204_3163:
	s_mov_b32 s12, 0x42800000
	v_add_f32_e64 v4, |v1|, s12
	v_and_b32_e32 v4, 0xff, v4
	v_cmp_ne_u32_e32 vcc, 0, v4
	s_andn2_b64 s[8:9], s[8:9], exec
	s_and_b64 s[14:15], vcc, exec
	s_mov_b32 s12, 0
	s_or_b64 s[8:9], s[8:9], s[14:15]
	s_or_b64 exec, exec, s[10:11]
	v_mov_b32_e32 v5, s12
	s_and_saveexec_b64 s[10:11], s[8:9]
	s_cbranch_execnz .LBB204_2961
	s_branch .LBB204_2962
.LBB204_3164:
	s_or_saveexec_b64 s[12:13], s[12:13]
                                        ; implicit-def: $sgpr14
	s_xor_b64 exec, exec, s[12:13]
	s_cbranch_execz .LBB204_3066
.LBB204_3165:
	s_mov_b32 s14, 0x46000000
	v_add_f32_e64 v5, |v4|, s14
	v_and_b32_e32 v5, 0xff, v5
	v_cmp_ne_u32_e32 vcc, 0, v5
	s_andn2_b64 s[10:11], s[10:11], exec
	s_and_b64 s[16:17], vcc, exec
	s_mov_b32 s14, 0
	s_or_b64 s[10:11], s[10:11], s[16:17]
	s_or_b64 exec, exec, s[12:13]
	v_mov_b32_e32 v6, s14
	s_and_saveexec_b64 s[12:13], s[10:11]
	s_cbranch_execnz .LBB204_3067
	s_branch .LBB204_3068
.LBB204_3166:
	s_mov_b64 s[6:7], 0
	s_or_b64 s[34:35], s[34:35], exec
	s_trap 2
	s_branch .LBB204_3112
.LBB204_3167:
	s_or_saveexec_b64 s[10:11], s[10:11]
                                        ; implicit-def: $sgpr12
	s_xor_b64 exec, exec, s[10:11]
	s_cbranch_execz .LBB204_3078
.LBB204_3168:
	s_mov_b32 s12, 0x42800000
	v_add_f32_e64 v5, |v4|, s12
	v_and_b32_e32 v5, 0xff, v5
	v_cmp_ne_u32_e32 vcc, 0, v5
	s_andn2_b64 s[8:9], s[8:9], exec
	s_and_b64 s[14:15], vcc, exec
	s_mov_b32 s12, 0
	s_or_b64 s[8:9], s[8:9], s[14:15]
	s_or_b64 exec, exec, s[10:11]
	v_mov_b32_e32 v6, s12
	s_and_saveexec_b64 s[10:11], s[8:9]
	s_cbranch_execnz .LBB204_3079
	s_branch .LBB204_3080
	.section	.rodata,"a",@progbits
	.p2align	6, 0x0
	.amdhsa_kernel _ZN2at6native32elementwise_kernel_manual_unrollILi128ELi4EZNS0_15gpu_kernel_implIZZZNS0_33launch_standard_gamma_grad_kernelERNS_18TensorIteratorBaseEENKUlvE_clEvENKUlvE1_clEvEUlN3c104HalfES8_E_EEvS4_RKT_EUlibE0_EEviT1_
		.amdhsa_group_segment_fixed_size 0
		.amdhsa_private_segment_fixed_size 0
		.amdhsa_kernarg_size 432
		.amdhsa_user_sgpr_count 8
		.amdhsa_user_sgpr_private_segment_buffer 1
		.amdhsa_user_sgpr_dispatch_ptr 0
		.amdhsa_user_sgpr_queue_ptr 0
		.amdhsa_user_sgpr_kernarg_segment_ptr 1
		.amdhsa_user_sgpr_dispatch_id 0
		.amdhsa_user_sgpr_flat_scratch_init 1
		.amdhsa_user_sgpr_kernarg_preload_length 0
		.amdhsa_user_sgpr_kernarg_preload_offset 0
		.amdhsa_user_sgpr_private_segment_size 0
		.amdhsa_uses_dynamic_stack 0
		.amdhsa_system_sgpr_private_segment_wavefront_offset 0
		.amdhsa_system_sgpr_workgroup_id_x 1
		.amdhsa_system_sgpr_workgroup_id_y 0
		.amdhsa_system_sgpr_workgroup_id_z 0
		.amdhsa_system_sgpr_workgroup_info 0
		.amdhsa_system_vgpr_workitem_id 0
		.amdhsa_next_free_vgpr 44
		.amdhsa_next_free_sgpr 83
		.amdhsa_accum_offset 44
		.amdhsa_reserve_vcc 1
		.amdhsa_reserve_flat_scratch 1
		.amdhsa_float_round_mode_32 0
		.amdhsa_float_round_mode_16_64 0
		.amdhsa_float_denorm_mode_32 3
		.amdhsa_float_denorm_mode_16_64 3
		.amdhsa_dx10_clamp 1
		.amdhsa_ieee_mode 1
		.amdhsa_fp16_overflow 0
		.amdhsa_tg_split 0
		.amdhsa_exception_fp_ieee_invalid_op 0
		.amdhsa_exception_fp_denorm_src 0
		.amdhsa_exception_fp_ieee_div_zero 0
		.amdhsa_exception_fp_ieee_overflow 0
		.amdhsa_exception_fp_ieee_underflow 0
		.amdhsa_exception_fp_ieee_inexact 0
		.amdhsa_exception_int_div_zero 0
	.end_amdhsa_kernel
	.section	.text._ZN2at6native32elementwise_kernel_manual_unrollILi128ELi4EZNS0_15gpu_kernel_implIZZZNS0_33launch_standard_gamma_grad_kernelERNS_18TensorIteratorBaseEENKUlvE_clEvENKUlvE1_clEvEUlN3c104HalfES8_E_EEvS4_RKT_EUlibE0_EEviT1_,"axG",@progbits,_ZN2at6native32elementwise_kernel_manual_unrollILi128ELi4EZNS0_15gpu_kernel_implIZZZNS0_33launch_standard_gamma_grad_kernelERNS_18TensorIteratorBaseEENKUlvE_clEvENKUlvE1_clEvEUlN3c104HalfES8_E_EEvS4_RKT_EUlibE0_EEviT1_,comdat
.Lfunc_end204:
	.size	_ZN2at6native32elementwise_kernel_manual_unrollILi128ELi4EZNS0_15gpu_kernel_implIZZZNS0_33launch_standard_gamma_grad_kernelERNS_18TensorIteratorBaseEENKUlvE_clEvENKUlvE1_clEvEUlN3c104HalfES8_E_EEvS4_RKT_EUlibE0_EEviT1_, .Lfunc_end204-_ZN2at6native32elementwise_kernel_manual_unrollILi128ELi4EZNS0_15gpu_kernel_implIZZZNS0_33launch_standard_gamma_grad_kernelERNS_18TensorIteratorBaseEENKUlvE_clEvENKUlvE1_clEvEUlN3c104HalfES8_E_EEvS4_RKT_EUlibE0_EEviT1_
                                        ; -- End function
	.section	.AMDGPU.csdata,"",@progbits
; Kernel info:
; codeLenInByte = 57816
; NumSgprs: 89
; NumVgprs: 44
; NumAgprs: 0
; TotalNumVgprs: 44
; ScratchSize: 0
; MemoryBound: 0
; FloatMode: 240
; IeeeMode: 1
; LDSByteSize: 0 bytes/workgroup (compile time only)
; SGPRBlocks: 11
; VGPRBlocks: 5
; NumSGPRsForWavesPerEU: 89
; NumVGPRsForWavesPerEU: 44
; AccumOffset: 44
; Occupancy: 8
; WaveLimiterHint : 1
; COMPUTE_PGM_RSRC2:SCRATCH_EN: 0
; COMPUTE_PGM_RSRC2:USER_SGPR: 8
; COMPUTE_PGM_RSRC2:TRAP_HANDLER: 0
; COMPUTE_PGM_RSRC2:TGID_X_EN: 1
; COMPUTE_PGM_RSRC2:TGID_Y_EN: 0
; COMPUTE_PGM_RSRC2:TGID_Z_EN: 0
; COMPUTE_PGM_RSRC2:TIDIG_COMP_CNT: 0
; COMPUTE_PGM_RSRC3_GFX90A:ACCUM_OFFSET: 10
; COMPUTE_PGM_RSRC3_GFX90A:TG_SPLIT: 0
	.text
	.p2align	2                               ; -- Begin function _ZZZZN2at6native33launch_standard_gamma_grad_kernelERNS_18TensorIteratorBaseEENKUlvE_clEvENKUlvE2_clEvENKUlN3c108BFloat16ES6_E_clES6_S6_
	.type	_ZZZZN2at6native33launch_standard_gamma_grad_kernelERNS_18TensorIteratorBaseEENKUlvE_clEvENKUlvE2_clEvENKUlN3c108BFloat16ES6_E_clES6_S6_,@function
_ZZZZN2at6native33launch_standard_gamma_grad_kernelERNS_18TensorIteratorBaseEENKUlvE_clEvENKUlvE2_clEvENKUlN3c108BFloat16ES6_E_clES6_S6_: ; @_ZZZZN2at6native33launch_standard_gamma_grad_kernelERNS_18TensorIteratorBaseEENKUlvE_clEvENKUlvE2_clEvENKUlN3c108BFloat16ES6_E_clES6_S6_
; %bb.0:
	s_waitcnt vmcnt(0) expcnt(0) lgkmcnt(0)
	v_lshlrev_b32_e32 v1, 16, v1
	s_mov_b32 s4, 0x3f4ccccd
	v_lshlrev_b32_e32 v3, 16, v0
	v_cmp_ngt_f32_e32 vcc, s4, v1
                                        ; implicit-def: $vgpr2
                                        ; implicit-def: $vgpr0
	s_and_saveexec_b64 s[4:5], vcc
	s_xor_b64 s[8:9], exec, s[4:5]
	s_cbranch_execz .LBB205_10
; %bb.1:
	s_mov_b32 s4, 0x41000000
	v_cmp_nlt_f32_e32 vcc, s4, v3
                                        ; implicit-def: $sgpr4
                                        ; implicit-def: $vgpr0
	s_and_saveexec_b64 s[6:7], vcc
	s_xor_b64 s[6:7], exec, s[6:7]
	s_cbranch_execz .LBB205_3
; %bb.2:
	v_div_scale_f32 v0, s[4:5], v3, v3, v1
	v_rcp_f32_e32 v2, v0
	v_div_scale_f32 v4, vcc, v1, v3, v1
	s_mov_b32 s10, 0x800000
	v_fma_f32 v5, -v0, v2, 1.0
	v_fmac_f32_e32 v2, v5, v2
	v_mul_f32_e32 v5, v4, v2
	v_fma_f32 v6, -v0, v5, v4
	v_fmac_f32_e32 v5, v6, v2
	v_fma_f32 v0, -v0, v5, v4
	v_div_fmas_f32 v0, v0, v2, v5
	v_div_fixup_f32 v0, v0, v3, v1
	v_mov_b32_e32 v1, 0x4f800000
	v_cmp_gt_f32_e32 vcc, s10, v0
	v_cndmask_b32_e32 v2, 1.0, v1, vcc
	v_mul_f32_e32 v0, v0, v2
	v_log_f32_e32 v0, v0
	s_mov_b32 s11, 0x3f317217
	s_mov_b32 s12, 0x7f800000
	v_mov_b32_e32 v5, 0x3e23efad
	v_mul_f32_e32 v2, 0x3f317217, v0
	v_fma_f32 v4, v0, s11, -v2
	v_fmac_f32_e32 v4, 0x3377d1cf, v0
	v_add_f32_e32 v2, v2, v4
	v_cmp_lt_f32_e64 s[4:5], |v0|, s12
	v_cndmask_b32_e64 v0, v0, v2, s[4:5]
	v_mov_b32_e32 v2, 0x41b17218
	v_cndmask_b32_e32 v4, 0, v2, vcc
	v_sub_f32_e32 v0, v0, v4
	v_mov_b32_e32 v4, 0x3f08edd3
	v_fmac_f32_e32 v4, 0x3d2455ec, v0
	v_fmac_f32_e32 v5, v0, v4
	v_mov_b32_e32 v4, 0x3e04ec27
	v_fmac_f32_e32 v4, 0xbbd7fcb0, v0
	v_mov_b32_e32 v6, 0xbdc1cfe5
	v_cmp_gt_f32_e32 vcc, s10, v3
	v_fmac_f32_e32 v6, v0, v4
	v_mov_b32_e32 v4, 0x3d86a092
	v_mov_b32_e32 v9, 0x3ca46a14
	v_cndmask_b32_e32 v1, 1.0, v1, vcc
	v_fmac_f32_e32 v4, 0xbb2c44ab, v0
	v_mov_b32_e32 v7, 0x3ccdffc6
	v_fmac_f32_e32 v9, 0xbb0ba71e, v0
	v_mov_b32_e32 v10, 0x3ea742c0
	v_mul_f32_e32 v1, v3, v1
	v_fmac_f32_e32 v7, v0, v4
	v_mov_b32_e32 v4, 0xbacd1fe0
	v_fmac_f32_e32 v10, v0, v9
	v_mov_b32_e32 v9, 0xbb6b877e
	v_log_f32_e32 v1, v1
	v_fmac_f32_e32 v4, 0xbab02f1f, v0
	v_mov_b32_e32 v8, 0xbb48db63
	v_fmac_f32_e32 v9, 0x3a5f1085, v0
	v_mov_b32_e32 v11, 0x3dd51de0
	;; [unrolled: 2-line block ×4, first 2 shown]
	v_fmac_f32_e32 v4, 0x3c8badca, v0
	v_fmac_f32_e32 v9, 0xb423b90c, v0
	v_mov_b32_e32 v3, 0x3ab9d91c
	v_fma_f32 v4, v0, v4, 1.0
	v_fmac_f32_e32 v3, v0, v9
	v_mul_f32_e32 v0, 0x3f317217, v1
	v_fma_f32 v9, v1, s11, -v0
	v_fmac_f32_e32 v9, 0x3377d1cf, v1
	v_add_f32_e32 v0, v0, v9
	v_cmp_lt_f32_e64 s[4:5], |v1|, s12
	v_cndmask_b32_e64 v0, v1, v0, s[4:5]
	v_cndmask_b32_e32 v1, 0, v2, vcc
	v_sub_f32_e32 v0, v0, v1
	v_fmac_f32_e32 v7, v0, v8
	v_fmac_f32_e32 v11, v0, v3
	;; [unrolled: 1-line block ×6, first 2 shown]
	v_div_scale_f32 v0, s[4:5], v4, v4, v5
	v_rcp_f32_e32 v1, v0
	s_mov_b32 s4, 0x3fb8aa3b
	v_fma_f32 v2, -v0, v1, 1.0
	v_fmac_f32_e32 v1, v2, v1
	v_div_scale_f32 v2, vcc, v5, v4, v5
	v_mul_f32_e32 v3, v2, v1
	v_fma_f32 v6, -v0, v3, v2
	v_fmac_f32_e32 v3, v6, v1
	v_fma_f32 v0, -v0, v3, v2
	v_div_fmas_f32 v0, v0, v1, v3
	v_div_fixup_f32 v0, v0, v4, v5
	v_mul_f32_e32 v1, 0x3fb8aa3b, v0
	v_fma_f32 v2, v0, s4, -v1
	v_rndne_f32_e32 v3, v1
	v_fmac_f32_e32 v2, 0x32a5705f, v0
	v_sub_f32_e32 v1, v1, v3
	v_add_f32_e32 v1, v1, v2
	v_exp_f32_e32 v1, v1
	v_cvt_i32_f32_e32 v2, v3
	s_mov_b32 s4, 0xc2ce8ed0
	v_cmp_ngt_f32_e32 vcc, s4, v0
	s_mov_b32 s4, 0x42b17218
	v_ldexp_f32 v1, v1, v2
	v_cndmask_b32_e32 v1, 0, v1, vcc
	v_mov_b32_e32 v2, 0x7f800000
	v_cmp_nlt_f32_e32 vcc, s4, v0
	v_cndmask_b32_e32 v0, v2, v1, vcc
	s_movk_i32 s4, 0x7fc0
                                        ; implicit-def: $vgpr3
                                        ; implicit-def: $vgpr1
.LBB205_3:
	s_or_saveexec_b64 s[10:11], s[6:7]
	v_mov_b32_e32 v2, s4
	s_xor_b64 exec, exec, s[10:11]
	s_cbranch_execz .LBB205_9
; %bb.4:
	v_mul_f32_e32 v0, 0x3f666666, v3
	v_cmp_le_f32_e32 vcc, v0, v1
	v_mul_f32_e32 v0, 0x3f8ccccd, v3
	v_cmp_ge_f32_e64 s[4:5], v0, v1
	s_and_b64 s[4:5], vcc, s[4:5]
                                        ; implicit-def: $sgpr6
                                        ; implicit-def: $vgpr0
	s_and_saveexec_b64 s[12:13], s[4:5]
	s_xor_b64 s[4:5], exec, s[12:13]
	s_cbranch_execz .LBB205_6
; %bb.5:
	v_mul_f32_e32 v5, 0xc2820000, v1
	v_mul_f32_e32 v5, v5, v1
	v_div_scale_f32 v6, s[12:13], v3, v3, v5
	v_rcp_f32_e32 v7, v6
	v_mov_b32_e32 v8, 0x42540000
	v_mul_f32_e32 v4, 0x40c00000, v1
	v_fmac_f32_e32 v8, 0xc2f00000, v1
	v_mul_f32_e32 v8, v4, v8
	v_fma_f32 v4, -v6, v7, 1.0
	v_fmac_f32_e32 v7, v4, v7
	v_div_scale_f32 v4, vcc, v5, v3, v5
	v_mul_f32_e32 v9, v4, v7
	v_fma_f32 v10, -v6, v9, v4
	v_fmac_f32_e32 v9, v10, v7
	v_fma_f32 v4, -v6, v9, v4
	s_mov_b32 s7, 0x41400000
	v_div_fmas_f32 v4, v4, v7, v9
	v_mov_b32_e32 v7, 0x42d60000
	v_mul_f32_e32 v2, 0x41c00000, v3
	v_fma_f32 v0, v3, s7, 1.0
	v_fmac_f32_e32 v7, 0x45610000, v1
	v_mov_b32_e32 v1, v3
	v_div_fixup_f32 v6, v4, v3, v5
	v_pk_mul_f32 v[4:5], v[2:3], v[0:1]
	s_mov_b32 s6, 1.0
	v_fmac_f32_e32 v8, 0x44b40000, v5
	v_add_f32_e32 v6, v8, v6
	v_pk_fma_f32 v[0:1], v[2:3], v[0:1], s[6:7]
	s_mov_b32 s7, 0x4997e000
	v_fmac_f32_e32 v6, v7, v3
	v_pk_mul_f32 v[2:3], v[4:5], s[6:7]
	v_mov_b32_e32 v1, v3
	v_mov_b32_e32 v7, v5
	v_pk_mul_f32 v[0:1], v[0:1], v[6:7]
	v_div_scale_f32 v2, s[6:7], v1, v1, v0
	v_rcp_f32_e32 v3, v2
	s_movk_i32 s6, 0x7fc0
	v_fma_f32 v4, -v2, v3, 1.0
	v_fmac_f32_e32 v3, v4, v3
	v_div_scale_f32 v4, vcc, v0, v1, v0
	v_mul_f32_e32 v5, v4, v3
	v_fma_f32 v6, -v2, v5, v4
	v_fmac_f32_e32 v5, v6, v3
	v_fma_f32 v2, -v2, v5, v4
	v_div_fmas_f32 v2, v2, v3, v5
	v_div_fixup_f32 v0, v2, v1, v0
                                        ; implicit-def: $vgpr3
                                        ; implicit-def: $vgpr1
.LBB205_6:
	s_or_saveexec_b64 s[12:13], s[4:5]
	v_mov_b32_e32 v2, s6
	s_xor_b64 exec, exec, s[12:13]
	s_cbranch_execz .LBB205_8
; %bb.7:
	v_mul_f32_e32 v0, 0x41000000, v3
	s_mov_b32 s14, 0xf800000
	v_mul_f32_e32 v2, 0x4f800000, v0
	v_cmp_gt_f32_e32 vcc, s14, v0
	v_cndmask_b32_e32 v0, v0, v2, vcc
	v_sqrt_f32_e32 v2, v0
	v_mov_b32_e32 v22, 0x260
	v_sub_f32_e32 v24, v3, v1
	s_mov_b32 s6, 0x7f800000
	v_add_u32_e32 v4, -1, v2
	v_fma_f32 v5, -v4, v2, v0
	v_cmp_ge_f32_e64 s[4:5], 0, v5
	v_add_u32_e32 v5, 1, v2
	v_cndmask_b32_e64 v4, v2, v4, s[4:5]
	v_fma_f32 v2, -v5, v2, v0
	v_cmp_lt_f32_e64 s[4:5], 0, v2
	v_cndmask_b32_e64 v2, v4, v5, s[4:5]
	v_mul_f32_e32 v4, 0x37800000, v2
	v_cndmask_b32_e32 v2, v2, v4, vcc
	v_cmp_class_f32_e32 vcc, v0, v22
	v_cndmask_b32_e32 v23, v2, v0, vcc
	v_div_scale_f32 v0, s[4:5], v24, v24, v23
	v_rcp_f32_e32 v2, v0
	s_movk_i32 s7, 0x204
	s_brev_b32 s15, -2
	v_fma_f32 v4, -v0, v2, 1.0
	v_fmac_f32_e32 v2, v4, v2
	v_div_scale_f32 v4, vcc, v23, v24, v23
	v_mul_f32_e32 v5, v4, v2
	v_fma_f32 v6, -v0, v5, v4
	v_fmac_f32_e32 v5, v6, v2
	v_div_scale_f32 v6, s[4:5], v3, v3, v1
	v_rcp_f32_e32 v7, v6
	v_fma_f32 v0, -v0, v5, v4
	v_div_fmas_f32 v0, v0, v2, v5
	s_mov_b32 s4, 0x800000
	v_fma_f32 v2, -v6, v7, 1.0
	v_fmac_f32_e32 v7, v2, v7
	v_div_scale_f32 v2, vcc, v1, v3, v1
	v_mul_f32_e32 v4, v2, v7
	v_fma_f32 v5, -v6, v4, v2
	v_fmac_f32_e32 v4, v5, v7
	v_fma_f32 v2, -v6, v4, v2
	v_div_fmas_f32 v2, v2, v7, v4
	v_div_fixup_f32 v2, v2, v3, v1
	v_mov_b32_e32 v4, 0x4f800000
	v_cmp_gt_f32_e32 vcc, s4, v2
	v_cndmask_b32_e32 v4, 1.0, v4, vcc
	v_mul_f32_e32 v2, v2, v4
	v_log_f32_e32 v4, v2
	s_mov_b32 s4, 0x3f317217
	v_div_fixup_f32 v2, v0, v24, v23
	v_sub_f32_e32 v0, v1, v3
	v_mul_f32_e32 v5, 0x3f317217, v4
	v_fma_f32 v6, v4, s4, -v5
	v_fmac_f32_e32 v6, 0x3377d1cf, v4
	v_add_f32_e32 v5, v5, v6
	v_cmp_lt_f32_e64 s[4:5], |v4|, s6
	v_cndmask_b32_e64 v4, v4, v5, s[4:5]
	v_mov_b32_e32 v5, 0x41b17218
	v_cndmask_b32_e32 v5, 0, v5, vcc
	v_sub_f32_e32 v4, v4, v5
	v_fma_f32 v25, -v4, v3, v0
	v_mov_b32_e32 v0, 0xbfc00000
	v_cmp_eq_f32_e32 vcc, 1.0, v25
	v_cndmask_b32_e64 v26, v0, 1.0, vcc
	v_frexp_mant_f32_e64 v0, |v25|
	s_mov_b32 s4, 0x3f2aaaab
	v_cmp_gt_f32_e32 vcc, s4, v0
	v_cndmask_b32_e64 v5, 1.0, 2.0, vcc
	v_mul_f32_e32 v0, v0, v5
	v_add_f32_e32 v5, 1.0, v0
	v_rcp_f32_e32 v14, v5
	v_add_f32_e32 v6, -1.0, v5
	v_add_f32_e32 v7, -1.0, v0
	v_sub_f32_e32 v6, v0, v6
	v_mul_f32_e32 v0, v7, v14
	v_mul_f32_e32 v8, v5, v0
	v_fma_f32 v10, v0, v5, -v8
	v_fmac_f32_e32 v10, v0, v6
	v_add_f32_e32 v6, v8, v10
	v_sub_f32_e32 v9, v7, v6
	v_pk_add_f32 v[12:13], v[6:7], v[8:9] neg_lo:[0,1] neg_hi:[0,1]
	v_mov_b32_e32 v11, v6
	v_pk_add_f32 v[6:7], v[12:13], v[10:11] neg_lo:[0,1] neg_hi:[0,1]
	v_add_f32_e32 v5, v6, v7
	v_add_f32_e32 v5, v9, v5
	v_mul_f32_e32 v5, v14, v5
	v_add_f32_e32 v6, v0, v5
	v_sub_f32_e32 v0, v6, v0
	v_sub_f32_e32 v5, v5, v0
	v_mul_f32_e32 v0, v6, v6
	v_fma_f32 v7, v6, v6, -v0
	v_add_f32_e32 v8, v5, v5
	v_fmac_f32_e32 v7, v6, v8
	v_add_f32_e32 v8, v0, v7
	v_mov_b32_e32 v9, 0x3e91f4c4
	v_fmac_f32_e32 v9, 0x3e76c4e1, v8
	v_mov_b32_e32 v10, 0x3ecccdef
	v_fmac_f32_e32 v10, v8, v9
	v_sub_f32_e32 v0, v8, v0
	v_sub_f32_e32 v0, v7, v0
	v_mul_f32_e32 v7, v8, v10
	v_fma_f32 v9, v8, v10, -v7
	v_fmac_f32_e32 v9, v0, v10
	v_add_f32_e32 v10, v7, v9
	v_add_f32_e32 v11, 0x3f2aaaaa, v10
	v_sub_f32_e32 v7, v10, v7
	v_sub_f32_e32 v7, v9, v7
	v_add_f32_e32 v9, 0xbf2aaaaa, v11
	v_add_f32_e32 v7, 0x31739010, v7
	v_sub_f32_e32 v9, v10, v9
	v_pk_mul_f32 v[12:13], v[6:7], v[8:9]
	v_fma_f32 v10, v8, v6, -v12
	v_pk_add_f32 v[14:15], v[6:7], v[8:9]
	v_fmac_f32_e32 v10, v8, v5
	v_mov_b32_e32 v13, v15
	v_fmac_f32_e32 v10, v0, v6
	v_pk_add_f32 v[8:9], v[12:13], v[10:11]
	v_sub_f32_e32 v0, v8, v12
	v_sub_f32_e32 v7, v10, v0
	;; [unrolled: 1-line block ×3, first 2 shown]
	v_add_f32_e32 v13, v15, v0
	v_mov_b32_e32 v0, v9
	v_cvt_f64_f32_e64 v[14:15], |v25|
	v_pk_mul_f32 v[10:11], v[8:9], v[0:1]
	v_frexp_exp_i32_f64_e32 v0, v[14:15]
	v_subbrev_co_u32_e32 v0, vcc, 0, v0, vcc
	v_cvt_f32_i32_e32 v0, v0
	v_fma_f32 v12, v8, v9, -v10
	v_fmac_f32_e32 v12, v8, v13
	s_mov_b32 s4, 0x3f317218
	v_mul_f32_e32 v8, 0x3f317218, v0
	v_fmac_f32_e32 v12, v7, v9
	v_fma_f32 v14, v0, s4, -v8
	v_fmac_f32_e32 v14, 0xb102e308, v0
	v_ldexp_f32 v15, v6, 1
	v_add_f32_e32 v9, v10, v12
	v_pk_add_f32 v[6:7], v[8:9], v[14:15]
	v_mov_b32_e32 v16, v9
	v_mov_b32_e32 v17, v7
	;; [unrolled: 1-line block ×3, first 2 shown]
	v_pk_add_f32 v[10:11], v[16:17], v[10:11] neg_lo:[0,1] neg_hi:[0,1]
	v_mov_b32_e32 v13, v9
	v_ldexp_f32 v0, v5, 1
	v_pk_add_f32 v[10:11], v[12:13], v[10:11] neg_lo:[0,1] neg_hi:[0,1]
	v_add_f32_e32 v0, v0, v10
	v_add_f32_e32 v9, v0, v11
	v_pk_add_f32 v[10:11], v[6:7], v[8:9] neg_lo:[0,1] neg_hi:[0,1]
	v_pk_add_f32 v[12:13], v[6:7], v[8:9]
	v_mov_b32_e32 v16, v10
	v_mov_b32_e32 v17, v13
	;; [unrolled: 1-line block ×3, first 2 shown]
	v_pk_add_f32 v[16:17], v[14:15], v[16:17]
	v_mov_b32_e32 v0, v17
	v_pk_add_f32 v[18:19], v[0:1], v[6:7] neg_lo:[0,1] neg_hi:[0,1]
	v_mov_b32_e32 v5, v18
	v_mov_b32_e32 v16, v13
	;; [unrolled: 1-line block ×4, first 2 shown]
	v_pk_add_f32 v[10:11], v[14:15], v[10:11] neg_lo:[0,1] neg_hi:[0,1]
	v_pk_add_f32 v[20:21], v[12:13], v[4:5] neg_lo:[0,1] neg_hi:[0,1]
	;; [unrolled: 1-line block ×3, first 2 shown]
	v_mov_b32_e32 v14, v9
	v_pk_add_f32 v[6:7], v[14:15], v[6:7] neg_lo:[0,1] neg_hi:[0,1]
	v_mov_b32_e32 v20, v10
	v_pk_add_f32 v[8:9], v[20:21], v[6:7]
	v_mov_b32_e32 v12, v9
	v_pk_add_f32 v[12:13], v[8:9], v[12:13]
	v_pk_add_f32 v[14:15], v[0:1], v[12:13]
	v_mov_b32_e32 v11, v17
	v_mov_b32_e32 v9, v14
	v_pk_add_f32 v[16:17], v[8:9], v[10:11] neg_lo:[0,1] neg_hi:[0,1]
	v_mov_b32_e32 v7, v12
	v_sub_f32_e32 v0, v8, v16
	v_pk_add_f32 v[6:7], v[6:7], v[16:17] neg_lo:[0,1] neg_hi:[0,1]
	v_sub_f32_e32 v0, v10, v0
	v_add_f32_e32 v0, v6, v0
	v_add_f32_e32 v0, v0, v7
	;; [unrolled: 1-line block ×3, first 2 shown]
	v_sub_f32_e32 v6, v5, v14
	v_sub_f32_e32 v0, v0, v6
	v_mul_f32_e32 v6, v26, v5
	v_fma_f32 v5, v26, v5, -v6
	v_fmac_f32_e32 v5, v26, v0
	v_add_f32_e32 v0, v6, v5
	v_cmp_class_f32_e64 vcc, v6, s7
	v_sub_f32_e32 v7, v0, v6
	v_cndmask_b32_e32 v0, v0, v6, vcc
	s_mov_b32 s4, 0x42b17218
	v_mov_b32_e32 v6, 0x37000000
	v_cmp_eq_f32_e32 vcc, s4, v0
	v_cndmask_b32_e32 v6, 0, v6, vcc
	v_sub_f32_e32 v5, v5, v7
	v_sub_f32_e32 v7, v0, v6
	s_mov_b32 s5, 0x3fb8aa3b
	v_mul_f32_e32 v8, 0x3fb8aa3b, v7
	v_fma_f32 v9, v7, s5, -v8
	v_rndne_f32_e32 v10, v8
	v_fmac_f32_e32 v9, 0x32a5705f, v7
	v_sub_f32_e32 v8, v8, v10
	v_add_f32_e32 v8, v8, v9
	v_exp_f32_e32 v8, v8
	v_cvt_i32_f32_e32 v9, v10
	v_cmp_neq_f32_e64 vcc, |v0|, s6
	s_mov_b32 s5, 0xc2ce8ed0
	v_cndmask_b32_e32 v0, 0, v5, vcc
	v_ldexp_f32 v5, v8, v9
	v_cmp_ngt_f32_e32 vcc, s5, v7
	v_add_f32_e32 v0, v6, v0
	v_cndmask_b32_e32 v5, 0, v5, vcc
	v_mov_b32_e32 v6, 0x7f800000
	v_cmp_nlt_f32_e32 vcc, s4, v7
	v_cndmask_b32_e32 v5, v6, v5, vcc
	v_fma_f32 v0, v5, v0, v5
	v_cmp_class_f32_e64 vcc, v5, s7
	v_cndmask_b32_e32 v0, v0, v5, vcc
	v_trunc_f32_e32 v5, v26
	v_cmp_eq_f32_e32 vcc, v5, v26
	v_mul_f32_e32 v5, 0.5, v26
	v_trunc_f32_e32 v8, v5
	v_cmp_neq_f32_e64 s[4:5], v8, v5
	s_and_b64 s[4:5], vcc, s[4:5]
	v_cndmask_b32_e64 v5, 1.0, v25, s[4:5]
	v_mov_b32_e32 v7, 0x7fc00000
	v_bfi_b32 v0, s15, v0, v5
	v_cndmask_b32_e32 v5, v7, v0, vcc
	v_cmp_gt_f32_e32 vcc, 0, v25
	v_cndmask_b32_e32 v0, v0, v5, vcc
	v_cmp_class_f32_e64 s[16:17], v25, s7
	v_cmp_eq_f32_e32 vcc, 0, v25
	v_cmp_gt_f32_e64 s[6:7], 0, v26
	s_xor_b64 s[6:7], vcc, s[6:7]
	v_cndmask_b32_e64 v5, v6, 0, s[6:7]
	v_cndmask_b32_e64 v6, 0, v25, s[4:5]
	v_div_scale_f32 v8, s[4:5], v3, v3, 2.0
	v_rcp_f32_e32 v9, v8
	v_bfi_b32 v5, s15, v5, v6
	s_or_b64 vcc, vcc, s[16:17]
	v_cndmask_b32_e32 v0, v0, v5, vcc
	v_fma_f32 v5, -v8, v9, 1.0
	v_fmac_f32_e32 v9, v5, v9
	v_div_scale_f32 v5, vcc, 2.0, v3, 2.0
	v_mul_f32_e32 v6, v5, v9
	v_fma_f32 v10, -v8, v6, v5
	v_fmac_f32_e32 v6, v10, v9
	v_fma_f32 v5, -v8, v6, v5
	v_div_fmas_f32 v5, v5, v9, v6
	v_div_fixup_f32 v5, v5, v3, 2.0
	v_mul_f32_e32 v6, 0x4f800000, v5
	v_cmp_gt_f32_e32 vcc, s14, v5
	v_cndmask_b32_e32 v5, v5, v6, vcc
	v_sqrt_f32_e32 v6, v5
	v_cmp_o_f32_e64 s[4:5], v25, v25
	v_cndmask_b32_e64 v0, v7, v0, s[4:5]
	v_cmp_lt_f32_e64 s[4:5], v1, v3
	v_add_u32_e32 v7, -1, v6
	v_fma_f32 v8, -v7, v6, v5
	v_cndmask_b32_e64 v0, v0, -v0, s[4:5]
	v_cmp_ge_f32_e64 s[4:5], 0, v8
	v_add_u32_e32 v8, 1, v6
	v_cndmask_b32_e64 v7, v6, v7, s[4:5]
	v_fma_f32 v6, -v8, v6, v5
	v_cmp_lt_f32_e64 s[4:5], 0, v6
	v_cndmask_b32_e64 v6, v7, v8, s[4:5]
	v_mul_f32_e32 v7, 0x37800000, v6
	v_cndmask_b32_e32 v6, v6, v7, vcc
	v_cmp_class_f32_e32 vcc, v5, v22
	v_cndmask_b32_e32 v5, v6, v5, vcc
	v_pk_add_f32 v[6:7], v[2:3], v[0:1]
	v_pk_mul_f32 v[4:5], v[4:5], v[6:7]
	v_mul_f32_e32 v6, v24, v24
	v_div_scale_f32 v0, s[4:5], v6, v6, v5
	v_rcp_f32_e32 v7, v0
	s_mov_b32 s4, 0x41400000
	s_mov_b32 s5, 0x41c00000
	v_fma_f32 v2, -v0, v7, 1.0
	v_fmac_f32_e32 v7, v2, v7
	v_div_scale_f32 v2, vcc, v5, v6, v5
	v_mul_f32_e32 v8, v2, v7
	v_fma_f32 v9, -v0, v8, v2
	v_fmac_f32_e32 v8, v9, v7
	v_fma_f32 v9, -v0, v8, v2
	v_mov_b32_e32 v0, v3
	v_pk_mul_f32 v[2:3], v[0:1], s[4:5] op_sel_hi:[0,1]
	v_div_scale_f32 v0, s[4:5], v2, v2, 1.0
	v_rcp_f32_e32 v10, v0
	v_div_fmas_f32 v7, v9, v7, v8
	v_div_fixup_f32 v5, v7, v6, v5
	v_sub_f32_e32 v4, v4, v5
	v_fma_f32 v5, -v0, v10, 1.0
	v_fmac_f32_e32 v10, v5, v10
	v_div_scale_f32 v5, vcc, 1.0, v2, 1.0
	v_mul_f32_e32 v6, v5, v10
	v_fma_f32 v7, -v0, v6, v5
	v_fmac_f32_e32 v6, v7, v10
	v_fma_f32 v0, -v0, v6, v5
	v_div_scale_f32 v5, s[4:5], v3, v3, 1.0
	v_rcp_f32_e32 v7, v5
	v_div_fmas_f32 v0, v0, v10, v6
	v_div_fixup_f32 v0, v0, v2, 1.0
	v_mul_f32_e32 v1, v4, v1
	v_fma_f32 v2, -v5, v7, 1.0
	v_fmac_f32_e32 v7, v2, v7
	v_div_scale_f32 v2, vcc, 1.0, v3, 1.0
	v_mul_f32_e32 v6, v2, v7
	v_fma_f32 v8, -v5, v6, v2
	v_fmac_f32_e32 v6, v8, v7
	v_fma_f32 v2, -v5, v6, v2
	v_div_fmas_f32 v2, v2, v7, v6
	v_div_fixup_f32 v2, v2, v3, 1.0
	v_add_f32_e32 v2, 1.0, v2
	v_fma_f32 v0, v0, v2, 1.0
	v_mul_f32_e64 v0, v1, -v0
	v_div_scale_f32 v1, s[4:5], v23, v23, v0
	v_rcp_f32_e32 v2, v1
	v_fma_f32 v3, -v1, v2, 1.0
	v_fmac_f32_e32 v2, v3, v2
	v_div_scale_f32 v3, vcc, v0, v23, v0
	v_mul_f32_e32 v4, v3, v2
	v_fma_f32 v5, -v1, v4, v3
	v_fmac_f32_e32 v4, v5, v2
	v_fma_f32 v1, -v1, v4, v3
	v_div_fmas_f32 v1, v1, v2, v4
	v_div_fixup_f32 v0, v1, v23, v0
	v_mov_b32_e32 v2, 0x7fc0
.LBB205_8:
	s_or_b64 exec, exec, s[12:13]
.LBB205_9:
	s_or_b64 exec, exec, s[10:11]
                                        ; implicit-def: $vgpr3
                                        ; implicit-def: $vgpr1
.LBB205_10:
	s_andn2_saveexec_b64 s[12:13], s[8:9]
	s_cbranch_execz .LBB205_34
; %bb.11:
	v_cmp_neq_f32_e32 vcc, 0, v3
	v_mov_b32_e32 v0, 0x7f800000
	v_mov_b32_e32 v2, 0x7f800000
	s_and_saveexec_b64 s[10:11], vcc
	s_cbranch_execz .LBB205_33
; %bb.12:
	v_cmp_gt_f32_e32 vcc, 0, v3
	s_mov_b64 s[4:5], -1
	v_mov_b32_e32 v4, 0
	v_mov_b32_e32 v5, v3
                                        ; implicit-def: $sgpr6
	s_and_saveexec_b64 s[14:15], vcc
	s_cbranch_execz .LBB205_20
; %bb.13:
	v_floor_f32_e32 v2, v3
	v_cmp_neq_f32_e32 vcc, v2, v3
	s_mov_b64 s[4:5], 0
	v_mov_b32_e32 v4, 0
                                        ; implicit-def: $vgpr5
	s_and_saveexec_b64 s[16:17], vcc
	s_cbranch_execz .LBB205_19
; %bb.14:
	v_mul_f32_e32 v2, 0x40490fdb, v3
	s_brev_b32 s4, 18
	v_and_b32_e32 v4, 0x7fffffff, v2
	v_cmp_nlt_f32_e64 s[4:5], |v2|, s4
                                        ; implicit-def: $vgpr6
                                        ; implicit-def: $vgpr5
	s_and_saveexec_b64 s[6:7], s[4:5]
	s_xor_b64 s[18:19], exec, s[6:7]
	s_cbranch_execz .LBB205_16
; %bb.15:
	v_lshrrev_b32_e32 v5, 23, v4
	v_add_u32_e32 v5, 0xffffff88, v5
	v_not_b32_e32 v6, 63
	v_cmp_lt_u32_e32 vcc, 63, v5
	v_cndmask_b32_e32 v6, 0, v6, vcc
	v_add_u32_e32 v5, v6, v5
	v_not_b32_e32 v6, 31
	v_cmp_lt_u32_e64 s[4:5], 31, v5
	v_cndmask_b32_e64 v8, 0, v6, s[4:5]
	v_add_u32_e32 v5, v8, v5
	v_cmp_lt_u32_e64 s[6:7], 31, v5
	v_cndmask_b32_e64 v6, 0, v6, s[6:7]
	v_add_u32_e32 v5, v6, v5
	v_and_b32_e32 v6, 0x7fffff, v4
	v_or_b32_e32 v20, 0x800000, v6
	s_mov_b32 s8, 0xfe5163ab
	v_mad_u64_u32 v[8:9], s[8:9], v20, s8, 0
	v_mov_b32_e32 v7, 0
	v_mov_b32_e32 v6, v9
	s_mov_b32 s8, 0x3c439041
	v_mad_u64_u32 v[10:11], s[8:9], v20, s8, v[6:7]
	v_mov_b32_e32 v6, v11
	s_mov_b32 s8, 0xdb629599
	v_mad_u64_u32 v[12:13], s[8:9], v20, s8, v[6:7]
	;; [unrolled: 3-line block ×6, first 2 shown]
	v_cndmask_b32_e32 v9, v18, v14, vcc
	v_cndmask_b32_e32 v6, v6, v16, vcc
	;; [unrolled: 1-line block ×3, first 2 shown]
	v_cndmask_b32_e64 v11, v6, v9, s[4:5]
	v_cndmask_b32_e64 v6, v7, v6, s[4:5]
	v_cndmask_b32_e32 v7, v16, v12, vcc
	v_cndmask_b32_e64 v9, v9, v7, s[4:5]
	v_sub_u32_e32 v13, 32, v5
	v_cmp_eq_u32_e64 s[8:9], 0, v5
	v_cndmask_b32_e32 v5, v14, v10, vcc
	v_cndmask_b32_e64 v6, v6, v11, s[6:7]
	v_cndmask_b32_e64 v11, v11, v9, s[6:7]
	;; [unrolled: 1-line block ×3, first 2 shown]
	v_alignbit_b32 v15, v6, v11, v13
	v_cndmask_b32_e64 v9, v9, v7, s[6:7]
	v_cndmask_b32_e64 v6, v15, v6, s[8:9]
	v_alignbit_b32 v10, v11, v9, v13
	v_cndmask_b32_e32 v8, v12, v8, vcc
	v_cndmask_b32_e64 v10, v10, v11, s[8:9]
	v_bfe_u32 v15, v6, 29, 1
	v_cndmask_b32_e64 v5, v5, v8, s[4:5]
	v_alignbit_b32 v11, v6, v10, 30
	v_sub_u32_e32 v16, 0, v15
	v_cndmask_b32_e64 v5, v7, v5, s[6:7]
	v_xor_b32_e32 v17, v11, v16
	v_alignbit_b32 v7, v9, v5, v13
	v_cndmask_b32_e64 v7, v7, v9, s[8:9]
	v_ffbh_u32_e32 v9, v17
	v_add_u32_e32 v9, 1, v9
	v_cmp_ne_u32_e32 vcc, v11, v16
	v_alignbit_b32 v8, v10, v7, 30
	v_cndmask_b32_e32 v9, 33, v9, vcc
	v_alignbit_b32 v5, v7, v5, 30
	v_xor_b32_e32 v8, v8, v16
	v_sub_u32_e32 v10, 32, v9
	v_xor_b32_e32 v5, v5, v16
	v_alignbit_b32 v11, v17, v8, v10
	v_alignbit_b32 v5, v8, v5, v10
	;; [unrolled: 1-line block ×3, first 2 shown]
	v_ffbh_u32_e32 v8, v7
	v_min_u32_e32 v8, 32, v8
	v_lshrrev_b32_e32 v14, 29, v6
	v_sub_u32_e32 v10, 31, v8
	v_alignbit_b32 v5, v7, v5, v10
	v_lshlrev_b32_e32 v7, 31, v14
	v_or_b32_e32 v10, 0x33800000, v7
	v_add_lshl_u32 v8, v8, v9, 23
	v_lshrrev_b32_e32 v5, 9, v5
	v_sub_u32_e32 v8, v10, v8
	v_or_b32_e32 v5, v8, v5
	v_alignbit_b32 v8, v9, v11, 9
	v_or_b32_e32 v7, v8, v7
	v_xor_b32_e32 v7, 1.0, v7
	s_mov_b32 s4, 0x3fc90fda
	v_mul_f32_e32 v8, 0x3fc90fda, v7
	v_fma_f32 v9, v7, s4, -v8
	v_fmac_f32_e32 v9, 0x33a22168, v7
	v_fmac_f32_e32 v9, 0x3fc90fda, v5
	v_lshrrev_b32_e32 v6, 30, v6
	v_add_f32_e32 v5, v8, v9
	v_add_u32_e32 v6, v15, v6
.LBB205_16:
	s_andn2_saveexec_b64 s[4:5], s[18:19]
; %bb.17:
	s_mov_b32 s6, 0x3f22f983
	v_mul_f32_e64 v5, |v2|, s6
	v_rndne_f32_e32 v7, v5
	s_mov_b32 s6, 0xbfc90fda
	v_cvt_i32_f32_e32 v6, v7
	v_fma_f32 v5, v7, s6, |v2|
	v_fmac_f32_e32 v5, 0xb3a22168, v7
	v_fmac_f32_e32 v5, 0xa7c234c4, v7
; %bb.18:
	s_or_b64 exec, exec, s[4:5]
	v_mul_f32_e32 v7, v5, v5
	v_mov_b32_e32 v8, 0xbf039337
	v_fmac_f32_e32 v8, 0x3c971480, v7
	v_mov_b32_e32 v9, 0x3f93f425
	v_fmac_f32_e32 v9, v7, v8
	v_rcp_f32_e32 v8, v9
	v_mov_b32_e32 v9, 0x3ec54587
	v_fmac_f32_e32 v9, 0xbc8cedd3, v7
	v_and_b32_e32 v6, 1, v6
	v_mul_f32_e32 v8, v9, v8
	v_mul_f32_e32 v7, v7, v8
	v_fma_f32 v8, v7, v5, v5
	v_rcp_f32_e32 v9, v8
	v_sub_f32_e32 v10, v8, v5
	v_fma_f32 v5, v7, v5, -v10
	v_cmp_eq_u32_e32 vcc, 0, v6
	v_fma_f32 v7, v8, -v9, 1.0
	v_fma_f32 v5, v5, -v9, v7
	v_fma_f32 v5, v5, -v9, -v9
	v_cndmask_b32_e32 v5, v5, v8, vcc
	v_xor_b32_e32 v4, v4, v2
	v_xor_b32_e32 v4, v4, v5
	s_mov_b32 s8, 0xc0490fdb
	v_div_scale_f32 v5, s[6:7], v4, v4, s8
	v_rcp_f32_e32 v6, v5
	s_movk_i32 s6, 0x1f8
	s_mov_b64 s[4:5], exec
	v_fma_f32 v7, -v5, v6, 1.0
	v_fmac_f32_e32 v6, v7, v6
	v_div_scale_f32 v7, vcc, s8, v4, s8
	v_mul_f32_e32 v8, v7, v6
	v_fma_f32 v9, -v5, v8, v7
	v_fmac_f32_e32 v8, v9, v6
	v_fma_f32 v5, -v5, v8, v7
	v_div_fmas_f32 v5, v5, v6, v8
	v_div_fixup_f32 v4, v5, v4, s8
	v_mov_b32_e32 v5, 0x7fc00000
	v_cmp_class_f32_e64 vcc, v2, s6
	v_cndmask_b32_e32 v4, v5, v4, vcc
	v_sub_f32_e32 v5, 1.0, v3
.LBB205_19:
	s_or_b64 exec, exec, s[16:17]
	s_mov_b32 s6, 0x7f800000
	s_orn2_b64 s[4:5], s[4:5], exec
.LBB205_20:
	s_or_b64 exec, exec, s[14:15]
	v_mov_b32_e32 v2, s6
	s_and_saveexec_b64 s[6:7], s[4:5]
	s_cbranch_execz .LBB205_32
; %bb.21:
	s_mov_b32 s14, 0x41200000
	v_cmp_gt_f32_e32 vcc, s14, v5
	v_mov_b32_e32 v2, 0
	s_and_saveexec_b64 s[4:5], vcc
	s_cbranch_execz .LBB205_25
; %bb.22:
	s_mov_b64 s[8:9], 0
	v_mov_b32_e32 v2, 0
.LBB205_23:                             ; =>This Inner Loop Header: Depth=1
	v_div_scale_f32 v6, s[16:17], v5, v5, 1.0
	v_rcp_f32_e32 v7, v6
	v_div_scale_f32 v8, vcc, 1.0, v5, 1.0
	v_fma_f32 v9, -v6, v7, 1.0
	v_fmac_f32_e32 v7, v9, v7
	v_mul_f32_e32 v9, v8, v7
	v_fma_f32 v10, -v6, v9, v8
	v_fmac_f32_e32 v9, v10, v7
	v_fma_f32 v6, -v6, v9, v8
	v_div_fmas_f32 v6, v6, v7, v9
	v_div_fixup_f32 v6, v6, v5, 1.0
	v_add_f32_e32 v5, 1.0, v5
	v_cmp_ngt_f32_e32 vcc, s14, v5
	s_or_b64 s[8:9], vcc, s[8:9]
	v_sub_f32_e32 v2, v2, v6
	s_andn2_b64 exec, exec, s[8:9]
	s_cbranch_execnz .LBB205_23
; %bb.24:
	s_or_b64 exec, exec, s[8:9]
.LBB205_25:
	s_or_b64 exec, exec, s[4:5]
	s_mov_b32 s4, 0x41200000
	v_cmp_neq_f32_e32 vcc, s4, v5
                                        ; implicit-def: $vgpr6
	s_and_saveexec_b64 s[4:5], vcc
	s_xor_b64 s[8:9], exec, s[4:5]
	s_cbranch_execz .LBB205_29
; %bb.26:
	s_mov_b32 s4, 0x5bb1a2bc
	v_cmp_gt_f32_e32 vcc, s4, v5
	v_mov_b32_e32 v6, 0
	s_and_saveexec_b64 s[4:5], vcc
	s_cbranch_execz .LBB205_28
; %bb.27:
	v_mul_f32_e32 v6, v5, v5
	v_div_scale_f32 v7, s[14:15], v6, v6, 1.0
	v_rcp_f32_e32 v8, v7
	v_div_scale_f32 v9, vcc, 1.0, v6, 1.0
	v_fma_f32 v10, -v7, v8, 1.0
	v_fmac_f32_e32 v8, v10, v8
	v_mul_f32_e32 v10, v9, v8
	v_fma_f32 v11, -v7, v10, v9
	v_fmac_f32_e32 v10, v11, v8
	v_fma_f32 v7, -v7, v10, v9
	v_div_fmas_f32 v7, v7, v8, v10
	v_div_fixup_f32 v6, v7, v6, 1.0
	v_mov_b32_e32 v7, 0x3daaaaab
	v_fma_f32 v8, 0, v6, v7
	v_mov_b32_e32 v9, 0xbcaccacd
	v_fmac_f32_e32 v9, v6, v8
	v_mov_b32_e32 v8, 0x3bf83e10
	v_fmac_f32_e32 v8, v6, v9
	;; [unrolled: 2-line block ×5, first 2 shown]
	v_fmac_f32_e32 v7, v6, v9
	v_mul_f32_e32 v6, v6, v7
.LBB205_28:
	s_or_b64 exec, exec, s[4:5]
	s_mov_b32 s4, 0x800000
	v_mov_b32_e32 v7, 0x4f800000
	v_cmp_gt_f32_e32 vcc, s4, v5
	v_cndmask_b32_e32 v7, 1.0, v7, vcc
	v_mul_f32_e32 v7, v5, v7
	v_log_f32_e32 v7, v7
	s_mov_b32 s4, 0x3f317217
	v_mul_f32_e32 v8, 0x3f317217, v7
	v_fma_f32 v9, v7, s4, -v8
	v_fmac_f32_e32 v9, 0x3377d1cf, v7
	s_mov_b32 s4, 0x7f800000
	v_add_f32_e32 v8, v8, v9
	v_cmp_lt_f32_e64 s[4:5], |v7|, s4
	v_cndmask_b32_e64 v7, v7, v8, s[4:5]
	v_div_scale_f32 v9, s[4:5], v5, v5, -0.5
	v_rcp_f32_e32 v10, v9
	v_mov_b32_e32 v8, 0x41b17218
	v_cndmask_b32_e32 v8, 0, v8, vcc
	v_sub_f32_e32 v7, v7, v8
	v_add_f32_e32 v2, v2, v7
	v_fma_f32 v7, -v9, v10, 1.0
	v_fmac_f32_e32 v10, v7, v10
	v_div_scale_f32 v7, vcc, -0.5, v5, -0.5
	v_mul_f32_e32 v8, v7, v10
	v_fma_f32 v11, -v9, v8, v7
	v_fmac_f32_e32 v8, v11, v10
	v_fma_f32 v7, -v9, v8, v7
	v_div_fmas_f32 v7, v7, v10, v8
	v_div_fixup_f32 v5, v7, v5, -0.5
	v_add_f32_e32 v2, v2, v5
	v_sub_f32_e32 v6, v2, v6
                                        ; implicit-def: $vgpr2
.LBB205_29:
	s_andn2_saveexec_b64 s[4:5], s[8:9]
; %bb.30:
	v_add_f32_e32 v6, 0x40101cb7, v2
; %bb.31:
	s_or_b64 exec, exec, s[4:5]
	v_add_f32_e32 v2, v4, v6
.LBB205_32:
	s_or_b64 exec, exec, s[6:7]
.LBB205_33:
	s_or_b64 exec, exec, s[10:11]
	v_div_scale_f32 v4, s[4:5], v3, v3, 1.0
	v_rcp_f32_e32 v5, v4
	v_div_scale_f32 v6, vcc, 1.0, v3, 1.0
	s_mov_b32 s6, 0xc0400000
	v_fma_f32 v7, -v4, v5, 1.0
	v_fmac_f32_e32 v5, v7, v5
	v_mul_f32_e32 v7, v6, v5
	v_fma_f32 v8, -v4, v7, v6
	v_fmac_f32_e32 v7, v8, v5
	v_fma_f32 v4, -v4, v7, v6
	v_mul_f32_e32 v6, v3, v3
	v_div_scale_f32 v8, s[4:5], v6, v6, 1.0
	v_rcp_f32_e32 v9, v8
	v_div_fmas_f32 v4, v4, v5, v7
	v_div_fixup_f32 v4, v4, v3, 1.0
	s_mov_b32 s18, 0x3f2aaaab
	v_fma_f32 v5, -v8, v9, 1.0
	v_fmac_f32_e32 v9, v5, v9
	v_div_scale_f32 v5, vcc, 1.0, v6, 1.0
	v_mul_f32_e32 v7, v5, v9
	v_fma_f32 v10, -v8, v7, v5
	v_fmac_f32_e32 v7, v10, v9
	v_fma_f32 v5, -v8, v7, v5
	v_add_f32_e32 v8, 1.0, v3
	v_div_scale_f32 v10, s[4:5], v8, v8, v1
	v_rcp_f32_e32 v11, v10
	v_div_fmas_f32 v5, v5, v9, v7
	v_div_fixup_f32 v5, v5, v6, 1.0
	v_mov_b32_e32 v25, 0x3ecccdef
	v_fma_f32 v6, -v10, v11, 1.0
	v_fmac_f32_e32 v11, v6, v11
	v_div_scale_f32 v6, vcc, v1, v8, v1
	v_mul_f32_e32 v7, v6, v11
	v_fma_f32 v9, -v10, v7, v6
	v_fmac_f32_e32 v7, v9, v11
	v_mul_f32_e32 v9, v8, v8
	v_fma_f32 v6, -v10, v7, v6
	v_div_scale_f32 v10, s[4:5], v9, v9, v1
	v_rcp_f32_e32 v12, v10
	v_div_fmas_f32 v6, v6, v11, v7
	v_div_fixup_f32 v6, v6, v8, v1
	v_sub_f32_e32 v4, v4, v6
	v_fma_f32 v6, -v10, v12, 1.0
	v_fmac_f32_e32 v12, v6, v12
	v_div_scale_f32 v6, vcc, v1, v9, v1
	v_mul_f32_e32 v7, v6, v12
	v_fma_f32 v11, -v10, v7, v6
	v_fmac_f32_e32 v7, v11, v12
	v_fma_f32 v6, -v10, v7, v6
	v_mul_f32_e32 v10, 0.5, v1
	v_mul_f32_e32 v10, v10, v1
	v_add_f32_e32 v8, 1.0, v8
	v_div_scale_f32 v11, s[4:5], v8, v8, v10
	v_rcp_f32_e32 v13, v11
	v_div_fmas_f32 v6, v6, v12, v7
	v_div_fixup_f32 v6, v6, v9, v1
	v_sub_f32_e32 v5, v5, v6
	v_fma_f32 v6, -v11, v13, 1.0
	v_fmac_f32_e32 v13, v6, v13
	v_div_scale_f32 v6, vcc, v10, v8, v10
	v_mul_f32_e32 v7, v6, v13
	v_fma_f32 v9, -v11, v7, v6
	v_fmac_f32_e32 v7, v9, v13
	v_mul_f32_e32 v9, v8, v8
	v_fma_f32 v6, -v11, v7, v6
	v_div_scale_f32 v11, s[4:5], v9, v9, v10
	v_rcp_f32_e32 v12, v11
	v_div_fmas_f32 v6, v6, v13, v7
	v_div_fixup_f32 v6, v6, v8, v10
	v_add_f32_e32 v8, 1.0, v8
	v_fma_f32 v7, -v11, v12, 1.0
	v_fmac_f32_e32 v12, v7, v12
	v_div_scale_f32 v7, vcc, v10, v9, v10
	v_mul_f32_e32 v13, v7, v12
	v_fma_f32 v14, -v11, v13, v7
	v_fmac_f32_e32 v13, v14, v12
	v_div_scale_f32 v14, s[4:5], s6, s6, v1
	v_rcp_f32_e32 v15, v14
	v_fma_f32 v7, -v11, v13, v7
	v_div_fmas_f32 v7, v7, v12, v13
	v_add_f32_e32 v4, v4, v6
	v_fma_f32 v11, -v14, v15, 1.0
	v_fmac_f32_e32 v15, v11, v15
	v_div_scale_f32 v11, vcc, v1, s6, v1
	v_mul_f32_e32 v12, v11, v15
	v_fma_f32 v13, -v14, v12, v11
	v_fmac_f32_e32 v12, v13, v15
	v_fma_f32 v11, -v14, v12, v11
	v_div_fmas_f32 v11, v11, v15, v12
	v_div_fixup_f32 v11, v11, s6, v1
	v_mul_f32_e32 v11, v11, v10
	v_div_scale_f32 v12, s[4:5], v8, v8, v11
	v_rcp_f32_e32 v13, v12
	v_div_fixup_f32 v6, v7, v9, v10
	v_add_f32_e32 v5, v5, v6
	s_mov_b32 s6, 0xc0a00000
	v_fma_f32 v6, -v12, v13, 1.0
	v_fmac_f32_e32 v13, v6, v13
	v_div_scale_f32 v6, vcc, v11, v8, v11
	v_mul_f32_e32 v7, v6, v13
	v_fma_f32 v9, -v12, v7, v6
	v_fmac_f32_e32 v7, v9, v13
	v_mul_f32_e32 v9, v8, v8
	v_div_scale_f32 v10, s[4:5], v9, v9, v11
	v_fma_f32 v6, -v12, v7, v6
	v_rcp_f32_e32 v12, v10
	v_div_fmas_f32 v6, v6, v13, v7
	v_div_fixup_f32 v6, v6, v8, v11
	v_add_f32_e32 v4, v4, v6
	v_fma_f32 v6, -v10, v12, 1.0
	v_fmac_f32_e32 v12, v6, v12
	v_div_scale_f32 v6, vcc, v11, v9, v11
	v_mul_f32_e32 v7, v6, v12
	v_fma_f32 v13, -v10, v7, v6
	v_fmac_f32_e32 v7, v13, v12
	v_fma_f32 v6, -v10, v7, v6
	v_mul_f32_e32 v10, 0xbe800000, v1
	v_mul_f32_e32 v10, v10, v11
	v_add_f32_e32 v8, 1.0, v8
	v_div_scale_f32 v13, s[4:5], v8, v8, v10
	v_rcp_f32_e32 v14, v13
	v_div_fmas_f32 v6, v6, v12, v7
	v_div_fixup_f32 v6, v6, v9, v11
	v_add_f32_e32 v5, v5, v6
	v_fma_f32 v6, -v13, v14, 1.0
	v_fmac_f32_e32 v14, v6, v14
	v_div_scale_f32 v6, vcc, v10, v8, v10
	v_mul_f32_e32 v7, v6, v14
	v_fma_f32 v9, -v13, v7, v6
	v_fmac_f32_e32 v7, v9, v14
	v_mul_f32_e32 v9, v8, v8
	v_div_scale_f32 v11, s[4:5], v9, v9, v10
	v_rcp_f32_e32 v12, v11
	v_fma_f32 v6, -v13, v7, v6
	v_div_fmas_f32 v6, v6, v14, v7
	v_div_fixup_f32 v6, v6, v8, v10
	v_fma_f32 v7, -v11, v12, 1.0
	v_fmac_f32_e32 v12, v7, v12
	v_div_scale_f32 v7, vcc, v10, v9, v10
	v_mul_f32_e32 v13, v7, v12
	v_fma_f32 v14, -v11, v13, v7
	v_fmac_f32_e32 v13, v14, v12
	v_div_scale_f32 v14, s[4:5], s6, s6, v1
	v_rcp_f32_e32 v15, v14
	v_fma_f32 v7, -v11, v13, v7
	v_div_fmas_f32 v7, v7, v12, v13
	v_add_f32_e32 v8, 1.0, v8
	v_fma_f32 v11, -v14, v15, 1.0
	v_fmac_f32_e32 v15, v11, v15
	v_div_scale_f32 v11, vcc, v1, s6, v1
	v_mul_f32_e32 v12, v11, v15
	v_fma_f32 v13, -v14, v12, v11
	v_fmac_f32_e32 v12, v13, v15
	v_fma_f32 v11, -v14, v12, v11
	v_div_fmas_f32 v11, v11, v15, v12
	v_div_fixup_f32 v11, v11, s6, v1
	v_mul_f32_e32 v11, v11, v10
	v_div_scale_f32 v12, s[4:5], v8, v8, v11
	v_rcp_f32_e32 v13, v12
	v_add_f32_e32 v4, v4, v6
	v_div_fixup_f32 v6, v7, v9, v10
	v_add_f32_e32 v5, v5, v6
	v_fma_f32 v6, -v12, v13, 1.0
	v_fmac_f32_e32 v13, v6, v13
	v_div_scale_f32 v6, vcc, v11, v8, v11
	v_mul_f32_e32 v7, v6, v13
	v_fma_f32 v9, -v12, v7, v6
	v_fmac_f32_e32 v7, v9, v13
	v_mul_f32_e32 v9, v8, v8
	v_div_scale_f32 v10, s[4:5], v9, v9, v11
	v_fma_f32 v6, -v12, v7, v6
	v_rcp_f32_e32 v12, v10
	v_div_fmas_f32 v6, v6, v13, v7
	v_div_fixup_f32 v6, v6, v8, v11
	v_add_f32_e32 v4, v4, v6
	v_fma_f32 v6, -v10, v12, 1.0
	v_fmac_f32_e32 v12, v6, v12
	v_div_scale_f32 v6, vcc, v11, v9, v11
	v_mul_f32_e32 v7, v6, v12
	v_fma_f32 v8, -v10, v7, v6
	v_fmac_f32_e32 v7, v8, v12
	v_fma_f32 v6, -v10, v7, v6
	v_div_fmas_f32 v6, v6, v12, v7
	v_cmp_eq_f32_e32 vcc, 1.0, v1
	v_cndmask_b32_e64 v22, v3, 1.0, vcc
	v_cmp_eq_f32_e64 s[4:5], 0, v22
	v_div_fixup_f32 v6, v6, v9, v11
	v_cndmask_b32_e64 v23, |v1|, 1.0, s[4:5]
	v_add_f32_e32 v5, v5, v6
	v_frexp_mant_f32_e32 v6, v23
	v_cmp_gt_f32_e64 s[6:7], s18, v6
	v_cndmask_b32_e64 v7, 1.0, 2.0, s[6:7]
	v_mul_f32_e32 v6, v6, v7
	v_add_f32_e32 v9, 1.0, v6
	v_rcp_f32_e32 v14, v9
	v_add_f32_e32 v7, -1.0, v9
	v_sub_f32_e32 v11, v6, v7
	v_add_f32_e32 v7, -1.0, v6
	v_mul_f32_e32 v15, v7, v14
	v_mul_f32_e32 v8, v9, v15
	v_fma_f32 v10, v15, v9, -v8
	v_fmac_f32_e32 v10, v15, v11
	v_add_f32_e32 v6, v8, v10
	v_sub_f32_e32 v9, v7, v6
	v_pk_add_f32 v[12:13], v[6:7], v[8:9] neg_lo:[0,1] neg_hi:[0,1]
	v_mov_b32_e32 v11, v6
	v_pk_add_f32 v[6:7], v[12:13], v[10:11] neg_lo:[0,1] neg_hi:[0,1]
	v_add_f32_e32 v6, v6, v7
	v_add_f32_e32 v6, v9, v6
	v_mul_f32_e32 v7, v14, v6
	v_add_f32_e32 v6, v15, v7
	v_sub_f32_e32 v8, v6, v15
	v_sub_f32_e32 v16, v7, v8
	v_mul_f32_e32 v7, v6, v6
	v_fma_f32 v9, v6, v6, -v7
	v_add_f32_e32 v8, v16, v16
	v_fmac_f32_e32 v9, v6, v8
	v_add_f32_e32 v8, v7, v9
	v_mov_b32_e32 v10, 0x3e91f4c4
	v_fmac_f32_e32 v10, 0x3e76c4e1, v8
	v_fma_f32 v10, v8, v10, v25
	v_sub_f32_e32 v7, v8, v7
	v_sub_f32_e32 v17, v9, v7
	v_mul_f32_e32 v7, v8, v10
	v_fma_f32 v9, v8, v10, -v7
	v_fmac_f32_e32 v9, v17, v10
	v_add_f32_e32 v10, v7, v9
	v_add_f32_e32 v11, 0x3f2aaaaa, v10
	v_sub_f32_e32 v7, v10, v7
	v_sub_f32_e32 v7, v9, v7
	v_add_f32_e32 v9, 0xbf2aaaaa, v11
	v_add_f32_e32 v7, 0x31739010, v7
	v_sub_f32_e32 v9, v10, v9
	v_pk_mul_f32 v[12:13], v[6:7], v[8:9]
	v_fma_f32 v10, v8, v6, -v12
	v_pk_add_f32 v[14:15], v[6:7], v[8:9]
	v_fmac_f32_e32 v10, v8, v16
	v_mov_b32_e32 v13, v15
	v_fmac_f32_e32 v10, v17, v6
	v_pk_add_f32 v[8:9], v[12:13], v[10:11]
	v_sub_f32_e32 v7, v8, v12
	v_sub_f32_e32 v7, v10, v7
	;; [unrolled: 1-line block ×3, first 2 shown]
	v_add_f32_e32 v13, v15, v10
	v_mov_b32_e32 v10, v9
	v_pk_mul_f32 v[10:11], v[8:9], v[10:11]
	v_cvt_f64_f32_e32 v[14:15], v23
	v_frexp_exp_i32_f64_e32 v11, v[14:15]
	v_subbrev_co_u32_e64 v11, s[6:7], 0, v11, s[6:7]
	v_cvt_f32_i32_e32 v11, v11
	v_fma_f32 v12, v8, v9, -v10
	v_fmac_f32_e32 v12, v8, v13
	s_mov_b32 s19, 0x3f317218
	v_mul_f32_e32 v8, 0x3f317218, v11
	v_fmac_f32_e32 v12, v7, v9
	v_fma_f32 v14, v11, s19, -v8
	v_fmac_f32_e32 v14, 0xb102e308, v11
	v_ldexp_f32 v15, v6, 1
	v_add_f32_e32 v9, v10, v12
	v_pk_add_f32 v[6:7], v[8:9], v[14:15]
	v_ldexp_f32 v18, v16, 1
	v_mov_b32_e32 v16, v9
	v_mov_b32_e32 v17, v7
	;; [unrolled: 1-line block ×3, first 2 shown]
	v_pk_add_f32 v[10:11], v[16:17], v[10:11] neg_lo:[0,1] neg_hi:[0,1]
	v_mov_b32_e32 v13, v9
	v_pk_add_f32 v[10:11], v[12:13], v[10:11] neg_lo:[0,1] neg_hi:[0,1]
	v_add_f32_e32 v9, v18, v10
	v_add_f32_e32 v9, v9, v11
	v_pk_add_f32 v[10:11], v[6:7], v[8:9] neg_lo:[0,1] neg_hi:[0,1]
	v_pk_add_f32 v[12:13], v[6:7], v[8:9]
	v_mov_b32_e32 v16, v10
	v_mov_b32_e32 v17, v13
	;; [unrolled: 1-line block ×3, first 2 shown]
	v_pk_add_f32 v[16:17], v[14:15], v[16:17]
	v_mov_b32_e32 v8, v17
	v_pk_add_f32 v[18:19], v[8:9], v[6:7] neg_lo:[0,1] neg_hi:[0,1]
	v_mov_b32_e32 v19, v18
	v_mov_b32_e32 v16, v13
	;; [unrolled: 1-line block ×4, first 2 shown]
	v_pk_add_f32 v[10:11], v[14:15], v[10:11] neg_lo:[0,1] neg_hi:[0,1]
	v_pk_add_f32 v[20:21], v[12:13], v[18:19] neg_lo:[0,1] neg_hi:[0,1]
	;; [unrolled: 1-line block ×3, first 2 shown]
	v_mov_b32_e32 v14, v9
	v_pk_add_f32 v[6:7], v[14:15], v[6:7] neg_lo:[0,1] neg_hi:[0,1]
	v_mov_b32_e32 v20, v10
	v_pk_add_f32 v[12:13], v[20:21], v[6:7]
	v_mov_b32_e32 v14, v13
	v_pk_add_f32 v[14:15], v[12:13], v[14:15]
	v_pk_add_f32 v[8:9], v[8:9], v[14:15]
	v_mov_b32_e32 v11, v17
	v_mov_b32_e32 v13, v8
	v_pk_add_f32 v[16:17], v[12:13], v[10:11] neg_lo:[0,1] neg_hi:[0,1]
	v_mov_b32_e32 v7, v14
	v_sub_f32_e32 v9, v12, v16
	v_pk_add_f32 v[6:7], v[6:7], v[16:17] neg_lo:[0,1] neg_hi:[0,1]
	v_sub_f32_e32 v9, v10, v9
	v_add_f32_e32 v6, v6, v9
	v_add_f32_e32 v6, v6, v7
	v_add_f32_e32 v7, v8, v6
	v_sub_f32_e32 v8, v7, v8
	v_sub_f32_e32 v6, v6, v8
	v_mul_f32_e32 v8, v22, v7
	v_fma_f32 v7, v22, v7, -v8
	v_fmac_f32_e32 v7, v22, v6
	s_movk_i32 s15, 0x204
	v_add_f32_e32 v6, v8, v7
	v_cmp_class_f32_e64 s[6:7], v8, s15
	v_sub_f32_e32 v9, v6, v8
	v_cndmask_b32_e64 v6, v6, v8, s[6:7]
	s_mov_b32 s16, 0x42b17218
	v_mov_b32_e32 v26, 0x37000000
	v_cmp_eq_f32_e64 s[6:7], s16, v6
	v_cndmask_b32_e64 v8, 0, v26, s[6:7]
	v_sub_f32_e32 v7, v7, v9
	v_sub_f32_e32 v9, v6, v8
	s_mov_b32 s20, 0x3fb8aa3b
	v_mul_f32_e32 v10, 0x3fb8aa3b, v9
	v_fma_f32 v11, v9, s20, -v10
	v_rndne_f32_e32 v12, v10
	v_fmac_f32_e32 v11, 0x32a5705f, v9
	v_sub_f32_e32 v10, v10, v12
	v_add_f32_e32 v10, v10, v11
	v_exp_f32_e32 v10, v10
	v_cvt_i32_f32_e32 v11, v12
	s_mov_b32 s14, 0x7f800000
	v_cmp_neq_f32_e64 s[6:7], |v6|, s14
	s_mov_b32 s21, 0xc2ce8ed0
	v_cndmask_b32_e64 v6, 0, v7, s[6:7]
	v_ldexp_f32 v7, v10, v11
	v_cmp_ngt_f32_e64 s[6:7], s21, v9
	v_cndmask_b32_e64 v7, 0, v7, s[6:7]
	v_cmp_nlt_f32_e64 s[6:7], s16, v9
	v_add_f32_e32 v6, v8, v6
	v_cndmask_b32_e64 v7, v0, v7, s[6:7]
	v_fma_f32 v6, v7, v6, v7
	v_cmp_class_f32_e64 s[6:7], v7, s15
	v_trunc_f32_e32 v8, v22
	v_cndmask_b32_e64 v6, v6, v7, s[6:7]
	v_cndmask_b32_e64 v7, v1, 1.0, s[4:5]
	v_cmp_eq_f32_e64 s[4:5], v8, v22
	v_mul_f32_e32 v8, 0.5, v22
	v_trunc_f32_e32 v9, v8
	v_cmp_neq_f32_e64 s[6:7], v9, v8
	s_and_b64 s[6:7], s[4:5], s[6:7]
	v_cndmask_b32_e64 v8, 1.0, v7, s[6:7]
	s_brev_b32 s17, -2
	v_mov_b32_e32 v27, 0x7fc00000
	v_bfi_b32 v6, s17, v6, v8
	v_cndmask_b32_e64 v8, v27, v6, s[4:5]
	v_cmp_gt_f32_e64 s[4:5], 0, v7
	v_cndmask_b32_e64 v6, v6, v8, s[4:5]
	v_cndmask_b32_e64 v8, |v3|, 1.0, vcc
	v_cmp_neq_f32_e64 s[4:5], v22, v8
	v_cmp_gt_f32_e64 s[8:9], 1.0, v23
	s_xor_b64 s[4:5], s[4:5], s[8:9]
	v_cndmask_b32_e64 v9, v8, 0, s[4:5]
	v_cmp_eq_f32_e64 s[4:5], 1.0, v23
	v_cmp_eq_f32_e64 s[8:9], 0, v7
	v_cmp_gt_f32_e64 s[10:11], 0, v22
	v_cndmask_b32_e64 v9, v9, v23, s[4:5]
	v_cmp_eq_f32_e64 s[4:5], s14, v8
	s_xor_b64 s[10:11], s[10:11], s[8:9]
	v_cndmask_b32_e64 v6, v6, v9, s[4:5]
	v_cmp_eq_f32_e64 s[4:5], s14, v23
	v_cndmask_b32_e64 v8, v0, 0, s[10:11]
	v_cndmask_b32_e64 v7, 0, v7, s[6:7]
	v_bfi_b32 v7, s17, v8, v7
	s_or_b64 s[4:5], s[4:5], s[8:9]
	v_add_f32_e32 v23, -1.0, v3
	v_cndmask_b32_e64 v6, v6, v7, s[4:5]
	v_cmp_o_f32_e64 s[4:5], v22, v22
	v_cndmask_b32_e64 v28, v23, 1.0, vcc
	v_cndmask_b32_e64 v22, v27, v6, s[4:5]
	v_cmp_eq_f32_e64 s[4:5], 0, v28
	v_cndmask_b32_e64 v29, |v1|, 1.0, s[4:5]
	v_frexp_mant_f32_e32 v3, v29
	v_cmp_gt_f32_e64 s[6:7], s18, v3
	v_cndmask_b32_e64 v6, 1.0, 2.0, s[6:7]
	v_mul_f32_e32 v3, v3, v6
	v_add_f32_e32 v6, 1.0, v3
	v_rcp_f32_e32 v14, v6
	v_add_f32_e32 v7, -1.0, v6
	v_sub_f32_e32 v9, v3, v7
	v_add_f32_e32 v7, -1.0, v3
	v_mul_f32_e32 v3, v7, v14
	v_mul_f32_e32 v8, v6, v3
	v_fma_f32 v10, v3, v6, -v8
	v_fmac_f32_e32 v10, v3, v9
	v_add_f32_e32 v6, v8, v10
	v_sub_f32_e32 v9, v7, v6
	v_pk_add_f32 v[12:13], v[6:7], v[8:9] neg_lo:[0,1] neg_hi:[0,1]
	v_mov_b32_e32 v11, v6
	v_pk_add_f32 v[6:7], v[12:13], v[10:11] neg_lo:[0,1] neg_hi:[0,1]
	v_add_f32_e32 v6, v6, v7
	v_add_f32_e32 v6, v9, v6
	v_mul_f32_e32 v7, v14, v6
	v_add_f32_e32 v6, v3, v7
	v_sub_f32_e32 v3, v6, v3
	v_sub_f32_e32 v3, v7, v3
	v_mul_f32_e32 v7, v6, v6
	v_fma_f32 v9, v6, v6, -v7
	v_add_f32_e32 v8, v3, v3
	v_fmac_f32_e32 v9, v6, v8
	v_mov_b32_e32 v24, 0x3e91f4c4
	v_add_f32_e32 v8, v7, v9
	v_fmac_f32_e32 v24, 0x3e76c4e1, v8
	v_fmac_f32_e32 v25, v8, v24
	v_sub_f32_e32 v7, v8, v7
	v_sub_f32_e32 v16, v9, v7
	v_mul_f32_e32 v7, v8, v25
	v_fma_f32 v9, v8, v25, -v7
	v_fmac_f32_e32 v9, v16, v25
	v_add_f32_e32 v10, v7, v9
	v_add_f32_e32 v11, 0x3f2aaaaa, v10
	v_sub_f32_e32 v7, v10, v7
	v_sub_f32_e32 v7, v9, v7
	v_add_f32_e32 v9, 0xbf2aaaaa, v11
	v_add_f32_e32 v7, 0x31739010, v7
	v_sub_f32_e32 v9, v10, v9
	v_pk_mul_f32 v[12:13], v[6:7], v[8:9]
	v_fma_f32 v10, v8, v6, -v12
	v_pk_add_f32 v[14:15], v[6:7], v[8:9]
	v_fmac_f32_e32 v10, v8, v3
	v_mov_b32_e32 v13, v15
	v_fmac_f32_e32 v10, v16, v6
	v_pk_add_f32 v[8:9], v[12:13], v[10:11]
	v_sub_f32_e32 v7, v8, v12
	v_sub_f32_e32 v7, v10, v7
	;; [unrolled: 1-line block ×3, first 2 shown]
	v_add_f32_e32 v14, v15, v10
	v_mov_b32_e32 v10, v9
	v_pk_mul_f32 v[10:11], v[8:9], v[10:11]
	v_cvt_f64_f32_e32 v[12:13], v29
	v_frexp_exp_i32_f64_e32 v11, v[12:13]
	v_subbrev_co_u32_e64 v11, s[6:7], 0, v11, s[6:7]
	v_cvt_f32_i32_e32 v11, v11
	v_fma_f32 v12, v8, v9, -v10
	v_fmac_f32_e32 v12, v8, v14
	v_fmac_f32_e32 v12, v7, v9
	v_mul_f32_e32 v8, 0x3f317218, v11
	v_fma_f32 v14, v11, s19, -v8
	v_fmac_f32_e32 v14, 0xb102e308, v11
	v_ldexp_f32 v15, v6, 1
	v_add_f32_e32 v9, v10, v12
	v_pk_add_f32 v[6:7], v[8:9], v[14:15]
	v_mov_b32_e32 v16, v9
	v_mov_b32_e32 v17, v7
	;; [unrolled: 1-line block ×3, first 2 shown]
	v_pk_add_f32 v[10:11], v[16:17], v[10:11] neg_lo:[0,1] neg_hi:[0,1]
	v_mov_b32_e32 v13, v9
	v_ldexp_f32 v3, v3, 1
	v_pk_add_f32 v[10:11], v[12:13], v[10:11] neg_lo:[0,1] neg_hi:[0,1]
	v_add_f32_e32 v3, v3, v10
	v_add_f32_e32 v9, v3, v11
	v_pk_add_f32 v[10:11], v[6:7], v[8:9] neg_lo:[0,1] neg_hi:[0,1]
	v_pk_add_f32 v[12:13], v[6:7], v[8:9]
	v_mov_b32_e32 v16, v10
	v_mov_b32_e32 v17, v13
	;; [unrolled: 1-line block ×3, first 2 shown]
	v_pk_add_f32 v[16:17], v[14:15], v[16:17]
	v_mov_b32_e32 v8, v17
	v_pk_add_f32 v[18:19], v[8:9], v[6:7] neg_lo:[0,1] neg_hi:[0,1]
	v_mov_b32_e32 v3, v18
	v_mov_b32_e32 v16, v13
	;; [unrolled: 1-line block ×4, first 2 shown]
	v_pk_add_f32 v[10:11], v[14:15], v[10:11] neg_lo:[0,1] neg_hi:[0,1]
	v_pk_add_f32 v[20:21], v[12:13], v[2:3] neg_lo:[0,1] neg_hi:[0,1]
	v_pk_add_f32 v[6:7], v[16:17], v[6:7] neg_lo:[0,1] neg_hi:[0,1]
	v_mov_b32_e32 v14, v9
	v_pk_add_f32 v[6:7], v[14:15], v[6:7] neg_lo:[0,1] neg_hi:[0,1]
	v_mov_b32_e32 v20, v10
	v_pk_add_f32 v[12:13], v[20:21], v[6:7]
	v_mov_b32_e32 v14, v13
	v_pk_add_f32 v[14:15], v[12:13], v[14:15]
	v_pk_add_f32 v[8:9], v[8:9], v[14:15]
	v_mov_b32_e32 v11, v17
	v_mov_b32_e32 v13, v8
	v_pk_add_f32 v[16:17], v[12:13], v[10:11] neg_lo:[0,1] neg_hi:[0,1]
	v_mov_b32_e32 v7, v14
	v_sub_f32_e32 v3, v12, v16
	v_pk_add_f32 v[6:7], v[6:7], v[16:17] neg_lo:[0,1] neg_hi:[0,1]
	v_sub_f32_e32 v3, v10, v3
	v_add_f32_e32 v3, v6, v3
	v_add_f32_e32 v3, v3, v7
	v_add_f32_e32 v6, v8, v3
	v_sub_f32_e32 v7, v6, v8
	v_sub_f32_e32 v3, v3, v7
	v_mul_f32_e32 v7, v28, v6
	v_fma_f32 v6, v28, v6, -v7
	v_fmac_f32_e32 v6, v28, v3
	v_add_f32_e32 v3, v7, v6
	v_cmp_class_f32_e64 s[6:7], v7, s15
	v_sub_f32_e32 v8, v3, v7
	v_cndmask_b32_e64 v3, v3, v7, s[6:7]
	v_cmp_eq_f32_e64 s[6:7], s16, v3
	v_cndmask_b32_e64 v7, 0, v26, s[6:7]
	v_sub_f32_e32 v6, v6, v8
	v_sub_f32_e32 v8, v3, v7
	v_mul_f32_e32 v9, 0x3fb8aa3b, v8
	v_fma_f32 v10, v8, s20, -v9
	v_rndne_f32_e32 v11, v9
	v_fmac_f32_e32 v10, 0x32a5705f, v8
	v_sub_f32_e32 v9, v9, v11
	v_add_f32_e32 v9, v9, v10
	v_exp_f32_e32 v9, v9
	v_cvt_i32_f32_e32 v10, v11
	v_cmp_neq_f32_e64 s[6:7], |v3|, s14
	v_cndmask_b32_e64 v3, 0, v6, s[6:7]
	v_cmp_ngt_f32_e64 s[6:7], s21, v8
	v_ldexp_f32 v6, v9, v10
	v_cndmask_b32_e64 v6, 0, v6, s[6:7]
	v_cmp_nlt_f32_e64 s[6:7], s16, v8
	v_add_f32_e32 v3, v7, v3
	v_cndmask_b32_e64 v6, v0, v6, s[6:7]
	v_fma_f32 v3, v6, v3, v6
	v_cmp_class_f32_e64 s[6:7], v6, s15
	v_trunc_f32_e32 v7, v28
	v_cndmask_b32_e64 v3, v3, v6, s[6:7]
	v_cndmask_b32_e64 v6, v1, 1.0, s[4:5]
	v_cmp_eq_f32_e64 s[4:5], v7, v28
	v_mul_f32_e32 v7, 0.5, v28
	v_trunc_f32_e32 v8, v7
	v_cmp_neq_f32_e64 s[6:7], v8, v7
	s_and_b64 s[6:7], s[4:5], s[6:7]
	v_cndmask_b32_e64 v7, 1.0, v6, s[6:7]
	v_bfi_b32 v3, s17, v3, v7
	v_cndmask_b32_e64 v7, v27, v3, s[4:5]
	v_cmp_gt_f32_e64 s[4:5], 0, v6
	v_cndmask_b32_e64 v3, v3, v7, s[4:5]
	v_cndmask_b32_e64 v7, |v23|, 1.0, vcc
	v_cmp_neq_f32_e32 vcc, v28, v7
	v_cmp_gt_f32_e64 s[4:5], 1.0, v29
	s_xor_b64 s[4:5], vcc, s[4:5]
	v_cndmask_b32_e64 v8, v7, 0, s[4:5]
	v_cmp_eq_f32_e64 s[4:5], 0, v6
	v_cmp_gt_f32_e64 s[8:9], 0, v28
	v_cmp_eq_f32_e32 vcc, 1.0, v29
	s_xor_b64 s[8:9], s[8:9], s[4:5]
	v_cndmask_b32_e32 v8, v8, v29, vcc
	v_cmp_eq_f32_e32 vcc, s14, v7
	v_cndmask_b32_e64 v7, v0, 0, s[8:9]
	v_cndmask_b32_e64 v6, 0, v6, s[6:7]
	v_bfi_b32 v6, s17, v7, v6
	v_mul_f32_e32 v7, 0xbfb8aa3b, v1
	v_cndmask_b32_e32 v3, v3, v8, vcc
	s_mov_b32 s6, 0xbfb8aa3b
	v_rndne_f32_e32 v8, v7
	v_sub_f32_e32 v9, v7, v8
	v_fma_f32 v7, v1, s6, -v7
	v_fmac_f32_e32 v7, 0xb2a5705f, v1
	v_add_f32_e32 v7, v9, v7
	v_exp_f32_e32 v7, v7
	v_cvt_i32_f32_e32 v8, v8
	v_cmp_eq_f32_e32 vcc, s14, v29
	s_or_b64 vcc, vcc, s[4:5]
	v_cndmask_b32_e32 v3, v3, v6, vcc
	v_cmp_o_f32_e32 vcc, v28, v28
	s_mov_b32 s4, 0x42ce8ed0
	v_cndmask_b32_e32 v3, v27, v3, vcc
	v_ldexp_f32 v6, v7, v8
	v_cmp_nlt_f32_e32 vcc, s4, v1
	s_mov_b32 s4, 0xc2b17218
	v_cndmask_b32_e32 v6, 0, v6, vcc
	v_cmp_ngt_f32_e32 vcc, s4, v1
	s_mov_b32 s4, 0x800000
	v_cndmask_b32_e32 v0, v0, v6, vcc
	v_mov_b32_e32 v6, 0x4f800000
	v_cmp_gt_f32_e32 vcc, s4, v1
	v_cndmask_b32_e32 v6, 1.0, v6, vcc
	v_mul_f32_e32 v1, v1, v6
	v_log_f32_e32 v1, v1
	v_mul_f32_e32 v0, v0, v3
	v_mul_f32_e32 v3, v4, v22
	s_mov_b32 s4, 0x3f317217
	v_mul_f32_e32 v4, 0x3f317217, v1
	v_fma_f32 v6, v1, s4, -v4
	v_fmac_f32_e32 v6, 0x3377d1cf, v1
	v_add_f32_e32 v4, v4, v6
	v_cmp_lt_f32_e64 s[4:5], |v1|, s14
	v_cndmask_b32_e64 v1, v1, v4, s[4:5]
	v_mov_b32_e32 v4, 0x41b17218
	v_cndmask_b32_e32 v4, 0, v4, vcc
	v_sub_f32_e32 v1, v1, v4
	v_sub_f32_e32 v1, v1, v2
	v_mul_f32_e32 v2, v5, v22
	v_fma_f32 v1, v3, v1, -v2
	v_div_scale_f32 v2, s[4:5], v0, v0, -v1
	v_rcp_f32_e32 v3, v2
	v_fma_f32 v4, -v2, v3, 1.0
	v_fmac_f32_e32 v3, v4, v3
	v_div_scale_f32 v4, vcc, -v1, v0, -v1
	v_mul_f32_e32 v5, v4, v3
	v_fma_f32 v6, -v2, v5, v4
	v_fmac_f32_e32 v5, v6, v3
	v_fma_f32 v2, -v2, v5, v4
	v_div_fmas_f32 v2, v2, v3, v5
	v_div_fixup_f32 v0, v2, v0, -v1
	v_mov_b32_e32 v2, 0
.LBB205_34:
	s_or_b64 exec, exec, s[12:13]
	v_bfe_u32 v1, v0, 16, 1
	s_movk_i32 s4, 0x7fff
	v_add3_u32 v1, v0, v1, s4
	v_lshrrev_b32_e32 v1, 16, v1
	v_cmp_u_f32_e32 vcc, v0, v0
	v_cndmask_b32_e32 v0, v1, v2, vcc
	s_setpc_b64 s[30:31]
.Lfunc_end205:
	.size	_ZZZZN2at6native33launch_standard_gamma_grad_kernelERNS_18TensorIteratorBaseEENKUlvE_clEvENKUlvE2_clEvENKUlN3c108BFloat16ES6_E_clES6_S6_, .Lfunc_end205-_ZZZZN2at6native33launch_standard_gamma_grad_kernelERNS_18TensorIteratorBaseEENKUlvE_clEvENKUlvE2_clEvENKUlN3c108BFloat16ES6_E_clES6_S6_
                                        ; -- End function
	.section	.AMDGPU.csdata,"",@progbits
; Function info:
; codeLenInByte = 8316
; NumSgprs: 36
; NumVgprs: 30
; NumAgprs: 0
; TotalNumVgprs: 30
; ScratchSize: 0
; MemoryBound: 0
	.section	.text._ZN2at6native29vectorized_elementwise_kernelILi16EZZZNS0_33launch_standard_gamma_grad_kernelERNS_18TensorIteratorBaseEENKUlvE_clEvENKUlvE2_clEvEUlN3c108BFloat16ES7_E_St5arrayIPcLm3EEEEviT0_T1_,"axG",@progbits,_ZN2at6native29vectorized_elementwise_kernelILi16EZZZNS0_33launch_standard_gamma_grad_kernelERNS_18TensorIteratorBaseEENKUlvE_clEvENKUlvE2_clEvEUlN3c108BFloat16ES7_E_St5arrayIPcLm3EEEEviT0_T1_,comdat
	.globl	_ZN2at6native29vectorized_elementwise_kernelILi16EZZZNS0_33launch_standard_gamma_grad_kernelERNS_18TensorIteratorBaseEENKUlvE_clEvENKUlvE2_clEvEUlN3c108BFloat16ES7_E_St5arrayIPcLm3EEEEviT0_T1_ ; -- Begin function _ZN2at6native29vectorized_elementwise_kernelILi16EZZZNS0_33launch_standard_gamma_grad_kernelERNS_18TensorIteratorBaseEENKUlvE_clEvENKUlvE2_clEvEUlN3c108BFloat16ES7_E_St5arrayIPcLm3EEEEviT0_T1_
	.p2align	8
	.type	_ZN2at6native29vectorized_elementwise_kernelILi16EZZZNS0_33launch_standard_gamma_grad_kernelERNS_18TensorIteratorBaseEENKUlvE_clEvENKUlvE2_clEvEUlN3c108BFloat16ES7_E_St5arrayIPcLm3EEEEviT0_T1_,@function
_ZN2at6native29vectorized_elementwise_kernelILi16EZZZNS0_33launch_standard_gamma_grad_kernelERNS_18TensorIteratorBaseEENKUlvE_clEvENKUlvE2_clEvEUlN3c108BFloat16ES7_E_St5arrayIPcLm3EEEEviT0_T1_: ; @_ZN2at6native29vectorized_elementwise_kernelILi16EZZZNS0_33launch_standard_gamma_grad_kernelERNS_18TensorIteratorBaseEENKUlvE_clEvENKUlvE2_clEvEUlN3c108BFloat16ES7_E_St5arrayIPcLm3EEEEviT0_T1_
; %bb.0:
	s_add_u32 flat_scratch_lo, s6, s9
	s_addc_u32 flat_scratch_hi, s7, 0
	s_load_dword s6, s[4:5], 0x0
	s_load_dwordx4 s[24:27], s[4:5], 0x8
	s_load_dwordx2 s[34:35], s[4:5], 0x18
	s_add_u32 s0, s0, s9
	s_addc_u32 s1, s1, 0
	s_lshl_b32 s28, s8, 11
	s_waitcnt lgkmcnt(0)
	s_sub_i32 s33, s6, s28
	v_mov_b32_e32 v30, v0
	s_cmpk_gt_i32 s33, 0x7ff
	s_mov_b64 s[4:5], -1
	s_mov_b32 s32, 0
	s_cbranch_scc0 .LBB206_2
; %bb.1:
	s_ashr_i32 s29, s28, 31
	s_lshl_b64 s[22:23], s[28:29], 1
	s_add_u32 s4, s26, s22
	s_addc_u32 s5, s27, s23
	v_lshlrev_b32_e32 v47, 4, v30
	global_load_dwordx4 v[32:35], v47, s[4:5]
	s_add_u32 s4, s34, s22
	s_addc_u32 s5, s35, s23
	global_load_dwordx4 v[36:39], v47, s[4:5]
	s_getpc_b64 s[36:37]
	s_add_u32 s36, s36, _ZZZZN2at6native33launch_standard_gamma_grad_kernelERNS_18TensorIteratorBaseEENKUlvE_clEvENKUlvE2_clEvENKUlN3c108BFloat16ES6_E_clES6_S6_@rel32@lo+4
	s_addc_u32 s37, s37, _ZZZZN2at6native33launch_standard_gamma_grad_kernelERNS_18TensorIteratorBaseEENKUlvE_clEvENKUlvE2_clEvENKUlN3c108BFloat16ES6_E_clES6_S6_@rel32@hi+12
	s_waitcnt vmcnt(1)
	v_mov_b32_e32 v0, v32
	v_lshrrev_b32_e32 v31, 16, v32
	v_lshrrev_b32_e32 v40, 16, v33
	s_waitcnt vmcnt(0)
	v_mov_b32_e32 v1, v36
	v_lshrrev_b32_e32 v41, 16, v34
	v_lshrrev_b32_e32 v42, 16, v35
	;; [unrolled: 1-line block ×6, first 2 shown]
	s_swappc_b64 s[30:31], s[36:37]
	v_mov_b32_e32 v32, v0
	v_mov_b32_e32 v0, v31
	v_mov_b32_e32 v1, v43
	s_swappc_b64 s[30:31], s[36:37]
	v_mov_b32_e32 v31, v0
	v_mov_b32_e32 v0, v33
	v_mov_b32_e32 v1, v37
	;; [unrolled: 4-line block ×7, first 2 shown]
	s_swappc_b64 s[30:31], s[36:37]
	s_add_u32 s4, s24, s22
	s_mov_b32 s6, 0x5040100
	s_addc_u32 s5, s25, s23
	v_perm_b32 v2, v31, v32, s6
	v_perm_b32 v3, v36, v33, s6
	;; [unrolled: 1-line block ×4, first 2 shown]
	global_store_dwordx4 v47, v[2:5], s[4:5]
	s_mov_b64 s[4:5], 0
.LBB206_2:
	s_andn2_b64 vcc, exec, s[4:5]
	s_cbranch_vccnz .LBB206_43
; %bb.3:
	v_cmp_gt_i32_e64 s[22:23], s33, v30
	v_mov_b32_e32 v31, 0
	v_or_b32_e32 v48, s28, v30
	v_mov_b32_e32 v0, 0
	v_mov_b32_e32 v1, 0
	;; [unrolled: 1-line block ×3, first 2 shown]
	s_and_saveexec_b64 s[4:5], s[22:23]
	s_cbranch_execz .LBB206_5
; %bb.4:
	v_mov_b32_e32 v49, 0
	v_lshlrev_b64 v[0:1], 1, v[48:49]
	v_mov_b32_e32 v3, s35
	v_add_co_u32_e32 v2, vcc, s34, v0
	v_addc_co_u32_e32 v3, vcc, v3, v1, vcc
	v_mov_b32_e32 v5, s27
	v_add_co_u32_e32 v4, vcc, s26, v0
	v_addc_co_u32_e32 v5, vcc, v5, v1, vcc
	global_load_ushort v0, v[4:5], off
	global_load_ushort v1, v[2:3], off
	v_or_b32_e32 v2, 0x100, v30
.LBB206_5:
	s_or_b64 exec, exec, s[4:5]
	v_cmp_gt_i32_e32 vcc, s33, v2
	v_mov_b32_e32 v33, 0
	s_and_saveexec_b64 s[4:5], vcc
	s_cbranch_execz .LBB206_7
; %bb.6:
	v_add_u32_e32 v4, s28, v2
	v_mov_b32_e32 v5, 0
	v_lshlrev_b64 v[4:5], 1, v[4:5]
	v_mov_b32_e32 v3, s35
	v_add_co_u32_e32 v6, vcc, s34, v4
	v_addc_co_u32_e32 v7, vcc, v3, v5, vcc
	v_mov_b32_e32 v3, s27
	v_add_co_u32_e32 v4, vcc, s26, v4
	v_addc_co_u32_e32 v5, vcc, v3, v5, vcc
	global_load_ushort v31, v[4:5], off
	global_load_ushort v33, v[6:7], off
	v_add_u32_e32 v2, 0x100, v2
.LBB206_7:
	s_or_b64 exec, exec, s[4:5]
	v_cmp_gt_i32_e32 vcc, s33, v2
	v_mov_b32_e32 v32, 0
	v_mov_b32_e32 v34, 0
	v_mov_b32_e32 v35, 0
	s_and_saveexec_b64 s[4:5], vcc
	s_cbranch_execz .LBB206_9
; %bb.8:
	v_add_u32_e32 v4, s28, v2
	v_mov_b32_e32 v5, 0
	v_lshlrev_b64 v[4:5], 1, v[4:5]
	v_mov_b32_e32 v3, s35
	v_add_co_u32_e32 v6, vcc, s34, v4
	v_addc_co_u32_e32 v7, vcc, v3, v5, vcc
	v_mov_b32_e32 v3, s27
	v_add_co_u32_e32 v4, vcc, s26, v4
	v_addc_co_u32_e32 v5, vcc, v3, v5, vcc
	global_load_ushort v34, v[4:5], off
	global_load_ushort v35, v[6:7], off
	v_add_u32_e32 v2, 0x100, v2
.LBB206_9:
	s_or_b64 exec, exec, s[4:5]
	v_cmp_gt_i32_e32 vcc, s33, v2
	v_mov_b32_e32 v37, 0
	s_and_saveexec_b64 s[4:5], vcc
	s_cbranch_execz .LBB206_11
; %bb.10:
	v_add_u32_e32 v4, s28, v2
	v_mov_b32_e32 v5, 0
	v_lshlrev_b64 v[4:5], 1, v[4:5]
	v_mov_b32_e32 v3, s35
	v_add_co_u32_e32 v6, vcc, s34, v4
	v_addc_co_u32_e32 v7, vcc, v3, v5, vcc
	v_mov_b32_e32 v3, s27
	v_add_co_u32_e32 v4, vcc, s26, v4
	v_addc_co_u32_e32 v5, vcc, v3, v5, vcc
	global_load_ushort v32, v[4:5], off
	global_load_ushort v37, v[6:7], off
	v_add_u32_e32 v2, 0x100, v2
.LBB206_11:
	s_or_b64 exec, exec, s[4:5]
	v_cmp_gt_i32_e32 vcc, s33, v2
	v_mov_b32_e32 v36, 0
	v_mov_b32_e32 v38, 0
	v_mov_b32_e32 v39, 0
	s_and_saveexec_b64 s[4:5], vcc
	s_cbranch_execz .LBB206_13
; %bb.12:
	v_add_u32_e32 v4, s28, v2
	v_mov_b32_e32 v5, 0
	v_lshlrev_b64 v[4:5], 1, v[4:5]
	v_mov_b32_e32 v3, s35
	v_add_co_u32_e32 v6, vcc, s34, v4
	v_addc_co_u32_e32 v7, vcc, v3, v5, vcc
	v_mov_b32_e32 v3, s27
	v_add_co_u32_e32 v4, vcc, s26, v4
	v_addc_co_u32_e32 v5, vcc, v3, v5, vcc
	global_load_ushort v38, v[4:5], off
	global_load_ushort v39, v[6:7], off
	v_add_u32_e32 v2, 0x100, v2
.LBB206_13:
	;; [unrolled: 40-line block ×3, first 2 shown]
	s_or_b64 exec, exec, s[4:5]
	v_cmp_gt_i32_e32 vcc, s33, v2
	v_mov_b32_e32 v47, 0
	s_and_saveexec_b64 s[4:5], vcc
	s_cbranch_execz .LBB206_19
; %bb.18:
	v_add_u32_e32 v2, s28, v2
	v_mov_b32_e32 v3, 0
	v_lshlrev_b64 v[2:3], 1, v[2:3]
	v_mov_b32_e32 v5, s35
	v_add_co_u32_e32 v4, vcc, s34, v2
	v_addc_co_u32_e32 v5, vcc, v5, v3, vcc
	v_mov_b32_e32 v6, s27
	v_add_co_u32_e32 v2, vcc, s26, v2
	v_addc_co_u32_e32 v3, vcc, v6, v3, vcc
	global_load_ushort v40, v[2:3], off
	global_load_ushort v47, v[4:5], off
.LBB206_19:
	s_or_b64 exec, exec, s[4:5]
                                        ; implicit-def: $vgpr46
	s_and_saveexec_b64 s[26:27], s[22:23]
	s_cbranch_execz .LBB206_21
; %bb.20:
	s_getpc_b64 s[4:5]
	s_add_u32 s4, s4, _ZZZZN2at6native33launch_standard_gamma_grad_kernelERNS_18TensorIteratorBaseEENKUlvE_clEvENKUlvE2_clEvENKUlN3c108BFloat16ES6_E_clES6_S6_@rel32@lo+4
	s_addc_u32 s5, s5, _ZZZZN2at6native33launch_standard_gamma_grad_kernelERNS_18TensorIteratorBaseEENKUlvE_clEvENKUlvE2_clEvENKUlN3c108BFloat16ES6_E_clES6_S6_@rel32@hi+12
	s_swappc_b64 s[30:31], s[4:5]
	v_mov_b32_e32 v46, v0
.LBB206_21:
	s_or_b64 exec, exec, s[26:27]
	v_or_b32_e32 v50, 0x100, v30
	v_cmp_gt_i32_e32 vcc, s33, v50
                                        ; implicit-def: $vgpr45
	s_and_saveexec_b64 s[26:27], vcc
	s_cbranch_execz .LBB206_23
; %bb.22:
	s_waitcnt vmcnt(1)
	v_mov_b32_e32 v0, v31
	s_waitcnt vmcnt(0)
	v_mov_b32_e32 v1, v33
	s_getpc_b64 s[4:5]
	s_add_u32 s4, s4, _ZZZZN2at6native33launch_standard_gamma_grad_kernelERNS_18TensorIteratorBaseEENKUlvE_clEvENKUlvE2_clEvENKUlN3c108BFloat16ES6_E_clES6_S6_@rel32@lo+4
	s_addc_u32 s5, s5, _ZZZZN2at6native33launch_standard_gamma_grad_kernelERNS_18TensorIteratorBaseEENKUlvE_clEvENKUlvE2_clEvENKUlN3c108BFloat16ES6_E_clES6_S6_@rel32@hi+12
	s_swappc_b64 s[30:31], s[4:5]
	v_mov_b32_e32 v45, v0
.LBB206_23:
	s_or_b64 exec, exec, s[26:27]
	s_waitcnt vmcnt(1)
	v_or_b32_e32 v0, 0x200, v30
	v_cmp_gt_i32_e32 vcc, s33, v0
                                        ; implicit-def: $vgpr44
	s_and_saveexec_b64 s[26:27], vcc
	s_cbranch_execz .LBB206_25
; %bb.24:
	v_mov_b32_e32 v0, v34
	s_waitcnt vmcnt(0)
	v_mov_b32_e32 v1, v35
	s_getpc_b64 s[4:5]
	s_add_u32 s4, s4, _ZZZZN2at6native33launch_standard_gamma_grad_kernelERNS_18TensorIteratorBaseEENKUlvE_clEvENKUlvE2_clEvENKUlN3c108BFloat16ES6_E_clES6_S6_@rel32@lo+4
	s_addc_u32 s5, s5, _ZZZZN2at6native33launch_standard_gamma_grad_kernelERNS_18TensorIteratorBaseEENKUlvE_clEvENKUlvE2_clEvENKUlN3c108BFloat16ES6_E_clES6_S6_@rel32@hi+12
	s_swappc_b64 s[30:31], s[4:5]
	v_mov_b32_e32 v44, v0
.LBB206_25:
	s_or_b64 exec, exec, s[26:27]
	v_or_b32_e32 v0, 0x300, v30
	v_cmp_gt_i32_e32 vcc, s33, v0
                                        ; implicit-def: $vgpr34
	s_and_saveexec_b64 s[26:27], vcc
	s_cbranch_execz .LBB206_27
; %bb.26:
	v_mov_b32_e32 v0, v32
	s_waitcnt vmcnt(0)
	v_mov_b32_e32 v1, v37
	s_getpc_b64 s[4:5]
	s_add_u32 s4, s4, _ZZZZN2at6native33launch_standard_gamma_grad_kernelERNS_18TensorIteratorBaseEENKUlvE_clEvENKUlvE2_clEvENKUlN3c108BFloat16ES6_E_clES6_S6_@rel32@lo+4
	s_addc_u32 s5, s5, _ZZZZN2at6native33launch_standard_gamma_grad_kernelERNS_18TensorIteratorBaseEENKUlvE_clEvENKUlvE2_clEvENKUlN3c108BFloat16ES6_E_clES6_S6_@rel32@hi+12
	s_swappc_b64 s[30:31], s[4:5]
	v_mov_b32_e32 v34, v0
.LBB206_27:
	s_or_b64 exec, exec, s[26:27]
	v_or_b32_e32 v0, 0x400, v30
	v_cmp_gt_i32_e32 vcc, s33, v0
                                        ; implicit-def: $vgpr33
	s_and_saveexec_b64 s[26:27], vcc
	s_cbranch_execz .LBB206_29
; %bb.28:
	v_mov_b32_e32 v0, v38
	s_waitcnt vmcnt(0)
	v_mov_b32_e32 v1, v39
	s_getpc_b64 s[4:5]
	s_add_u32 s4, s4, _ZZZZN2at6native33launch_standard_gamma_grad_kernelERNS_18TensorIteratorBaseEENKUlvE_clEvENKUlvE2_clEvENKUlN3c108BFloat16ES6_E_clES6_S6_@rel32@lo+4
	s_addc_u32 s5, s5, _ZZZZN2at6native33launch_standard_gamma_grad_kernelERNS_18TensorIteratorBaseEENKUlvE_clEvENKUlvE2_clEvENKUlN3c108BFloat16ES6_E_clES6_S6_@rel32@hi+12
	s_swappc_b64 s[30:31], s[4:5]
	v_mov_b32_e32 v33, v0
.LBB206_29:
	s_or_b64 exec, exec, s[26:27]
	v_or_b32_e32 v0, 0x500, v30
	v_cmp_gt_i32_e32 vcc, s33, v0
                                        ; implicit-def: $vgpr32
	s_and_saveexec_b64 s[26:27], vcc
	s_cbranch_execz .LBB206_31
; %bb.30:
	v_mov_b32_e32 v0, v36
	s_waitcnt vmcnt(0)
	v_mov_b32_e32 v1, v41
	s_getpc_b64 s[4:5]
	s_add_u32 s4, s4, _ZZZZN2at6native33launch_standard_gamma_grad_kernelERNS_18TensorIteratorBaseEENKUlvE_clEvENKUlvE2_clEvENKUlN3c108BFloat16ES6_E_clES6_S6_@rel32@lo+4
	s_addc_u32 s5, s5, _ZZZZN2at6native33launch_standard_gamma_grad_kernelERNS_18TensorIteratorBaseEENKUlvE_clEvENKUlvE2_clEvENKUlN3c108BFloat16ES6_E_clES6_S6_@rel32@hi+12
	s_swappc_b64 s[30:31], s[4:5]
	v_mov_b32_e32 v32, v0
.LBB206_31:
	s_or_b64 exec, exec, s[26:27]
	v_or_b32_e32 v0, 0x600, v30
	v_cmp_gt_i32_e32 vcc, s33, v0
                                        ; implicit-def: $vgpr31
	s_and_saveexec_b64 s[26:27], vcc
	s_cbranch_execz .LBB206_33
; %bb.32:
	v_mov_b32_e32 v0, v42
	s_waitcnt vmcnt(0)
	v_mov_b32_e32 v1, v43
	s_getpc_b64 s[4:5]
	s_add_u32 s4, s4, _ZZZZN2at6native33launch_standard_gamma_grad_kernelERNS_18TensorIteratorBaseEENKUlvE_clEvENKUlvE2_clEvENKUlN3c108BFloat16ES6_E_clES6_S6_@rel32@lo+4
	s_addc_u32 s5, s5, _ZZZZN2at6native33launch_standard_gamma_grad_kernelERNS_18TensorIteratorBaseEENKUlvE_clEvENKUlvE2_clEvENKUlN3c108BFloat16ES6_E_clES6_S6_@rel32@hi+12
	s_swappc_b64 s[30:31], s[4:5]
	v_mov_b32_e32 v31, v0
.LBB206_33:
	s_or_b64 exec, exec, s[26:27]
	v_or_b32_e32 v0, 0x700, v30
	v_cmp_gt_i32_e32 vcc, s33, v0
                                        ; implicit-def: $vgpr0
	s_and_saveexec_b64 s[26:27], vcc
	s_cbranch_execnz .LBB206_44
; %bb.34:
	s_or_b64 exec, exec, s[26:27]
	s_and_saveexec_b64 s[4:5], s[22:23]
	s_xor_b64 s[4:5], exec, s[4:5]
	s_cbranch_execnz .LBB206_45
.LBB206_35:
	s_or_b64 exec, exec, s[4:5]
	v_cmp_gt_i32_e32 vcc, s33, v30
	s_and_saveexec_b64 s[4:5], vcc
	s_cbranch_execnz .LBB206_46
.LBB206_36:
	s_or_b64 exec, exec, s[4:5]
	v_cmp_gt_i32_e32 vcc, s33, v30
	s_and_saveexec_b64 s[4:5], vcc
	s_cbranch_execnz .LBB206_47
.LBB206_37:
	s_or_b64 exec, exec, s[4:5]
	v_cmp_gt_i32_e32 vcc, s33, v30
	s_and_saveexec_b64 s[4:5], vcc
	s_cbranch_execnz .LBB206_48
.LBB206_38:
	s_or_b64 exec, exec, s[4:5]
	v_cmp_gt_i32_e32 vcc, s33, v30
	s_and_saveexec_b64 s[4:5], vcc
	s_cbranch_execnz .LBB206_49
.LBB206_39:
	s_or_b64 exec, exec, s[4:5]
	v_cmp_gt_i32_e32 vcc, s33, v30
	s_and_saveexec_b64 s[4:5], vcc
	s_cbranch_execnz .LBB206_50
.LBB206_40:
	s_or_b64 exec, exec, s[4:5]
	v_cmp_gt_i32_e32 vcc, s33, v30
	s_and_saveexec_b64 s[4:5], vcc
	s_cbranch_execnz .LBB206_51
.LBB206_41:
	s_or_b64 exec, exec, s[4:5]
	v_cmp_gt_i32_e32 vcc, s33, v30
	s_and_saveexec_b64 s[4:5], vcc
	s_cbranch_execz .LBB206_43
.LBB206_42:
	v_add_u32_e32 v2, s28, v30
	v_mov_b32_e32 v3, 0
	v_lshlrev_b64 v[2:3], 1, v[2:3]
	s_waitcnt vmcnt(0)
	v_mov_b32_e32 v1, s25
	v_add_co_u32_e32 v2, vcc, s24, v2
	v_addc_co_u32_e32 v3, vcc, v1, v3, vcc
	global_store_short v[2:3], v0, off
.LBB206_43:
	s_endpgm
.LBB206_44:
	v_mov_b32_e32 v0, v40
	s_waitcnt vmcnt(0)
	v_mov_b32_e32 v1, v47
	s_getpc_b64 s[4:5]
	s_add_u32 s4, s4, _ZZZZN2at6native33launch_standard_gamma_grad_kernelERNS_18TensorIteratorBaseEENKUlvE_clEvENKUlvE2_clEvENKUlN3c108BFloat16ES6_E_clES6_S6_@rel32@lo+4
	s_addc_u32 s5, s5, _ZZZZN2at6native33launch_standard_gamma_grad_kernelERNS_18TensorIteratorBaseEENKUlvE_clEvENKUlvE2_clEvENKUlN3c108BFloat16ES6_E_clES6_S6_@rel32@hi+12
	s_swappc_b64 s[30:31], s[4:5]
	s_or_b64 exec, exec, s[26:27]
	s_and_saveexec_b64 s[4:5], s[22:23]
	s_xor_b64 s[4:5], exec, s[4:5]
	s_cbranch_execz .LBB206_35
.LBB206_45:
	v_mov_b32_e32 v49, 0
	v_lshlrev_b64 v[2:3], 1, v[48:49]
	s_waitcnt vmcnt(0)
	v_mov_b32_e32 v1, s25
	v_add_co_u32_e32 v2, vcc, s24, v2
	v_addc_co_u32_e32 v3, vcc, v1, v3, vcc
	v_mov_b32_e32 v30, v50
	global_store_short v[2:3], v46, off
	s_or_b64 exec, exec, s[4:5]
	v_cmp_gt_i32_e32 vcc, s33, v30
	s_and_saveexec_b64 s[4:5], vcc
	s_cbranch_execz .LBB206_36
.LBB206_46:
	v_add_u32_e32 v2, s28, v30
	v_mov_b32_e32 v3, 0
	v_lshlrev_b64 v[2:3], 1, v[2:3]
	s_waitcnt vmcnt(0)
	v_mov_b32_e32 v1, s25
	v_add_co_u32_e32 v2, vcc, s24, v2
	v_addc_co_u32_e32 v3, vcc, v1, v3, vcc
	v_add_u32_e32 v30, 0x100, v30
	global_store_short v[2:3], v45, off
	s_or_b64 exec, exec, s[4:5]
	v_cmp_gt_i32_e32 vcc, s33, v30
	s_and_saveexec_b64 s[4:5], vcc
	s_cbranch_execz .LBB206_37
.LBB206_47:
	v_add_u32_e32 v2, s28, v30
	v_mov_b32_e32 v3, 0
	v_lshlrev_b64 v[2:3], 1, v[2:3]
	s_waitcnt vmcnt(0)
	v_mov_b32_e32 v1, s25
	v_add_co_u32_e32 v2, vcc, s24, v2
	v_addc_co_u32_e32 v3, vcc, v1, v3, vcc
	v_add_u32_e32 v30, 0x100, v30
	global_store_short v[2:3], v44, off
	s_or_b64 exec, exec, s[4:5]
	v_cmp_gt_i32_e32 vcc, s33, v30
	s_and_saveexec_b64 s[4:5], vcc
	s_cbranch_execz .LBB206_38
.LBB206_48:
	v_add_u32_e32 v2, s28, v30
	v_mov_b32_e32 v3, 0
	v_lshlrev_b64 v[2:3], 1, v[2:3]
	s_waitcnt vmcnt(0)
	v_mov_b32_e32 v1, s25
	v_add_co_u32_e32 v2, vcc, s24, v2
	v_addc_co_u32_e32 v3, vcc, v1, v3, vcc
	v_add_u32_e32 v30, 0x100, v30
	global_store_short v[2:3], v34, off
	s_or_b64 exec, exec, s[4:5]
	v_cmp_gt_i32_e32 vcc, s33, v30
	s_and_saveexec_b64 s[4:5], vcc
	s_cbranch_execz .LBB206_39
.LBB206_49:
	v_add_u32_e32 v2, s28, v30
	v_mov_b32_e32 v3, 0
	v_lshlrev_b64 v[2:3], 1, v[2:3]
	s_waitcnt vmcnt(0)
	v_mov_b32_e32 v1, s25
	v_add_co_u32_e32 v2, vcc, s24, v2
	v_addc_co_u32_e32 v3, vcc, v1, v3, vcc
	v_add_u32_e32 v30, 0x100, v30
	global_store_short v[2:3], v33, off
	s_or_b64 exec, exec, s[4:5]
	v_cmp_gt_i32_e32 vcc, s33, v30
	s_and_saveexec_b64 s[4:5], vcc
	s_cbranch_execz .LBB206_40
.LBB206_50:
	v_add_u32_e32 v2, s28, v30
	v_mov_b32_e32 v3, 0
	v_lshlrev_b64 v[2:3], 1, v[2:3]
	s_waitcnt vmcnt(0)
	v_mov_b32_e32 v1, s25
	v_add_co_u32_e32 v2, vcc, s24, v2
	v_addc_co_u32_e32 v3, vcc, v1, v3, vcc
	v_add_u32_e32 v30, 0x100, v30
	global_store_short v[2:3], v32, off
	s_or_b64 exec, exec, s[4:5]
	v_cmp_gt_i32_e32 vcc, s33, v30
	s_and_saveexec_b64 s[4:5], vcc
	s_cbranch_execz .LBB206_41
.LBB206_51:
	v_add_u32_e32 v2, s28, v30
	v_mov_b32_e32 v3, 0
	v_lshlrev_b64 v[2:3], 1, v[2:3]
	s_waitcnt vmcnt(0)
	v_mov_b32_e32 v1, s25
	v_add_co_u32_e32 v2, vcc, s24, v2
	v_addc_co_u32_e32 v3, vcc, v1, v3, vcc
	v_add_u32_e32 v30, 0x100, v30
	global_store_short v[2:3], v31, off
	s_or_b64 exec, exec, s[4:5]
	v_cmp_gt_i32_e32 vcc, s33, v30
	s_and_saveexec_b64 s[4:5], vcc
	s_cbranch_execnz .LBB206_42
	s_branch .LBB206_43
	.section	.rodata,"a",@progbits
	.p2align	6, 0x0
	.amdhsa_kernel _ZN2at6native29vectorized_elementwise_kernelILi16EZZZNS0_33launch_standard_gamma_grad_kernelERNS_18TensorIteratorBaseEENKUlvE_clEvENKUlvE2_clEvEUlN3c108BFloat16ES7_E_St5arrayIPcLm3EEEEviT0_T1_
		.amdhsa_group_segment_fixed_size 0
		.amdhsa_private_segment_fixed_size 0
		.amdhsa_kernarg_size 32
		.amdhsa_user_sgpr_count 8
		.amdhsa_user_sgpr_private_segment_buffer 1
		.amdhsa_user_sgpr_dispatch_ptr 0
		.amdhsa_user_sgpr_queue_ptr 0
		.amdhsa_user_sgpr_kernarg_segment_ptr 1
		.amdhsa_user_sgpr_dispatch_id 0
		.amdhsa_user_sgpr_flat_scratch_init 1
		.amdhsa_user_sgpr_kernarg_preload_length 0
		.amdhsa_user_sgpr_kernarg_preload_offset 0
		.amdhsa_user_sgpr_private_segment_size 0
		.amdhsa_uses_dynamic_stack 0
		.amdhsa_system_sgpr_private_segment_wavefront_offset 0
		.amdhsa_system_sgpr_workgroup_id_x 1
		.amdhsa_system_sgpr_workgroup_id_y 0
		.amdhsa_system_sgpr_workgroup_id_z 0
		.amdhsa_system_sgpr_workgroup_info 0
		.amdhsa_system_vgpr_workitem_id 0
		.amdhsa_next_free_vgpr 51
		.amdhsa_next_free_sgpr 38
		.amdhsa_accum_offset 52
		.amdhsa_reserve_vcc 1
		.amdhsa_reserve_flat_scratch 1
		.amdhsa_float_round_mode_32 0
		.amdhsa_float_round_mode_16_64 0
		.amdhsa_float_denorm_mode_32 3
		.amdhsa_float_denorm_mode_16_64 3
		.amdhsa_dx10_clamp 1
		.amdhsa_ieee_mode 1
		.amdhsa_fp16_overflow 0
		.amdhsa_tg_split 0
		.amdhsa_exception_fp_ieee_invalid_op 0
		.amdhsa_exception_fp_denorm_src 0
		.amdhsa_exception_fp_ieee_div_zero 0
		.amdhsa_exception_fp_ieee_overflow 0
		.amdhsa_exception_fp_ieee_underflow 0
		.amdhsa_exception_fp_ieee_inexact 0
		.amdhsa_exception_int_div_zero 0
	.end_amdhsa_kernel
	.section	.text._ZN2at6native29vectorized_elementwise_kernelILi16EZZZNS0_33launch_standard_gamma_grad_kernelERNS_18TensorIteratorBaseEENKUlvE_clEvENKUlvE2_clEvEUlN3c108BFloat16ES7_E_St5arrayIPcLm3EEEEviT0_T1_,"axG",@progbits,_ZN2at6native29vectorized_elementwise_kernelILi16EZZZNS0_33launch_standard_gamma_grad_kernelERNS_18TensorIteratorBaseEENKUlvE_clEvENKUlvE2_clEvEUlN3c108BFloat16ES7_E_St5arrayIPcLm3EEEEviT0_T1_,comdat
.Lfunc_end206:
	.size	_ZN2at6native29vectorized_elementwise_kernelILi16EZZZNS0_33launch_standard_gamma_grad_kernelERNS_18TensorIteratorBaseEENKUlvE_clEvENKUlvE2_clEvEUlN3c108BFloat16ES7_E_St5arrayIPcLm3EEEEviT0_T1_, .Lfunc_end206-_ZN2at6native29vectorized_elementwise_kernelILi16EZZZNS0_33launch_standard_gamma_grad_kernelERNS_18TensorIteratorBaseEENKUlvE_clEvENKUlvE2_clEvEUlN3c108BFloat16ES7_E_St5arrayIPcLm3EEEEviT0_T1_
                                        ; -- End function
	.section	.AMDGPU.csdata,"",@progbits
; Kernel info:
; codeLenInByte = 2192
; NumSgprs: 44
; NumVgprs: 51
; NumAgprs: 0
; TotalNumVgprs: 51
; ScratchSize: 0
; MemoryBound: 0
; FloatMode: 240
; IeeeMode: 1
; LDSByteSize: 0 bytes/workgroup (compile time only)
; SGPRBlocks: 5
; VGPRBlocks: 6
; NumSGPRsForWavesPerEU: 44
; NumVGPRsForWavesPerEU: 51
; AccumOffset: 52
; Occupancy: 8
; WaveLimiterHint : 0
; COMPUTE_PGM_RSRC2:SCRATCH_EN: 0
; COMPUTE_PGM_RSRC2:USER_SGPR: 8
; COMPUTE_PGM_RSRC2:TRAP_HANDLER: 0
; COMPUTE_PGM_RSRC2:TGID_X_EN: 1
; COMPUTE_PGM_RSRC2:TGID_Y_EN: 0
; COMPUTE_PGM_RSRC2:TGID_Z_EN: 0
; COMPUTE_PGM_RSRC2:TIDIG_COMP_CNT: 0
; COMPUTE_PGM_RSRC3_GFX90A:ACCUM_OFFSET: 12
; COMPUTE_PGM_RSRC3_GFX90A:TG_SPLIT: 0
	.section	.text._ZN2at6native29vectorized_elementwise_kernelILi8EZZZNS0_33launch_standard_gamma_grad_kernelERNS_18TensorIteratorBaseEENKUlvE_clEvENKUlvE2_clEvEUlN3c108BFloat16ES7_E_St5arrayIPcLm3EEEEviT0_T1_,"axG",@progbits,_ZN2at6native29vectorized_elementwise_kernelILi8EZZZNS0_33launch_standard_gamma_grad_kernelERNS_18TensorIteratorBaseEENKUlvE_clEvENKUlvE2_clEvEUlN3c108BFloat16ES7_E_St5arrayIPcLm3EEEEviT0_T1_,comdat
	.globl	_ZN2at6native29vectorized_elementwise_kernelILi8EZZZNS0_33launch_standard_gamma_grad_kernelERNS_18TensorIteratorBaseEENKUlvE_clEvENKUlvE2_clEvEUlN3c108BFloat16ES7_E_St5arrayIPcLm3EEEEviT0_T1_ ; -- Begin function _ZN2at6native29vectorized_elementwise_kernelILi8EZZZNS0_33launch_standard_gamma_grad_kernelERNS_18TensorIteratorBaseEENKUlvE_clEvENKUlvE2_clEvEUlN3c108BFloat16ES7_E_St5arrayIPcLm3EEEEviT0_T1_
	.p2align	8
	.type	_ZN2at6native29vectorized_elementwise_kernelILi8EZZZNS0_33launch_standard_gamma_grad_kernelERNS_18TensorIteratorBaseEENKUlvE_clEvENKUlvE2_clEvEUlN3c108BFloat16ES7_E_St5arrayIPcLm3EEEEviT0_T1_,@function
_ZN2at6native29vectorized_elementwise_kernelILi8EZZZNS0_33launch_standard_gamma_grad_kernelERNS_18TensorIteratorBaseEENKUlvE_clEvENKUlvE2_clEvEUlN3c108BFloat16ES7_E_St5arrayIPcLm3EEEEviT0_T1_: ; @_ZN2at6native29vectorized_elementwise_kernelILi8EZZZNS0_33launch_standard_gamma_grad_kernelERNS_18TensorIteratorBaseEENKUlvE_clEvENKUlvE2_clEvEUlN3c108BFloat16ES7_E_St5arrayIPcLm3EEEEviT0_T1_
; %bb.0:
	s_add_u32 flat_scratch_lo, s6, s9
	s_addc_u32 flat_scratch_hi, s7, 0
	s_load_dword s6, s[4:5], 0x0
	s_load_dwordx4 s[24:27], s[4:5], 0x8
	s_load_dwordx2 s[34:35], s[4:5], 0x18
	s_add_u32 s0, s0, s9
	s_addc_u32 s1, s1, 0
	s_lshl_b32 s28, s8, 11
	s_waitcnt lgkmcnt(0)
	s_sub_i32 s33, s6, s28
	v_mov_b32_e32 v30, v0
	s_cmpk_gt_i32 s33, 0x7ff
	s_mov_b64 s[4:5], -1
	s_mov_b32 s32, 0
	s_cbranch_scc0 .LBB207_2
; %bb.1:
	s_ashr_i32 s29, s28, 31
	s_lshl_b64 s[22:23], s[28:29], 1
	s_add_u32 s4, s26, s22
	s_addc_u32 s5, s27, s23
	v_lshlrev_b32_e32 v47, 4, v30
	global_load_dwordx4 v[32:35], v47, s[4:5]
	s_add_u32 s4, s34, s22
	s_addc_u32 s5, s35, s23
	global_load_dwordx4 v[36:39], v47, s[4:5]
	s_getpc_b64 s[36:37]
	s_add_u32 s36, s36, _ZZZZN2at6native33launch_standard_gamma_grad_kernelERNS_18TensorIteratorBaseEENKUlvE_clEvENKUlvE2_clEvENKUlN3c108BFloat16ES6_E_clES6_S6_@rel32@lo+4
	s_addc_u32 s37, s37, _ZZZZN2at6native33launch_standard_gamma_grad_kernelERNS_18TensorIteratorBaseEENKUlvE_clEvENKUlvE2_clEvENKUlN3c108BFloat16ES6_E_clES6_S6_@rel32@hi+12
	s_waitcnt vmcnt(1)
	v_mov_b32_e32 v0, v32
	v_lshrrev_b32_e32 v31, 16, v32
	v_lshrrev_b32_e32 v40, 16, v33
	s_waitcnt vmcnt(0)
	v_mov_b32_e32 v1, v36
	v_lshrrev_b32_e32 v41, 16, v34
	v_lshrrev_b32_e32 v42, 16, v35
	;; [unrolled: 1-line block ×6, first 2 shown]
	s_swappc_b64 s[30:31], s[36:37]
	v_mov_b32_e32 v32, v0
	v_mov_b32_e32 v0, v31
	v_mov_b32_e32 v1, v43
	s_swappc_b64 s[30:31], s[36:37]
	v_mov_b32_e32 v31, v0
	v_mov_b32_e32 v0, v33
	v_mov_b32_e32 v1, v37
	;; [unrolled: 4-line block ×7, first 2 shown]
	s_swappc_b64 s[30:31], s[36:37]
	s_add_u32 s4, s24, s22
	s_mov_b32 s6, 0x5040100
	s_addc_u32 s5, s25, s23
	v_perm_b32 v2, v31, v32, s6
	v_perm_b32 v3, v36, v33, s6
	;; [unrolled: 1-line block ×4, first 2 shown]
	global_store_dwordx4 v47, v[2:5], s[4:5]
	s_mov_b64 s[4:5], 0
.LBB207_2:
	s_andn2_b64 vcc, exec, s[4:5]
	s_cbranch_vccnz .LBB207_43
; %bb.3:
	v_cmp_gt_i32_e64 s[22:23], s33, v30
	v_mov_b32_e32 v31, 0
	v_or_b32_e32 v48, s28, v30
	v_mov_b32_e32 v0, 0
	v_mov_b32_e32 v1, 0
	;; [unrolled: 1-line block ×3, first 2 shown]
	s_and_saveexec_b64 s[4:5], s[22:23]
	s_cbranch_execz .LBB207_5
; %bb.4:
	v_mov_b32_e32 v49, 0
	v_lshlrev_b64 v[0:1], 1, v[48:49]
	v_mov_b32_e32 v3, s35
	v_add_co_u32_e32 v2, vcc, s34, v0
	v_addc_co_u32_e32 v3, vcc, v3, v1, vcc
	v_mov_b32_e32 v5, s27
	v_add_co_u32_e32 v4, vcc, s26, v0
	v_addc_co_u32_e32 v5, vcc, v5, v1, vcc
	global_load_ushort v0, v[4:5], off
	global_load_ushort v1, v[2:3], off
	v_or_b32_e32 v2, 0x100, v30
.LBB207_5:
	s_or_b64 exec, exec, s[4:5]
	v_cmp_gt_i32_e32 vcc, s33, v2
	v_mov_b32_e32 v33, 0
	s_and_saveexec_b64 s[4:5], vcc
	s_cbranch_execz .LBB207_7
; %bb.6:
	v_add_u32_e32 v4, s28, v2
	v_mov_b32_e32 v5, 0
	v_lshlrev_b64 v[4:5], 1, v[4:5]
	v_mov_b32_e32 v3, s35
	v_add_co_u32_e32 v6, vcc, s34, v4
	v_addc_co_u32_e32 v7, vcc, v3, v5, vcc
	v_mov_b32_e32 v3, s27
	v_add_co_u32_e32 v4, vcc, s26, v4
	v_addc_co_u32_e32 v5, vcc, v3, v5, vcc
	global_load_ushort v31, v[4:5], off
	global_load_ushort v33, v[6:7], off
	v_add_u32_e32 v2, 0x100, v2
.LBB207_7:
	s_or_b64 exec, exec, s[4:5]
	v_cmp_gt_i32_e32 vcc, s33, v2
	v_mov_b32_e32 v32, 0
	v_mov_b32_e32 v34, 0
	v_mov_b32_e32 v35, 0
	s_and_saveexec_b64 s[4:5], vcc
	s_cbranch_execz .LBB207_9
; %bb.8:
	v_add_u32_e32 v4, s28, v2
	v_mov_b32_e32 v5, 0
	v_lshlrev_b64 v[4:5], 1, v[4:5]
	v_mov_b32_e32 v3, s35
	v_add_co_u32_e32 v6, vcc, s34, v4
	v_addc_co_u32_e32 v7, vcc, v3, v5, vcc
	v_mov_b32_e32 v3, s27
	v_add_co_u32_e32 v4, vcc, s26, v4
	v_addc_co_u32_e32 v5, vcc, v3, v5, vcc
	global_load_ushort v34, v[4:5], off
	global_load_ushort v35, v[6:7], off
	v_add_u32_e32 v2, 0x100, v2
.LBB207_9:
	s_or_b64 exec, exec, s[4:5]
	v_cmp_gt_i32_e32 vcc, s33, v2
	v_mov_b32_e32 v37, 0
	s_and_saveexec_b64 s[4:5], vcc
	s_cbranch_execz .LBB207_11
; %bb.10:
	v_add_u32_e32 v4, s28, v2
	v_mov_b32_e32 v5, 0
	v_lshlrev_b64 v[4:5], 1, v[4:5]
	v_mov_b32_e32 v3, s35
	v_add_co_u32_e32 v6, vcc, s34, v4
	v_addc_co_u32_e32 v7, vcc, v3, v5, vcc
	v_mov_b32_e32 v3, s27
	v_add_co_u32_e32 v4, vcc, s26, v4
	v_addc_co_u32_e32 v5, vcc, v3, v5, vcc
	global_load_ushort v32, v[4:5], off
	global_load_ushort v37, v[6:7], off
	v_add_u32_e32 v2, 0x100, v2
.LBB207_11:
	s_or_b64 exec, exec, s[4:5]
	v_cmp_gt_i32_e32 vcc, s33, v2
	v_mov_b32_e32 v36, 0
	v_mov_b32_e32 v38, 0
	v_mov_b32_e32 v39, 0
	s_and_saveexec_b64 s[4:5], vcc
	s_cbranch_execz .LBB207_13
; %bb.12:
	v_add_u32_e32 v4, s28, v2
	v_mov_b32_e32 v5, 0
	v_lshlrev_b64 v[4:5], 1, v[4:5]
	v_mov_b32_e32 v3, s35
	v_add_co_u32_e32 v6, vcc, s34, v4
	v_addc_co_u32_e32 v7, vcc, v3, v5, vcc
	v_mov_b32_e32 v3, s27
	v_add_co_u32_e32 v4, vcc, s26, v4
	v_addc_co_u32_e32 v5, vcc, v3, v5, vcc
	global_load_ushort v38, v[4:5], off
	global_load_ushort v39, v[6:7], off
	v_add_u32_e32 v2, 0x100, v2
.LBB207_13:
	;; [unrolled: 40-line block ×3, first 2 shown]
	s_or_b64 exec, exec, s[4:5]
	v_cmp_gt_i32_e32 vcc, s33, v2
	v_mov_b32_e32 v47, 0
	s_and_saveexec_b64 s[4:5], vcc
	s_cbranch_execz .LBB207_19
; %bb.18:
	v_add_u32_e32 v2, s28, v2
	v_mov_b32_e32 v3, 0
	v_lshlrev_b64 v[2:3], 1, v[2:3]
	v_mov_b32_e32 v5, s35
	v_add_co_u32_e32 v4, vcc, s34, v2
	v_addc_co_u32_e32 v5, vcc, v5, v3, vcc
	v_mov_b32_e32 v6, s27
	v_add_co_u32_e32 v2, vcc, s26, v2
	v_addc_co_u32_e32 v3, vcc, v6, v3, vcc
	global_load_ushort v40, v[2:3], off
	global_load_ushort v47, v[4:5], off
.LBB207_19:
	s_or_b64 exec, exec, s[4:5]
                                        ; implicit-def: $vgpr46
	s_and_saveexec_b64 s[26:27], s[22:23]
	s_cbranch_execz .LBB207_21
; %bb.20:
	s_getpc_b64 s[4:5]
	s_add_u32 s4, s4, _ZZZZN2at6native33launch_standard_gamma_grad_kernelERNS_18TensorIteratorBaseEENKUlvE_clEvENKUlvE2_clEvENKUlN3c108BFloat16ES6_E_clES6_S6_@rel32@lo+4
	s_addc_u32 s5, s5, _ZZZZN2at6native33launch_standard_gamma_grad_kernelERNS_18TensorIteratorBaseEENKUlvE_clEvENKUlvE2_clEvENKUlN3c108BFloat16ES6_E_clES6_S6_@rel32@hi+12
	s_swappc_b64 s[30:31], s[4:5]
	v_mov_b32_e32 v46, v0
.LBB207_21:
	s_or_b64 exec, exec, s[26:27]
	v_or_b32_e32 v50, 0x100, v30
	v_cmp_gt_i32_e32 vcc, s33, v50
                                        ; implicit-def: $vgpr45
	s_and_saveexec_b64 s[26:27], vcc
	s_cbranch_execz .LBB207_23
; %bb.22:
	s_waitcnt vmcnt(1)
	v_mov_b32_e32 v0, v31
	s_waitcnt vmcnt(0)
	v_mov_b32_e32 v1, v33
	s_getpc_b64 s[4:5]
	s_add_u32 s4, s4, _ZZZZN2at6native33launch_standard_gamma_grad_kernelERNS_18TensorIteratorBaseEENKUlvE_clEvENKUlvE2_clEvENKUlN3c108BFloat16ES6_E_clES6_S6_@rel32@lo+4
	s_addc_u32 s5, s5, _ZZZZN2at6native33launch_standard_gamma_grad_kernelERNS_18TensorIteratorBaseEENKUlvE_clEvENKUlvE2_clEvENKUlN3c108BFloat16ES6_E_clES6_S6_@rel32@hi+12
	s_swappc_b64 s[30:31], s[4:5]
	v_mov_b32_e32 v45, v0
.LBB207_23:
	s_or_b64 exec, exec, s[26:27]
	s_waitcnt vmcnt(1)
	v_or_b32_e32 v0, 0x200, v30
	v_cmp_gt_i32_e32 vcc, s33, v0
                                        ; implicit-def: $vgpr44
	s_and_saveexec_b64 s[26:27], vcc
	s_cbranch_execz .LBB207_25
; %bb.24:
	v_mov_b32_e32 v0, v34
	s_waitcnt vmcnt(0)
	v_mov_b32_e32 v1, v35
	s_getpc_b64 s[4:5]
	s_add_u32 s4, s4, _ZZZZN2at6native33launch_standard_gamma_grad_kernelERNS_18TensorIteratorBaseEENKUlvE_clEvENKUlvE2_clEvENKUlN3c108BFloat16ES6_E_clES6_S6_@rel32@lo+4
	s_addc_u32 s5, s5, _ZZZZN2at6native33launch_standard_gamma_grad_kernelERNS_18TensorIteratorBaseEENKUlvE_clEvENKUlvE2_clEvENKUlN3c108BFloat16ES6_E_clES6_S6_@rel32@hi+12
	s_swappc_b64 s[30:31], s[4:5]
	v_mov_b32_e32 v44, v0
.LBB207_25:
	s_or_b64 exec, exec, s[26:27]
	v_or_b32_e32 v0, 0x300, v30
	v_cmp_gt_i32_e32 vcc, s33, v0
                                        ; implicit-def: $vgpr34
	s_and_saveexec_b64 s[26:27], vcc
	s_cbranch_execz .LBB207_27
; %bb.26:
	v_mov_b32_e32 v0, v32
	s_waitcnt vmcnt(0)
	v_mov_b32_e32 v1, v37
	s_getpc_b64 s[4:5]
	s_add_u32 s4, s4, _ZZZZN2at6native33launch_standard_gamma_grad_kernelERNS_18TensorIteratorBaseEENKUlvE_clEvENKUlvE2_clEvENKUlN3c108BFloat16ES6_E_clES6_S6_@rel32@lo+4
	s_addc_u32 s5, s5, _ZZZZN2at6native33launch_standard_gamma_grad_kernelERNS_18TensorIteratorBaseEENKUlvE_clEvENKUlvE2_clEvENKUlN3c108BFloat16ES6_E_clES6_S6_@rel32@hi+12
	s_swappc_b64 s[30:31], s[4:5]
	v_mov_b32_e32 v34, v0
.LBB207_27:
	s_or_b64 exec, exec, s[26:27]
	v_or_b32_e32 v0, 0x400, v30
	v_cmp_gt_i32_e32 vcc, s33, v0
                                        ; implicit-def: $vgpr33
	s_and_saveexec_b64 s[26:27], vcc
	s_cbranch_execz .LBB207_29
; %bb.28:
	v_mov_b32_e32 v0, v38
	s_waitcnt vmcnt(0)
	v_mov_b32_e32 v1, v39
	s_getpc_b64 s[4:5]
	s_add_u32 s4, s4, _ZZZZN2at6native33launch_standard_gamma_grad_kernelERNS_18TensorIteratorBaseEENKUlvE_clEvENKUlvE2_clEvENKUlN3c108BFloat16ES6_E_clES6_S6_@rel32@lo+4
	s_addc_u32 s5, s5, _ZZZZN2at6native33launch_standard_gamma_grad_kernelERNS_18TensorIteratorBaseEENKUlvE_clEvENKUlvE2_clEvENKUlN3c108BFloat16ES6_E_clES6_S6_@rel32@hi+12
	s_swappc_b64 s[30:31], s[4:5]
	v_mov_b32_e32 v33, v0
.LBB207_29:
	s_or_b64 exec, exec, s[26:27]
	v_or_b32_e32 v0, 0x500, v30
	v_cmp_gt_i32_e32 vcc, s33, v0
                                        ; implicit-def: $vgpr32
	s_and_saveexec_b64 s[26:27], vcc
	s_cbranch_execz .LBB207_31
; %bb.30:
	v_mov_b32_e32 v0, v36
	s_waitcnt vmcnt(0)
	v_mov_b32_e32 v1, v41
	s_getpc_b64 s[4:5]
	s_add_u32 s4, s4, _ZZZZN2at6native33launch_standard_gamma_grad_kernelERNS_18TensorIteratorBaseEENKUlvE_clEvENKUlvE2_clEvENKUlN3c108BFloat16ES6_E_clES6_S6_@rel32@lo+4
	s_addc_u32 s5, s5, _ZZZZN2at6native33launch_standard_gamma_grad_kernelERNS_18TensorIteratorBaseEENKUlvE_clEvENKUlvE2_clEvENKUlN3c108BFloat16ES6_E_clES6_S6_@rel32@hi+12
	s_swappc_b64 s[30:31], s[4:5]
	v_mov_b32_e32 v32, v0
.LBB207_31:
	s_or_b64 exec, exec, s[26:27]
	v_or_b32_e32 v0, 0x600, v30
	v_cmp_gt_i32_e32 vcc, s33, v0
                                        ; implicit-def: $vgpr31
	s_and_saveexec_b64 s[26:27], vcc
	s_cbranch_execz .LBB207_33
; %bb.32:
	v_mov_b32_e32 v0, v42
	s_waitcnt vmcnt(0)
	v_mov_b32_e32 v1, v43
	s_getpc_b64 s[4:5]
	s_add_u32 s4, s4, _ZZZZN2at6native33launch_standard_gamma_grad_kernelERNS_18TensorIteratorBaseEENKUlvE_clEvENKUlvE2_clEvENKUlN3c108BFloat16ES6_E_clES6_S6_@rel32@lo+4
	s_addc_u32 s5, s5, _ZZZZN2at6native33launch_standard_gamma_grad_kernelERNS_18TensorIteratorBaseEENKUlvE_clEvENKUlvE2_clEvENKUlN3c108BFloat16ES6_E_clES6_S6_@rel32@hi+12
	s_swappc_b64 s[30:31], s[4:5]
	v_mov_b32_e32 v31, v0
.LBB207_33:
	s_or_b64 exec, exec, s[26:27]
	v_or_b32_e32 v0, 0x700, v30
	v_cmp_gt_i32_e32 vcc, s33, v0
                                        ; implicit-def: $vgpr0
	s_and_saveexec_b64 s[26:27], vcc
	s_cbranch_execnz .LBB207_44
; %bb.34:
	s_or_b64 exec, exec, s[26:27]
	s_and_saveexec_b64 s[4:5], s[22:23]
	s_xor_b64 s[4:5], exec, s[4:5]
	s_cbranch_execnz .LBB207_45
.LBB207_35:
	s_or_b64 exec, exec, s[4:5]
	v_cmp_gt_i32_e32 vcc, s33, v30
	s_and_saveexec_b64 s[4:5], vcc
	s_cbranch_execnz .LBB207_46
.LBB207_36:
	s_or_b64 exec, exec, s[4:5]
	v_cmp_gt_i32_e32 vcc, s33, v30
	s_and_saveexec_b64 s[4:5], vcc
	s_cbranch_execnz .LBB207_47
.LBB207_37:
	s_or_b64 exec, exec, s[4:5]
	v_cmp_gt_i32_e32 vcc, s33, v30
	s_and_saveexec_b64 s[4:5], vcc
	s_cbranch_execnz .LBB207_48
.LBB207_38:
	s_or_b64 exec, exec, s[4:5]
	v_cmp_gt_i32_e32 vcc, s33, v30
	s_and_saveexec_b64 s[4:5], vcc
	s_cbranch_execnz .LBB207_49
.LBB207_39:
	s_or_b64 exec, exec, s[4:5]
	v_cmp_gt_i32_e32 vcc, s33, v30
	s_and_saveexec_b64 s[4:5], vcc
	s_cbranch_execnz .LBB207_50
.LBB207_40:
	s_or_b64 exec, exec, s[4:5]
	v_cmp_gt_i32_e32 vcc, s33, v30
	s_and_saveexec_b64 s[4:5], vcc
	s_cbranch_execnz .LBB207_51
.LBB207_41:
	s_or_b64 exec, exec, s[4:5]
	v_cmp_gt_i32_e32 vcc, s33, v30
	s_and_saveexec_b64 s[4:5], vcc
	s_cbranch_execz .LBB207_43
.LBB207_42:
	v_add_u32_e32 v2, s28, v30
	v_mov_b32_e32 v3, 0
	v_lshlrev_b64 v[2:3], 1, v[2:3]
	s_waitcnt vmcnt(0)
	v_mov_b32_e32 v1, s25
	v_add_co_u32_e32 v2, vcc, s24, v2
	v_addc_co_u32_e32 v3, vcc, v1, v3, vcc
	global_store_short v[2:3], v0, off
.LBB207_43:
	s_endpgm
.LBB207_44:
	v_mov_b32_e32 v0, v40
	s_waitcnt vmcnt(0)
	v_mov_b32_e32 v1, v47
	s_getpc_b64 s[4:5]
	s_add_u32 s4, s4, _ZZZZN2at6native33launch_standard_gamma_grad_kernelERNS_18TensorIteratorBaseEENKUlvE_clEvENKUlvE2_clEvENKUlN3c108BFloat16ES6_E_clES6_S6_@rel32@lo+4
	s_addc_u32 s5, s5, _ZZZZN2at6native33launch_standard_gamma_grad_kernelERNS_18TensorIteratorBaseEENKUlvE_clEvENKUlvE2_clEvENKUlN3c108BFloat16ES6_E_clES6_S6_@rel32@hi+12
	s_swappc_b64 s[30:31], s[4:5]
	s_or_b64 exec, exec, s[26:27]
	s_and_saveexec_b64 s[4:5], s[22:23]
	s_xor_b64 s[4:5], exec, s[4:5]
	s_cbranch_execz .LBB207_35
.LBB207_45:
	v_mov_b32_e32 v49, 0
	v_lshlrev_b64 v[2:3], 1, v[48:49]
	s_waitcnt vmcnt(0)
	v_mov_b32_e32 v1, s25
	v_add_co_u32_e32 v2, vcc, s24, v2
	v_addc_co_u32_e32 v3, vcc, v1, v3, vcc
	v_mov_b32_e32 v30, v50
	global_store_short v[2:3], v46, off
	s_or_b64 exec, exec, s[4:5]
	v_cmp_gt_i32_e32 vcc, s33, v30
	s_and_saveexec_b64 s[4:5], vcc
	s_cbranch_execz .LBB207_36
.LBB207_46:
	v_add_u32_e32 v2, s28, v30
	v_mov_b32_e32 v3, 0
	v_lshlrev_b64 v[2:3], 1, v[2:3]
	s_waitcnt vmcnt(0)
	v_mov_b32_e32 v1, s25
	v_add_co_u32_e32 v2, vcc, s24, v2
	v_addc_co_u32_e32 v3, vcc, v1, v3, vcc
	v_add_u32_e32 v30, 0x100, v30
	global_store_short v[2:3], v45, off
	s_or_b64 exec, exec, s[4:5]
	v_cmp_gt_i32_e32 vcc, s33, v30
	s_and_saveexec_b64 s[4:5], vcc
	s_cbranch_execz .LBB207_37
.LBB207_47:
	v_add_u32_e32 v2, s28, v30
	v_mov_b32_e32 v3, 0
	v_lshlrev_b64 v[2:3], 1, v[2:3]
	s_waitcnt vmcnt(0)
	v_mov_b32_e32 v1, s25
	v_add_co_u32_e32 v2, vcc, s24, v2
	v_addc_co_u32_e32 v3, vcc, v1, v3, vcc
	v_add_u32_e32 v30, 0x100, v30
	global_store_short v[2:3], v44, off
	s_or_b64 exec, exec, s[4:5]
	v_cmp_gt_i32_e32 vcc, s33, v30
	s_and_saveexec_b64 s[4:5], vcc
	s_cbranch_execz .LBB207_38
.LBB207_48:
	v_add_u32_e32 v2, s28, v30
	v_mov_b32_e32 v3, 0
	v_lshlrev_b64 v[2:3], 1, v[2:3]
	s_waitcnt vmcnt(0)
	v_mov_b32_e32 v1, s25
	v_add_co_u32_e32 v2, vcc, s24, v2
	v_addc_co_u32_e32 v3, vcc, v1, v3, vcc
	v_add_u32_e32 v30, 0x100, v30
	global_store_short v[2:3], v34, off
	s_or_b64 exec, exec, s[4:5]
	v_cmp_gt_i32_e32 vcc, s33, v30
	s_and_saveexec_b64 s[4:5], vcc
	s_cbranch_execz .LBB207_39
.LBB207_49:
	v_add_u32_e32 v2, s28, v30
	v_mov_b32_e32 v3, 0
	v_lshlrev_b64 v[2:3], 1, v[2:3]
	s_waitcnt vmcnt(0)
	v_mov_b32_e32 v1, s25
	v_add_co_u32_e32 v2, vcc, s24, v2
	v_addc_co_u32_e32 v3, vcc, v1, v3, vcc
	v_add_u32_e32 v30, 0x100, v30
	global_store_short v[2:3], v33, off
	s_or_b64 exec, exec, s[4:5]
	v_cmp_gt_i32_e32 vcc, s33, v30
	s_and_saveexec_b64 s[4:5], vcc
	s_cbranch_execz .LBB207_40
.LBB207_50:
	v_add_u32_e32 v2, s28, v30
	v_mov_b32_e32 v3, 0
	v_lshlrev_b64 v[2:3], 1, v[2:3]
	s_waitcnt vmcnt(0)
	v_mov_b32_e32 v1, s25
	v_add_co_u32_e32 v2, vcc, s24, v2
	v_addc_co_u32_e32 v3, vcc, v1, v3, vcc
	v_add_u32_e32 v30, 0x100, v30
	global_store_short v[2:3], v32, off
	s_or_b64 exec, exec, s[4:5]
	v_cmp_gt_i32_e32 vcc, s33, v30
	s_and_saveexec_b64 s[4:5], vcc
	s_cbranch_execz .LBB207_41
.LBB207_51:
	v_add_u32_e32 v2, s28, v30
	v_mov_b32_e32 v3, 0
	v_lshlrev_b64 v[2:3], 1, v[2:3]
	s_waitcnt vmcnt(0)
	v_mov_b32_e32 v1, s25
	v_add_co_u32_e32 v2, vcc, s24, v2
	v_addc_co_u32_e32 v3, vcc, v1, v3, vcc
	v_add_u32_e32 v30, 0x100, v30
	global_store_short v[2:3], v31, off
	s_or_b64 exec, exec, s[4:5]
	v_cmp_gt_i32_e32 vcc, s33, v30
	s_and_saveexec_b64 s[4:5], vcc
	s_cbranch_execnz .LBB207_42
	s_branch .LBB207_43
	.section	.rodata,"a",@progbits
	.p2align	6, 0x0
	.amdhsa_kernel _ZN2at6native29vectorized_elementwise_kernelILi8EZZZNS0_33launch_standard_gamma_grad_kernelERNS_18TensorIteratorBaseEENKUlvE_clEvENKUlvE2_clEvEUlN3c108BFloat16ES7_E_St5arrayIPcLm3EEEEviT0_T1_
		.amdhsa_group_segment_fixed_size 0
		.amdhsa_private_segment_fixed_size 0
		.amdhsa_kernarg_size 32
		.amdhsa_user_sgpr_count 8
		.amdhsa_user_sgpr_private_segment_buffer 1
		.amdhsa_user_sgpr_dispatch_ptr 0
		.amdhsa_user_sgpr_queue_ptr 0
		.amdhsa_user_sgpr_kernarg_segment_ptr 1
		.amdhsa_user_sgpr_dispatch_id 0
		.amdhsa_user_sgpr_flat_scratch_init 1
		.amdhsa_user_sgpr_kernarg_preload_length 0
		.amdhsa_user_sgpr_kernarg_preload_offset 0
		.amdhsa_user_sgpr_private_segment_size 0
		.amdhsa_uses_dynamic_stack 0
		.amdhsa_system_sgpr_private_segment_wavefront_offset 0
		.amdhsa_system_sgpr_workgroup_id_x 1
		.amdhsa_system_sgpr_workgroup_id_y 0
		.amdhsa_system_sgpr_workgroup_id_z 0
		.amdhsa_system_sgpr_workgroup_info 0
		.amdhsa_system_vgpr_workitem_id 0
		.amdhsa_next_free_vgpr 51
		.amdhsa_next_free_sgpr 38
		.amdhsa_accum_offset 52
		.amdhsa_reserve_vcc 1
		.amdhsa_reserve_flat_scratch 1
		.amdhsa_float_round_mode_32 0
		.amdhsa_float_round_mode_16_64 0
		.amdhsa_float_denorm_mode_32 3
		.amdhsa_float_denorm_mode_16_64 3
		.amdhsa_dx10_clamp 1
		.amdhsa_ieee_mode 1
		.amdhsa_fp16_overflow 0
		.amdhsa_tg_split 0
		.amdhsa_exception_fp_ieee_invalid_op 0
		.amdhsa_exception_fp_denorm_src 0
		.amdhsa_exception_fp_ieee_div_zero 0
		.amdhsa_exception_fp_ieee_overflow 0
		.amdhsa_exception_fp_ieee_underflow 0
		.amdhsa_exception_fp_ieee_inexact 0
		.amdhsa_exception_int_div_zero 0
	.end_amdhsa_kernel
	.section	.text._ZN2at6native29vectorized_elementwise_kernelILi8EZZZNS0_33launch_standard_gamma_grad_kernelERNS_18TensorIteratorBaseEENKUlvE_clEvENKUlvE2_clEvEUlN3c108BFloat16ES7_E_St5arrayIPcLm3EEEEviT0_T1_,"axG",@progbits,_ZN2at6native29vectorized_elementwise_kernelILi8EZZZNS0_33launch_standard_gamma_grad_kernelERNS_18TensorIteratorBaseEENKUlvE_clEvENKUlvE2_clEvEUlN3c108BFloat16ES7_E_St5arrayIPcLm3EEEEviT0_T1_,comdat
.Lfunc_end207:
	.size	_ZN2at6native29vectorized_elementwise_kernelILi8EZZZNS0_33launch_standard_gamma_grad_kernelERNS_18TensorIteratorBaseEENKUlvE_clEvENKUlvE2_clEvEUlN3c108BFloat16ES7_E_St5arrayIPcLm3EEEEviT0_T1_, .Lfunc_end207-_ZN2at6native29vectorized_elementwise_kernelILi8EZZZNS0_33launch_standard_gamma_grad_kernelERNS_18TensorIteratorBaseEENKUlvE_clEvENKUlvE2_clEvEUlN3c108BFloat16ES7_E_St5arrayIPcLm3EEEEviT0_T1_
                                        ; -- End function
	.section	.AMDGPU.csdata,"",@progbits
; Kernel info:
; codeLenInByte = 2192
; NumSgprs: 44
; NumVgprs: 51
; NumAgprs: 0
; TotalNumVgprs: 51
; ScratchSize: 0
; MemoryBound: 0
; FloatMode: 240
; IeeeMode: 1
; LDSByteSize: 0 bytes/workgroup (compile time only)
; SGPRBlocks: 5
; VGPRBlocks: 6
; NumSGPRsForWavesPerEU: 44
; NumVGPRsForWavesPerEU: 51
; AccumOffset: 52
; Occupancy: 8
; WaveLimiterHint : 0
; COMPUTE_PGM_RSRC2:SCRATCH_EN: 0
; COMPUTE_PGM_RSRC2:USER_SGPR: 8
; COMPUTE_PGM_RSRC2:TRAP_HANDLER: 0
; COMPUTE_PGM_RSRC2:TGID_X_EN: 1
; COMPUTE_PGM_RSRC2:TGID_Y_EN: 0
; COMPUTE_PGM_RSRC2:TGID_Z_EN: 0
; COMPUTE_PGM_RSRC2:TIDIG_COMP_CNT: 0
; COMPUTE_PGM_RSRC3_GFX90A:ACCUM_OFFSET: 12
; COMPUTE_PGM_RSRC3_GFX90A:TG_SPLIT: 0
	.section	.text._ZN2at6native29vectorized_elementwise_kernelILi4EZZZNS0_33launch_standard_gamma_grad_kernelERNS_18TensorIteratorBaseEENKUlvE_clEvENKUlvE2_clEvEUlN3c108BFloat16ES7_E_St5arrayIPcLm3EEEEviT0_T1_,"axG",@progbits,_ZN2at6native29vectorized_elementwise_kernelILi4EZZZNS0_33launch_standard_gamma_grad_kernelERNS_18TensorIteratorBaseEENKUlvE_clEvENKUlvE2_clEvEUlN3c108BFloat16ES7_E_St5arrayIPcLm3EEEEviT0_T1_,comdat
	.globl	_ZN2at6native29vectorized_elementwise_kernelILi4EZZZNS0_33launch_standard_gamma_grad_kernelERNS_18TensorIteratorBaseEENKUlvE_clEvENKUlvE2_clEvEUlN3c108BFloat16ES7_E_St5arrayIPcLm3EEEEviT0_T1_ ; -- Begin function _ZN2at6native29vectorized_elementwise_kernelILi4EZZZNS0_33launch_standard_gamma_grad_kernelERNS_18TensorIteratorBaseEENKUlvE_clEvENKUlvE2_clEvEUlN3c108BFloat16ES7_E_St5arrayIPcLm3EEEEviT0_T1_
	.p2align	8
	.type	_ZN2at6native29vectorized_elementwise_kernelILi4EZZZNS0_33launch_standard_gamma_grad_kernelERNS_18TensorIteratorBaseEENKUlvE_clEvENKUlvE2_clEvEUlN3c108BFloat16ES7_E_St5arrayIPcLm3EEEEviT0_T1_,@function
_ZN2at6native29vectorized_elementwise_kernelILi4EZZZNS0_33launch_standard_gamma_grad_kernelERNS_18TensorIteratorBaseEENKUlvE_clEvENKUlvE2_clEvEUlN3c108BFloat16ES7_E_St5arrayIPcLm3EEEEviT0_T1_: ; @_ZN2at6native29vectorized_elementwise_kernelILi4EZZZNS0_33launch_standard_gamma_grad_kernelERNS_18TensorIteratorBaseEENKUlvE_clEvENKUlvE2_clEvEUlN3c108BFloat16ES7_E_St5arrayIPcLm3EEEEviT0_T1_
; %bb.0:
	s_add_u32 flat_scratch_lo, s6, s9
	s_addc_u32 flat_scratch_hi, s7, 0
	s_load_dword s6, s[4:5], 0x0
	s_load_dwordx4 s[24:27], s[4:5], 0x8
	s_load_dwordx2 s[34:35], s[4:5], 0x18
	s_add_u32 s0, s0, s9
	s_addc_u32 s1, s1, 0
	s_lshl_b32 s28, s8, 11
	s_waitcnt lgkmcnt(0)
	s_sub_i32 s33, s6, s28
	v_mov_b32_e32 v30, v0
	s_cmpk_gt_i32 s33, 0x7ff
	s_mov_b64 s[4:5], -1
	s_mov_b32 s32, 0
	s_cbranch_scc0 .LBB208_2
; %bb.1:
	s_ashr_i32 s29, s28, 31
	s_lshl_b64 s[22:23], s[28:29], 1
	s_add_u32 s4, s26, s22
	s_addc_u32 s5, s27, s23
	v_lshlrev_b32_e32 v47, 3, v30
	s_add_u32 s6, s34, s22
	global_load_dwordx2 v[32:33], v47, s[4:5]
	global_load_dwordx2 v[34:35], v47, s[4:5] offset:2048
	s_addc_u32 s7, s35, s23
	global_load_dwordx2 v[36:37], v47, s[6:7]
	global_load_dwordx2 v[38:39], v47, s[6:7] offset:2048
	s_getpc_b64 s[36:37]
	s_add_u32 s36, s36, _ZZZZN2at6native33launch_standard_gamma_grad_kernelERNS_18TensorIteratorBaseEENKUlvE_clEvENKUlvE2_clEvENKUlN3c108BFloat16ES6_E_clES6_S6_@rel32@lo+4
	s_addc_u32 s37, s37, _ZZZZN2at6native33launch_standard_gamma_grad_kernelERNS_18TensorIteratorBaseEENKUlvE_clEvENKUlvE2_clEvENKUlN3c108BFloat16ES6_E_clES6_S6_@rel32@hi+12
	s_waitcnt vmcnt(3)
	v_mov_b32_e32 v0, v32
	v_lshrrev_b32_e32 v31, 16, v32
	s_waitcnt vmcnt(1)
	v_mov_b32_e32 v1, v36
	v_lshrrev_b32_e32 v40, 16, v33
	v_lshrrev_b32_e32 v41, 16, v34
	;; [unrolled: 1-line block ×5, first 2 shown]
	s_waitcnt vmcnt(0)
	v_lshrrev_b32_e32 v45, 16, v38
	v_lshrrev_b32_e32 v46, 16, v39
	s_swappc_b64 s[30:31], s[36:37]
	v_mov_b32_e32 v32, v0
	v_mov_b32_e32 v0, v31
	v_mov_b32_e32 v1, v43
	s_swappc_b64 s[30:31], s[36:37]
	v_mov_b32_e32 v31, v0
	v_mov_b32_e32 v0, v33
	v_mov_b32_e32 v1, v37
	;; [unrolled: 4-line block ×7, first 2 shown]
	s_swappc_b64 s[30:31], s[36:37]
	v_lshlrev_b32_e32 v3, 16, v31
	v_and_b32_e32 v4, 0xffff, v32
	s_add_u32 s4, s24, s22
	v_lshlrev_b32_e32 v1, 16, v36
	v_and_b32_e32 v2, 0xffff, v33
	v_or_b32_e32 v4, v3, v4
	s_addc_u32 s5, s25, s23
	v_or3_b32 v3, 0, v2, v1
	v_or3_b32 v2, v4, 0, 0
	global_store_dwordx2 v47, v[2:3], s[4:5]
	v_lshlrev_b32_e32 v2, 16, v37
	v_and_b32_e32 v3, 0xffff, v34
	v_lshlrev_b32_e32 v0, 16, v0
	v_and_b32_e32 v1, 0xffff, v35
	v_or_b32_e32 v2, v2, v3
	v_or3_b32 v1, 0, v1, v0
	v_or3_b32 v0, v2, 0, 0
	global_store_dwordx2 v47, v[0:1], s[4:5] offset:2048
	s_mov_b64 s[4:5], 0
.LBB208_2:
	s_andn2_b64 vcc, exec, s[4:5]
	s_cbranch_vccnz .LBB208_43
; %bb.3:
	v_cmp_gt_i32_e64 s[22:23], s33, v30
	v_mov_b32_e32 v31, 0
	v_or_b32_e32 v48, s28, v30
	v_mov_b32_e32 v0, 0
	v_mov_b32_e32 v1, 0
	;; [unrolled: 1-line block ×3, first 2 shown]
	s_and_saveexec_b64 s[4:5], s[22:23]
	s_cbranch_execz .LBB208_5
; %bb.4:
	v_mov_b32_e32 v49, 0
	v_lshlrev_b64 v[0:1], 1, v[48:49]
	v_mov_b32_e32 v3, s35
	v_add_co_u32_e32 v2, vcc, s34, v0
	v_addc_co_u32_e32 v3, vcc, v3, v1, vcc
	v_mov_b32_e32 v5, s27
	v_add_co_u32_e32 v4, vcc, s26, v0
	v_addc_co_u32_e32 v5, vcc, v5, v1, vcc
	global_load_ushort v0, v[4:5], off
	global_load_ushort v1, v[2:3], off
	v_or_b32_e32 v2, 0x100, v30
.LBB208_5:
	s_or_b64 exec, exec, s[4:5]
	v_cmp_gt_i32_e32 vcc, s33, v2
	v_mov_b32_e32 v33, 0
	s_and_saveexec_b64 s[4:5], vcc
	s_cbranch_execz .LBB208_7
; %bb.6:
	v_add_u32_e32 v4, s28, v2
	v_mov_b32_e32 v5, 0
	v_lshlrev_b64 v[4:5], 1, v[4:5]
	v_mov_b32_e32 v3, s35
	v_add_co_u32_e32 v6, vcc, s34, v4
	v_addc_co_u32_e32 v7, vcc, v3, v5, vcc
	v_mov_b32_e32 v3, s27
	v_add_co_u32_e32 v4, vcc, s26, v4
	v_addc_co_u32_e32 v5, vcc, v3, v5, vcc
	global_load_ushort v31, v[4:5], off
	global_load_ushort v33, v[6:7], off
	v_add_u32_e32 v2, 0x100, v2
.LBB208_7:
	s_or_b64 exec, exec, s[4:5]
	v_cmp_gt_i32_e32 vcc, s33, v2
	v_mov_b32_e32 v32, 0
	v_mov_b32_e32 v34, 0
	v_mov_b32_e32 v35, 0
	s_and_saveexec_b64 s[4:5], vcc
	s_cbranch_execz .LBB208_9
; %bb.8:
	v_add_u32_e32 v4, s28, v2
	v_mov_b32_e32 v5, 0
	v_lshlrev_b64 v[4:5], 1, v[4:5]
	v_mov_b32_e32 v3, s35
	v_add_co_u32_e32 v6, vcc, s34, v4
	v_addc_co_u32_e32 v7, vcc, v3, v5, vcc
	v_mov_b32_e32 v3, s27
	v_add_co_u32_e32 v4, vcc, s26, v4
	v_addc_co_u32_e32 v5, vcc, v3, v5, vcc
	global_load_ushort v34, v[4:5], off
	global_load_ushort v35, v[6:7], off
	v_add_u32_e32 v2, 0x100, v2
.LBB208_9:
	s_or_b64 exec, exec, s[4:5]
	v_cmp_gt_i32_e32 vcc, s33, v2
	v_mov_b32_e32 v37, 0
	s_and_saveexec_b64 s[4:5], vcc
	s_cbranch_execz .LBB208_11
; %bb.10:
	v_add_u32_e32 v4, s28, v2
	v_mov_b32_e32 v5, 0
	v_lshlrev_b64 v[4:5], 1, v[4:5]
	v_mov_b32_e32 v3, s35
	v_add_co_u32_e32 v6, vcc, s34, v4
	v_addc_co_u32_e32 v7, vcc, v3, v5, vcc
	v_mov_b32_e32 v3, s27
	v_add_co_u32_e32 v4, vcc, s26, v4
	v_addc_co_u32_e32 v5, vcc, v3, v5, vcc
	global_load_ushort v32, v[4:5], off
	global_load_ushort v37, v[6:7], off
	v_add_u32_e32 v2, 0x100, v2
.LBB208_11:
	s_or_b64 exec, exec, s[4:5]
	v_cmp_gt_i32_e32 vcc, s33, v2
	v_mov_b32_e32 v36, 0
	v_mov_b32_e32 v38, 0
	v_mov_b32_e32 v39, 0
	s_and_saveexec_b64 s[4:5], vcc
	s_cbranch_execz .LBB208_13
; %bb.12:
	v_add_u32_e32 v4, s28, v2
	v_mov_b32_e32 v5, 0
	v_lshlrev_b64 v[4:5], 1, v[4:5]
	v_mov_b32_e32 v3, s35
	v_add_co_u32_e32 v6, vcc, s34, v4
	v_addc_co_u32_e32 v7, vcc, v3, v5, vcc
	v_mov_b32_e32 v3, s27
	v_add_co_u32_e32 v4, vcc, s26, v4
	v_addc_co_u32_e32 v5, vcc, v3, v5, vcc
	global_load_ushort v38, v[4:5], off
	global_load_ushort v39, v[6:7], off
	v_add_u32_e32 v2, 0x100, v2
.LBB208_13:
	;; [unrolled: 40-line block ×3, first 2 shown]
	s_or_b64 exec, exec, s[4:5]
	v_cmp_gt_i32_e32 vcc, s33, v2
	v_mov_b32_e32 v47, 0
	s_and_saveexec_b64 s[4:5], vcc
	s_cbranch_execz .LBB208_19
; %bb.18:
	v_add_u32_e32 v2, s28, v2
	v_mov_b32_e32 v3, 0
	v_lshlrev_b64 v[2:3], 1, v[2:3]
	v_mov_b32_e32 v5, s35
	v_add_co_u32_e32 v4, vcc, s34, v2
	v_addc_co_u32_e32 v5, vcc, v5, v3, vcc
	v_mov_b32_e32 v6, s27
	v_add_co_u32_e32 v2, vcc, s26, v2
	v_addc_co_u32_e32 v3, vcc, v6, v3, vcc
	global_load_ushort v40, v[2:3], off
	global_load_ushort v47, v[4:5], off
.LBB208_19:
	s_or_b64 exec, exec, s[4:5]
                                        ; implicit-def: $vgpr46
	s_and_saveexec_b64 s[26:27], s[22:23]
	s_cbranch_execz .LBB208_21
; %bb.20:
	s_getpc_b64 s[4:5]
	s_add_u32 s4, s4, _ZZZZN2at6native33launch_standard_gamma_grad_kernelERNS_18TensorIteratorBaseEENKUlvE_clEvENKUlvE2_clEvENKUlN3c108BFloat16ES6_E_clES6_S6_@rel32@lo+4
	s_addc_u32 s5, s5, _ZZZZN2at6native33launch_standard_gamma_grad_kernelERNS_18TensorIteratorBaseEENKUlvE_clEvENKUlvE2_clEvENKUlN3c108BFloat16ES6_E_clES6_S6_@rel32@hi+12
	s_swappc_b64 s[30:31], s[4:5]
	v_mov_b32_e32 v46, v0
.LBB208_21:
	s_or_b64 exec, exec, s[26:27]
	v_or_b32_e32 v50, 0x100, v30
	v_cmp_gt_i32_e32 vcc, s33, v50
                                        ; implicit-def: $vgpr45
	s_and_saveexec_b64 s[26:27], vcc
	s_cbranch_execz .LBB208_23
; %bb.22:
	s_waitcnt vmcnt(1)
	v_mov_b32_e32 v0, v31
	s_waitcnt vmcnt(0)
	v_mov_b32_e32 v1, v33
	s_getpc_b64 s[4:5]
	s_add_u32 s4, s4, _ZZZZN2at6native33launch_standard_gamma_grad_kernelERNS_18TensorIteratorBaseEENKUlvE_clEvENKUlvE2_clEvENKUlN3c108BFloat16ES6_E_clES6_S6_@rel32@lo+4
	s_addc_u32 s5, s5, _ZZZZN2at6native33launch_standard_gamma_grad_kernelERNS_18TensorIteratorBaseEENKUlvE_clEvENKUlvE2_clEvENKUlN3c108BFloat16ES6_E_clES6_S6_@rel32@hi+12
	s_swappc_b64 s[30:31], s[4:5]
	v_mov_b32_e32 v45, v0
.LBB208_23:
	s_or_b64 exec, exec, s[26:27]
	s_waitcnt vmcnt(1)
	v_or_b32_e32 v0, 0x200, v30
	v_cmp_gt_i32_e32 vcc, s33, v0
                                        ; implicit-def: $vgpr44
	s_and_saveexec_b64 s[26:27], vcc
	s_cbranch_execz .LBB208_25
; %bb.24:
	v_mov_b32_e32 v0, v34
	s_waitcnt vmcnt(0)
	v_mov_b32_e32 v1, v35
	s_getpc_b64 s[4:5]
	s_add_u32 s4, s4, _ZZZZN2at6native33launch_standard_gamma_grad_kernelERNS_18TensorIteratorBaseEENKUlvE_clEvENKUlvE2_clEvENKUlN3c108BFloat16ES6_E_clES6_S6_@rel32@lo+4
	s_addc_u32 s5, s5, _ZZZZN2at6native33launch_standard_gamma_grad_kernelERNS_18TensorIteratorBaseEENKUlvE_clEvENKUlvE2_clEvENKUlN3c108BFloat16ES6_E_clES6_S6_@rel32@hi+12
	s_swappc_b64 s[30:31], s[4:5]
	v_mov_b32_e32 v44, v0
.LBB208_25:
	s_or_b64 exec, exec, s[26:27]
	v_or_b32_e32 v0, 0x300, v30
	v_cmp_gt_i32_e32 vcc, s33, v0
                                        ; implicit-def: $vgpr34
	s_and_saveexec_b64 s[26:27], vcc
	s_cbranch_execz .LBB208_27
; %bb.26:
	v_mov_b32_e32 v0, v32
	s_waitcnt vmcnt(0)
	v_mov_b32_e32 v1, v37
	s_getpc_b64 s[4:5]
	s_add_u32 s4, s4, _ZZZZN2at6native33launch_standard_gamma_grad_kernelERNS_18TensorIteratorBaseEENKUlvE_clEvENKUlvE2_clEvENKUlN3c108BFloat16ES6_E_clES6_S6_@rel32@lo+4
	s_addc_u32 s5, s5, _ZZZZN2at6native33launch_standard_gamma_grad_kernelERNS_18TensorIteratorBaseEENKUlvE_clEvENKUlvE2_clEvENKUlN3c108BFloat16ES6_E_clES6_S6_@rel32@hi+12
	s_swappc_b64 s[30:31], s[4:5]
	v_mov_b32_e32 v34, v0
.LBB208_27:
	s_or_b64 exec, exec, s[26:27]
	v_or_b32_e32 v0, 0x400, v30
	v_cmp_gt_i32_e32 vcc, s33, v0
                                        ; implicit-def: $vgpr33
	s_and_saveexec_b64 s[26:27], vcc
	s_cbranch_execz .LBB208_29
; %bb.28:
	v_mov_b32_e32 v0, v38
	s_waitcnt vmcnt(0)
	v_mov_b32_e32 v1, v39
	s_getpc_b64 s[4:5]
	s_add_u32 s4, s4, _ZZZZN2at6native33launch_standard_gamma_grad_kernelERNS_18TensorIteratorBaseEENKUlvE_clEvENKUlvE2_clEvENKUlN3c108BFloat16ES6_E_clES6_S6_@rel32@lo+4
	s_addc_u32 s5, s5, _ZZZZN2at6native33launch_standard_gamma_grad_kernelERNS_18TensorIteratorBaseEENKUlvE_clEvENKUlvE2_clEvENKUlN3c108BFloat16ES6_E_clES6_S6_@rel32@hi+12
	s_swappc_b64 s[30:31], s[4:5]
	v_mov_b32_e32 v33, v0
.LBB208_29:
	s_or_b64 exec, exec, s[26:27]
	v_or_b32_e32 v0, 0x500, v30
	v_cmp_gt_i32_e32 vcc, s33, v0
                                        ; implicit-def: $vgpr32
	s_and_saveexec_b64 s[26:27], vcc
	s_cbranch_execz .LBB208_31
; %bb.30:
	v_mov_b32_e32 v0, v36
	s_waitcnt vmcnt(0)
	v_mov_b32_e32 v1, v41
	s_getpc_b64 s[4:5]
	s_add_u32 s4, s4, _ZZZZN2at6native33launch_standard_gamma_grad_kernelERNS_18TensorIteratorBaseEENKUlvE_clEvENKUlvE2_clEvENKUlN3c108BFloat16ES6_E_clES6_S6_@rel32@lo+4
	s_addc_u32 s5, s5, _ZZZZN2at6native33launch_standard_gamma_grad_kernelERNS_18TensorIteratorBaseEENKUlvE_clEvENKUlvE2_clEvENKUlN3c108BFloat16ES6_E_clES6_S6_@rel32@hi+12
	s_swappc_b64 s[30:31], s[4:5]
	v_mov_b32_e32 v32, v0
.LBB208_31:
	s_or_b64 exec, exec, s[26:27]
	v_or_b32_e32 v0, 0x600, v30
	v_cmp_gt_i32_e32 vcc, s33, v0
                                        ; implicit-def: $vgpr31
	s_and_saveexec_b64 s[26:27], vcc
	s_cbranch_execz .LBB208_33
; %bb.32:
	v_mov_b32_e32 v0, v42
	s_waitcnt vmcnt(0)
	v_mov_b32_e32 v1, v43
	s_getpc_b64 s[4:5]
	s_add_u32 s4, s4, _ZZZZN2at6native33launch_standard_gamma_grad_kernelERNS_18TensorIteratorBaseEENKUlvE_clEvENKUlvE2_clEvENKUlN3c108BFloat16ES6_E_clES6_S6_@rel32@lo+4
	s_addc_u32 s5, s5, _ZZZZN2at6native33launch_standard_gamma_grad_kernelERNS_18TensorIteratorBaseEENKUlvE_clEvENKUlvE2_clEvENKUlN3c108BFloat16ES6_E_clES6_S6_@rel32@hi+12
	s_swappc_b64 s[30:31], s[4:5]
	v_mov_b32_e32 v31, v0
.LBB208_33:
	s_or_b64 exec, exec, s[26:27]
	v_or_b32_e32 v0, 0x700, v30
	v_cmp_gt_i32_e32 vcc, s33, v0
                                        ; implicit-def: $vgpr0
	s_and_saveexec_b64 s[26:27], vcc
	s_cbranch_execnz .LBB208_44
; %bb.34:
	s_or_b64 exec, exec, s[26:27]
	s_and_saveexec_b64 s[4:5], s[22:23]
	s_xor_b64 s[4:5], exec, s[4:5]
	s_cbranch_execnz .LBB208_45
.LBB208_35:
	s_or_b64 exec, exec, s[4:5]
	v_cmp_gt_i32_e32 vcc, s33, v30
	s_and_saveexec_b64 s[4:5], vcc
	s_cbranch_execnz .LBB208_46
.LBB208_36:
	s_or_b64 exec, exec, s[4:5]
	v_cmp_gt_i32_e32 vcc, s33, v30
	s_and_saveexec_b64 s[4:5], vcc
	s_cbranch_execnz .LBB208_47
.LBB208_37:
	s_or_b64 exec, exec, s[4:5]
	v_cmp_gt_i32_e32 vcc, s33, v30
	s_and_saveexec_b64 s[4:5], vcc
	s_cbranch_execnz .LBB208_48
.LBB208_38:
	s_or_b64 exec, exec, s[4:5]
	v_cmp_gt_i32_e32 vcc, s33, v30
	s_and_saveexec_b64 s[4:5], vcc
	s_cbranch_execnz .LBB208_49
.LBB208_39:
	s_or_b64 exec, exec, s[4:5]
	v_cmp_gt_i32_e32 vcc, s33, v30
	s_and_saveexec_b64 s[4:5], vcc
	s_cbranch_execnz .LBB208_50
.LBB208_40:
	s_or_b64 exec, exec, s[4:5]
	v_cmp_gt_i32_e32 vcc, s33, v30
	s_and_saveexec_b64 s[4:5], vcc
	s_cbranch_execnz .LBB208_51
.LBB208_41:
	s_or_b64 exec, exec, s[4:5]
	v_cmp_gt_i32_e32 vcc, s33, v30
	s_and_saveexec_b64 s[4:5], vcc
	s_cbranch_execz .LBB208_43
.LBB208_42:
	v_add_u32_e32 v2, s28, v30
	v_mov_b32_e32 v3, 0
	v_lshlrev_b64 v[2:3], 1, v[2:3]
	s_waitcnt vmcnt(0)
	v_mov_b32_e32 v1, s25
	v_add_co_u32_e32 v2, vcc, s24, v2
	v_addc_co_u32_e32 v3, vcc, v1, v3, vcc
	global_store_short v[2:3], v0, off
.LBB208_43:
	s_endpgm
.LBB208_44:
	v_mov_b32_e32 v0, v40
	s_waitcnt vmcnt(0)
	v_mov_b32_e32 v1, v47
	s_getpc_b64 s[4:5]
	s_add_u32 s4, s4, _ZZZZN2at6native33launch_standard_gamma_grad_kernelERNS_18TensorIteratorBaseEENKUlvE_clEvENKUlvE2_clEvENKUlN3c108BFloat16ES6_E_clES6_S6_@rel32@lo+4
	s_addc_u32 s5, s5, _ZZZZN2at6native33launch_standard_gamma_grad_kernelERNS_18TensorIteratorBaseEENKUlvE_clEvENKUlvE2_clEvENKUlN3c108BFloat16ES6_E_clES6_S6_@rel32@hi+12
	s_swappc_b64 s[30:31], s[4:5]
	s_or_b64 exec, exec, s[26:27]
	s_and_saveexec_b64 s[4:5], s[22:23]
	s_xor_b64 s[4:5], exec, s[4:5]
	s_cbranch_execz .LBB208_35
.LBB208_45:
	v_mov_b32_e32 v49, 0
	v_lshlrev_b64 v[2:3], 1, v[48:49]
	s_waitcnt vmcnt(0)
	v_mov_b32_e32 v1, s25
	v_add_co_u32_e32 v2, vcc, s24, v2
	v_addc_co_u32_e32 v3, vcc, v1, v3, vcc
	v_mov_b32_e32 v30, v50
	global_store_short v[2:3], v46, off
	s_or_b64 exec, exec, s[4:5]
	v_cmp_gt_i32_e32 vcc, s33, v30
	s_and_saveexec_b64 s[4:5], vcc
	s_cbranch_execz .LBB208_36
.LBB208_46:
	v_add_u32_e32 v2, s28, v30
	v_mov_b32_e32 v3, 0
	v_lshlrev_b64 v[2:3], 1, v[2:3]
	s_waitcnt vmcnt(0)
	v_mov_b32_e32 v1, s25
	v_add_co_u32_e32 v2, vcc, s24, v2
	v_addc_co_u32_e32 v3, vcc, v1, v3, vcc
	v_add_u32_e32 v30, 0x100, v30
	global_store_short v[2:3], v45, off
	s_or_b64 exec, exec, s[4:5]
	v_cmp_gt_i32_e32 vcc, s33, v30
	s_and_saveexec_b64 s[4:5], vcc
	s_cbranch_execz .LBB208_37
.LBB208_47:
	v_add_u32_e32 v2, s28, v30
	v_mov_b32_e32 v3, 0
	v_lshlrev_b64 v[2:3], 1, v[2:3]
	s_waitcnt vmcnt(0)
	v_mov_b32_e32 v1, s25
	v_add_co_u32_e32 v2, vcc, s24, v2
	v_addc_co_u32_e32 v3, vcc, v1, v3, vcc
	v_add_u32_e32 v30, 0x100, v30
	global_store_short v[2:3], v44, off
	s_or_b64 exec, exec, s[4:5]
	v_cmp_gt_i32_e32 vcc, s33, v30
	s_and_saveexec_b64 s[4:5], vcc
	s_cbranch_execz .LBB208_38
.LBB208_48:
	v_add_u32_e32 v2, s28, v30
	v_mov_b32_e32 v3, 0
	v_lshlrev_b64 v[2:3], 1, v[2:3]
	s_waitcnt vmcnt(0)
	v_mov_b32_e32 v1, s25
	v_add_co_u32_e32 v2, vcc, s24, v2
	v_addc_co_u32_e32 v3, vcc, v1, v3, vcc
	v_add_u32_e32 v30, 0x100, v30
	global_store_short v[2:3], v34, off
	s_or_b64 exec, exec, s[4:5]
	v_cmp_gt_i32_e32 vcc, s33, v30
	s_and_saveexec_b64 s[4:5], vcc
	s_cbranch_execz .LBB208_39
.LBB208_49:
	v_add_u32_e32 v2, s28, v30
	v_mov_b32_e32 v3, 0
	v_lshlrev_b64 v[2:3], 1, v[2:3]
	s_waitcnt vmcnt(0)
	v_mov_b32_e32 v1, s25
	v_add_co_u32_e32 v2, vcc, s24, v2
	v_addc_co_u32_e32 v3, vcc, v1, v3, vcc
	v_add_u32_e32 v30, 0x100, v30
	global_store_short v[2:3], v33, off
	s_or_b64 exec, exec, s[4:5]
	v_cmp_gt_i32_e32 vcc, s33, v30
	s_and_saveexec_b64 s[4:5], vcc
	s_cbranch_execz .LBB208_40
.LBB208_50:
	v_add_u32_e32 v2, s28, v30
	v_mov_b32_e32 v3, 0
	v_lshlrev_b64 v[2:3], 1, v[2:3]
	s_waitcnt vmcnt(0)
	v_mov_b32_e32 v1, s25
	v_add_co_u32_e32 v2, vcc, s24, v2
	v_addc_co_u32_e32 v3, vcc, v1, v3, vcc
	v_add_u32_e32 v30, 0x100, v30
	global_store_short v[2:3], v32, off
	s_or_b64 exec, exec, s[4:5]
	v_cmp_gt_i32_e32 vcc, s33, v30
	s_and_saveexec_b64 s[4:5], vcc
	s_cbranch_execz .LBB208_41
.LBB208_51:
	v_add_u32_e32 v2, s28, v30
	v_mov_b32_e32 v3, 0
	v_lshlrev_b64 v[2:3], 1, v[2:3]
	s_waitcnt vmcnt(0)
	v_mov_b32_e32 v1, s25
	v_add_co_u32_e32 v2, vcc, s24, v2
	v_addc_co_u32_e32 v3, vcc, v1, v3, vcc
	v_add_u32_e32 v30, 0x100, v30
	global_store_short v[2:3], v31, off
	s_or_b64 exec, exec, s[4:5]
	v_cmp_gt_i32_e32 vcc, s33, v30
	s_and_saveexec_b64 s[4:5], vcc
	s_cbranch_execnz .LBB208_42
	s_branch .LBB208_43
	.section	.rodata,"a",@progbits
	.p2align	6, 0x0
	.amdhsa_kernel _ZN2at6native29vectorized_elementwise_kernelILi4EZZZNS0_33launch_standard_gamma_grad_kernelERNS_18TensorIteratorBaseEENKUlvE_clEvENKUlvE2_clEvEUlN3c108BFloat16ES7_E_St5arrayIPcLm3EEEEviT0_T1_
		.amdhsa_group_segment_fixed_size 0
		.amdhsa_private_segment_fixed_size 0
		.amdhsa_kernarg_size 32
		.amdhsa_user_sgpr_count 8
		.amdhsa_user_sgpr_private_segment_buffer 1
		.amdhsa_user_sgpr_dispatch_ptr 0
		.amdhsa_user_sgpr_queue_ptr 0
		.amdhsa_user_sgpr_kernarg_segment_ptr 1
		.amdhsa_user_sgpr_dispatch_id 0
		.amdhsa_user_sgpr_flat_scratch_init 1
		.amdhsa_user_sgpr_kernarg_preload_length 0
		.amdhsa_user_sgpr_kernarg_preload_offset 0
		.amdhsa_user_sgpr_private_segment_size 0
		.amdhsa_uses_dynamic_stack 0
		.amdhsa_system_sgpr_private_segment_wavefront_offset 0
		.amdhsa_system_sgpr_workgroup_id_x 1
		.amdhsa_system_sgpr_workgroup_id_y 0
		.amdhsa_system_sgpr_workgroup_id_z 0
		.amdhsa_system_sgpr_workgroup_info 0
		.amdhsa_system_vgpr_workitem_id 0
		.amdhsa_next_free_vgpr 51
		.amdhsa_next_free_sgpr 38
		.amdhsa_accum_offset 52
		.amdhsa_reserve_vcc 1
		.amdhsa_reserve_flat_scratch 1
		.amdhsa_float_round_mode_32 0
		.amdhsa_float_round_mode_16_64 0
		.amdhsa_float_denorm_mode_32 3
		.amdhsa_float_denorm_mode_16_64 3
		.amdhsa_dx10_clamp 1
		.amdhsa_ieee_mode 1
		.amdhsa_fp16_overflow 0
		.amdhsa_tg_split 0
		.amdhsa_exception_fp_ieee_invalid_op 0
		.amdhsa_exception_fp_denorm_src 0
		.amdhsa_exception_fp_ieee_div_zero 0
		.amdhsa_exception_fp_ieee_overflow 0
		.amdhsa_exception_fp_ieee_underflow 0
		.amdhsa_exception_fp_ieee_inexact 0
		.amdhsa_exception_int_div_zero 0
	.end_amdhsa_kernel
	.section	.text._ZN2at6native29vectorized_elementwise_kernelILi4EZZZNS0_33launch_standard_gamma_grad_kernelERNS_18TensorIteratorBaseEENKUlvE_clEvENKUlvE2_clEvEUlN3c108BFloat16ES7_E_St5arrayIPcLm3EEEEviT0_T1_,"axG",@progbits,_ZN2at6native29vectorized_elementwise_kernelILi4EZZZNS0_33launch_standard_gamma_grad_kernelERNS_18TensorIteratorBaseEENKUlvE_clEvENKUlvE2_clEvEUlN3c108BFloat16ES7_E_St5arrayIPcLm3EEEEviT0_T1_,comdat
.Lfunc_end208:
	.size	_ZN2at6native29vectorized_elementwise_kernelILi4EZZZNS0_33launch_standard_gamma_grad_kernelERNS_18TensorIteratorBaseEENKUlvE_clEvENKUlvE2_clEvEUlN3c108BFloat16ES7_E_St5arrayIPcLm3EEEEviT0_T1_, .Lfunc_end208-_ZN2at6native29vectorized_elementwise_kernelILi4EZZZNS0_33launch_standard_gamma_grad_kernelERNS_18TensorIteratorBaseEENKUlvE_clEvENKUlvE2_clEvEUlN3c108BFloat16ES7_E_St5arrayIPcLm3EEEEviT0_T1_
                                        ; -- End function
	.section	.AMDGPU.csdata,"",@progbits
; Kernel info:
; codeLenInByte = 2268
; NumSgprs: 44
; NumVgprs: 51
; NumAgprs: 0
; TotalNumVgprs: 51
; ScratchSize: 0
; MemoryBound: 0
; FloatMode: 240
; IeeeMode: 1
; LDSByteSize: 0 bytes/workgroup (compile time only)
; SGPRBlocks: 5
; VGPRBlocks: 6
; NumSGPRsForWavesPerEU: 44
; NumVGPRsForWavesPerEU: 51
; AccumOffset: 52
; Occupancy: 8
; WaveLimiterHint : 0
; COMPUTE_PGM_RSRC2:SCRATCH_EN: 0
; COMPUTE_PGM_RSRC2:USER_SGPR: 8
; COMPUTE_PGM_RSRC2:TRAP_HANDLER: 0
; COMPUTE_PGM_RSRC2:TGID_X_EN: 1
; COMPUTE_PGM_RSRC2:TGID_Y_EN: 0
; COMPUTE_PGM_RSRC2:TGID_Z_EN: 0
; COMPUTE_PGM_RSRC2:TIDIG_COMP_CNT: 0
; COMPUTE_PGM_RSRC3_GFX90A:ACCUM_OFFSET: 12
; COMPUTE_PGM_RSRC3_GFX90A:TG_SPLIT: 0
	.section	.text._ZN2at6native29vectorized_elementwise_kernelILi2EZZZNS0_33launch_standard_gamma_grad_kernelERNS_18TensorIteratorBaseEENKUlvE_clEvENKUlvE2_clEvEUlN3c108BFloat16ES7_E_St5arrayIPcLm3EEEEviT0_T1_,"axG",@progbits,_ZN2at6native29vectorized_elementwise_kernelILi2EZZZNS0_33launch_standard_gamma_grad_kernelERNS_18TensorIteratorBaseEENKUlvE_clEvENKUlvE2_clEvEUlN3c108BFloat16ES7_E_St5arrayIPcLm3EEEEviT0_T1_,comdat
	.globl	_ZN2at6native29vectorized_elementwise_kernelILi2EZZZNS0_33launch_standard_gamma_grad_kernelERNS_18TensorIteratorBaseEENKUlvE_clEvENKUlvE2_clEvEUlN3c108BFloat16ES7_E_St5arrayIPcLm3EEEEviT0_T1_ ; -- Begin function _ZN2at6native29vectorized_elementwise_kernelILi2EZZZNS0_33launch_standard_gamma_grad_kernelERNS_18TensorIteratorBaseEENKUlvE_clEvENKUlvE2_clEvEUlN3c108BFloat16ES7_E_St5arrayIPcLm3EEEEviT0_T1_
	.p2align	8
	.type	_ZN2at6native29vectorized_elementwise_kernelILi2EZZZNS0_33launch_standard_gamma_grad_kernelERNS_18TensorIteratorBaseEENKUlvE_clEvENKUlvE2_clEvEUlN3c108BFloat16ES7_E_St5arrayIPcLm3EEEEviT0_T1_,@function
_ZN2at6native29vectorized_elementwise_kernelILi2EZZZNS0_33launch_standard_gamma_grad_kernelERNS_18TensorIteratorBaseEENKUlvE_clEvENKUlvE2_clEvEUlN3c108BFloat16ES7_E_St5arrayIPcLm3EEEEviT0_T1_: ; @_ZN2at6native29vectorized_elementwise_kernelILi2EZZZNS0_33launch_standard_gamma_grad_kernelERNS_18TensorIteratorBaseEENKUlvE_clEvENKUlvE2_clEvEUlN3c108BFloat16ES7_E_St5arrayIPcLm3EEEEviT0_T1_
; %bb.0:
	s_add_u32 flat_scratch_lo, s6, s9
	s_addc_u32 flat_scratch_hi, s7, 0
	s_load_dword s6, s[4:5], 0x0
	s_load_dwordx4 s[24:27], s[4:5], 0x8
	s_load_dwordx2 s[34:35], s[4:5], 0x18
	s_add_u32 s0, s0, s9
	s_addc_u32 s1, s1, 0
	s_lshl_b32 s28, s8, 11
	s_waitcnt lgkmcnt(0)
	s_sub_i32 s33, s6, s28
	v_mov_b32_e32 v30, v0
	s_cmpk_gt_i32 s33, 0x7ff
	s_mov_b64 s[4:5], -1
	s_mov_b32 s32, 0
	s_cbranch_scc0 .LBB209_2
; %bb.1:
	s_ashr_i32 s29, s28, 31
	s_lshl_b64 s[22:23], s[28:29], 1
	s_add_u32 s4, s26, s22
	s_addc_u32 s5, s27, s23
	v_lshlrev_b32_e32 v46, 2, v30
	s_add_u32 s6, s34, s22
	s_addc_u32 s7, s35, s23
	global_load_dword v0, v46, s[4:5]
	global_load_dword v31, v46, s[4:5] offset:1024
	global_load_dword v32, v46, s[4:5] offset:2048
	;; [unrolled: 1-line block ×3, first 2 shown]
	global_load_dword v1, v46, s[6:7]
	global_load_dword v34, v46, s[6:7] offset:1024
	global_load_dword v35, v46, s[6:7] offset:2048
	;; [unrolled: 1-line block ×3, first 2 shown]
	s_getpc_b64 s[36:37]
	s_add_u32 s36, s36, _ZZZZN2at6native33launch_standard_gamma_grad_kernelERNS_18TensorIteratorBaseEENKUlvE_clEvENKUlvE2_clEvENKUlN3c108BFloat16ES6_E_clES6_S6_@rel32@lo+4
	s_addc_u32 s37, s37, _ZZZZN2at6native33launch_standard_gamma_grad_kernelERNS_18TensorIteratorBaseEENKUlvE_clEvENKUlvE2_clEvENKUlN3c108BFloat16ES6_E_clES6_S6_@rel32@hi+12
	s_waitcnt vmcnt(7)
	v_lshrrev_b32_e32 v37, 16, v0
	s_waitcnt vmcnt(6)
	v_lshrrev_b32_e32 v38, 16, v31
	;; [unrolled: 2-line block ×8, first 2 shown]
	s_swappc_b64 s[30:31], s[36:37]
	v_mov_b32_e32 v45, v0
	v_mov_b32_e32 v0, v37
	v_mov_b32_e32 v1, v41
	s_swappc_b64 s[30:31], s[36:37]
	v_mov_b32_e32 v37, v0
	v_mov_b32_e32 v0, v31
	v_mov_b32_e32 v1, v34
	;; [unrolled: 4-line block ×7, first 2 shown]
	s_swappc_b64 s[30:31], s[36:37]
	s_add_u32 s4, s24, s22
	v_lshlrev_b32_e32 v1, 16, v37
	s_addc_u32 s5, s25, s23
	v_or_b32_sdwa v1, v1, v45 dst_sel:DWORD dst_unused:UNUSED_PAD src0_sel:DWORD src1_sel:WORD_0
	global_store_dword v46, v1, s[4:5]
	v_lshlrev_b32_e32 v1, 16, v34
	v_or_b32_sdwa v1, v1, v31 dst_sel:DWORD dst_unused:UNUSED_PAD src0_sel:DWORD src1_sel:WORD_0
	global_store_dword v46, v1, s[4:5] offset:1024
	v_lshlrev_b32_e32 v1, 16, v35
	v_lshlrev_b32_e32 v0, 16, v0
	v_or_b32_sdwa v1, v1, v32 dst_sel:DWORD dst_unused:UNUSED_PAD src0_sel:DWORD src1_sel:WORD_0
	v_or_b32_sdwa v0, v0, v33 dst_sel:DWORD dst_unused:UNUSED_PAD src0_sel:DWORD src1_sel:WORD_0
	global_store_dword v46, v1, s[4:5] offset:2048
	global_store_dword v46, v0, s[4:5] offset:3072
	s_mov_b64 s[4:5], 0
.LBB209_2:
	s_andn2_b64 vcc, exec, s[4:5]
	s_cbranch_vccnz .LBB209_43
; %bb.3:
	v_cmp_gt_i32_e64 s[22:23], s33, v30
	v_mov_b32_e32 v31, 0
	v_or_b32_e32 v48, s28, v30
	v_mov_b32_e32 v0, 0
	v_mov_b32_e32 v1, 0
	;; [unrolled: 1-line block ×3, first 2 shown]
	s_and_saveexec_b64 s[4:5], s[22:23]
	s_cbranch_execz .LBB209_5
; %bb.4:
	v_mov_b32_e32 v49, 0
	v_lshlrev_b64 v[0:1], 1, v[48:49]
	v_mov_b32_e32 v3, s35
	v_add_co_u32_e32 v2, vcc, s34, v0
	v_addc_co_u32_e32 v3, vcc, v3, v1, vcc
	v_mov_b32_e32 v5, s27
	v_add_co_u32_e32 v4, vcc, s26, v0
	v_addc_co_u32_e32 v5, vcc, v5, v1, vcc
	global_load_ushort v0, v[4:5], off
	global_load_ushort v1, v[2:3], off
	v_or_b32_e32 v2, 0x100, v30
.LBB209_5:
	s_or_b64 exec, exec, s[4:5]
	v_cmp_gt_i32_e32 vcc, s33, v2
	v_mov_b32_e32 v33, 0
	s_and_saveexec_b64 s[4:5], vcc
	s_cbranch_execz .LBB209_7
; %bb.6:
	v_add_u32_e32 v4, s28, v2
	v_mov_b32_e32 v5, 0
	v_lshlrev_b64 v[4:5], 1, v[4:5]
	v_mov_b32_e32 v3, s35
	v_add_co_u32_e32 v6, vcc, s34, v4
	v_addc_co_u32_e32 v7, vcc, v3, v5, vcc
	v_mov_b32_e32 v3, s27
	v_add_co_u32_e32 v4, vcc, s26, v4
	v_addc_co_u32_e32 v5, vcc, v3, v5, vcc
	global_load_ushort v31, v[4:5], off
	global_load_ushort v33, v[6:7], off
	v_add_u32_e32 v2, 0x100, v2
.LBB209_7:
	s_or_b64 exec, exec, s[4:5]
	v_cmp_gt_i32_e32 vcc, s33, v2
	v_mov_b32_e32 v32, 0
	v_mov_b32_e32 v34, 0
	v_mov_b32_e32 v35, 0
	s_and_saveexec_b64 s[4:5], vcc
	s_cbranch_execz .LBB209_9
; %bb.8:
	v_add_u32_e32 v4, s28, v2
	v_mov_b32_e32 v5, 0
	v_lshlrev_b64 v[4:5], 1, v[4:5]
	v_mov_b32_e32 v3, s35
	v_add_co_u32_e32 v6, vcc, s34, v4
	v_addc_co_u32_e32 v7, vcc, v3, v5, vcc
	v_mov_b32_e32 v3, s27
	v_add_co_u32_e32 v4, vcc, s26, v4
	v_addc_co_u32_e32 v5, vcc, v3, v5, vcc
	global_load_ushort v34, v[4:5], off
	global_load_ushort v35, v[6:7], off
	v_add_u32_e32 v2, 0x100, v2
.LBB209_9:
	s_or_b64 exec, exec, s[4:5]
	v_cmp_gt_i32_e32 vcc, s33, v2
	v_mov_b32_e32 v37, 0
	s_and_saveexec_b64 s[4:5], vcc
	s_cbranch_execz .LBB209_11
; %bb.10:
	v_add_u32_e32 v4, s28, v2
	v_mov_b32_e32 v5, 0
	v_lshlrev_b64 v[4:5], 1, v[4:5]
	v_mov_b32_e32 v3, s35
	v_add_co_u32_e32 v6, vcc, s34, v4
	v_addc_co_u32_e32 v7, vcc, v3, v5, vcc
	v_mov_b32_e32 v3, s27
	v_add_co_u32_e32 v4, vcc, s26, v4
	v_addc_co_u32_e32 v5, vcc, v3, v5, vcc
	global_load_ushort v32, v[4:5], off
	global_load_ushort v37, v[6:7], off
	v_add_u32_e32 v2, 0x100, v2
.LBB209_11:
	s_or_b64 exec, exec, s[4:5]
	v_cmp_gt_i32_e32 vcc, s33, v2
	v_mov_b32_e32 v36, 0
	v_mov_b32_e32 v38, 0
	v_mov_b32_e32 v39, 0
	s_and_saveexec_b64 s[4:5], vcc
	s_cbranch_execz .LBB209_13
; %bb.12:
	v_add_u32_e32 v4, s28, v2
	v_mov_b32_e32 v5, 0
	v_lshlrev_b64 v[4:5], 1, v[4:5]
	v_mov_b32_e32 v3, s35
	v_add_co_u32_e32 v6, vcc, s34, v4
	v_addc_co_u32_e32 v7, vcc, v3, v5, vcc
	v_mov_b32_e32 v3, s27
	v_add_co_u32_e32 v4, vcc, s26, v4
	v_addc_co_u32_e32 v5, vcc, v3, v5, vcc
	global_load_ushort v38, v[4:5], off
	global_load_ushort v39, v[6:7], off
	v_add_u32_e32 v2, 0x100, v2
.LBB209_13:
	;; [unrolled: 40-line block ×3, first 2 shown]
	s_or_b64 exec, exec, s[4:5]
	v_cmp_gt_i32_e32 vcc, s33, v2
	v_mov_b32_e32 v47, 0
	s_and_saveexec_b64 s[4:5], vcc
	s_cbranch_execz .LBB209_19
; %bb.18:
	v_add_u32_e32 v2, s28, v2
	v_mov_b32_e32 v3, 0
	v_lshlrev_b64 v[2:3], 1, v[2:3]
	v_mov_b32_e32 v5, s35
	v_add_co_u32_e32 v4, vcc, s34, v2
	v_addc_co_u32_e32 v5, vcc, v5, v3, vcc
	v_mov_b32_e32 v6, s27
	v_add_co_u32_e32 v2, vcc, s26, v2
	v_addc_co_u32_e32 v3, vcc, v6, v3, vcc
	global_load_ushort v40, v[2:3], off
	global_load_ushort v47, v[4:5], off
.LBB209_19:
	s_or_b64 exec, exec, s[4:5]
                                        ; implicit-def: $vgpr46
	s_and_saveexec_b64 s[26:27], s[22:23]
	s_cbranch_execz .LBB209_21
; %bb.20:
	s_getpc_b64 s[4:5]
	s_add_u32 s4, s4, _ZZZZN2at6native33launch_standard_gamma_grad_kernelERNS_18TensorIteratorBaseEENKUlvE_clEvENKUlvE2_clEvENKUlN3c108BFloat16ES6_E_clES6_S6_@rel32@lo+4
	s_addc_u32 s5, s5, _ZZZZN2at6native33launch_standard_gamma_grad_kernelERNS_18TensorIteratorBaseEENKUlvE_clEvENKUlvE2_clEvENKUlN3c108BFloat16ES6_E_clES6_S6_@rel32@hi+12
	s_swappc_b64 s[30:31], s[4:5]
	v_mov_b32_e32 v46, v0
.LBB209_21:
	s_or_b64 exec, exec, s[26:27]
	v_or_b32_e32 v50, 0x100, v30
	v_cmp_gt_i32_e32 vcc, s33, v50
                                        ; implicit-def: $vgpr45
	s_and_saveexec_b64 s[26:27], vcc
	s_cbranch_execz .LBB209_23
; %bb.22:
	s_waitcnt vmcnt(1)
	v_mov_b32_e32 v0, v31
	s_waitcnt vmcnt(0)
	v_mov_b32_e32 v1, v33
	s_getpc_b64 s[4:5]
	s_add_u32 s4, s4, _ZZZZN2at6native33launch_standard_gamma_grad_kernelERNS_18TensorIteratorBaseEENKUlvE_clEvENKUlvE2_clEvENKUlN3c108BFloat16ES6_E_clES6_S6_@rel32@lo+4
	s_addc_u32 s5, s5, _ZZZZN2at6native33launch_standard_gamma_grad_kernelERNS_18TensorIteratorBaseEENKUlvE_clEvENKUlvE2_clEvENKUlN3c108BFloat16ES6_E_clES6_S6_@rel32@hi+12
	s_swappc_b64 s[30:31], s[4:5]
	v_mov_b32_e32 v45, v0
.LBB209_23:
	s_or_b64 exec, exec, s[26:27]
	s_waitcnt vmcnt(1)
	v_or_b32_e32 v0, 0x200, v30
	v_cmp_gt_i32_e32 vcc, s33, v0
                                        ; implicit-def: $vgpr44
	s_and_saveexec_b64 s[26:27], vcc
	s_cbranch_execz .LBB209_25
; %bb.24:
	v_mov_b32_e32 v0, v34
	s_waitcnt vmcnt(0)
	v_mov_b32_e32 v1, v35
	s_getpc_b64 s[4:5]
	s_add_u32 s4, s4, _ZZZZN2at6native33launch_standard_gamma_grad_kernelERNS_18TensorIteratorBaseEENKUlvE_clEvENKUlvE2_clEvENKUlN3c108BFloat16ES6_E_clES6_S6_@rel32@lo+4
	s_addc_u32 s5, s5, _ZZZZN2at6native33launch_standard_gamma_grad_kernelERNS_18TensorIteratorBaseEENKUlvE_clEvENKUlvE2_clEvENKUlN3c108BFloat16ES6_E_clES6_S6_@rel32@hi+12
	s_swappc_b64 s[30:31], s[4:5]
	v_mov_b32_e32 v44, v0
.LBB209_25:
	s_or_b64 exec, exec, s[26:27]
	v_or_b32_e32 v0, 0x300, v30
	v_cmp_gt_i32_e32 vcc, s33, v0
                                        ; implicit-def: $vgpr34
	s_and_saveexec_b64 s[26:27], vcc
	s_cbranch_execz .LBB209_27
; %bb.26:
	v_mov_b32_e32 v0, v32
	s_waitcnt vmcnt(0)
	v_mov_b32_e32 v1, v37
	s_getpc_b64 s[4:5]
	s_add_u32 s4, s4, _ZZZZN2at6native33launch_standard_gamma_grad_kernelERNS_18TensorIteratorBaseEENKUlvE_clEvENKUlvE2_clEvENKUlN3c108BFloat16ES6_E_clES6_S6_@rel32@lo+4
	s_addc_u32 s5, s5, _ZZZZN2at6native33launch_standard_gamma_grad_kernelERNS_18TensorIteratorBaseEENKUlvE_clEvENKUlvE2_clEvENKUlN3c108BFloat16ES6_E_clES6_S6_@rel32@hi+12
	s_swappc_b64 s[30:31], s[4:5]
	v_mov_b32_e32 v34, v0
.LBB209_27:
	s_or_b64 exec, exec, s[26:27]
	v_or_b32_e32 v0, 0x400, v30
	v_cmp_gt_i32_e32 vcc, s33, v0
                                        ; implicit-def: $vgpr33
	s_and_saveexec_b64 s[26:27], vcc
	s_cbranch_execz .LBB209_29
; %bb.28:
	v_mov_b32_e32 v0, v38
	s_waitcnt vmcnt(0)
	v_mov_b32_e32 v1, v39
	s_getpc_b64 s[4:5]
	s_add_u32 s4, s4, _ZZZZN2at6native33launch_standard_gamma_grad_kernelERNS_18TensorIteratorBaseEENKUlvE_clEvENKUlvE2_clEvENKUlN3c108BFloat16ES6_E_clES6_S6_@rel32@lo+4
	s_addc_u32 s5, s5, _ZZZZN2at6native33launch_standard_gamma_grad_kernelERNS_18TensorIteratorBaseEENKUlvE_clEvENKUlvE2_clEvENKUlN3c108BFloat16ES6_E_clES6_S6_@rel32@hi+12
	s_swappc_b64 s[30:31], s[4:5]
	v_mov_b32_e32 v33, v0
.LBB209_29:
	s_or_b64 exec, exec, s[26:27]
	v_or_b32_e32 v0, 0x500, v30
	v_cmp_gt_i32_e32 vcc, s33, v0
                                        ; implicit-def: $vgpr32
	s_and_saveexec_b64 s[26:27], vcc
	s_cbranch_execz .LBB209_31
; %bb.30:
	v_mov_b32_e32 v0, v36
	s_waitcnt vmcnt(0)
	v_mov_b32_e32 v1, v41
	s_getpc_b64 s[4:5]
	s_add_u32 s4, s4, _ZZZZN2at6native33launch_standard_gamma_grad_kernelERNS_18TensorIteratorBaseEENKUlvE_clEvENKUlvE2_clEvENKUlN3c108BFloat16ES6_E_clES6_S6_@rel32@lo+4
	s_addc_u32 s5, s5, _ZZZZN2at6native33launch_standard_gamma_grad_kernelERNS_18TensorIteratorBaseEENKUlvE_clEvENKUlvE2_clEvENKUlN3c108BFloat16ES6_E_clES6_S6_@rel32@hi+12
	s_swappc_b64 s[30:31], s[4:5]
	v_mov_b32_e32 v32, v0
.LBB209_31:
	s_or_b64 exec, exec, s[26:27]
	v_or_b32_e32 v0, 0x600, v30
	v_cmp_gt_i32_e32 vcc, s33, v0
                                        ; implicit-def: $vgpr31
	s_and_saveexec_b64 s[26:27], vcc
	s_cbranch_execz .LBB209_33
; %bb.32:
	v_mov_b32_e32 v0, v42
	s_waitcnt vmcnt(0)
	v_mov_b32_e32 v1, v43
	s_getpc_b64 s[4:5]
	s_add_u32 s4, s4, _ZZZZN2at6native33launch_standard_gamma_grad_kernelERNS_18TensorIteratorBaseEENKUlvE_clEvENKUlvE2_clEvENKUlN3c108BFloat16ES6_E_clES6_S6_@rel32@lo+4
	s_addc_u32 s5, s5, _ZZZZN2at6native33launch_standard_gamma_grad_kernelERNS_18TensorIteratorBaseEENKUlvE_clEvENKUlvE2_clEvENKUlN3c108BFloat16ES6_E_clES6_S6_@rel32@hi+12
	s_swappc_b64 s[30:31], s[4:5]
	v_mov_b32_e32 v31, v0
.LBB209_33:
	s_or_b64 exec, exec, s[26:27]
	v_or_b32_e32 v0, 0x700, v30
	v_cmp_gt_i32_e32 vcc, s33, v0
                                        ; implicit-def: $vgpr0
	s_and_saveexec_b64 s[26:27], vcc
	s_cbranch_execnz .LBB209_44
; %bb.34:
	s_or_b64 exec, exec, s[26:27]
	s_and_saveexec_b64 s[4:5], s[22:23]
	s_xor_b64 s[4:5], exec, s[4:5]
	s_cbranch_execnz .LBB209_45
.LBB209_35:
	s_or_b64 exec, exec, s[4:5]
	v_cmp_gt_i32_e32 vcc, s33, v30
	s_and_saveexec_b64 s[4:5], vcc
	s_cbranch_execnz .LBB209_46
.LBB209_36:
	s_or_b64 exec, exec, s[4:5]
	v_cmp_gt_i32_e32 vcc, s33, v30
	s_and_saveexec_b64 s[4:5], vcc
	s_cbranch_execnz .LBB209_47
.LBB209_37:
	s_or_b64 exec, exec, s[4:5]
	v_cmp_gt_i32_e32 vcc, s33, v30
	s_and_saveexec_b64 s[4:5], vcc
	s_cbranch_execnz .LBB209_48
.LBB209_38:
	s_or_b64 exec, exec, s[4:5]
	v_cmp_gt_i32_e32 vcc, s33, v30
	s_and_saveexec_b64 s[4:5], vcc
	s_cbranch_execnz .LBB209_49
.LBB209_39:
	s_or_b64 exec, exec, s[4:5]
	v_cmp_gt_i32_e32 vcc, s33, v30
	s_and_saveexec_b64 s[4:5], vcc
	s_cbranch_execnz .LBB209_50
.LBB209_40:
	s_or_b64 exec, exec, s[4:5]
	v_cmp_gt_i32_e32 vcc, s33, v30
	s_and_saveexec_b64 s[4:5], vcc
	s_cbranch_execnz .LBB209_51
.LBB209_41:
	s_or_b64 exec, exec, s[4:5]
	v_cmp_gt_i32_e32 vcc, s33, v30
	s_and_saveexec_b64 s[4:5], vcc
	s_cbranch_execz .LBB209_43
.LBB209_42:
	v_add_u32_e32 v2, s28, v30
	v_mov_b32_e32 v3, 0
	v_lshlrev_b64 v[2:3], 1, v[2:3]
	s_waitcnt vmcnt(0)
	v_mov_b32_e32 v1, s25
	v_add_co_u32_e32 v2, vcc, s24, v2
	v_addc_co_u32_e32 v3, vcc, v1, v3, vcc
	global_store_short v[2:3], v0, off
.LBB209_43:
	s_endpgm
.LBB209_44:
	v_mov_b32_e32 v0, v40
	s_waitcnt vmcnt(0)
	v_mov_b32_e32 v1, v47
	s_getpc_b64 s[4:5]
	s_add_u32 s4, s4, _ZZZZN2at6native33launch_standard_gamma_grad_kernelERNS_18TensorIteratorBaseEENKUlvE_clEvENKUlvE2_clEvENKUlN3c108BFloat16ES6_E_clES6_S6_@rel32@lo+4
	s_addc_u32 s5, s5, _ZZZZN2at6native33launch_standard_gamma_grad_kernelERNS_18TensorIteratorBaseEENKUlvE_clEvENKUlvE2_clEvENKUlN3c108BFloat16ES6_E_clES6_S6_@rel32@hi+12
	s_swappc_b64 s[30:31], s[4:5]
	s_or_b64 exec, exec, s[26:27]
	s_and_saveexec_b64 s[4:5], s[22:23]
	s_xor_b64 s[4:5], exec, s[4:5]
	s_cbranch_execz .LBB209_35
.LBB209_45:
	v_mov_b32_e32 v49, 0
	v_lshlrev_b64 v[2:3], 1, v[48:49]
	s_waitcnt vmcnt(0)
	v_mov_b32_e32 v1, s25
	v_add_co_u32_e32 v2, vcc, s24, v2
	v_addc_co_u32_e32 v3, vcc, v1, v3, vcc
	v_mov_b32_e32 v30, v50
	global_store_short v[2:3], v46, off
	s_or_b64 exec, exec, s[4:5]
	v_cmp_gt_i32_e32 vcc, s33, v30
	s_and_saveexec_b64 s[4:5], vcc
	s_cbranch_execz .LBB209_36
.LBB209_46:
	v_add_u32_e32 v2, s28, v30
	v_mov_b32_e32 v3, 0
	v_lshlrev_b64 v[2:3], 1, v[2:3]
	s_waitcnt vmcnt(0)
	v_mov_b32_e32 v1, s25
	v_add_co_u32_e32 v2, vcc, s24, v2
	v_addc_co_u32_e32 v3, vcc, v1, v3, vcc
	v_add_u32_e32 v30, 0x100, v30
	global_store_short v[2:3], v45, off
	s_or_b64 exec, exec, s[4:5]
	v_cmp_gt_i32_e32 vcc, s33, v30
	s_and_saveexec_b64 s[4:5], vcc
	s_cbranch_execz .LBB209_37
.LBB209_47:
	v_add_u32_e32 v2, s28, v30
	v_mov_b32_e32 v3, 0
	v_lshlrev_b64 v[2:3], 1, v[2:3]
	s_waitcnt vmcnt(0)
	v_mov_b32_e32 v1, s25
	v_add_co_u32_e32 v2, vcc, s24, v2
	v_addc_co_u32_e32 v3, vcc, v1, v3, vcc
	v_add_u32_e32 v30, 0x100, v30
	global_store_short v[2:3], v44, off
	s_or_b64 exec, exec, s[4:5]
	v_cmp_gt_i32_e32 vcc, s33, v30
	s_and_saveexec_b64 s[4:5], vcc
	s_cbranch_execz .LBB209_38
.LBB209_48:
	v_add_u32_e32 v2, s28, v30
	v_mov_b32_e32 v3, 0
	v_lshlrev_b64 v[2:3], 1, v[2:3]
	s_waitcnt vmcnt(0)
	v_mov_b32_e32 v1, s25
	v_add_co_u32_e32 v2, vcc, s24, v2
	v_addc_co_u32_e32 v3, vcc, v1, v3, vcc
	v_add_u32_e32 v30, 0x100, v30
	global_store_short v[2:3], v34, off
	s_or_b64 exec, exec, s[4:5]
	v_cmp_gt_i32_e32 vcc, s33, v30
	s_and_saveexec_b64 s[4:5], vcc
	s_cbranch_execz .LBB209_39
.LBB209_49:
	v_add_u32_e32 v2, s28, v30
	v_mov_b32_e32 v3, 0
	v_lshlrev_b64 v[2:3], 1, v[2:3]
	s_waitcnt vmcnt(0)
	v_mov_b32_e32 v1, s25
	v_add_co_u32_e32 v2, vcc, s24, v2
	v_addc_co_u32_e32 v3, vcc, v1, v3, vcc
	v_add_u32_e32 v30, 0x100, v30
	global_store_short v[2:3], v33, off
	s_or_b64 exec, exec, s[4:5]
	v_cmp_gt_i32_e32 vcc, s33, v30
	s_and_saveexec_b64 s[4:5], vcc
	s_cbranch_execz .LBB209_40
.LBB209_50:
	v_add_u32_e32 v2, s28, v30
	v_mov_b32_e32 v3, 0
	v_lshlrev_b64 v[2:3], 1, v[2:3]
	s_waitcnt vmcnt(0)
	v_mov_b32_e32 v1, s25
	v_add_co_u32_e32 v2, vcc, s24, v2
	v_addc_co_u32_e32 v3, vcc, v1, v3, vcc
	v_add_u32_e32 v30, 0x100, v30
	global_store_short v[2:3], v32, off
	s_or_b64 exec, exec, s[4:5]
	v_cmp_gt_i32_e32 vcc, s33, v30
	s_and_saveexec_b64 s[4:5], vcc
	s_cbranch_execz .LBB209_41
.LBB209_51:
	v_add_u32_e32 v2, s28, v30
	v_mov_b32_e32 v3, 0
	v_lshlrev_b64 v[2:3], 1, v[2:3]
	s_waitcnt vmcnt(0)
	v_mov_b32_e32 v1, s25
	v_add_co_u32_e32 v2, vcc, s24, v2
	v_addc_co_u32_e32 v3, vcc, v1, v3, vcc
	v_add_u32_e32 v30, 0x100, v30
	global_store_short v[2:3], v31, off
	s_or_b64 exec, exec, s[4:5]
	v_cmp_gt_i32_e32 vcc, s33, v30
	s_and_saveexec_b64 s[4:5], vcc
	s_cbranch_execnz .LBB209_42
	s_branch .LBB209_43
	.section	.rodata,"a",@progbits
	.p2align	6, 0x0
	.amdhsa_kernel _ZN2at6native29vectorized_elementwise_kernelILi2EZZZNS0_33launch_standard_gamma_grad_kernelERNS_18TensorIteratorBaseEENKUlvE_clEvENKUlvE2_clEvEUlN3c108BFloat16ES7_E_St5arrayIPcLm3EEEEviT0_T1_
		.amdhsa_group_segment_fixed_size 0
		.amdhsa_private_segment_fixed_size 0
		.amdhsa_kernarg_size 32
		.amdhsa_user_sgpr_count 8
		.amdhsa_user_sgpr_private_segment_buffer 1
		.amdhsa_user_sgpr_dispatch_ptr 0
		.amdhsa_user_sgpr_queue_ptr 0
		.amdhsa_user_sgpr_kernarg_segment_ptr 1
		.amdhsa_user_sgpr_dispatch_id 0
		.amdhsa_user_sgpr_flat_scratch_init 1
		.amdhsa_user_sgpr_kernarg_preload_length 0
		.amdhsa_user_sgpr_kernarg_preload_offset 0
		.amdhsa_user_sgpr_private_segment_size 0
		.amdhsa_uses_dynamic_stack 0
		.amdhsa_system_sgpr_private_segment_wavefront_offset 0
		.amdhsa_system_sgpr_workgroup_id_x 1
		.amdhsa_system_sgpr_workgroup_id_y 0
		.amdhsa_system_sgpr_workgroup_id_z 0
		.amdhsa_system_sgpr_workgroup_info 0
		.amdhsa_system_vgpr_workitem_id 0
		.amdhsa_next_free_vgpr 51
		.amdhsa_next_free_sgpr 38
		.amdhsa_accum_offset 52
		.amdhsa_reserve_vcc 1
		.amdhsa_reserve_flat_scratch 1
		.amdhsa_float_round_mode_32 0
		.amdhsa_float_round_mode_16_64 0
		.amdhsa_float_denorm_mode_32 3
		.amdhsa_float_denorm_mode_16_64 3
		.amdhsa_dx10_clamp 1
		.amdhsa_ieee_mode 1
		.amdhsa_fp16_overflow 0
		.amdhsa_tg_split 0
		.amdhsa_exception_fp_ieee_invalid_op 0
		.amdhsa_exception_fp_denorm_src 0
		.amdhsa_exception_fp_ieee_div_zero 0
		.amdhsa_exception_fp_ieee_overflow 0
		.amdhsa_exception_fp_ieee_underflow 0
		.amdhsa_exception_fp_ieee_inexact 0
		.amdhsa_exception_int_div_zero 0
	.end_amdhsa_kernel
	.section	.text._ZN2at6native29vectorized_elementwise_kernelILi2EZZZNS0_33launch_standard_gamma_grad_kernelERNS_18TensorIteratorBaseEENKUlvE_clEvENKUlvE2_clEvEUlN3c108BFloat16ES7_E_St5arrayIPcLm3EEEEviT0_T1_,"axG",@progbits,_ZN2at6native29vectorized_elementwise_kernelILi2EZZZNS0_33launch_standard_gamma_grad_kernelERNS_18TensorIteratorBaseEENKUlvE_clEvENKUlvE2_clEvEUlN3c108BFloat16ES7_E_St5arrayIPcLm3EEEEviT0_T1_,comdat
.Lfunc_end209:
	.size	_ZN2at6native29vectorized_elementwise_kernelILi2EZZZNS0_33launch_standard_gamma_grad_kernelERNS_18TensorIteratorBaseEENKUlvE_clEvENKUlvE2_clEvEUlN3c108BFloat16ES7_E_St5arrayIPcLm3EEEEviT0_T1_, .Lfunc_end209-_ZN2at6native29vectorized_elementwise_kernelILi2EZZZNS0_33launch_standard_gamma_grad_kernelERNS_18TensorIteratorBaseEENKUlvE_clEvENKUlvE2_clEvEUlN3c108BFloat16ES7_E_St5arrayIPcLm3EEEEviT0_T1_
                                        ; -- End function
	.section	.AMDGPU.csdata,"",@progbits
; Kernel info:
; codeLenInByte = 2288
; NumSgprs: 44
; NumVgprs: 51
; NumAgprs: 0
; TotalNumVgprs: 51
; ScratchSize: 0
; MemoryBound: 0
; FloatMode: 240
; IeeeMode: 1
; LDSByteSize: 0 bytes/workgroup (compile time only)
; SGPRBlocks: 5
; VGPRBlocks: 6
; NumSGPRsForWavesPerEU: 44
; NumVGPRsForWavesPerEU: 51
; AccumOffset: 52
; Occupancy: 8
; WaveLimiterHint : 0
; COMPUTE_PGM_RSRC2:SCRATCH_EN: 0
; COMPUTE_PGM_RSRC2:USER_SGPR: 8
; COMPUTE_PGM_RSRC2:TRAP_HANDLER: 0
; COMPUTE_PGM_RSRC2:TGID_X_EN: 1
; COMPUTE_PGM_RSRC2:TGID_Y_EN: 0
; COMPUTE_PGM_RSRC2:TGID_Z_EN: 0
; COMPUTE_PGM_RSRC2:TIDIG_COMP_CNT: 0
; COMPUTE_PGM_RSRC3_GFX90A:ACCUM_OFFSET: 12
; COMPUTE_PGM_RSRC3_GFX90A:TG_SPLIT: 0
	.section	.text._ZN2at6native27unrolled_elementwise_kernelIZZZNS0_33launch_standard_gamma_grad_kernelERNS_18TensorIteratorBaseEENKUlvE_clEvENKUlvE2_clEvEUlN3c108BFloat16ES7_E_St5arrayIPcLm3EELi4E23TrivialOffsetCalculatorILi2EjESC_ILi1EjENS0_6memory15LoadWithoutCastENSF_16StoreWithoutCastEEEviT_T0_T2_T3_T4_T5_,"axG",@progbits,_ZN2at6native27unrolled_elementwise_kernelIZZZNS0_33launch_standard_gamma_grad_kernelERNS_18TensorIteratorBaseEENKUlvE_clEvENKUlvE2_clEvEUlN3c108BFloat16ES7_E_St5arrayIPcLm3EELi4E23TrivialOffsetCalculatorILi2EjESC_ILi1EjENS0_6memory15LoadWithoutCastENSF_16StoreWithoutCastEEEviT_T0_T2_T3_T4_T5_,comdat
	.globl	_ZN2at6native27unrolled_elementwise_kernelIZZZNS0_33launch_standard_gamma_grad_kernelERNS_18TensorIteratorBaseEENKUlvE_clEvENKUlvE2_clEvEUlN3c108BFloat16ES7_E_St5arrayIPcLm3EELi4E23TrivialOffsetCalculatorILi2EjESC_ILi1EjENS0_6memory15LoadWithoutCastENSF_16StoreWithoutCastEEEviT_T0_T2_T3_T4_T5_ ; -- Begin function _ZN2at6native27unrolled_elementwise_kernelIZZZNS0_33launch_standard_gamma_grad_kernelERNS_18TensorIteratorBaseEENKUlvE_clEvENKUlvE2_clEvEUlN3c108BFloat16ES7_E_St5arrayIPcLm3EELi4E23TrivialOffsetCalculatorILi2EjESC_ILi1EjENS0_6memory15LoadWithoutCastENSF_16StoreWithoutCastEEEviT_T0_T2_T3_T4_T5_
	.p2align	8
	.type	_ZN2at6native27unrolled_elementwise_kernelIZZZNS0_33launch_standard_gamma_grad_kernelERNS_18TensorIteratorBaseEENKUlvE_clEvENKUlvE2_clEvEUlN3c108BFloat16ES7_E_St5arrayIPcLm3EELi4E23TrivialOffsetCalculatorILi2EjESC_ILi1EjENS0_6memory15LoadWithoutCastENSF_16StoreWithoutCastEEEviT_T0_T2_T3_T4_T5_,@function
_ZN2at6native27unrolled_elementwise_kernelIZZZNS0_33launch_standard_gamma_grad_kernelERNS_18TensorIteratorBaseEENKUlvE_clEvENKUlvE2_clEvEUlN3c108BFloat16ES7_E_St5arrayIPcLm3EELi4E23TrivialOffsetCalculatorILi2EjESC_ILi1EjENS0_6memory15LoadWithoutCastENSF_16StoreWithoutCastEEEviT_T0_T2_T3_T4_T5_: ; @_ZN2at6native27unrolled_elementwise_kernelIZZZNS0_33launch_standard_gamma_grad_kernelERNS_18TensorIteratorBaseEENKUlvE_clEvENKUlvE2_clEvEUlN3c108BFloat16ES7_E_St5arrayIPcLm3EELi4E23TrivialOffsetCalculatorILi2EjESC_ILi1EjENS0_6memory15LoadWithoutCastENSF_16StoreWithoutCastEEEviT_T0_T2_T3_T4_T5_
; %bb.0:
	s_add_u32 flat_scratch_lo, s6, s9
	s_addc_u32 flat_scratch_hi, s7, 0
	s_add_u32 s0, s0, s9
	s_load_dword s9, s[4:5], 0x0
	s_load_dwordx4 s[24:27], s[4:5], 0x8
	s_load_dwordx2 s[6:7], s[4:5], 0x18
	s_addc_u32 s1, s1, 0
	s_lshl_b32 s28, s8, 10
	v_mov_b32_e32 v30, v0
	s_waitcnt lgkmcnt(0)
	s_sub_i32 s29, s9, s28
	v_cmp_gt_i32_e64 s[22:23], s29, v30
	v_mov_b32_e32 v31, 0
	v_or_b32_e32 v40, s28, v30
	v_mov_b32_e32 v0, 0
	v_mov_b32_e32 v1, 0
	;; [unrolled: 1-line block ×3, first 2 shown]
	s_mov_b32 s32, 0
	s_and_saveexec_b64 s[4:5], s[22:23]
	s_cbranch_execz .LBB210_2
; %bb.1:
	v_mov_b32_e32 v41, 0
	v_lshlrev_b64 v[0:1], 1, v[40:41]
	v_mov_b32_e32 v3, s27
	v_add_co_u32_e32 v2, vcc, s26, v0
	v_addc_co_u32_e32 v3, vcc, v3, v1, vcc
	v_mov_b32_e32 v5, s7
	v_add_co_u32_e32 v4, vcc, s6, v0
	v_addc_co_u32_e32 v5, vcc, v5, v1, vcc
	global_load_ushort v0, v[2:3], off
	global_load_ushort v1, v[4:5], off
	v_or_b32_e32 v2, 0x100, v30
.LBB210_2:
	s_or_b64 exec, exec, s[4:5]
	v_cmp_gt_i32_e32 vcc, s29, v2
	v_mov_b32_e32 v33, 0
	s_and_saveexec_b64 s[4:5], vcc
	s_cbranch_execz .LBB210_4
; %bb.3:
	v_add_u32_e32 v4, s28, v2
	v_mov_b32_e32 v5, 0
	v_lshlrev_b64 v[4:5], 1, v[4:5]
	v_mov_b32_e32 v3, s27
	v_add_co_u32_e32 v6, vcc, s26, v4
	v_addc_co_u32_e32 v7, vcc, v3, v5, vcc
	v_mov_b32_e32 v3, s7
	v_add_co_u32_e32 v4, vcc, s6, v4
	v_addc_co_u32_e32 v5, vcc, v3, v5, vcc
	global_load_ushort v31, v[6:7], off
	global_load_ushort v33, v[4:5], off
	v_add_u32_e32 v2, 0x100, v2
.LBB210_4:
	s_or_b64 exec, exec, s[4:5]
	v_cmp_gt_i32_e32 vcc, s29, v2
	v_mov_b32_e32 v32, 0
	v_mov_b32_e32 v34, 0
	v_mov_b32_e32 v35, 0
	s_and_saveexec_b64 s[4:5], vcc
	s_cbranch_execz .LBB210_6
; %bb.5:
	v_add_u32_e32 v4, s28, v2
	v_mov_b32_e32 v5, 0
	v_lshlrev_b64 v[4:5], 1, v[4:5]
	v_mov_b32_e32 v3, s27
	v_add_co_u32_e32 v6, vcc, s26, v4
	v_addc_co_u32_e32 v7, vcc, v3, v5, vcc
	v_mov_b32_e32 v3, s7
	v_add_co_u32_e32 v4, vcc, s6, v4
	v_addc_co_u32_e32 v5, vcc, v3, v5, vcc
	global_load_ushort v34, v[6:7], off
	global_load_ushort v35, v[4:5], off
	v_add_u32_e32 v2, 0x100, v2
.LBB210_6:
	s_or_b64 exec, exec, s[4:5]
	v_cmp_gt_i32_e32 vcc, s29, v2
	v_mov_b32_e32 v38, 0
	s_and_saveexec_b64 s[4:5], vcc
	s_cbranch_execz .LBB210_8
; %bb.7:
	v_add_u32_e32 v2, s28, v2
	v_mov_b32_e32 v3, 0
	v_lshlrev_b64 v[2:3], 1, v[2:3]
	v_mov_b32_e32 v5, s27
	v_add_co_u32_e32 v4, vcc, s26, v2
	v_addc_co_u32_e32 v5, vcc, v5, v3, vcc
	v_mov_b32_e32 v6, s7
	v_add_co_u32_e32 v2, vcc, s6, v2
	v_addc_co_u32_e32 v3, vcc, v6, v3, vcc
	global_load_ushort v32, v[4:5], off
	global_load_ushort v38, v[2:3], off
.LBB210_8:
	s_or_b64 exec, exec, s[4:5]
                                        ; implicit-def: $vgpr37
	s_and_saveexec_b64 s[26:27], s[22:23]
	s_cbranch_execz .LBB210_10
; %bb.9:
	s_getpc_b64 s[4:5]
	s_add_u32 s4, s4, _ZZZZN2at6native33launch_standard_gamma_grad_kernelERNS_18TensorIteratorBaseEENKUlvE_clEvENKUlvE2_clEvENKUlN3c108BFloat16ES6_E_clES6_S6_@rel32@lo+4
	s_addc_u32 s5, s5, _ZZZZN2at6native33launch_standard_gamma_grad_kernelERNS_18TensorIteratorBaseEENKUlvE_clEvENKUlvE2_clEvENKUlN3c108BFloat16ES6_E_clES6_S6_@rel32@hi+12
	s_swappc_b64 s[30:31], s[4:5]
	v_mov_b32_e32 v37, v0
.LBB210_10:
	s_or_b64 exec, exec, s[26:27]
	v_or_b32_e32 v39, 0x100, v30
	v_cmp_gt_i32_e32 vcc, s29, v39
                                        ; implicit-def: $vgpr36
	s_and_saveexec_b64 s[26:27], vcc
	s_cbranch_execz .LBB210_12
; %bb.11:
	s_waitcnt vmcnt(1)
	v_mov_b32_e32 v0, v31
	s_waitcnt vmcnt(0)
	v_mov_b32_e32 v1, v33
	s_getpc_b64 s[4:5]
	s_add_u32 s4, s4, _ZZZZN2at6native33launch_standard_gamma_grad_kernelERNS_18TensorIteratorBaseEENKUlvE_clEvENKUlvE2_clEvENKUlN3c108BFloat16ES6_E_clES6_S6_@rel32@lo+4
	s_addc_u32 s5, s5, _ZZZZN2at6native33launch_standard_gamma_grad_kernelERNS_18TensorIteratorBaseEENKUlvE_clEvENKUlvE2_clEvENKUlN3c108BFloat16ES6_E_clES6_S6_@rel32@hi+12
	s_swappc_b64 s[30:31], s[4:5]
	v_mov_b32_e32 v36, v0
.LBB210_12:
	s_or_b64 exec, exec, s[26:27]
	s_waitcnt vmcnt(1)
	v_or_b32_e32 v0, 0x200, v30
	v_cmp_gt_i32_e32 vcc, s29, v0
                                        ; implicit-def: $vgpr31
	s_and_saveexec_b64 s[26:27], vcc
	s_cbranch_execz .LBB210_14
; %bb.13:
	v_mov_b32_e32 v0, v34
	s_waitcnt vmcnt(0)
	v_mov_b32_e32 v1, v35
	s_getpc_b64 s[4:5]
	s_add_u32 s4, s4, _ZZZZN2at6native33launch_standard_gamma_grad_kernelERNS_18TensorIteratorBaseEENKUlvE_clEvENKUlvE2_clEvENKUlN3c108BFloat16ES6_E_clES6_S6_@rel32@lo+4
	s_addc_u32 s5, s5, _ZZZZN2at6native33launch_standard_gamma_grad_kernelERNS_18TensorIteratorBaseEENKUlvE_clEvENKUlvE2_clEvENKUlN3c108BFloat16ES6_E_clES6_S6_@rel32@hi+12
	s_swappc_b64 s[30:31], s[4:5]
	v_mov_b32_e32 v31, v0
.LBB210_14:
	s_or_b64 exec, exec, s[26:27]
	v_or_b32_e32 v0, 0x300, v30
	v_cmp_gt_i32_e32 vcc, s29, v0
                                        ; implicit-def: $vgpr0
	s_and_saveexec_b64 s[26:27], vcc
	s_cbranch_execnz .LBB210_20
; %bb.15:
	s_or_b64 exec, exec, s[26:27]
	s_and_saveexec_b64 s[4:5], s[22:23]
	s_xor_b64 s[4:5], exec, s[4:5]
	s_cbranch_execnz .LBB210_21
.LBB210_16:
	s_or_b64 exec, exec, s[4:5]
	v_cmp_gt_i32_e32 vcc, s29, v30
	s_and_saveexec_b64 s[4:5], vcc
	s_cbranch_execnz .LBB210_22
.LBB210_17:
	s_or_b64 exec, exec, s[4:5]
	v_cmp_gt_i32_e32 vcc, s29, v30
	s_and_saveexec_b64 s[4:5], vcc
	s_cbranch_execnz .LBB210_23
.LBB210_18:
	s_or_b64 exec, exec, s[4:5]
	v_cmp_gt_i32_e32 vcc, s29, v30
	s_and_saveexec_b64 s[4:5], vcc
	s_cbranch_execnz .LBB210_24
.LBB210_19:
	s_endpgm
.LBB210_20:
	v_mov_b32_e32 v0, v32
	s_waitcnt vmcnt(0)
	v_mov_b32_e32 v1, v38
	s_getpc_b64 s[4:5]
	s_add_u32 s4, s4, _ZZZZN2at6native33launch_standard_gamma_grad_kernelERNS_18TensorIteratorBaseEENKUlvE_clEvENKUlvE2_clEvENKUlN3c108BFloat16ES6_E_clES6_S6_@rel32@lo+4
	s_addc_u32 s5, s5, _ZZZZN2at6native33launch_standard_gamma_grad_kernelERNS_18TensorIteratorBaseEENKUlvE_clEvENKUlvE2_clEvENKUlN3c108BFloat16ES6_E_clES6_S6_@rel32@hi+12
	s_swappc_b64 s[30:31], s[4:5]
	s_or_b64 exec, exec, s[26:27]
	s_and_saveexec_b64 s[4:5], s[22:23]
	s_xor_b64 s[4:5], exec, s[4:5]
	s_cbranch_execz .LBB210_16
.LBB210_21:
	v_mov_b32_e32 v41, 0
	v_lshlrev_b64 v[2:3], 1, v[40:41]
	s_waitcnt vmcnt(0)
	v_mov_b32_e32 v1, s25
	v_add_co_u32_e32 v2, vcc, s24, v2
	v_addc_co_u32_e32 v3, vcc, v1, v3, vcc
	v_mov_b32_e32 v30, v39
	global_store_short v[2:3], v37, off
	s_or_b64 exec, exec, s[4:5]
	v_cmp_gt_i32_e32 vcc, s29, v30
	s_and_saveexec_b64 s[4:5], vcc
	s_cbranch_execz .LBB210_17
.LBB210_22:
	v_add_u32_e32 v2, s28, v30
	v_mov_b32_e32 v3, 0
	v_lshlrev_b64 v[2:3], 1, v[2:3]
	s_waitcnt vmcnt(0)
	v_add_u32_e32 v1, 0x100, v30
	v_mov_b32_e32 v4, s25
	v_add_co_u32_e32 v2, vcc, s24, v2
	v_addc_co_u32_e32 v3, vcc, v4, v3, vcc
	v_mov_b32_e32 v30, v1
	global_store_short v[2:3], v36, off
	s_or_b64 exec, exec, s[4:5]
	v_cmp_gt_i32_e32 vcc, s29, v30
	s_and_saveexec_b64 s[4:5], vcc
	s_cbranch_execz .LBB210_18
.LBB210_23:
	v_add_u32_e32 v2, s28, v30
	v_mov_b32_e32 v3, 0
	v_lshlrev_b64 v[2:3], 1, v[2:3]
	s_waitcnt vmcnt(0)
	v_add_u32_e32 v1, 0x100, v30
	v_mov_b32_e32 v4, s25
	v_add_co_u32_e32 v2, vcc, s24, v2
	v_addc_co_u32_e32 v3, vcc, v4, v3, vcc
	v_mov_b32_e32 v30, v1
	global_store_short v[2:3], v31, off
	s_or_b64 exec, exec, s[4:5]
	v_cmp_gt_i32_e32 vcc, s29, v30
	s_and_saveexec_b64 s[4:5], vcc
	s_cbranch_execz .LBB210_19
.LBB210_24:
	v_add_u32_e32 v2, s28, v30
	v_mov_b32_e32 v3, 0
	v_lshlrev_b64 v[2:3], 1, v[2:3]
	s_waitcnt vmcnt(0)
	v_mov_b32_e32 v1, s25
	v_add_co_u32_e32 v2, vcc, s24, v2
	v_addc_co_u32_e32 v3, vcc, v1, v3, vcc
	global_store_short v[2:3], v0, off
	s_endpgm
	.section	.rodata,"a",@progbits
	.p2align	6, 0x0
	.amdhsa_kernel _ZN2at6native27unrolled_elementwise_kernelIZZZNS0_33launch_standard_gamma_grad_kernelERNS_18TensorIteratorBaseEENKUlvE_clEvENKUlvE2_clEvEUlN3c108BFloat16ES7_E_St5arrayIPcLm3EELi4E23TrivialOffsetCalculatorILi2EjESC_ILi1EjENS0_6memory15LoadWithoutCastENSF_16StoreWithoutCastEEEviT_T0_T2_T3_T4_T5_
		.amdhsa_group_segment_fixed_size 0
		.amdhsa_private_segment_fixed_size 0
		.amdhsa_kernarg_size 36
		.amdhsa_user_sgpr_count 8
		.amdhsa_user_sgpr_private_segment_buffer 1
		.amdhsa_user_sgpr_dispatch_ptr 0
		.amdhsa_user_sgpr_queue_ptr 0
		.amdhsa_user_sgpr_kernarg_segment_ptr 1
		.amdhsa_user_sgpr_dispatch_id 0
		.amdhsa_user_sgpr_flat_scratch_init 1
		.amdhsa_user_sgpr_kernarg_preload_length 0
		.amdhsa_user_sgpr_kernarg_preload_offset 0
		.amdhsa_user_sgpr_private_segment_size 0
		.amdhsa_uses_dynamic_stack 0
		.amdhsa_system_sgpr_private_segment_wavefront_offset 0
		.amdhsa_system_sgpr_workgroup_id_x 1
		.amdhsa_system_sgpr_workgroup_id_y 0
		.amdhsa_system_sgpr_workgroup_id_z 0
		.amdhsa_system_sgpr_workgroup_info 0
		.amdhsa_system_vgpr_workitem_id 0
		.amdhsa_next_free_vgpr 42
		.amdhsa_next_free_sgpr 33
		.amdhsa_accum_offset 44
		.amdhsa_reserve_vcc 1
		.amdhsa_reserve_flat_scratch 1
		.amdhsa_float_round_mode_32 0
		.amdhsa_float_round_mode_16_64 0
		.amdhsa_float_denorm_mode_32 3
		.amdhsa_float_denorm_mode_16_64 3
		.amdhsa_dx10_clamp 1
		.amdhsa_ieee_mode 1
		.amdhsa_fp16_overflow 0
		.amdhsa_tg_split 0
		.amdhsa_exception_fp_ieee_invalid_op 0
		.amdhsa_exception_fp_denorm_src 0
		.amdhsa_exception_fp_ieee_div_zero 0
		.amdhsa_exception_fp_ieee_overflow 0
		.amdhsa_exception_fp_ieee_underflow 0
		.amdhsa_exception_fp_ieee_inexact 0
		.amdhsa_exception_int_div_zero 0
	.end_amdhsa_kernel
	.section	.text._ZN2at6native27unrolled_elementwise_kernelIZZZNS0_33launch_standard_gamma_grad_kernelERNS_18TensorIteratorBaseEENKUlvE_clEvENKUlvE2_clEvEUlN3c108BFloat16ES7_E_St5arrayIPcLm3EELi4E23TrivialOffsetCalculatorILi2EjESC_ILi1EjENS0_6memory15LoadWithoutCastENSF_16StoreWithoutCastEEEviT_T0_T2_T3_T4_T5_,"axG",@progbits,_ZN2at6native27unrolled_elementwise_kernelIZZZNS0_33launch_standard_gamma_grad_kernelERNS_18TensorIteratorBaseEENKUlvE_clEvENKUlvE2_clEvEUlN3c108BFloat16ES7_E_St5arrayIPcLm3EELi4E23TrivialOffsetCalculatorILi2EjESC_ILi1EjENS0_6memory15LoadWithoutCastENSF_16StoreWithoutCastEEEviT_T0_T2_T3_T4_T5_,comdat
.Lfunc_end210:
	.size	_ZN2at6native27unrolled_elementwise_kernelIZZZNS0_33launch_standard_gamma_grad_kernelERNS_18TensorIteratorBaseEENKUlvE_clEvENKUlvE2_clEvEUlN3c108BFloat16ES7_E_St5arrayIPcLm3EELi4E23TrivialOffsetCalculatorILi2EjESC_ILi1EjENS0_6memory15LoadWithoutCastENSF_16StoreWithoutCastEEEviT_T0_T2_T3_T4_T5_, .Lfunc_end210-_ZN2at6native27unrolled_elementwise_kernelIZZZNS0_33launch_standard_gamma_grad_kernelERNS_18TensorIteratorBaseEENKUlvE_clEvENKUlvE2_clEvEUlN3c108BFloat16ES7_E_St5arrayIPcLm3EELi4E23TrivialOffsetCalculatorILi2EjESC_ILi1EjENS0_6memory15LoadWithoutCastENSF_16StoreWithoutCastEEEviT_T0_T2_T3_T4_T5_
                                        ; -- End function
	.section	.AMDGPU.csdata,"",@progbits
; Kernel info:
; codeLenInByte = 964
; NumSgprs: 39
; NumVgprs: 42
; NumAgprs: 0
; TotalNumVgprs: 42
; ScratchSize: 0
; MemoryBound: 0
; FloatMode: 240
; IeeeMode: 1
; LDSByteSize: 0 bytes/workgroup (compile time only)
; SGPRBlocks: 4
; VGPRBlocks: 5
; NumSGPRsForWavesPerEU: 39
; NumVGPRsForWavesPerEU: 42
; AccumOffset: 44
; Occupancy: 8
; WaveLimiterHint : 0
; COMPUTE_PGM_RSRC2:SCRATCH_EN: 0
; COMPUTE_PGM_RSRC2:USER_SGPR: 8
; COMPUTE_PGM_RSRC2:TRAP_HANDLER: 0
; COMPUTE_PGM_RSRC2:TGID_X_EN: 1
; COMPUTE_PGM_RSRC2:TGID_Y_EN: 0
; COMPUTE_PGM_RSRC2:TGID_Z_EN: 0
; COMPUTE_PGM_RSRC2:TIDIG_COMP_CNT: 0
; COMPUTE_PGM_RSRC3_GFX90A:ACCUM_OFFSET: 10
; COMPUTE_PGM_RSRC3_GFX90A:TG_SPLIT: 0
	.section	.text._ZN2at6native32elementwise_kernel_manual_unrollILi128ELi8EZNS0_22gpu_kernel_impl_nocastIZZZNS0_33launch_standard_gamma_grad_kernelERNS_18TensorIteratorBaseEENKUlvE_clEvENKUlvE2_clEvEUlN3c108BFloat16ES8_E_EEvS4_RKT_EUlibE_EEviT1_,"axG",@progbits,_ZN2at6native32elementwise_kernel_manual_unrollILi128ELi8EZNS0_22gpu_kernel_impl_nocastIZZZNS0_33launch_standard_gamma_grad_kernelERNS_18TensorIteratorBaseEENKUlvE_clEvENKUlvE2_clEvEUlN3c108BFloat16ES8_E_EEvS4_RKT_EUlibE_EEviT1_,comdat
	.globl	_ZN2at6native32elementwise_kernel_manual_unrollILi128ELi8EZNS0_22gpu_kernel_impl_nocastIZZZNS0_33launch_standard_gamma_grad_kernelERNS_18TensorIteratorBaseEENKUlvE_clEvENKUlvE2_clEvEUlN3c108BFloat16ES8_E_EEvS4_RKT_EUlibE_EEviT1_ ; -- Begin function _ZN2at6native32elementwise_kernel_manual_unrollILi128ELi8EZNS0_22gpu_kernel_impl_nocastIZZZNS0_33launch_standard_gamma_grad_kernelERNS_18TensorIteratorBaseEENKUlvE_clEvENKUlvE2_clEvEUlN3c108BFloat16ES8_E_EEvS4_RKT_EUlibE_EEviT1_
	.p2align	8
	.type	_ZN2at6native32elementwise_kernel_manual_unrollILi128ELi8EZNS0_22gpu_kernel_impl_nocastIZZZNS0_33launch_standard_gamma_grad_kernelERNS_18TensorIteratorBaseEENKUlvE_clEvENKUlvE2_clEvEUlN3c108BFloat16ES8_E_EEvS4_RKT_EUlibE_EEviT1_,@function
_ZN2at6native32elementwise_kernel_manual_unrollILi128ELi8EZNS0_22gpu_kernel_impl_nocastIZZZNS0_33launch_standard_gamma_grad_kernelERNS_18TensorIteratorBaseEENKUlvE_clEvENKUlvE2_clEvEUlN3c108BFloat16ES8_E_EEvS4_RKT_EUlibE_EEviT1_: ; @_ZN2at6native32elementwise_kernel_manual_unrollILi128ELi8EZNS0_22gpu_kernel_impl_nocastIZZZNS0_33launch_standard_gamma_grad_kernelERNS_18TensorIteratorBaseEENKUlvE_clEvENKUlvE2_clEvEUlN3c108BFloat16ES8_E_EEvS4_RKT_EUlibE_EEviT1_
; %bb.0:
	s_load_dword s58, s[4:5], 0x0
	s_load_dword s33, s[4:5], 0x8
	s_add_u32 flat_scratch_lo, s6, s9
	s_addc_u32 flat_scratch_hi, s7, 0
	s_add_u32 s0, s0, s9
	s_mov_b64 s[22:23], s[4:5]
	s_addc_u32 s1, s1, 0
	s_or_b32 s22, s22, 8
	v_lshl_or_b32 v64, s8, 10, v0
	s_waitcnt lgkmcnt(0)
	s_add_i32 s56, s33, -1
	v_or_b32_e32 v0, 0x380, v64
	s_cmp_gt_u32 s56, 1
	v_cmp_le_i32_e32 vcc, s58, v0
	s_cselect_b64 s[28:29], -1, 0
	s_mov_b32 s32, 0
	s_and_saveexec_b64 s[4:5], vcc
	s_xor_b64 s[34:35], exec, s[4:5]
	s_cbranch_execz .LBB211_98
; %bb.1:
	s_load_dwordx4 s[40:43], s[22:23], 0x4
	s_load_dwordx2 s[48:49], s[22:23], 0x14
	s_load_dwordx4 s[36:39], s[22:23], 0xc4
	s_load_dwordx2 s[46:47], s[22:23], 0xd4
	s_load_dwordx2 s[44:45], s[22:23], 0x198
	s_load_dwordx4 s[24:27], s[22:23], 0x188
	s_cmp_lg_u32 s33, 0
	s_cselect_b64 s[52:53], -1, 0
	s_min_u32 s57, s56, 15
	s_cmp_gt_u32 s33, 1
	s_cselect_b64 s[50:51], -1, 0
	v_cmp_gt_i32_e32 vcc, s58, v64
	s_and_saveexec_b64 s[54:55], vcc
	s_cbranch_execnz .LBB211_9
; %bb.2:
	s_or_b64 exec, exec, s[54:55]
	v_cmp_gt_i32_e32 vcc, s58, v64
	s_and_saveexec_b64 s[54:55], vcc
	s_cbranch_execnz .LBB211_20
.LBB211_3:
	s_or_b64 exec, exec, s[54:55]
	v_cmp_gt_i32_e32 vcc, s58, v64
	s_and_saveexec_b64 s[54:55], vcc
	s_cbranch_execnz .LBB211_31
.LBB211_4:
	s_or_b64 exec, exec, s[54:55]
	v_cmp_gt_i32_e32 vcc, s58, v64
	s_and_saveexec_b64 s[54:55], vcc
	s_cbranch_execnz .LBB211_42
.LBB211_5:
	s_or_b64 exec, exec, s[54:55]
	v_cmp_gt_i32_e32 vcc, s58, v64
	s_and_saveexec_b64 s[54:55], vcc
	s_cbranch_execnz .LBB211_53
.LBB211_6:
	s_or_b64 exec, exec, s[54:55]
	v_cmp_gt_i32_e32 vcc, s58, v64
	s_and_saveexec_b64 s[54:55], vcc
	s_cbranch_execnz .LBB211_64
.LBB211_7:
	s_or_b64 exec, exec, s[54:55]
	v_cmp_gt_i32_e32 vcc, s58, v64
	s_and_saveexec_b64 s[54:55], vcc
	s_cbranch_execnz .LBB211_75
.LBB211_8:
	s_or_b64 exec, exec, s[54:55]
	v_cmp_gt_i32_e32 vcc, s58, v64
	s_and_saveexec_b64 s[54:55], vcc
	s_cbranch_execnz .LBB211_86
	s_branch .LBB211_97
.LBB211_9:
	s_andn2_b64 vcc, exec, s[28:29]
	s_cbranch_vccnz .LBB211_16
; %bb.10:
	s_andn2_b64 vcc, exec, s[52:53]
	v_mov_b32_e32 v2, 0
	v_mov_b32_e32 v4, 0
	v_mov_b32_e32 v30, 0
	s_cbranch_vccnz .LBB211_15
; %bb.11:
	s_add_i32 s4, s57, 1
	s_and_b32 s6, s4, 30
	s_add_u32 s4, s22, 0xffffffec
	s_addc_u32 s5, s23, -1
	v_mov_b32_e32 v30, 0
	v_mov_b32_e32 v0, v64
	;; [unrolled: 1-line block ×4, first 2 shown]
.LBB211_12:                             ; =>This Inner Loop Header: Depth=1
	s_mov_b64 s[16:17], s[4:5]
	s_load_dwordx4 s[8:11], s[16:17], 0x18
	s_load_dwordx2 s[18:19], s[16:17], 0x28
	s_load_dwordx2 s[20:21], s[16:17], 0xe8
	s_load_dwordx4 s[12:15], s[16:17], 0xd8
	s_add_u32 s4, s16, 24
	s_waitcnt lgkmcnt(0)
	v_mul_hi_u32 v1, s9, v0
	v_add_u32_e32 v1, v0, v1
	v_lshrrev_b32_e32 v1, s10, v1
	v_mul_lo_u32 v3, v1, s8
	v_mul_hi_u32 v5, s18, v1
	v_sub_u32_e32 v0, v0, v3
	v_add_u32_e32 v3, v1, v5
	v_mul_lo_u32 v5, v0, s12
	v_mul_lo_u32 v6, v0, s13
	;; [unrolled: 1-line block ×3, first 2 shown]
	v_lshrrev_b32_e32 v0, s19, v3
	v_mul_lo_u32 v3, v0, s11
	v_sub_u32_e32 v1, v1, v3
	s_addc_u32 s5, s17, 0
	s_add_i32 s6, s6, -2
	v_mul_lo_u32 v3, v1, s15
	v_mul_lo_u32 v8, v1, s20
	;; [unrolled: 1-line block ×3, first 2 shown]
	s_cmp_lg_u32 s6, 0
	v_add3_u32 v30, v5, v30, v3
	v_add3_u32 v2, v7, v2, v1
	;; [unrolled: 1-line block ×3, first 2 shown]
	s_cbranch_scc1 .LBB211_12
; %bb.13:
	s_bitcmp1_b32 s57, 0
	s_cselect_b64 s[6:7], -1, 0
	s_and_b64 vcc, exec, s[6:7]
	s_cbranch_vccnz .LBB211_15
; %bb.14:
	s_load_dwordx2 s[6:7], s[4:5], 0x18
	s_load_dword s10, s[4:5], 0x20
	s_load_dword s11, s[4:5], 0xe0
	s_load_dwordx2 s[8:9], s[4:5], 0xd8
	s_waitcnt lgkmcnt(0)
	v_mul_hi_u32 v1, s7, v0
	v_add_u32_e32 v1, v0, v1
	v_lshrrev_b32_e32 v1, s10, v1
	v_mul_lo_u32 v1, v1, s6
	v_sub_u32_e32 v0, v0, v1
	v_mad_u64_u32 v[30:31], s[4:5], v0, s8, v[30:31]
	v_mad_u64_u32 v[4:5], s[4:5], v0, s9, v[4:5]
	;; [unrolled: 1-line block ×3, first 2 shown]
.LBB211_15:
	s_cbranch_execz .LBB211_17
	s_branch .LBB211_19
.LBB211_16:
                                        ; implicit-def: $vgpr2
                                        ; implicit-def: $vgpr4
                                        ; implicit-def: $vgpr30
.LBB211_17:
	s_waitcnt lgkmcnt(0)
	v_mul_hi_u32 v0, s41, v64
	v_add_u32_e32 v0, v64, v0
	v_lshrrev_b32_e32 v0, s42, v0
	v_mul_lo_u32 v1, v0, s40
	v_sub_u32_e32 v1, v64, v1
	v_mul_lo_u32 v30, v1, s36
	v_mul_lo_u32 v2, v1, s38
	s_andn2_b64 vcc, exec, s[50:51]
	v_mul_lo_u32 v4, v1, s37
	s_cbranch_vccnz .LBB211_19
; %bb.18:
	v_mul_hi_u32 v1, s48, v0
	v_add_u32_e32 v1, v0, v1
	v_lshrrev_b32_e32 v1, s49, v1
	v_mul_lo_u32 v1, v1, s43
	v_sub_u32_e32 v0, v0, v1
	v_mad_u64_u32 v[30:31], s[4:5], v0, s39, v[30:31]
	v_mad_u64_u32 v[4:5], s[4:5], v0, s46, v[4:5]
	v_mad_u64_u32 v[2:3], s[4:5], v0, s47, v[2:3]
.LBB211_19:
	s_waitcnt lgkmcnt(0)
	global_load_ushort v0, v4, s[26:27]
	global_load_ushort v1, v2, s[44:45]
	s_getpc_b64 s[4:5]
	s_add_u32 s4, s4, _ZZZZN2at6native33launch_standard_gamma_grad_kernelERNS_18TensorIteratorBaseEENKUlvE_clEvENKUlvE2_clEvENKUlN3c108BFloat16ES6_E_clES6_S6_@rel32@lo+4
	s_addc_u32 s5, s5, _ZZZZN2at6native33launch_standard_gamma_grad_kernelERNS_18TensorIteratorBaseEENKUlvE_clEvENKUlvE2_clEvENKUlN3c108BFloat16ES6_E_clES6_S6_@rel32@hi+12
	s_swappc_b64 s[30:31], s[4:5]
	v_add_u32_e32 v64, 0x80, v64
	global_store_short v30, v0, s[24:25]
	s_or_b64 exec, exec, s[54:55]
	v_cmp_gt_i32_e32 vcc, s58, v64
	s_and_saveexec_b64 s[54:55], vcc
	s_cbranch_execz .LBB211_3
.LBB211_20:
	s_andn2_b64 vcc, exec, s[28:29]
	s_cbranch_vccnz .LBB211_27
; %bb.21:
	s_andn2_b64 vcc, exec, s[52:53]
	v_mov_b32_e32 v2, 0
	v_mov_b32_e32 v4, 0
	;; [unrolled: 1-line block ×3, first 2 shown]
	s_cbranch_vccnz .LBB211_26
; %bb.22:
	s_add_i32 s4, s57, 1
	s_and_b32 s6, s4, 30
	s_add_u32 s4, s22, 0xffffffec
	s_addc_u32 s5, s23, -1
	v_mov_b32_e32 v30, 0
	v_mov_b32_e32 v0, v64
	;; [unrolled: 1-line block ×4, first 2 shown]
.LBB211_23:                             ; =>This Inner Loop Header: Depth=1
	s_mov_b64 s[16:17], s[4:5]
	s_load_dwordx4 s[8:11], s[16:17], 0x18
	s_load_dwordx2 s[18:19], s[16:17], 0x28
	s_load_dwordx2 s[20:21], s[16:17], 0xe8
	s_load_dwordx4 s[12:15], s[16:17], 0xd8
	s_add_u32 s4, s16, 24
	s_waitcnt lgkmcnt(0)
	v_mul_hi_u32 v1, s9, v0
	v_add_u32_e32 v1, v0, v1
	v_lshrrev_b32_e32 v1, s10, v1
	v_mul_lo_u32 v3, v1, s8
	v_mul_hi_u32 v5, s18, v1
	v_sub_u32_e32 v0, v0, v3
	v_add_u32_e32 v3, v1, v5
	v_mul_lo_u32 v5, v0, s12
	v_mul_lo_u32 v6, v0, s13
	;; [unrolled: 1-line block ×3, first 2 shown]
	v_lshrrev_b32_e32 v0, s19, v3
	v_mul_lo_u32 v3, v0, s11
	v_sub_u32_e32 v1, v1, v3
	s_addc_u32 s5, s17, 0
	s_add_i32 s6, s6, -2
	v_mul_lo_u32 v3, v1, s15
	v_mul_lo_u32 v8, v1, s20
	;; [unrolled: 1-line block ×3, first 2 shown]
	s_cmp_eq_u32 s6, 0
	v_add3_u32 v30, v5, v30, v3
	v_add3_u32 v2, v7, v2, v1
	;; [unrolled: 1-line block ×3, first 2 shown]
	s_cbranch_scc0 .LBB211_23
; %bb.24:
	s_bitcmp1_b32 s57, 0
	s_cselect_b64 s[6:7], -1, 0
	s_and_b64 vcc, exec, s[6:7]
	s_cbranch_vccnz .LBB211_26
; %bb.25:
	s_load_dwordx2 s[6:7], s[4:5], 0x18
	s_load_dword s10, s[4:5], 0x20
	s_load_dword s11, s[4:5], 0xe0
	s_load_dwordx2 s[8:9], s[4:5], 0xd8
	s_waitcnt lgkmcnt(0)
	v_mul_hi_u32 v1, s7, v0
	v_add_u32_e32 v1, v0, v1
	v_lshrrev_b32_e32 v1, s10, v1
	v_mul_lo_u32 v1, v1, s6
	v_sub_u32_e32 v0, v0, v1
	v_mad_u64_u32 v[30:31], s[4:5], v0, s8, v[30:31]
	v_mad_u64_u32 v[4:5], s[4:5], v0, s9, v[4:5]
	;; [unrolled: 1-line block ×3, first 2 shown]
.LBB211_26:
	s_cbranch_execz .LBB211_28
	s_branch .LBB211_30
.LBB211_27:
                                        ; implicit-def: $vgpr2
                                        ; implicit-def: $vgpr4
                                        ; implicit-def: $vgpr30
.LBB211_28:
	s_waitcnt lgkmcnt(0)
	v_mul_hi_u32 v0, s41, v64
	v_add_u32_e32 v0, v64, v0
	v_lshrrev_b32_e32 v0, s42, v0
	v_mul_lo_u32 v1, v0, s40
	v_sub_u32_e32 v1, v64, v1
	v_mul_lo_u32 v30, v1, s36
	v_mul_lo_u32 v2, v1, s38
	s_andn2_b64 vcc, exec, s[50:51]
	v_mul_lo_u32 v4, v1, s37
	s_cbranch_vccnz .LBB211_30
; %bb.29:
	v_mul_hi_u32 v1, s48, v0
	v_add_u32_e32 v1, v0, v1
	v_lshrrev_b32_e32 v1, s49, v1
	v_mul_lo_u32 v1, v1, s43
	v_sub_u32_e32 v0, v0, v1
	v_mad_u64_u32 v[30:31], s[4:5], v0, s39, v[30:31]
	v_mad_u64_u32 v[4:5], s[4:5], v0, s46, v[4:5]
	;; [unrolled: 1-line block ×3, first 2 shown]
.LBB211_30:
	s_waitcnt lgkmcnt(0)
	global_load_ushort v0, v4, s[26:27]
	global_load_ushort v1, v2, s[44:45]
	s_getpc_b64 s[4:5]
	s_add_u32 s4, s4, _ZZZZN2at6native33launch_standard_gamma_grad_kernelERNS_18TensorIteratorBaseEENKUlvE_clEvENKUlvE2_clEvENKUlN3c108BFloat16ES6_E_clES6_S6_@rel32@lo+4
	s_addc_u32 s5, s5, _ZZZZN2at6native33launch_standard_gamma_grad_kernelERNS_18TensorIteratorBaseEENKUlvE_clEvENKUlvE2_clEvENKUlN3c108BFloat16ES6_E_clES6_S6_@rel32@hi+12
	s_swappc_b64 s[30:31], s[4:5]
	v_add_u32_e32 v64, 0x80, v64
	global_store_short v30, v0, s[24:25]
	s_or_b64 exec, exec, s[54:55]
	v_cmp_gt_i32_e32 vcc, s58, v64
	s_and_saveexec_b64 s[54:55], vcc
	s_cbranch_execz .LBB211_4
.LBB211_31:
	s_andn2_b64 vcc, exec, s[28:29]
	s_cbranch_vccnz .LBB211_38
; %bb.32:
	s_andn2_b64 vcc, exec, s[52:53]
	v_mov_b32_e32 v2, 0
	v_mov_b32_e32 v4, 0
	;; [unrolled: 1-line block ×3, first 2 shown]
	s_cbranch_vccnz .LBB211_37
; %bb.33:
	s_add_i32 s4, s57, 1
	s_and_b32 s6, s4, 30
	s_add_u32 s4, s22, 0xffffffec
	s_addc_u32 s5, s23, -1
	v_mov_b32_e32 v30, 0
	v_mov_b32_e32 v0, v64
	;; [unrolled: 1-line block ×4, first 2 shown]
.LBB211_34:                             ; =>This Inner Loop Header: Depth=1
	s_mov_b64 s[16:17], s[4:5]
	s_load_dwordx4 s[8:11], s[16:17], 0x18
	s_load_dwordx2 s[18:19], s[16:17], 0x28
	s_load_dwordx2 s[20:21], s[16:17], 0xe8
	s_load_dwordx4 s[12:15], s[16:17], 0xd8
	s_add_u32 s4, s16, 24
	s_waitcnt lgkmcnt(0)
	v_mul_hi_u32 v1, s9, v0
	v_add_u32_e32 v1, v0, v1
	v_lshrrev_b32_e32 v1, s10, v1
	v_mul_lo_u32 v3, v1, s8
	v_mul_hi_u32 v5, s18, v1
	v_sub_u32_e32 v0, v0, v3
	v_add_u32_e32 v3, v1, v5
	v_mul_lo_u32 v5, v0, s12
	v_mul_lo_u32 v6, v0, s13
	;; [unrolled: 1-line block ×3, first 2 shown]
	v_lshrrev_b32_e32 v0, s19, v3
	v_mul_lo_u32 v3, v0, s11
	v_sub_u32_e32 v1, v1, v3
	s_addc_u32 s5, s17, 0
	s_add_i32 s6, s6, -2
	v_mul_lo_u32 v3, v1, s15
	v_mul_lo_u32 v8, v1, s20
	;; [unrolled: 1-line block ×3, first 2 shown]
	s_cmp_eq_u32 s6, 0
	v_add3_u32 v30, v5, v30, v3
	v_add3_u32 v2, v7, v2, v1
	;; [unrolled: 1-line block ×3, first 2 shown]
	s_cbranch_scc0 .LBB211_34
; %bb.35:
	s_bitcmp1_b32 s57, 0
	s_cselect_b64 s[6:7], -1, 0
	s_and_b64 vcc, exec, s[6:7]
	s_cbranch_vccnz .LBB211_37
; %bb.36:
	s_load_dwordx2 s[6:7], s[4:5], 0x18
	s_load_dword s10, s[4:5], 0x20
	s_load_dword s11, s[4:5], 0xe0
	s_load_dwordx2 s[8:9], s[4:5], 0xd8
	s_waitcnt lgkmcnt(0)
	v_mul_hi_u32 v1, s7, v0
	v_add_u32_e32 v1, v0, v1
	v_lshrrev_b32_e32 v1, s10, v1
	v_mul_lo_u32 v1, v1, s6
	v_sub_u32_e32 v0, v0, v1
	v_mad_u64_u32 v[30:31], s[4:5], v0, s8, v[30:31]
	v_mad_u64_u32 v[4:5], s[4:5], v0, s9, v[4:5]
	;; [unrolled: 1-line block ×3, first 2 shown]
.LBB211_37:
	s_cbranch_execz .LBB211_39
	s_branch .LBB211_41
.LBB211_38:
                                        ; implicit-def: $vgpr2
                                        ; implicit-def: $vgpr4
                                        ; implicit-def: $vgpr30
.LBB211_39:
	s_waitcnt lgkmcnt(0)
	v_mul_hi_u32 v0, s41, v64
	v_add_u32_e32 v0, v64, v0
	v_lshrrev_b32_e32 v0, s42, v0
	v_mul_lo_u32 v1, v0, s40
	v_sub_u32_e32 v1, v64, v1
	v_mul_lo_u32 v30, v1, s36
	v_mul_lo_u32 v2, v1, s38
	s_andn2_b64 vcc, exec, s[50:51]
	v_mul_lo_u32 v4, v1, s37
	s_cbranch_vccnz .LBB211_41
; %bb.40:
	v_mul_hi_u32 v1, s48, v0
	v_add_u32_e32 v1, v0, v1
	v_lshrrev_b32_e32 v1, s49, v1
	v_mul_lo_u32 v1, v1, s43
	v_sub_u32_e32 v0, v0, v1
	v_mad_u64_u32 v[30:31], s[4:5], v0, s39, v[30:31]
	v_mad_u64_u32 v[4:5], s[4:5], v0, s46, v[4:5]
	;; [unrolled: 1-line block ×3, first 2 shown]
.LBB211_41:
	s_waitcnt lgkmcnt(0)
	global_load_ushort v0, v4, s[26:27]
	global_load_ushort v1, v2, s[44:45]
	s_getpc_b64 s[4:5]
	s_add_u32 s4, s4, _ZZZZN2at6native33launch_standard_gamma_grad_kernelERNS_18TensorIteratorBaseEENKUlvE_clEvENKUlvE2_clEvENKUlN3c108BFloat16ES6_E_clES6_S6_@rel32@lo+4
	s_addc_u32 s5, s5, _ZZZZN2at6native33launch_standard_gamma_grad_kernelERNS_18TensorIteratorBaseEENKUlvE_clEvENKUlvE2_clEvENKUlN3c108BFloat16ES6_E_clES6_S6_@rel32@hi+12
	s_swappc_b64 s[30:31], s[4:5]
	v_add_u32_e32 v64, 0x80, v64
	global_store_short v30, v0, s[24:25]
	s_or_b64 exec, exec, s[54:55]
	v_cmp_gt_i32_e32 vcc, s58, v64
	s_and_saveexec_b64 s[54:55], vcc
	s_cbranch_execz .LBB211_5
.LBB211_42:
	s_andn2_b64 vcc, exec, s[28:29]
	s_cbranch_vccnz .LBB211_49
; %bb.43:
	s_andn2_b64 vcc, exec, s[52:53]
	v_mov_b32_e32 v2, 0
	v_mov_b32_e32 v4, 0
	;; [unrolled: 1-line block ×3, first 2 shown]
	s_cbranch_vccnz .LBB211_48
; %bb.44:
	s_add_i32 s4, s57, 1
	s_and_b32 s6, s4, 30
	s_add_u32 s4, s22, 0xffffffec
	s_addc_u32 s5, s23, -1
	v_mov_b32_e32 v30, 0
	v_mov_b32_e32 v0, v64
	;; [unrolled: 1-line block ×4, first 2 shown]
.LBB211_45:                             ; =>This Inner Loop Header: Depth=1
	s_mov_b64 s[16:17], s[4:5]
	s_load_dwordx4 s[8:11], s[16:17], 0x18
	s_load_dwordx2 s[18:19], s[16:17], 0x28
	s_load_dwordx2 s[20:21], s[16:17], 0xe8
	s_load_dwordx4 s[12:15], s[16:17], 0xd8
	s_add_u32 s4, s16, 24
	s_waitcnt lgkmcnt(0)
	v_mul_hi_u32 v1, s9, v0
	v_add_u32_e32 v1, v0, v1
	v_lshrrev_b32_e32 v1, s10, v1
	v_mul_lo_u32 v3, v1, s8
	v_mul_hi_u32 v5, s18, v1
	v_sub_u32_e32 v0, v0, v3
	v_add_u32_e32 v3, v1, v5
	v_mul_lo_u32 v5, v0, s12
	v_mul_lo_u32 v6, v0, s13
	;; [unrolled: 1-line block ×3, first 2 shown]
	v_lshrrev_b32_e32 v0, s19, v3
	v_mul_lo_u32 v3, v0, s11
	v_sub_u32_e32 v1, v1, v3
	s_addc_u32 s5, s17, 0
	s_add_i32 s6, s6, -2
	v_mul_lo_u32 v3, v1, s15
	v_mul_lo_u32 v8, v1, s20
	;; [unrolled: 1-line block ×3, first 2 shown]
	s_cmp_eq_u32 s6, 0
	v_add3_u32 v30, v5, v30, v3
	v_add3_u32 v2, v7, v2, v1
	;; [unrolled: 1-line block ×3, first 2 shown]
	s_cbranch_scc0 .LBB211_45
; %bb.46:
	s_bitcmp1_b32 s57, 0
	s_cselect_b64 s[6:7], -1, 0
	s_and_b64 vcc, exec, s[6:7]
	s_cbranch_vccnz .LBB211_48
; %bb.47:
	s_load_dwordx2 s[6:7], s[4:5], 0x18
	s_load_dword s10, s[4:5], 0x20
	s_load_dword s11, s[4:5], 0xe0
	s_load_dwordx2 s[8:9], s[4:5], 0xd8
	s_waitcnt lgkmcnt(0)
	v_mul_hi_u32 v1, s7, v0
	v_add_u32_e32 v1, v0, v1
	v_lshrrev_b32_e32 v1, s10, v1
	v_mul_lo_u32 v1, v1, s6
	v_sub_u32_e32 v0, v0, v1
	v_mad_u64_u32 v[30:31], s[4:5], v0, s8, v[30:31]
	v_mad_u64_u32 v[4:5], s[4:5], v0, s9, v[4:5]
	;; [unrolled: 1-line block ×3, first 2 shown]
.LBB211_48:
	s_cbranch_execz .LBB211_50
	s_branch .LBB211_52
.LBB211_49:
                                        ; implicit-def: $vgpr2
                                        ; implicit-def: $vgpr4
                                        ; implicit-def: $vgpr30
.LBB211_50:
	s_waitcnt lgkmcnt(0)
	v_mul_hi_u32 v0, s41, v64
	v_add_u32_e32 v0, v64, v0
	v_lshrrev_b32_e32 v0, s42, v0
	v_mul_lo_u32 v1, v0, s40
	v_sub_u32_e32 v1, v64, v1
	v_mul_lo_u32 v30, v1, s36
	v_mul_lo_u32 v2, v1, s38
	s_andn2_b64 vcc, exec, s[50:51]
	v_mul_lo_u32 v4, v1, s37
	s_cbranch_vccnz .LBB211_52
; %bb.51:
	v_mul_hi_u32 v1, s48, v0
	v_add_u32_e32 v1, v0, v1
	v_lshrrev_b32_e32 v1, s49, v1
	v_mul_lo_u32 v1, v1, s43
	v_sub_u32_e32 v0, v0, v1
	v_mad_u64_u32 v[30:31], s[4:5], v0, s39, v[30:31]
	v_mad_u64_u32 v[4:5], s[4:5], v0, s46, v[4:5]
	;; [unrolled: 1-line block ×3, first 2 shown]
.LBB211_52:
	s_waitcnt lgkmcnt(0)
	global_load_ushort v0, v4, s[26:27]
	global_load_ushort v1, v2, s[44:45]
	s_getpc_b64 s[4:5]
	s_add_u32 s4, s4, _ZZZZN2at6native33launch_standard_gamma_grad_kernelERNS_18TensorIteratorBaseEENKUlvE_clEvENKUlvE2_clEvENKUlN3c108BFloat16ES6_E_clES6_S6_@rel32@lo+4
	s_addc_u32 s5, s5, _ZZZZN2at6native33launch_standard_gamma_grad_kernelERNS_18TensorIteratorBaseEENKUlvE_clEvENKUlvE2_clEvENKUlN3c108BFloat16ES6_E_clES6_S6_@rel32@hi+12
	s_swappc_b64 s[30:31], s[4:5]
	v_add_u32_e32 v64, 0x80, v64
	global_store_short v30, v0, s[24:25]
	s_or_b64 exec, exec, s[54:55]
	v_cmp_gt_i32_e32 vcc, s58, v64
	s_and_saveexec_b64 s[54:55], vcc
	s_cbranch_execz .LBB211_6
.LBB211_53:
	s_andn2_b64 vcc, exec, s[28:29]
	s_cbranch_vccnz .LBB211_60
; %bb.54:
	s_andn2_b64 vcc, exec, s[52:53]
	v_mov_b32_e32 v2, 0
	v_mov_b32_e32 v4, 0
	;; [unrolled: 1-line block ×3, first 2 shown]
	s_cbranch_vccnz .LBB211_59
; %bb.55:
	s_add_i32 s4, s57, 1
	s_and_b32 s6, s4, 30
	s_add_u32 s4, s22, 0xffffffec
	s_addc_u32 s5, s23, -1
	v_mov_b32_e32 v30, 0
	v_mov_b32_e32 v0, v64
	v_mov_b32_e32 v4, 0
	v_mov_b32_e32 v2, 0
.LBB211_56:                             ; =>This Inner Loop Header: Depth=1
	s_mov_b64 s[16:17], s[4:5]
	s_load_dwordx4 s[8:11], s[16:17], 0x18
	s_load_dwordx2 s[18:19], s[16:17], 0x28
	s_load_dwordx2 s[20:21], s[16:17], 0xe8
	s_load_dwordx4 s[12:15], s[16:17], 0xd8
	s_add_u32 s4, s16, 24
	s_waitcnt lgkmcnt(0)
	v_mul_hi_u32 v1, s9, v0
	v_add_u32_e32 v1, v0, v1
	v_lshrrev_b32_e32 v1, s10, v1
	v_mul_lo_u32 v3, v1, s8
	v_mul_hi_u32 v5, s18, v1
	v_sub_u32_e32 v0, v0, v3
	v_add_u32_e32 v3, v1, v5
	v_mul_lo_u32 v5, v0, s12
	v_mul_lo_u32 v6, v0, s13
	v_mul_lo_u32 v7, v0, s14
	v_lshrrev_b32_e32 v0, s19, v3
	v_mul_lo_u32 v3, v0, s11
	v_sub_u32_e32 v1, v1, v3
	s_addc_u32 s5, s17, 0
	s_add_i32 s6, s6, -2
	v_mul_lo_u32 v3, v1, s15
	v_mul_lo_u32 v8, v1, s20
	;; [unrolled: 1-line block ×3, first 2 shown]
	s_cmp_eq_u32 s6, 0
	v_add3_u32 v30, v5, v30, v3
	v_add3_u32 v2, v7, v2, v1
	;; [unrolled: 1-line block ×3, first 2 shown]
	s_cbranch_scc0 .LBB211_56
; %bb.57:
	s_bitcmp1_b32 s57, 0
	s_cselect_b64 s[6:7], -1, 0
	s_and_b64 vcc, exec, s[6:7]
	s_cbranch_vccnz .LBB211_59
; %bb.58:
	s_load_dwordx2 s[6:7], s[4:5], 0x18
	s_load_dword s10, s[4:5], 0x20
	s_load_dword s11, s[4:5], 0xe0
	s_load_dwordx2 s[8:9], s[4:5], 0xd8
	s_waitcnt lgkmcnt(0)
	v_mul_hi_u32 v1, s7, v0
	v_add_u32_e32 v1, v0, v1
	v_lshrrev_b32_e32 v1, s10, v1
	v_mul_lo_u32 v1, v1, s6
	v_sub_u32_e32 v0, v0, v1
	v_mad_u64_u32 v[30:31], s[4:5], v0, s8, v[30:31]
	v_mad_u64_u32 v[4:5], s[4:5], v0, s9, v[4:5]
	;; [unrolled: 1-line block ×3, first 2 shown]
.LBB211_59:
	s_cbranch_execz .LBB211_61
	s_branch .LBB211_63
.LBB211_60:
                                        ; implicit-def: $vgpr2
                                        ; implicit-def: $vgpr4
                                        ; implicit-def: $vgpr30
.LBB211_61:
	s_waitcnt lgkmcnt(0)
	v_mul_hi_u32 v0, s41, v64
	v_add_u32_e32 v0, v64, v0
	v_lshrrev_b32_e32 v0, s42, v0
	v_mul_lo_u32 v1, v0, s40
	v_sub_u32_e32 v1, v64, v1
	v_mul_lo_u32 v30, v1, s36
	v_mul_lo_u32 v2, v1, s38
	s_andn2_b64 vcc, exec, s[50:51]
	v_mul_lo_u32 v4, v1, s37
	s_cbranch_vccnz .LBB211_63
; %bb.62:
	v_mul_hi_u32 v1, s48, v0
	v_add_u32_e32 v1, v0, v1
	v_lshrrev_b32_e32 v1, s49, v1
	v_mul_lo_u32 v1, v1, s43
	v_sub_u32_e32 v0, v0, v1
	v_mad_u64_u32 v[30:31], s[4:5], v0, s39, v[30:31]
	v_mad_u64_u32 v[4:5], s[4:5], v0, s46, v[4:5]
	;; [unrolled: 1-line block ×3, first 2 shown]
.LBB211_63:
	s_waitcnt lgkmcnt(0)
	global_load_ushort v0, v4, s[26:27]
	global_load_ushort v1, v2, s[44:45]
	s_getpc_b64 s[4:5]
	s_add_u32 s4, s4, _ZZZZN2at6native33launch_standard_gamma_grad_kernelERNS_18TensorIteratorBaseEENKUlvE_clEvENKUlvE2_clEvENKUlN3c108BFloat16ES6_E_clES6_S6_@rel32@lo+4
	s_addc_u32 s5, s5, _ZZZZN2at6native33launch_standard_gamma_grad_kernelERNS_18TensorIteratorBaseEENKUlvE_clEvENKUlvE2_clEvENKUlN3c108BFloat16ES6_E_clES6_S6_@rel32@hi+12
	s_swappc_b64 s[30:31], s[4:5]
	v_add_u32_e32 v64, 0x80, v64
	global_store_short v30, v0, s[24:25]
	s_or_b64 exec, exec, s[54:55]
	v_cmp_gt_i32_e32 vcc, s58, v64
	s_and_saveexec_b64 s[54:55], vcc
	s_cbranch_execz .LBB211_7
.LBB211_64:
	s_andn2_b64 vcc, exec, s[28:29]
	s_cbranch_vccnz .LBB211_71
; %bb.65:
	s_andn2_b64 vcc, exec, s[52:53]
	v_mov_b32_e32 v2, 0
	v_mov_b32_e32 v4, 0
	;; [unrolled: 1-line block ×3, first 2 shown]
	s_cbranch_vccnz .LBB211_70
; %bb.66:
	s_add_i32 s4, s57, 1
	s_and_b32 s6, s4, 30
	s_add_u32 s4, s22, 0xffffffec
	s_addc_u32 s5, s23, -1
	v_mov_b32_e32 v30, 0
	v_mov_b32_e32 v0, v64
	;; [unrolled: 1-line block ×4, first 2 shown]
.LBB211_67:                             ; =>This Inner Loop Header: Depth=1
	s_mov_b64 s[16:17], s[4:5]
	s_load_dwordx4 s[8:11], s[16:17], 0x18
	s_load_dwordx2 s[18:19], s[16:17], 0x28
	s_load_dwordx2 s[20:21], s[16:17], 0xe8
	s_load_dwordx4 s[12:15], s[16:17], 0xd8
	s_add_u32 s4, s16, 24
	s_waitcnt lgkmcnt(0)
	v_mul_hi_u32 v1, s9, v0
	v_add_u32_e32 v1, v0, v1
	v_lshrrev_b32_e32 v1, s10, v1
	v_mul_lo_u32 v3, v1, s8
	v_mul_hi_u32 v5, s18, v1
	v_sub_u32_e32 v0, v0, v3
	v_add_u32_e32 v3, v1, v5
	v_mul_lo_u32 v5, v0, s12
	v_mul_lo_u32 v6, v0, s13
	v_mul_lo_u32 v7, v0, s14
	v_lshrrev_b32_e32 v0, s19, v3
	v_mul_lo_u32 v3, v0, s11
	v_sub_u32_e32 v1, v1, v3
	s_addc_u32 s5, s17, 0
	s_add_i32 s6, s6, -2
	v_mul_lo_u32 v3, v1, s15
	v_mul_lo_u32 v8, v1, s20
	;; [unrolled: 1-line block ×3, first 2 shown]
	s_cmp_eq_u32 s6, 0
	v_add3_u32 v30, v5, v30, v3
	v_add3_u32 v2, v7, v2, v1
	;; [unrolled: 1-line block ×3, first 2 shown]
	s_cbranch_scc0 .LBB211_67
; %bb.68:
	s_bitcmp1_b32 s57, 0
	s_cselect_b64 s[6:7], -1, 0
	s_and_b64 vcc, exec, s[6:7]
	s_cbranch_vccnz .LBB211_70
; %bb.69:
	s_load_dwordx2 s[6:7], s[4:5], 0x18
	s_load_dword s10, s[4:5], 0x20
	s_load_dword s11, s[4:5], 0xe0
	s_load_dwordx2 s[8:9], s[4:5], 0xd8
	s_waitcnt lgkmcnt(0)
	v_mul_hi_u32 v1, s7, v0
	v_add_u32_e32 v1, v0, v1
	v_lshrrev_b32_e32 v1, s10, v1
	v_mul_lo_u32 v1, v1, s6
	v_sub_u32_e32 v0, v0, v1
	v_mad_u64_u32 v[30:31], s[4:5], v0, s8, v[30:31]
	v_mad_u64_u32 v[4:5], s[4:5], v0, s9, v[4:5]
	;; [unrolled: 1-line block ×3, first 2 shown]
.LBB211_70:
	s_cbranch_execz .LBB211_72
	s_branch .LBB211_74
.LBB211_71:
                                        ; implicit-def: $vgpr2
                                        ; implicit-def: $vgpr4
                                        ; implicit-def: $vgpr30
.LBB211_72:
	s_waitcnt lgkmcnt(0)
	v_mul_hi_u32 v0, s41, v64
	v_add_u32_e32 v0, v64, v0
	v_lshrrev_b32_e32 v0, s42, v0
	v_mul_lo_u32 v1, v0, s40
	v_sub_u32_e32 v1, v64, v1
	v_mul_lo_u32 v30, v1, s36
	v_mul_lo_u32 v2, v1, s38
	s_andn2_b64 vcc, exec, s[50:51]
	v_mul_lo_u32 v4, v1, s37
	s_cbranch_vccnz .LBB211_74
; %bb.73:
	v_mul_hi_u32 v1, s48, v0
	v_add_u32_e32 v1, v0, v1
	v_lshrrev_b32_e32 v1, s49, v1
	v_mul_lo_u32 v1, v1, s43
	v_sub_u32_e32 v0, v0, v1
	v_mad_u64_u32 v[30:31], s[4:5], v0, s39, v[30:31]
	v_mad_u64_u32 v[4:5], s[4:5], v0, s46, v[4:5]
	;; [unrolled: 1-line block ×3, first 2 shown]
.LBB211_74:
	s_waitcnt lgkmcnt(0)
	global_load_ushort v0, v4, s[26:27]
	global_load_ushort v1, v2, s[44:45]
	s_getpc_b64 s[4:5]
	s_add_u32 s4, s4, _ZZZZN2at6native33launch_standard_gamma_grad_kernelERNS_18TensorIteratorBaseEENKUlvE_clEvENKUlvE2_clEvENKUlN3c108BFloat16ES6_E_clES6_S6_@rel32@lo+4
	s_addc_u32 s5, s5, _ZZZZN2at6native33launch_standard_gamma_grad_kernelERNS_18TensorIteratorBaseEENKUlvE_clEvENKUlvE2_clEvENKUlN3c108BFloat16ES6_E_clES6_S6_@rel32@hi+12
	s_swappc_b64 s[30:31], s[4:5]
	v_add_u32_e32 v64, 0x80, v64
	global_store_short v30, v0, s[24:25]
	s_or_b64 exec, exec, s[54:55]
	v_cmp_gt_i32_e32 vcc, s58, v64
	s_and_saveexec_b64 s[54:55], vcc
	s_cbranch_execz .LBB211_8
.LBB211_75:
	s_andn2_b64 vcc, exec, s[28:29]
	s_cbranch_vccnz .LBB211_82
; %bb.76:
	s_andn2_b64 vcc, exec, s[52:53]
	v_mov_b32_e32 v2, 0
	v_mov_b32_e32 v4, 0
	;; [unrolled: 1-line block ×3, first 2 shown]
	s_cbranch_vccnz .LBB211_81
; %bb.77:
	s_add_i32 s4, s57, 1
	s_and_b32 s6, s4, 30
	s_add_u32 s4, s22, 0xffffffec
	s_addc_u32 s5, s23, -1
	v_mov_b32_e32 v30, 0
	v_mov_b32_e32 v0, v64
	;; [unrolled: 1-line block ×4, first 2 shown]
.LBB211_78:                             ; =>This Inner Loop Header: Depth=1
	s_mov_b64 s[16:17], s[4:5]
	s_load_dwordx4 s[8:11], s[16:17], 0x18
	s_load_dwordx2 s[18:19], s[16:17], 0x28
	s_load_dwordx2 s[20:21], s[16:17], 0xe8
	s_load_dwordx4 s[12:15], s[16:17], 0xd8
	s_add_u32 s4, s16, 24
	s_waitcnt lgkmcnt(0)
	v_mul_hi_u32 v1, s9, v0
	v_add_u32_e32 v1, v0, v1
	v_lshrrev_b32_e32 v1, s10, v1
	v_mul_lo_u32 v3, v1, s8
	v_mul_hi_u32 v5, s18, v1
	v_sub_u32_e32 v0, v0, v3
	v_add_u32_e32 v3, v1, v5
	v_mul_lo_u32 v5, v0, s12
	v_mul_lo_u32 v6, v0, s13
	;; [unrolled: 1-line block ×3, first 2 shown]
	v_lshrrev_b32_e32 v0, s19, v3
	v_mul_lo_u32 v3, v0, s11
	v_sub_u32_e32 v1, v1, v3
	s_addc_u32 s5, s17, 0
	s_add_i32 s6, s6, -2
	v_mul_lo_u32 v3, v1, s15
	v_mul_lo_u32 v8, v1, s20
	;; [unrolled: 1-line block ×3, first 2 shown]
	s_cmp_eq_u32 s6, 0
	v_add3_u32 v30, v5, v30, v3
	v_add3_u32 v2, v7, v2, v1
	;; [unrolled: 1-line block ×3, first 2 shown]
	s_cbranch_scc0 .LBB211_78
; %bb.79:
	s_bitcmp1_b32 s57, 0
	s_cselect_b64 s[6:7], -1, 0
	s_and_b64 vcc, exec, s[6:7]
	s_cbranch_vccnz .LBB211_81
; %bb.80:
	s_load_dwordx2 s[6:7], s[4:5], 0x18
	s_load_dword s10, s[4:5], 0x20
	s_load_dword s11, s[4:5], 0xe0
	s_load_dwordx2 s[8:9], s[4:5], 0xd8
	s_waitcnt lgkmcnt(0)
	v_mul_hi_u32 v1, s7, v0
	v_add_u32_e32 v1, v0, v1
	v_lshrrev_b32_e32 v1, s10, v1
	v_mul_lo_u32 v1, v1, s6
	v_sub_u32_e32 v0, v0, v1
	v_mad_u64_u32 v[30:31], s[4:5], v0, s8, v[30:31]
	v_mad_u64_u32 v[4:5], s[4:5], v0, s9, v[4:5]
	;; [unrolled: 1-line block ×3, first 2 shown]
.LBB211_81:
	s_cbranch_execz .LBB211_83
	s_branch .LBB211_85
.LBB211_82:
                                        ; implicit-def: $vgpr2
                                        ; implicit-def: $vgpr4
                                        ; implicit-def: $vgpr30
.LBB211_83:
	s_waitcnt lgkmcnt(0)
	v_mul_hi_u32 v0, s41, v64
	v_add_u32_e32 v0, v64, v0
	v_lshrrev_b32_e32 v0, s42, v0
	v_mul_lo_u32 v1, v0, s40
	v_sub_u32_e32 v1, v64, v1
	v_mul_lo_u32 v30, v1, s36
	v_mul_lo_u32 v2, v1, s38
	s_andn2_b64 vcc, exec, s[50:51]
	v_mul_lo_u32 v4, v1, s37
	s_cbranch_vccnz .LBB211_85
; %bb.84:
	v_mul_hi_u32 v1, s48, v0
	v_add_u32_e32 v1, v0, v1
	v_lshrrev_b32_e32 v1, s49, v1
	v_mul_lo_u32 v1, v1, s43
	v_sub_u32_e32 v0, v0, v1
	v_mad_u64_u32 v[30:31], s[4:5], v0, s39, v[30:31]
	v_mad_u64_u32 v[4:5], s[4:5], v0, s46, v[4:5]
	;; [unrolled: 1-line block ×3, first 2 shown]
.LBB211_85:
	s_waitcnt lgkmcnt(0)
	global_load_ushort v0, v4, s[26:27]
	global_load_ushort v1, v2, s[44:45]
	s_getpc_b64 s[4:5]
	s_add_u32 s4, s4, _ZZZZN2at6native33launch_standard_gamma_grad_kernelERNS_18TensorIteratorBaseEENKUlvE_clEvENKUlvE2_clEvENKUlN3c108BFloat16ES6_E_clES6_S6_@rel32@lo+4
	s_addc_u32 s5, s5, _ZZZZN2at6native33launch_standard_gamma_grad_kernelERNS_18TensorIteratorBaseEENKUlvE_clEvENKUlvE2_clEvENKUlN3c108BFloat16ES6_E_clES6_S6_@rel32@hi+12
	s_swappc_b64 s[30:31], s[4:5]
	v_add_u32_e32 v64, 0x80, v64
	global_store_short v30, v0, s[24:25]
	s_or_b64 exec, exec, s[54:55]
	v_cmp_gt_i32_e32 vcc, s58, v64
	s_and_saveexec_b64 s[54:55], vcc
	s_cbranch_execz .LBB211_97
.LBB211_86:
	s_andn2_b64 vcc, exec, s[28:29]
	s_cbranch_vccnz .LBB211_93
; %bb.87:
	s_andn2_b64 vcc, exec, s[52:53]
	v_mov_b32_e32 v2, 0
	v_mov_b32_e32 v4, 0
	;; [unrolled: 1-line block ×3, first 2 shown]
	s_cbranch_vccnz .LBB211_92
; %bb.88:
	s_add_i32 s4, s57, 1
	s_and_b32 s6, s4, 30
	s_add_u32 s4, s22, 0xffffffec
	s_addc_u32 s5, s23, -1
	v_mov_b32_e32 v30, 0
	v_mov_b32_e32 v0, v64
	;; [unrolled: 1-line block ×4, first 2 shown]
.LBB211_89:                             ; =>This Inner Loop Header: Depth=1
	s_mov_b64 s[16:17], s[4:5]
	s_load_dwordx4 s[8:11], s[16:17], 0x18
	s_load_dwordx2 s[18:19], s[16:17], 0x28
	s_load_dwordx2 s[20:21], s[16:17], 0xe8
	s_load_dwordx4 s[12:15], s[16:17], 0xd8
	s_add_u32 s4, s16, 24
	s_waitcnt lgkmcnt(0)
	v_mul_hi_u32 v1, s9, v0
	v_add_u32_e32 v1, v0, v1
	v_lshrrev_b32_e32 v1, s10, v1
	v_mul_lo_u32 v3, v1, s8
	v_mul_hi_u32 v5, s18, v1
	v_sub_u32_e32 v0, v0, v3
	v_add_u32_e32 v3, v1, v5
	v_mul_lo_u32 v5, v0, s12
	v_mul_lo_u32 v6, v0, s13
	;; [unrolled: 1-line block ×3, first 2 shown]
	v_lshrrev_b32_e32 v0, s19, v3
	v_mul_lo_u32 v3, v0, s11
	v_sub_u32_e32 v1, v1, v3
	s_addc_u32 s5, s17, 0
	s_add_i32 s6, s6, -2
	v_mul_lo_u32 v3, v1, s15
	v_mul_lo_u32 v8, v1, s20
	;; [unrolled: 1-line block ×3, first 2 shown]
	s_cmp_eq_u32 s6, 0
	v_add3_u32 v30, v5, v30, v3
	v_add3_u32 v2, v7, v2, v1
	;; [unrolled: 1-line block ×3, first 2 shown]
	s_cbranch_scc0 .LBB211_89
; %bb.90:
	s_bitcmp1_b32 s57, 0
	s_cselect_b64 s[6:7], -1, 0
	s_and_b64 vcc, exec, s[6:7]
	s_cbranch_vccnz .LBB211_92
; %bb.91:
	s_load_dwordx2 s[6:7], s[4:5], 0x18
	s_load_dword s10, s[4:5], 0x20
	s_load_dword s11, s[4:5], 0xe0
	s_load_dwordx2 s[8:9], s[4:5], 0xd8
	s_waitcnt lgkmcnt(0)
	v_mul_hi_u32 v1, s7, v0
	v_add_u32_e32 v1, v0, v1
	v_lshrrev_b32_e32 v1, s10, v1
	v_mul_lo_u32 v1, v1, s6
	v_sub_u32_e32 v0, v0, v1
	v_mad_u64_u32 v[30:31], s[4:5], v0, s8, v[30:31]
	v_mad_u64_u32 v[4:5], s[4:5], v0, s9, v[4:5]
	;; [unrolled: 1-line block ×3, first 2 shown]
.LBB211_92:
	s_cbranch_execz .LBB211_94
	s_branch .LBB211_96
.LBB211_93:
                                        ; implicit-def: $vgpr2
                                        ; implicit-def: $vgpr4
                                        ; implicit-def: $vgpr30
.LBB211_94:
	s_waitcnt lgkmcnt(0)
	v_mul_hi_u32 v0, s41, v64
	v_add_u32_e32 v0, v64, v0
	v_lshrrev_b32_e32 v0, s42, v0
	v_mul_lo_u32 v1, v0, s40
	v_sub_u32_e32 v1, v64, v1
	v_mul_lo_u32 v30, v1, s36
	v_mul_lo_u32 v2, v1, s38
	s_andn2_b64 vcc, exec, s[50:51]
	v_mul_lo_u32 v4, v1, s37
	s_cbranch_vccnz .LBB211_96
; %bb.95:
	v_mul_hi_u32 v1, s48, v0
	v_add_u32_e32 v1, v0, v1
	v_lshrrev_b32_e32 v1, s49, v1
	v_mul_lo_u32 v1, v1, s43
	v_sub_u32_e32 v0, v0, v1
	v_mad_u64_u32 v[30:31], s[4:5], v0, s39, v[30:31]
	v_mad_u64_u32 v[4:5], s[4:5], v0, s46, v[4:5]
	v_mad_u64_u32 v[2:3], s[4:5], v0, s47, v[2:3]
.LBB211_96:
	s_waitcnt lgkmcnt(0)
	global_load_ushort v0, v4, s[26:27]
	global_load_ushort v1, v2, s[44:45]
	s_getpc_b64 s[4:5]
	s_add_u32 s4, s4, _ZZZZN2at6native33launch_standard_gamma_grad_kernelERNS_18TensorIteratorBaseEENKUlvE_clEvENKUlvE2_clEvENKUlN3c108BFloat16ES6_E_clES6_S6_@rel32@lo+4
	s_addc_u32 s5, s5, _ZZZZN2at6native33launch_standard_gamma_grad_kernelERNS_18TensorIteratorBaseEENKUlvE_clEvENKUlvE2_clEvENKUlN3c108BFloat16ES6_E_clES6_S6_@rel32@hi+12
	s_swappc_b64 s[30:31], s[4:5]
	global_store_short v30, v0, s[24:25]
.LBB211_97:
	s_or_b64 exec, exec, s[54:55]
                                        ; implicit-def: $vgpr0
                                        ; implicit-def: $vgpr64
.LBB211_98:
	s_andn2_saveexec_b64 s[4:5], s[34:35]
	s_cbranch_execz .LBB211_105
; %bb.99:
	v_cndmask_b32_e64 v1, 0, 1, s[28:29]
	v_cmp_ne_u32_e64 s[4:5], 1, v1
	s_andn2_b64 vcc, exec, s[28:29]
	s_cbranch_vccnz .LBB211_106
; %bb.100:
	s_cmp_lg_u32 s33, 0
	v_mov_b32_e32 v2, 0
	v_mov_b32_e32 v4, 0
	;; [unrolled: 1-line block ×3, first 2 shown]
	s_cbranch_scc0 .LBB211_107
; %bb.101:
	s_min_u32 s8, s56, 15
	s_add_i32 s6, s8, 1
	s_and_b32 s9, s6, 30
	s_add_u32 s6, s22, 0xffffffec
	s_addc_u32 s7, s23, -1
	v_mov_b32_e32 v38, 0
	v_mov_b32_e32 v1, v64
	;; [unrolled: 1-line block ×4, first 2 shown]
.LBB211_102:                            ; =>This Inner Loop Header: Depth=1
	s_mov_b64 s[10:11], s[6:7]
	s_load_dwordx4 s[12:15], s[10:11], 0x18
	s_load_dwordx2 s[20:21], s[10:11], 0x28
	s_waitcnt lgkmcnt(0)
	s_load_dwordx2 s[24:25], s[10:11], 0xe8
	s_load_dwordx4 s[16:19], s[10:11], 0xd8
	s_add_u32 s6, s10, 24
	v_mul_hi_u32 v3, s13, v1
	v_add_u32_e32 v3, v1, v3
	v_lshrrev_b32_e32 v3, s14, v3
	v_mul_lo_u32 v5, v3, s12
	v_mul_hi_u32 v6, s20, v3
	v_sub_u32_e32 v1, v1, v5
	v_add_u32_e32 v5, v3, v6
	s_waitcnt lgkmcnt(0)
	v_mul_lo_u32 v6, v1, s16
	v_mul_lo_u32 v7, v1, s17
	;; [unrolled: 1-line block ×3, first 2 shown]
	v_lshrrev_b32_e32 v1, s21, v5
	v_mul_lo_u32 v5, v1, s15
	v_sub_u32_e32 v3, v3, v5
	s_addc_u32 s7, s11, 0
	s_add_i32 s9, s9, -2
	v_mul_lo_u32 v5, v3, s19
	v_mul_lo_u32 v9, v3, s24
	;; [unrolled: 1-line block ×3, first 2 shown]
	s_cmp_lg_u32 s9, 0
	v_add3_u32 v38, v6, v38, v5
	v_add3_u32 v2, v8, v2, v3
	;; [unrolled: 1-line block ×3, first 2 shown]
	s_cbranch_scc1 .LBB211_102
; %bb.103:
	s_bitcmp1_b32 s8, 0
	s_cselect_b64 s[8:9], -1, 0
	s_and_b64 vcc, exec, s[8:9]
	s_cbranch_vccnz .LBB211_107
; %bb.104:
	s_load_dwordx2 s[8:9], s[6:7], 0x18
	s_load_dword s12, s[6:7], 0x20
	s_load_dword s13, s[6:7], 0xe0
	s_load_dwordx2 s[10:11], s[6:7], 0xd8
	s_waitcnt lgkmcnt(0)
	v_mul_hi_u32 v3, s9, v1
	v_add_u32_e32 v3, v1, v3
	v_lshrrev_b32_e32 v3, s12, v3
	v_mul_lo_u32 v3, v3, s8
	v_sub_u32_e32 v1, v1, v3
	v_mad_u64_u32 v[38:39], s[6:7], v1, s10, v[38:39]
	v_mad_u64_u32 v[4:5], s[6:7], v1, s11, v[4:5]
	;; [unrolled: 1-line block ×3, first 2 shown]
	s_cbranch_execz .LBB211_108
	s_branch .LBB211_110
.LBB211_105:
	s_endpgm
.LBB211_106:
                                        ; implicit-def: $vgpr2
                                        ; implicit-def: $vgpr4
                                        ; implicit-def: $vgpr38
	s_branch .LBB211_108
.LBB211_107:
	s_cbranch_execnz .LBB211_110
.LBB211_108:
	s_load_dwordx4 s[8:11], s[22:23], 0x4
	s_load_dwordx4 s[12:15], s[22:23], 0xc4
	s_cmp_lt_u32 s33, 2
	s_waitcnt lgkmcnt(0)
	v_mul_hi_u32 v1, s9, v64
	v_add_u32_e32 v1, v64, v1
	v_lshrrev_b32_e32 v1, s10, v1
	v_mul_lo_u32 v2, v1, s8
	v_sub_u32_e32 v3, v64, v2
	v_mul_lo_u32 v38, v3, s12
	v_mul_lo_u32 v2, v3, s14
	;; [unrolled: 1-line block ×3, first 2 shown]
	s_cbranch_scc1 .LBB211_110
; %bb.109:
	s_load_dwordx4 s[8:11], s[22:23], 0x10
	s_load_dwordx4 s[12:15], s[22:23], 0xd0
	s_waitcnt lgkmcnt(0)
	v_mul_hi_u32 v3, s9, v1
	v_add_u32_e32 v3, v1, v3
	v_lshrrev_b32_e32 v3, s10, v3
	v_mul_lo_u32 v3, v3, s8
	v_sub_u32_e32 v1, v1, v3
	v_mad_u64_u32 v[38:39], s[6:7], v1, s12, v[38:39]
	v_mad_u64_u32 v[4:5], s[6:7], v1, s13, v[4:5]
	;; [unrolled: 1-line block ×3, first 2 shown]
.LBB211_110:
	s_and_b64 vcc, exec, s[4:5]
	v_add_u32_e32 v1, 0x80, v64
	s_cbranch_vccnz .LBB211_116
; %bb.111:
	s_cmp_lg_u32 s33, 0
	v_mov_b32_e32 v32, 0
	v_mov_b32_e32 v34, 0
	;; [unrolled: 1-line block ×3, first 2 shown]
	s_cbranch_scc0 .LBB211_117
; %bb.112:
	s_min_u32 s8, s56, 15
	s_add_i32 s6, s8, 1
	s_and_b32 s9, s6, 30
	s_add_u32 s6, s22, 0xffffffec
	s_addc_u32 s7, s23, -1
	v_mov_b32_e32 v40, 0
	v_mov_b32_e32 v3, v1
	;; [unrolled: 1-line block ×4, first 2 shown]
.LBB211_113:                            ; =>This Inner Loop Header: Depth=1
	s_mov_b64 s[10:11], s[6:7]
	s_load_dwordx4 s[12:15], s[10:11], 0x18
	s_load_dwordx2 s[20:21], s[10:11], 0x28
	s_waitcnt lgkmcnt(0)
	s_load_dwordx2 s[24:25], s[10:11], 0xe8
	s_load_dwordx4 s[16:19], s[10:11], 0xd8
	s_add_u32 s6, s10, 24
	v_mul_hi_u32 v5, s13, v3
	v_add_u32_e32 v5, v3, v5
	v_lshrrev_b32_e32 v5, s14, v5
	v_mul_lo_u32 v6, v5, s12
	v_mul_hi_u32 v7, s20, v5
	v_sub_u32_e32 v3, v3, v6
	v_add_u32_e32 v6, v5, v7
	s_waitcnt lgkmcnt(0)
	v_mul_lo_u32 v7, v3, s16
	v_mul_lo_u32 v8, v3, s17
	;; [unrolled: 1-line block ×3, first 2 shown]
	v_lshrrev_b32_e32 v3, s21, v6
	v_mul_lo_u32 v6, v3, s15
	v_sub_u32_e32 v5, v5, v6
	s_addc_u32 s7, s11, 0
	s_add_i32 s9, s9, -2
	v_mul_lo_u32 v6, v5, s19
	v_mul_lo_u32 v10, v5, s24
	;; [unrolled: 1-line block ×3, first 2 shown]
	s_cmp_lg_u32 s9, 0
	v_add3_u32 v40, v7, v40, v6
	v_add3_u32 v32, v9, v32, v5
	;; [unrolled: 1-line block ×3, first 2 shown]
	s_cbranch_scc1 .LBB211_113
; %bb.114:
	s_bitcmp1_b32 s8, 0
	s_cselect_b64 s[8:9], -1, 0
	s_and_b64 vcc, exec, s[8:9]
	s_cbranch_vccnz .LBB211_117
; %bb.115:
	s_load_dwordx2 s[8:9], s[6:7], 0x18
	s_load_dword s12, s[6:7], 0x20
	s_load_dword s13, s[6:7], 0xe0
	s_load_dwordx2 s[10:11], s[6:7], 0xd8
	s_waitcnt lgkmcnt(0)
	v_mul_hi_u32 v5, s9, v3
	v_add_u32_e32 v5, v3, v5
	v_lshrrev_b32_e32 v5, s12, v5
	v_mul_lo_u32 v5, v5, s8
	v_sub_u32_e32 v3, v3, v5
	v_mad_u64_u32 v[40:41], s[6:7], v3, s10, v[40:41]
	v_mad_u64_u32 v[34:35], s[6:7], v3, s11, v[34:35]
	;; [unrolled: 1-line block ×3, first 2 shown]
	s_cbranch_execz .LBB211_118
	s_branch .LBB211_120
.LBB211_116:
                                        ; implicit-def: $vgpr32
                                        ; implicit-def: $vgpr34
                                        ; implicit-def: $vgpr40
	s_branch .LBB211_118
.LBB211_117:
	s_cbranch_execnz .LBB211_120
.LBB211_118:
	s_load_dwordx4 s[8:11], s[22:23], 0x4
	s_load_dwordx4 s[12:15], s[22:23], 0xc4
	s_cmp_lt_u32 s33, 2
	s_waitcnt lgkmcnt(0)
	v_mul_hi_u32 v3, s9, v1
	v_add_u32_e32 v3, v1, v3
	v_lshrrev_b32_e32 v3, s10, v3
	v_mul_lo_u32 v5, v3, s8
	v_sub_u32_e32 v1, v1, v5
	v_mul_lo_u32 v40, v1, s12
	v_mul_lo_u32 v32, v1, s14
	;; [unrolled: 1-line block ×3, first 2 shown]
	s_cbranch_scc1 .LBB211_120
; %bb.119:
	s_load_dwordx4 s[8:11], s[22:23], 0x10
	s_load_dwordx4 s[12:15], s[22:23], 0xd0
	s_waitcnt lgkmcnt(0)
	v_mul_hi_u32 v1, s9, v3
	v_add_u32_e32 v1, v3, v1
	v_lshrrev_b32_e32 v1, s10, v1
	v_mul_lo_u32 v1, v1, s8
	v_sub_u32_e32 v1, v3, v1
	v_mad_u64_u32 v[40:41], s[6:7], v1, s12, v[40:41]
	v_mad_u64_u32 v[34:35], s[6:7], v1, s13, v[34:35]
	;; [unrolled: 1-line block ×3, first 2 shown]
.LBB211_120:
	s_and_b64 vcc, exec, s[4:5]
	v_add_u32_e32 v1, 0x100, v64
	s_cbranch_vccnz .LBB211_126
; %bb.121:
	s_cmp_lg_u32 s33, 0
	v_mov_b32_e32 v36, 0
	v_mov_b32_e32 v44, 0
	;; [unrolled: 1-line block ×3, first 2 shown]
	s_cbranch_scc0 .LBB211_127
; %bb.122:
	s_min_u32 s8, s56, 15
	s_add_i32 s6, s8, 1
	s_and_b32 s9, s6, 30
	s_add_u32 s6, s22, 0xffffffec
	s_addc_u32 s7, s23, -1
	v_mov_b32_e32 v42, 0
	v_mov_b32_e32 v3, v1
	;; [unrolled: 1-line block ×4, first 2 shown]
.LBB211_123:                            ; =>This Inner Loop Header: Depth=1
	s_mov_b64 s[10:11], s[6:7]
	s_load_dwordx4 s[12:15], s[10:11], 0x18
	s_load_dwordx2 s[20:21], s[10:11], 0x28
	s_waitcnt lgkmcnt(0)
	s_load_dwordx2 s[24:25], s[10:11], 0xe8
	s_load_dwordx4 s[16:19], s[10:11], 0xd8
	s_add_u32 s6, s10, 24
	v_mul_hi_u32 v5, s13, v3
	v_add_u32_e32 v5, v3, v5
	v_lshrrev_b32_e32 v5, s14, v5
	v_mul_lo_u32 v6, v5, s12
	v_mul_hi_u32 v7, s20, v5
	v_sub_u32_e32 v3, v3, v6
	v_add_u32_e32 v6, v5, v7
	s_waitcnt lgkmcnt(0)
	v_mul_lo_u32 v7, v3, s16
	v_mul_lo_u32 v8, v3, s17
	;; [unrolled: 1-line block ×3, first 2 shown]
	v_lshrrev_b32_e32 v3, s21, v6
	v_mul_lo_u32 v6, v3, s15
	v_sub_u32_e32 v5, v5, v6
	s_addc_u32 s7, s11, 0
	s_add_i32 s9, s9, -2
	v_mul_lo_u32 v6, v5, s19
	v_mul_lo_u32 v10, v5, s24
	;; [unrolled: 1-line block ×3, first 2 shown]
	s_cmp_lg_u32 s9, 0
	v_add3_u32 v42, v7, v42, v6
	v_add3_u32 v36, v9, v36, v5
	;; [unrolled: 1-line block ×3, first 2 shown]
	s_cbranch_scc1 .LBB211_123
; %bb.124:
	s_bitcmp1_b32 s8, 0
	s_cselect_b64 s[8:9], -1, 0
	s_and_b64 vcc, exec, s[8:9]
	s_cbranch_vccnz .LBB211_127
; %bb.125:
	s_load_dwordx2 s[8:9], s[6:7], 0x18
	s_load_dword s12, s[6:7], 0x20
	s_load_dword s13, s[6:7], 0xe0
	s_load_dwordx2 s[10:11], s[6:7], 0xd8
	s_waitcnt lgkmcnt(0)
	v_mul_hi_u32 v5, s9, v3
	v_add_u32_e32 v5, v3, v5
	v_lshrrev_b32_e32 v5, s12, v5
	v_mul_lo_u32 v5, v5, s8
	v_sub_u32_e32 v3, v3, v5
	v_mad_u64_u32 v[42:43], s[6:7], v3, s10, v[42:43]
	v_mad_u64_u32 v[44:45], s[6:7], v3, s11, v[44:45]
	;; [unrolled: 1-line block ×3, first 2 shown]
	s_cbranch_execz .LBB211_128
	s_branch .LBB211_130
.LBB211_126:
                                        ; implicit-def: $vgpr36
                                        ; implicit-def: $vgpr44
                                        ; implicit-def: $vgpr42
	s_branch .LBB211_128
.LBB211_127:
	s_cbranch_execnz .LBB211_130
.LBB211_128:
	s_load_dwordx4 s[8:11], s[22:23], 0x4
	s_load_dwordx4 s[12:15], s[22:23], 0xc4
	s_cmp_lt_u32 s33, 2
	s_waitcnt lgkmcnt(0)
	v_mul_hi_u32 v3, s9, v1
	v_add_u32_e32 v3, v1, v3
	v_lshrrev_b32_e32 v3, s10, v3
	v_mul_lo_u32 v5, v3, s8
	v_sub_u32_e32 v1, v1, v5
	v_mul_lo_u32 v42, v1, s12
	v_mul_lo_u32 v36, v1, s14
	;; [unrolled: 1-line block ×3, first 2 shown]
	s_cbranch_scc1 .LBB211_130
; %bb.129:
	s_load_dwordx4 s[8:11], s[22:23], 0x10
	s_load_dwordx4 s[12:15], s[22:23], 0xd0
	s_waitcnt lgkmcnt(0)
	v_mul_hi_u32 v1, s9, v3
	v_add_u32_e32 v1, v3, v1
	v_lshrrev_b32_e32 v1, s10, v1
	v_mul_lo_u32 v1, v1, s8
	v_sub_u32_e32 v1, v3, v1
	v_mad_u64_u32 v[42:43], s[6:7], v1, s12, v[42:43]
	v_mad_u64_u32 v[44:45], s[6:7], v1, s13, v[44:45]
	;; [unrolled: 1-line block ×3, first 2 shown]
.LBB211_130:
	s_and_b64 vcc, exec, s[4:5]
	v_add_u32_e32 v1, 0x180, v64
	s_cbranch_vccnz .LBB211_136
; %bb.131:
	s_cmp_lg_u32 s33, 0
	v_mov_b32_e32 v48, 0
	v_mov_b32_e32 v50, 0
	;; [unrolled: 1-line block ×3, first 2 shown]
	s_cbranch_scc0 .LBB211_137
; %bb.132:
	s_min_u32 s8, s56, 15
	s_add_i32 s6, s8, 1
	s_and_b32 s9, s6, 30
	s_add_u32 s6, s22, 0xffffffec
	s_addc_u32 s7, s23, -1
	v_mov_b32_e32 v46, 0
	v_mov_b32_e32 v3, v1
	;; [unrolled: 1-line block ×4, first 2 shown]
.LBB211_133:                            ; =>This Inner Loop Header: Depth=1
	s_mov_b64 s[10:11], s[6:7]
	s_load_dwordx4 s[12:15], s[10:11], 0x18
	s_load_dwordx2 s[20:21], s[10:11], 0x28
	s_waitcnt lgkmcnt(0)
	s_load_dwordx2 s[24:25], s[10:11], 0xe8
	s_load_dwordx4 s[16:19], s[10:11], 0xd8
	s_add_u32 s6, s10, 24
	v_mul_hi_u32 v5, s13, v3
	v_add_u32_e32 v5, v3, v5
	v_lshrrev_b32_e32 v5, s14, v5
	v_mul_lo_u32 v6, v5, s12
	v_mul_hi_u32 v7, s20, v5
	v_sub_u32_e32 v3, v3, v6
	v_add_u32_e32 v6, v5, v7
	s_waitcnt lgkmcnt(0)
	v_mul_lo_u32 v7, v3, s16
	v_mul_lo_u32 v8, v3, s17
	;; [unrolled: 1-line block ×3, first 2 shown]
	v_lshrrev_b32_e32 v3, s21, v6
	v_mul_lo_u32 v6, v3, s15
	v_sub_u32_e32 v5, v5, v6
	s_addc_u32 s7, s11, 0
	s_add_i32 s9, s9, -2
	v_mul_lo_u32 v6, v5, s19
	v_mul_lo_u32 v10, v5, s24
	;; [unrolled: 1-line block ×3, first 2 shown]
	s_cmp_lg_u32 s9, 0
	v_add3_u32 v46, v7, v46, v6
	v_add3_u32 v48, v9, v48, v5
	;; [unrolled: 1-line block ×3, first 2 shown]
	s_cbranch_scc1 .LBB211_133
; %bb.134:
	s_bitcmp1_b32 s8, 0
	s_cselect_b64 s[8:9], -1, 0
	s_and_b64 vcc, exec, s[8:9]
	s_cbranch_vccnz .LBB211_137
; %bb.135:
	s_load_dwordx2 s[8:9], s[6:7], 0x18
	s_load_dword s12, s[6:7], 0x20
	s_load_dword s13, s[6:7], 0xe0
	s_load_dwordx2 s[10:11], s[6:7], 0xd8
	s_waitcnt lgkmcnt(0)
	v_mul_hi_u32 v5, s9, v3
	v_add_u32_e32 v5, v3, v5
	v_lshrrev_b32_e32 v5, s12, v5
	v_mul_lo_u32 v5, v5, s8
	v_sub_u32_e32 v3, v3, v5
	v_mad_u64_u32 v[46:47], s[6:7], v3, s10, v[46:47]
	v_mad_u64_u32 v[50:51], s[6:7], v3, s11, v[50:51]
	;; [unrolled: 1-line block ×3, first 2 shown]
	s_cbranch_execz .LBB211_138
	s_branch .LBB211_140
.LBB211_136:
                                        ; implicit-def: $vgpr48
                                        ; implicit-def: $vgpr50
                                        ; implicit-def: $vgpr46
	s_branch .LBB211_138
.LBB211_137:
	s_cbranch_execnz .LBB211_140
.LBB211_138:
	s_load_dwordx4 s[8:11], s[22:23], 0x4
	s_load_dwordx4 s[12:15], s[22:23], 0xc4
	s_cmp_lt_u32 s33, 2
	s_waitcnt lgkmcnt(0)
	v_mul_hi_u32 v3, s9, v1
	v_add_u32_e32 v3, v1, v3
	v_lshrrev_b32_e32 v3, s10, v3
	v_mul_lo_u32 v5, v3, s8
	v_sub_u32_e32 v1, v1, v5
	v_mul_lo_u32 v46, v1, s12
	v_mul_lo_u32 v48, v1, s14
	;; [unrolled: 1-line block ×3, first 2 shown]
	s_cbranch_scc1 .LBB211_140
; %bb.139:
	s_load_dwordx4 s[8:11], s[22:23], 0x10
	s_load_dwordx4 s[12:15], s[22:23], 0xd0
	s_waitcnt lgkmcnt(0)
	v_mul_hi_u32 v1, s9, v3
	v_add_u32_e32 v1, v3, v1
	v_lshrrev_b32_e32 v1, s10, v1
	v_mul_lo_u32 v1, v1, s8
	v_sub_u32_e32 v1, v3, v1
	v_mad_u64_u32 v[46:47], s[6:7], v1, s12, v[46:47]
	v_mad_u64_u32 v[50:51], s[6:7], v1, s13, v[50:51]
	;; [unrolled: 1-line block ×3, first 2 shown]
.LBB211_140:
	s_and_b64 vcc, exec, s[4:5]
	v_add_u32_e32 v1, 0x200, v64
	s_cbranch_vccnz .LBB211_146
; %bb.141:
	s_cmp_lg_u32 s33, 0
	v_mov_b32_e32 v54, 0
	v_mov_b32_e32 v56, 0
	;; [unrolled: 1-line block ×3, first 2 shown]
	s_cbranch_scc0 .LBB211_147
; %bb.142:
	s_min_u32 s8, s56, 15
	s_add_i32 s6, s8, 1
	s_and_b32 s9, s6, 30
	s_add_u32 s6, s22, 0xffffffec
	s_addc_u32 s7, s23, -1
	v_mov_b32_e32 v52, 0
	v_mov_b32_e32 v3, v1
	;; [unrolled: 1-line block ×4, first 2 shown]
.LBB211_143:                            ; =>This Inner Loop Header: Depth=1
	s_mov_b64 s[10:11], s[6:7]
	s_load_dwordx4 s[12:15], s[10:11], 0x18
	s_load_dwordx2 s[20:21], s[10:11], 0x28
	s_waitcnt lgkmcnt(0)
	s_load_dwordx2 s[24:25], s[10:11], 0xe8
	s_load_dwordx4 s[16:19], s[10:11], 0xd8
	s_add_u32 s6, s10, 24
	v_mul_hi_u32 v5, s13, v3
	v_add_u32_e32 v5, v3, v5
	v_lshrrev_b32_e32 v5, s14, v5
	v_mul_lo_u32 v6, v5, s12
	v_mul_hi_u32 v7, s20, v5
	v_sub_u32_e32 v3, v3, v6
	v_add_u32_e32 v6, v5, v7
	s_waitcnt lgkmcnt(0)
	v_mul_lo_u32 v7, v3, s16
	v_mul_lo_u32 v8, v3, s17
	;; [unrolled: 1-line block ×3, first 2 shown]
	v_lshrrev_b32_e32 v3, s21, v6
	v_mul_lo_u32 v6, v3, s15
	v_sub_u32_e32 v5, v5, v6
	s_addc_u32 s7, s11, 0
	s_add_i32 s9, s9, -2
	v_mul_lo_u32 v6, v5, s19
	v_mul_lo_u32 v10, v5, s24
	v_mul_lo_u32 v5, v5, s25
	s_cmp_lg_u32 s9, 0
	v_add3_u32 v52, v7, v52, v6
	v_add3_u32 v54, v9, v54, v5
	;; [unrolled: 1-line block ×3, first 2 shown]
	s_cbranch_scc1 .LBB211_143
; %bb.144:
	s_bitcmp1_b32 s8, 0
	s_cselect_b64 s[8:9], -1, 0
	s_and_b64 vcc, exec, s[8:9]
	s_cbranch_vccnz .LBB211_147
; %bb.145:
	s_load_dwordx2 s[8:9], s[6:7], 0x18
	s_load_dword s12, s[6:7], 0x20
	s_load_dword s13, s[6:7], 0xe0
	s_load_dwordx2 s[10:11], s[6:7], 0xd8
	s_waitcnt lgkmcnt(0)
	v_mul_hi_u32 v5, s9, v3
	v_add_u32_e32 v5, v3, v5
	v_lshrrev_b32_e32 v5, s12, v5
	v_mul_lo_u32 v5, v5, s8
	v_sub_u32_e32 v3, v3, v5
	v_mad_u64_u32 v[52:53], s[6:7], v3, s10, v[52:53]
	v_mad_u64_u32 v[56:57], s[6:7], v3, s11, v[56:57]
	;; [unrolled: 1-line block ×3, first 2 shown]
	s_cbranch_execz .LBB211_148
	s_branch .LBB211_150
.LBB211_146:
                                        ; implicit-def: $vgpr54
                                        ; implicit-def: $vgpr56
                                        ; implicit-def: $vgpr52
	s_branch .LBB211_148
.LBB211_147:
	s_cbranch_execnz .LBB211_150
.LBB211_148:
	s_load_dwordx4 s[8:11], s[22:23], 0x4
	s_load_dwordx4 s[12:15], s[22:23], 0xc4
	s_cmp_lt_u32 s33, 2
	s_waitcnt lgkmcnt(0)
	v_mul_hi_u32 v3, s9, v1
	v_add_u32_e32 v3, v1, v3
	v_lshrrev_b32_e32 v3, s10, v3
	v_mul_lo_u32 v5, v3, s8
	v_sub_u32_e32 v1, v1, v5
	v_mul_lo_u32 v52, v1, s12
	v_mul_lo_u32 v54, v1, s14
	;; [unrolled: 1-line block ×3, first 2 shown]
	s_cbranch_scc1 .LBB211_150
; %bb.149:
	s_load_dwordx4 s[8:11], s[22:23], 0x10
	s_load_dwordx4 s[12:15], s[22:23], 0xd0
	s_waitcnt lgkmcnt(0)
	v_mul_hi_u32 v1, s9, v3
	v_add_u32_e32 v1, v3, v1
	v_lshrrev_b32_e32 v1, s10, v1
	v_mul_lo_u32 v1, v1, s8
	v_sub_u32_e32 v1, v3, v1
	v_mad_u64_u32 v[52:53], s[6:7], v1, s12, v[52:53]
	v_mad_u64_u32 v[56:57], s[6:7], v1, s13, v[56:57]
	;; [unrolled: 1-line block ×3, first 2 shown]
.LBB211_150:
	s_and_b64 vcc, exec, s[4:5]
	v_add_u32_e32 v1, 0x280, v64
	s_cbranch_vccnz .LBB211_156
; %bb.151:
	s_cmp_lg_u32 s33, 0
	v_mov_b32_e32 v60, 0
	v_mov_b32_e32 v62, 0
	;; [unrolled: 1-line block ×3, first 2 shown]
	s_cbranch_scc0 .LBB211_157
; %bb.152:
	s_min_u32 s8, s56, 15
	s_add_i32 s6, s8, 1
	s_and_b32 s9, s6, 30
	s_add_u32 s6, s22, 0xffffffec
	s_addc_u32 s7, s23, -1
	v_mov_b32_e32 v58, 0
	v_mov_b32_e32 v3, v1
	;; [unrolled: 1-line block ×4, first 2 shown]
.LBB211_153:                            ; =>This Inner Loop Header: Depth=1
	s_mov_b64 s[10:11], s[6:7]
	s_load_dwordx4 s[12:15], s[10:11], 0x18
	s_load_dwordx2 s[20:21], s[10:11], 0x28
	s_waitcnt lgkmcnt(0)
	s_load_dwordx2 s[24:25], s[10:11], 0xe8
	s_load_dwordx4 s[16:19], s[10:11], 0xd8
	s_add_u32 s6, s10, 24
	v_mul_hi_u32 v5, s13, v3
	v_add_u32_e32 v5, v3, v5
	v_lshrrev_b32_e32 v5, s14, v5
	v_mul_lo_u32 v6, v5, s12
	v_mul_hi_u32 v7, s20, v5
	v_sub_u32_e32 v3, v3, v6
	v_add_u32_e32 v6, v5, v7
	s_waitcnt lgkmcnt(0)
	v_mul_lo_u32 v7, v3, s16
	v_mul_lo_u32 v8, v3, s17
	;; [unrolled: 1-line block ×3, first 2 shown]
	v_lshrrev_b32_e32 v3, s21, v6
	v_mul_lo_u32 v6, v3, s15
	v_sub_u32_e32 v5, v5, v6
	s_addc_u32 s7, s11, 0
	s_add_i32 s9, s9, -2
	v_mul_lo_u32 v6, v5, s19
	v_mul_lo_u32 v10, v5, s24
	;; [unrolled: 1-line block ×3, first 2 shown]
	s_cmp_lg_u32 s9, 0
	v_add3_u32 v58, v7, v58, v6
	v_add3_u32 v60, v9, v60, v5
	;; [unrolled: 1-line block ×3, first 2 shown]
	s_cbranch_scc1 .LBB211_153
; %bb.154:
	s_bitcmp1_b32 s8, 0
	s_cselect_b64 s[8:9], -1, 0
	s_and_b64 vcc, exec, s[8:9]
	s_cbranch_vccnz .LBB211_157
; %bb.155:
	s_load_dwordx2 s[8:9], s[6:7], 0x18
	s_load_dword s12, s[6:7], 0x20
	s_load_dword s13, s[6:7], 0xe0
	s_load_dwordx2 s[10:11], s[6:7], 0xd8
	s_waitcnt lgkmcnt(0)
	v_mul_hi_u32 v5, s9, v3
	v_add_u32_e32 v5, v3, v5
	v_lshrrev_b32_e32 v5, s12, v5
	v_mul_lo_u32 v5, v5, s8
	v_sub_u32_e32 v3, v3, v5
	v_mad_u64_u32 v[58:59], s[6:7], v3, s10, v[58:59]
	v_mad_u64_u32 v[62:63], s[6:7], v3, s11, v[62:63]
	;; [unrolled: 1-line block ×3, first 2 shown]
	s_cbranch_execz .LBB211_158
	s_branch .LBB211_160
.LBB211_156:
                                        ; implicit-def: $vgpr60
                                        ; implicit-def: $vgpr62
                                        ; implicit-def: $vgpr58
	s_branch .LBB211_158
.LBB211_157:
	s_cbranch_execnz .LBB211_160
.LBB211_158:
	s_load_dwordx4 s[8:11], s[22:23], 0x4
	s_load_dwordx4 s[12:15], s[22:23], 0xc4
	s_cmp_lt_u32 s33, 2
	s_waitcnt lgkmcnt(0)
	v_mul_hi_u32 v3, s9, v1
	v_add_u32_e32 v3, v1, v3
	v_lshrrev_b32_e32 v3, s10, v3
	v_mul_lo_u32 v5, v3, s8
	v_sub_u32_e32 v1, v1, v5
	v_mul_lo_u32 v58, v1, s12
	v_mul_lo_u32 v60, v1, s14
	;; [unrolled: 1-line block ×3, first 2 shown]
	s_cbranch_scc1 .LBB211_160
; %bb.159:
	s_load_dwordx4 s[8:11], s[22:23], 0x10
	s_load_dwordx4 s[12:15], s[22:23], 0xd0
	s_waitcnt lgkmcnt(0)
	v_mul_hi_u32 v1, s9, v3
	v_add_u32_e32 v1, v3, v1
	v_lshrrev_b32_e32 v1, s10, v1
	v_mul_lo_u32 v1, v1, s8
	v_sub_u32_e32 v1, v3, v1
	v_mad_u64_u32 v[58:59], s[6:7], v1, s12, v[58:59]
	v_mad_u64_u32 v[62:63], s[6:7], v1, s13, v[62:63]
	;; [unrolled: 1-line block ×3, first 2 shown]
.LBB211_160:
	s_and_b64 vcc, exec, s[4:5]
	v_add_u32_e32 v1, 0x300, v64
	s_cbranch_vccnz .LBB211_166
; %bb.161:
	s_cmp_lg_u32 s33, 0
	v_mov_b32_e32 v66, 0
	v_mov_b32_e32 v68, 0
	;; [unrolled: 1-line block ×3, first 2 shown]
	s_cbranch_scc0 .LBB211_167
; %bb.162:
	s_min_u32 s8, s56, 15
	s_add_i32 s6, s8, 1
	s_and_b32 s9, s6, 30
	s_add_u32 s6, s22, 0xffffffec
	s_addc_u32 s7, s23, -1
	v_mov_b32_e32 v64, 0
	v_mov_b32_e32 v3, v1
	v_mov_b32_e32 v68, 0
	v_mov_b32_e32 v66, 0
.LBB211_163:                            ; =>This Inner Loop Header: Depth=1
	s_mov_b64 s[10:11], s[6:7]
	s_load_dwordx4 s[12:15], s[10:11], 0x18
	s_load_dwordx2 s[20:21], s[10:11], 0x28
	s_waitcnt lgkmcnt(0)
	s_load_dwordx2 s[24:25], s[10:11], 0xe8
	s_load_dwordx4 s[16:19], s[10:11], 0xd8
	s_add_u32 s6, s10, 24
	v_mul_hi_u32 v5, s13, v3
	v_add_u32_e32 v5, v3, v5
	v_lshrrev_b32_e32 v5, s14, v5
	v_mul_lo_u32 v6, v5, s12
	v_mul_hi_u32 v7, s20, v5
	v_sub_u32_e32 v3, v3, v6
	v_add_u32_e32 v6, v5, v7
	s_waitcnt lgkmcnt(0)
	v_mul_lo_u32 v7, v3, s16
	v_mul_lo_u32 v8, v3, s17
	;; [unrolled: 1-line block ×3, first 2 shown]
	v_lshrrev_b32_e32 v3, s21, v6
	v_mul_lo_u32 v6, v3, s15
	v_sub_u32_e32 v5, v5, v6
	s_addc_u32 s7, s11, 0
	s_add_i32 s9, s9, -2
	v_mul_lo_u32 v6, v5, s19
	v_mul_lo_u32 v10, v5, s24
	;; [unrolled: 1-line block ×3, first 2 shown]
	s_cmp_lg_u32 s9, 0
	v_add3_u32 v64, v7, v64, v6
	v_add3_u32 v66, v9, v66, v5
	;; [unrolled: 1-line block ×3, first 2 shown]
	s_cbranch_scc1 .LBB211_163
; %bb.164:
	s_bitcmp1_b32 s8, 0
	s_cselect_b64 s[8:9], -1, 0
	s_and_b64 vcc, exec, s[8:9]
	s_cbranch_vccnz .LBB211_167
; %bb.165:
	s_load_dwordx2 s[8:9], s[6:7], 0x18
	s_load_dword s12, s[6:7], 0x20
	s_load_dword s13, s[6:7], 0xe0
	s_load_dwordx2 s[10:11], s[6:7], 0xd8
	s_waitcnt lgkmcnt(0)
	v_mul_hi_u32 v5, s9, v3
	v_add_u32_e32 v5, v3, v5
	v_lshrrev_b32_e32 v5, s12, v5
	v_mul_lo_u32 v5, v5, s8
	v_sub_u32_e32 v3, v3, v5
	v_mad_u64_u32 v[64:65], s[6:7], v3, s10, v[64:65]
	v_mad_u64_u32 v[68:69], s[6:7], v3, s11, v[68:69]
	;; [unrolled: 1-line block ×3, first 2 shown]
	s_cbranch_execz .LBB211_168
	s_branch .LBB211_170
.LBB211_166:
                                        ; implicit-def: $vgpr66
                                        ; implicit-def: $vgpr68
                                        ; implicit-def: $vgpr64
	s_branch .LBB211_168
.LBB211_167:
	s_cbranch_execnz .LBB211_170
.LBB211_168:
	s_load_dwordx4 s[8:11], s[22:23], 0x4
	s_load_dwordx4 s[12:15], s[22:23], 0xc4
	s_cmp_lt_u32 s33, 2
	s_waitcnt lgkmcnt(0)
	v_mul_hi_u32 v3, s9, v1
	v_add_u32_e32 v3, v1, v3
	v_lshrrev_b32_e32 v3, s10, v3
	v_mul_lo_u32 v5, v3, s8
	v_sub_u32_e32 v1, v1, v5
	v_mul_lo_u32 v64, v1, s12
	v_mul_lo_u32 v66, v1, s14
	;; [unrolled: 1-line block ×3, first 2 shown]
	s_cbranch_scc1 .LBB211_170
; %bb.169:
	s_load_dwordx4 s[8:11], s[22:23], 0x10
	s_load_dwordx4 s[12:15], s[22:23], 0xd0
	s_waitcnt lgkmcnt(0)
	v_mul_hi_u32 v1, s9, v3
	v_add_u32_e32 v1, v3, v1
	v_lshrrev_b32_e32 v1, s10, v1
	v_mul_lo_u32 v1, v1, s8
	v_sub_u32_e32 v1, v3, v1
	v_mad_u64_u32 v[64:65], s[6:7], v1, s12, v[64:65]
	v_mad_u64_u32 v[68:69], s[6:7], v1, s13, v[68:69]
	v_mad_u64_u32 v[66:67], s[6:7], v1, s14, v[66:67]
.LBB211_170:
	s_and_b64 vcc, exec, s[4:5]
	s_cbranch_vccnz .LBB211_176
; %bb.171:
	s_cmp_lg_u32 s33, 0
	v_mov_b32_e32 v72, 0
	v_mov_b32_e32 v74, 0
	;; [unrolled: 1-line block ×3, first 2 shown]
	s_cbranch_scc0 .LBB211_177
; %bb.172:
	s_min_u32 s6, s56, 15
	s_add_i32 s4, s6, 1
	s_and_b32 s7, s4, 30
	s_add_u32 s4, s22, 0xffffffec
	s_addc_u32 s5, s23, -1
	v_mov_b32_e32 v70, 0
	v_mov_b32_e32 v1, v0
	;; [unrolled: 1-line block ×4, first 2 shown]
.LBB211_173:                            ; =>This Inner Loop Header: Depth=1
	s_mov_b64 s[16:17], s[4:5]
	s_load_dwordx4 s[8:11], s[16:17], 0x18
	s_load_dwordx2 s[18:19], s[16:17], 0x28
	s_load_dwordx2 s[20:21], s[16:17], 0xe8
	s_load_dwordx4 s[12:15], s[16:17], 0xd8
	s_add_u32 s4, s16, 24
	s_waitcnt lgkmcnt(0)
	v_mul_hi_u32 v3, s9, v1
	v_add_u32_e32 v3, v1, v3
	v_lshrrev_b32_e32 v3, s10, v3
	v_mul_lo_u32 v5, v3, s8
	v_mul_hi_u32 v6, s18, v3
	v_sub_u32_e32 v1, v1, v5
	v_add_u32_e32 v5, v3, v6
	v_mul_lo_u32 v6, v1, s12
	v_mul_lo_u32 v7, v1, s13
	;; [unrolled: 1-line block ×3, first 2 shown]
	v_lshrrev_b32_e32 v1, s19, v5
	v_mul_lo_u32 v5, v1, s11
	v_sub_u32_e32 v3, v3, v5
	s_addc_u32 s5, s17, 0
	s_add_i32 s7, s7, -2
	v_mul_lo_u32 v5, v3, s15
	v_mul_lo_u32 v9, v3, s20
	;; [unrolled: 1-line block ×3, first 2 shown]
	s_cmp_lg_u32 s7, 0
	v_add3_u32 v70, v6, v70, v5
	v_add3_u32 v72, v8, v72, v3
	;; [unrolled: 1-line block ×3, first 2 shown]
	s_cbranch_scc1 .LBB211_173
; %bb.174:
	s_bitcmp1_b32 s6, 0
	s_cselect_b64 s[6:7], -1, 0
	s_and_b64 vcc, exec, s[6:7]
	s_cbranch_vccnz .LBB211_177
; %bb.175:
	s_load_dwordx2 s[6:7], s[4:5], 0x18
	s_load_dword s10, s[4:5], 0x20
	s_load_dword s11, s[4:5], 0xe0
	s_load_dwordx2 s[8:9], s[4:5], 0xd8
	s_waitcnt lgkmcnt(0)
	v_mul_hi_u32 v3, s7, v1
	v_add_u32_e32 v3, v1, v3
	v_lshrrev_b32_e32 v3, s10, v3
	v_mul_lo_u32 v3, v3, s6
	v_sub_u32_e32 v1, v1, v3
	v_mad_u64_u32 v[70:71], s[4:5], v1, s8, v[70:71]
	v_mad_u64_u32 v[74:75], s[4:5], v1, s9, v[74:75]
	;; [unrolled: 1-line block ×3, first 2 shown]
	s_cbranch_execz .LBB211_178
	s_branch .LBB211_180
.LBB211_176:
                                        ; implicit-def: $vgpr72
                                        ; implicit-def: $vgpr74
                                        ; implicit-def: $vgpr70
	s_branch .LBB211_178
.LBB211_177:
	s_cbranch_execnz .LBB211_180
.LBB211_178:
	s_load_dwordx4 s[4:7], s[22:23], 0x4
	s_load_dwordx4 s[8:11], s[22:23], 0xc4
	s_cmp_lt_u32 s33, 2
	s_waitcnt lgkmcnt(0)
	v_mul_hi_u32 v1, s5, v0
	v_add_u32_e32 v1, v0, v1
	v_lshrrev_b32_e32 v1, s6, v1
	v_mul_lo_u32 v3, v1, s4
	v_sub_u32_e32 v0, v0, v3
	v_mul_lo_u32 v70, v0, s8
	v_mul_lo_u32 v72, v0, s10
	;; [unrolled: 1-line block ×3, first 2 shown]
	s_cbranch_scc1 .LBB211_180
; %bb.179:
	s_load_dwordx4 s[4:7], s[22:23], 0x10
	s_load_dwordx4 s[8:11], s[22:23], 0xd0
	s_waitcnt lgkmcnt(0)
	v_mul_hi_u32 v0, s5, v1
	v_add_u32_e32 v0, v1, v0
	v_lshrrev_b32_e32 v0, s6, v0
	v_mul_lo_u32 v0, v0, s4
	v_sub_u32_e32 v0, v1, v0
	v_mad_u64_u32 v[70:71], s[4:5], v0, s8, v[70:71]
	v_mad_u64_u32 v[74:75], s[4:5], v0, s9, v[74:75]
	;; [unrolled: 1-line block ×3, first 2 shown]
.LBB211_180:
	s_waitcnt lgkmcnt(0)
	s_load_dwordx4 s[24:27], s[22:23], 0x188
	s_load_dwordx2 s[28:29], s[22:23], 0x198
	s_getpc_b64 s[22:23]
	s_add_u32 s22, s22, _ZZZZN2at6native33launch_standard_gamma_grad_kernelERNS_18TensorIteratorBaseEENKUlvE_clEvENKUlvE2_clEvENKUlN3c108BFloat16ES6_E_clES6_S6_@rel32@lo+4
	s_addc_u32 s23, s23, _ZZZZN2at6native33launch_standard_gamma_grad_kernelERNS_18TensorIteratorBaseEENKUlvE_clEvENKUlvE2_clEvENKUlN3c108BFloat16ES6_E_clES6_S6_@rel32@hi+12
	s_waitcnt lgkmcnt(0)
	global_load_ushort v0, v4, s[26:27]
	global_load_ushort v1, v2, s[28:29]
	s_swappc_b64 s[30:31], s[22:23]
	v_mov_b32_e32 v30, v0
	global_load_ushort v0, v34, s[26:27]
	global_load_ushort v1, v32, s[28:29]
	s_swappc_b64 s[30:31], s[22:23]
	v_mov_b32_e32 v31, v0
	;; [unrolled: 4-line block ×7, first 2 shown]
	global_load_ushort v0, v74, s[26:27]
	global_load_ushort v1, v72, s[28:29]
	s_swappc_b64 s[30:31], s[22:23]
	global_store_short v38, v30, s[24:25]
	global_store_short v40, v31, s[24:25]
	;; [unrolled: 1-line block ×8, first 2 shown]
	s_endpgm
	.section	.rodata,"a",@progbits
	.p2align	6, 0x0
	.amdhsa_kernel _ZN2at6native32elementwise_kernel_manual_unrollILi128ELi8EZNS0_22gpu_kernel_impl_nocastIZZZNS0_33launch_standard_gamma_grad_kernelERNS_18TensorIteratorBaseEENKUlvE_clEvENKUlvE2_clEvEUlN3c108BFloat16ES8_E_EEvS4_RKT_EUlibE_EEviT1_
		.amdhsa_group_segment_fixed_size 0
		.amdhsa_private_segment_fixed_size 0
		.amdhsa_kernarg_size 432
		.amdhsa_user_sgpr_count 8
		.amdhsa_user_sgpr_private_segment_buffer 1
		.amdhsa_user_sgpr_dispatch_ptr 0
		.amdhsa_user_sgpr_queue_ptr 0
		.amdhsa_user_sgpr_kernarg_segment_ptr 1
		.amdhsa_user_sgpr_dispatch_id 0
		.amdhsa_user_sgpr_flat_scratch_init 1
		.amdhsa_user_sgpr_kernarg_preload_length 0
		.amdhsa_user_sgpr_kernarg_preload_offset 0
		.amdhsa_user_sgpr_private_segment_size 0
		.amdhsa_uses_dynamic_stack 0
		.amdhsa_system_sgpr_private_segment_wavefront_offset 0
		.amdhsa_system_sgpr_workgroup_id_x 1
		.amdhsa_system_sgpr_workgroup_id_y 0
		.amdhsa_system_sgpr_workgroup_id_z 0
		.amdhsa_system_sgpr_workgroup_info 0
		.amdhsa_system_vgpr_workitem_id 0
		.amdhsa_next_free_vgpr 76
		.amdhsa_next_free_sgpr 59
		.amdhsa_accum_offset 76
		.amdhsa_reserve_vcc 1
		.amdhsa_reserve_flat_scratch 1
		.amdhsa_float_round_mode_32 0
		.amdhsa_float_round_mode_16_64 0
		.amdhsa_float_denorm_mode_32 3
		.amdhsa_float_denorm_mode_16_64 3
		.amdhsa_dx10_clamp 1
		.amdhsa_ieee_mode 1
		.amdhsa_fp16_overflow 0
		.amdhsa_tg_split 0
		.amdhsa_exception_fp_ieee_invalid_op 0
		.amdhsa_exception_fp_denorm_src 0
		.amdhsa_exception_fp_ieee_div_zero 0
		.amdhsa_exception_fp_ieee_overflow 0
		.amdhsa_exception_fp_ieee_underflow 0
		.amdhsa_exception_fp_ieee_inexact 0
		.amdhsa_exception_int_div_zero 0
	.end_amdhsa_kernel
	.section	.text._ZN2at6native32elementwise_kernel_manual_unrollILi128ELi8EZNS0_22gpu_kernel_impl_nocastIZZZNS0_33launch_standard_gamma_grad_kernelERNS_18TensorIteratorBaseEENKUlvE_clEvENKUlvE2_clEvEUlN3c108BFloat16ES8_E_EEvS4_RKT_EUlibE_EEviT1_,"axG",@progbits,_ZN2at6native32elementwise_kernel_manual_unrollILi128ELi8EZNS0_22gpu_kernel_impl_nocastIZZZNS0_33launch_standard_gamma_grad_kernelERNS_18TensorIteratorBaseEENKUlvE_clEvENKUlvE2_clEvEUlN3c108BFloat16ES8_E_EEvS4_RKT_EUlibE_EEviT1_,comdat
.Lfunc_end211:
	.size	_ZN2at6native32elementwise_kernel_manual_unrollILi128ELi8EZNS0_22gpu_kernel_impl_nocastIZZZNS0_33launch_standard_gamma_grad_kernelERNS_18TensorIteratorBaseEENKUlvE_clEvENKUlvE2_clEvEUlN3c108BFloat16ES8_E_EEvS4_RKT_EUlibE_EEviT1_, .Lfunc_end211-_ZN2at6native32elementwise_kernel_manual_unrollILi128ELi8EZNS0_22gpu_kernel_impl_nocastIZZZNS0_33launch_standard_gamma_grad_kernelERNS_18TensorIteratorBaseEENKUlvE_clEvENKUlvE2_clEvEUlN3c108BFloat16ES8_E_EEvS4_RKT_EUlibE_EEviT1_
                                        ; -- End function
	.section	.AMDGPU.csdata,"",@progbits
; Kernel info:
; codeLenInByte = 9344
; NumSgprs: 65
; NumVgprs: 76
; NumAgprs: 0
; TotalNumVgprs: 76
; ScratchSize: 0
; MemoryBound: 0
; FloatMode: 240
; IeeeMode: 1
; LDSByteSize: 0 bytes/workgroup (compile time only)
; SGPRBlocks: 8
; VGPRBlocks: 9
; NumSGPRsForWavesPerEU: 65
; NumVGPRsForWavesPerEU: 76
; AccumOffset: 76
; Occupancy: 6
; WaveLimiterHint : 1
; COMPUTE_PGM_RSRC2:SCRATCH_EN: 0
; COMPUTE_PGM_RSRC2:USER_SGPR: 8
; COMPUTE_PGM_RSRC2:TRAP_HANDLER: 0
; COMPUTE_PGM_RSRC2:TGID_X_EN: 1
; COMPUTE_PGM_RSRC2:TGID_Y_EN: 0
; COMPUTE_PGM_RSRC2:TGID_Z_EN: 0
; COMPUTE_PGM_RSRC2:TIDIG_COMP_CNT: 0
; COMPUTE_PGM_RSRC3_GFX90A:ACCUM_OFFSET: 18
; COMPUTE_PGM_RSRC3_GFX90A:TG_SPLIT: 0
	.section	.text._ZN2at6native32elementwise_kernel_manual_unrollILi128ELi4EZNS0_15gpu_kernel_implIZZZNS0_33launch_standard_gamma_grad_kernelERNS_18TensorIteratorBaseEENKUlvE_clEvENKUlvE2_clEvEUlN3c108BFloat16ES8_E_EEvS4_RKT_EUlibE_EEviT1_,"axG",@progbits,_ZN2at6native32elementwise_kernel_manual_unrollILi128ELi4EZNS0_15gpu_kernel_implIZZZNS0_33launch_standard_gamma_grad_kernelERNS_18TensorIteratorBaseEENKUlvE_clEvENKUlvE2_clEvEUlN3c108BFloat16ES8_E_EEvS4_RKT_EUlibE_EEviT1_,comdat
	.globl	_ZN2at6native32elementwise_kernel_manual_unrollILi128ELi4EZNS0_15gpu_kernel_implIZZZNS0_33launch_standard_gamma_grad_kernelERNS_18TensorIteratorBaseEENKUlvE_clEvENKUlvE2_clEvEUlN3c108BFloat16ES8_E_EEvS4_RKT_EUlibE_EEviT1_ ; -- Begin function _ZN2at6native32elementwise_kernel_manual_unrollILi128ELi4EZNS0_15gpu_kernel_implIZZZNS0_33launch_standard_gamma_grad_kernelERNS_18TensorIteratorBaseEENKUlvE_clEvENKUlvE2_clEvEUlN3c108BFloat16ES8_E_EEvS4_RKT_EUlibE_EEviT1_
	.p2align	8
	.type	_ZN2at6native32elementwise_kernel_manual_unrollILi128ELi4EZNS0_15gpu_kernel_implIZZZNS0_33launch_standard_gamma_grad_kernelERNS_18TensorIteratorBaseEENKUlvE_clEvENKUlvE2_clEvEUlN3c108BFloat16ES8_E_EEvS4_RKT_EUlibE_EEviT1_,@function
_ZN2at6native32elementwise_kernel_manual_unrollILi128ELi4EZNS0_15gpu_kernel_implIZZZNS0_33launch_standard_gamma_grad_kernelERNS_18TensorIteratorBaseEENKUlvE_clEvENKUlvE2_clEvEUlN3c108BFloat16ES8_E_EEvS4_RKT_EUlibE_EEviT1_: ; @_ZN2at6native32elementwise_kernel_manual_unrollILi128ELi4EZNS0_15gpu_kernel_implIZZZNS0_33launch_standard_gamma_grad_kernelERNS_18TensorIteratorBaseEENKUlvE_clEvENKUlvE2_clEvEUlN3c108BFloat16ES8_E_EEvS4_RKT_EUlibE_EEviT1_
; %bb.0:
	v_mov_b32_e32 v1, 0
	global_load_ushort v36, v1, s[4:5] offset:45
	global_load_sbyte v38, v1, s[4:5] offset:47
	s_add_u32 flat_scratch_lo, s6, s9
	s_addc_u32 flat_scratch_hi, s7, 0
	s_load_dword s33, s[4:5], 0x0
	s_load_dwordx4 s[24:27], s[4:5], 0x8
	s_load_dwordx2 s[22:23], s[4:5], 0x18
	s_load_dwordx4 s[36:39], s[4:5], 0x20
	v_lshl_or_b32 v37, s8, 9, v0
	s_add_u32 s0, s0, s9
	v_or_b32_e32 v0, 0x180, v37
	s_addc_u32 s1, s1, 0
	s_mov_b64 s[28:29], 0
	s_waitcnt lgkmcnt(0)
	v_cmp_le_i32_e32 vcc, s33, v0
	s_mov_b64 s[40:41], 0
	s_mov_b32 s32, 0
	s_waitcnt vmcnt(1)
	v_lshrrev_b32_e32 v35, 8, v36
	s_and_saveexec_b64 s[4:5], vcc
	s_xor_b64 s[34:35], exec, s[4:5]
	s_cbranch_execz .LBB212_1542
; %bb.1:
	v_cmp_gt_i32_e32 vcc, s33, v37
	s_mov_b64 s[4:5], -1
	s_mov_b64 s[50:51], 0
	s_mov_b64 s[44:45], 0
	s_mov_b64 s[42:43], 0
	s_and_saveexec_b64 s[46:47], vcc
	s_cbranch_execz .LBB212_381
; %bb.2:
	v_mul_lo_u32 v0, v37, s37
	v_ashrrev_i32_e32 v1, 31, v0
	v_mov_b32_e32 v3, s27
	v_add_co_u32_e32 v2, vcc, s26, v0
	v_mov_b32_e32 v0, 11
	v_addc_co_u32_e32 v3, vcc, v3, v1, vcc
	v_cmp_lt_i16_sdwa s[4:5], v35, v0 src0_sel:BYTE_0 src1_sel:DWORD
	s_and_b64 vcc, exec, s[4:5]
	s_cbranch_vccnz .LBB212_9
; %bb.3:
	v_mov_b32_e32 v0, 25
	v_cmp_gt_i16_sdwa s[4:5], v35, v0 src0_sel:BYTE_0 src1_sel:DWORD
	s_and_b64 vcc, exec, s[4:5]
	s_cbranch_vccz .LBB212_11
; %bb.4:
	v_mov_b32_e32 v0, 28
	v_cmp_gt_i16_sdwa s[4:5], v35, v0 src0_sel:BYTE_0 src1_sel:DWORD
	s_and_b64 vcc, exec, s[4:5]
	s_cbranch_vccz .LBB212_12
	;; [unrolled: 5-line block ×4, first 2 shown]
; %bb.7:
	v_mov_b32_e32 v0, 46
	v_cmp_eq_u16_sdwa s[4:5], v35, v0 src0_sel:BYTE_0 src1_sel:DWORD
	s_mov_b64 s[6:7], 0
	s_and_b64 vcc, exec, s[4:5]
	s_cbranch_vccz .LBB212_15
; %bb.8:
	global_load_dword v0, v[2:3], off
	s_mov_b64 s[4:5], -1
	s_branch .LBB212_17
.LBB212_9:
                                        ; implicit-def: $vgpr0
	s_mov_b64 s[4:5], 0
	s_cbranch_execnz .LBB212_81
.LBB212_10:
	s_andn2_b64 vcc, exec, s[4:5]
	s_cbranch_vccz .LBB212_128
	s_branch .LBB212_378
.LBB212_11:
	s_mov_b64 s[4:5], 0
                                        ; implicit-def: $vgpr0
	s_cbranch_execnz .LBB212_46
	s_branch .LBB212_80
.LBB212_12:
	s_mov_b64 s[6:7], -1
	s_mov_b64 s[4:5], 0
                                        ; implicit-def: $vgpr0
	s_branch .LBB212_27
.LBB212_13:
	s_mov_b64 s[6:7], -1
	s_mov_b64 s[4:5], 0
                                        ; implicit-def: $vgpr0
	s_branch .LBB212_22
.LBB212_14:
	s_mov_b64 s[6:7], -1
	s_branch .LBB212_16
.LBB212_15:
	s_mov_b64 s[44:45], -1
.LBB212_16:
	s_mov_b64 s[4:5], 0
                                        ; implicit-def: $vgpr0
.LBB212_17:
	s_and_b64 vcc, exec, s[6:7]
	s_cbranch_vccz .LBB212_21
; %bb.18:
	s_waitcnt vmcnt(0)
	v_mov_b32_e32 v0, 44
	v_cmp_eq_u16_sdwa s[6:7], v35, v0 src0_sel:BYTE_0 src1_sel:DWORD
	s_and_b64 vcc, exec, s[6:7]
	s_cbranch_vccz .LBB212_20
; %bb.19:
	global_load_ubyte v0, v[2:3], off
	s_movk_i32 s6, 0xff
	v_mov_b32_e32 v1, 0x7f800001
	v_mov_b32_e32 v4, 0x400000
	;; [unrolled: 1-line block ×3, first 2 shown]
	s_mov_b64 s[4:5], -1
	s_mov_b64 s[44:45], 0
	s_waitcnt vmcnt(0)
	v_lshlrev_b32_e32 v6, 23, v0
	v_cmp_ne_u32_e32 vcc, s6, v0
	v_cndmask_b32_e32 v1, v1, v6, vcc
	v_cmp_ne_u32_e32 vcc, 0, v0
	v_cndmask_b32_e32 v0, v4, v1, vcc
	v_add_u32_e32 v1, 0x7fff, v0
	v_lshrrev_b32_e32 v1, 16, v1
	v_cmp_o_f32_e32 vcc, v0, v0
	v_cndmask_b32_e32 v0, v5, v1, vcc
	s_branch .LBB212_21
.LBB212_20:
	s_mov_b64 s[44:45], -1
                                        ; implicit-def: $vgpr0
.LBB212_21:
	s_mov_b64 s[6:7], 0
.LBB212_22:
	s_and_b64 vcc, exec, s[6:7]
	s_cbranch_vccz .LBB212_26
; %bb.23:
	s_waitcnt vmcnt(0)
	v_mov_b32_e32 v0, 29
	v_cmp_eq_u16_sdwa s[6:7], v35, v0 src0_sel:BYTE_0 src1_sel:DWORD
	s_and_b64 vcc, exec, s[6:7]
	s_cbranch_vccz .LBB212_25
; %bb.24:
	global_load_dwordx2 v[0:1], v[2:3], off
	s_movk_i32 s6, 0x7fff
	s_mov_b64 s[4:5], -1
	s_mov_b64 s[44:45], 0
	s_waitcnt vmcnt(0)
	v_ffbh_u32_e32 v4, v1
	v_min_u32_e32 v4, 32, v4
	v_lshlrev_b64 v[0:1], v4, v[0:1]
	v_min_u32_e32 v0, 1, v0
	v_or_b32_e32 v0, v1, v0
	v_cvt_f32_u32_e32 v0, v0
	v_sub_u32_e32 v1, 32, v4
	v_ldexp_f32 v0, v0, v1
	v_bfe_u32 v1, v0, 16, 1
	v_add3_u32 v0, v0, v1, s6
	v_lshrrev_b32_e32 v0, 16, v0
	s_branch .LBB212_26
.LBB212_25:
	s_mov_b64 s[44:45], -1
                                        ; implicit-def: $vgpr0
.LBB212_26:
	s_mov_b64 s[6:7], 0
.LBB212_27:
	s_and_b64 vcc, exec, s[6:7]
	s_cbranch_vccz .LBB212_45
; %bb.28:
	s_waitcnt vmcnt(0)
	v_mov_b32_e32 v0, 27
	v_cmp_lt_i16_sdwa s[4:5], v35, v0 src0_sel:BYTE_0 src1_sel:DWORD
	s_and_b64 vcc, exec, s[4:5]
	s_cbranch_vccnz .LBB212_31
; %bb.29:
	v_cmp_gt_i16_sdwa s[4:5], v35, v0 src0_sel:BYTE_0 src1_sel:DWORD
	s_and_b64 vcc, exec, s[4:5]
	s_cbranch_vccz .LBB212_32
; %bb.30:
	global_load_dword v0, v[2:3], off
	s_movk_i32 s4, 0x7fff
	s_waitcnt vmcnt(0)
	v_cvt_f32_u32_e32 v0, v0
	v_bfe_u32 v1, v0, 16, 1
	v_add3_u32 v0, v0, v1, s4
	v_lshrrev_b32_e32 v0, 16, v0
	s_mov_b64 s[4:5], 0
	s_branch .LBB212_33
.LBB212_31:
	s_mov_b64 s[4:5], -1
                                        ; implicit-def: $vgpr0
	s_branch .LBB212_36
.LBB212_32:
	s_mov_b64 s[4:5], -1
                                        ; implicit-def: $vgpr0
.LBB212_33:
	s_andn2_b64 vcc, exec, s[4:5]
	s_cbranch_vccnz .LBB212_35
; %bb.34:
	global_load_ushort v0, v[2:3], off
	s_movk_i32 s4, 0x7fff
	s_waitcnt vmcnt(0)
	v_cvt_f32_u32_e32 v0, v0
	v_bfe_u32 v1, v0, 16, 1
	v_add3_u32 v0, v0, v1, s4
	v_lshrrev_b32_e32 v0, 16, v0
.LBB212_35:
	s_mov_b64 s[4:5], 0
.LBB212_36:
	s_andn2_b64 vcc, exec, s[4:5]
	s_cbranch_vccnz .LBB212_44
; %bb.37:
	global_load_ubyte v0, v[2:3], off
	s_movk_i32 s4, 0x7f
                                        ; implicit-def: $sgpr10
	s_waitcnt vmcnt(0)
	v_cmp_lt_i16_e32 vcc, s4, v0
	s_mov_b64 s[4:5], 0
	s_and_saveexec_b64 s[6:7], vcc
	s_xor_b64 s[6:7], exec, s[6:7]
	s_cbranch_execz .LBB212_57
; %bb.38:
	s_movk_i32 s4, 0x80
	v_cmp_eq_u16_e32 vcc, s4, v0
	s_mov_b64 s[4:5], -1
                                        ; implicit-def: $sgpr10
	s_and_saveexec_b64 s[8:9], vcc
; %bb.39:
	s_mov_b32 s10, 0x7f800001
	s_xor_b64 s[4:5], exec, -1
; %bb.40:
	s_or_b64 exec, exec, s[8:9]
	s_and_b64 s[4:5], s[4:5], exec
	s_or_saveexec_b64 s[6:7], s[6:7]
	v_mov_b32_e32 v1, s10
	s_xor_b64 exec, exec, s[6:7]
	s_cbranch_execnz .LBB212_58
.LBB212_41:
	s_or_b64 exec, exec, s[6:7]
	s_and_saveexec_b64 s[6:7], s[4:5]
	s_cbranch_execz .LBB212_43
.LBB212_42:
	v_lshlrev_b32_e32 v1, 24, v0
	v_and_b32_e32 v0, 0xffff, v0
	v_and_b32_e32 v4, 7, v0
	v_ffbh_u32_e32 v6, v4
	v_min_u32_e32 v6, 32, v6
	v_subrev_u32_e32 v7, 28, v6
	v_bfe_u32 v5, v0, 3, 4
	v_lshlrev_b32_e32 v0, v7, v0
	v_sub_u32_e32 v6, 29, v6
	v_and_b32_e32 v0, 7, v0
	v_cmp_eq_u32_e32 vcc, 0, v5
	v_cndmask_b32_e32 v5, v5, v6, vcc
	v_cndmask_b32_e32 v0, v4, v0, vcc
	v_mov_b32_e32 v4, 0x3b800000
	v_lshlrev_b32_e32 v0, 20, v0
	v_and_b32_e32 v1, 0x80000000, v1
	v_lshl_add_u32 v4, v5, 23, v4
	v_or3_b32 v1, v1, v4, v0
.LBB212_43:
	s_or_b64 exec, exec, s[6:7]
	v_bfe_u32 v0, v1, 16, 1
	s_movk_i32 s4, 0x7fff
	v_add3_u32 v0, v1, v0, s4
	v_lshrrev_b32_e32 v0, 16, v0
	v_mov_b32_e32 v4, 0x7fc0
	v_cmp_o_f32_e32 vcc, v1, v1
	v_cndmask_b32_e32 v0, v4, v0, vcc
.LBB212_44:
	s_mov_b64 s[4:5], -1
.LBB212_45:
	s_branch .LBB212_80
.LBB212_46:
	s_waitcnt vmcnt(0)
	v_mov_b32_e32 v0, 22
	v_cmp_gt_i16_sdwa s[6:7], v35, v0 src0_sel:BYTE_0 src1_sel:DWORD
	s_and_b64 vcc, exec, s[6:7]
	s_cbranch_vccz .LBB212_56
; %bb.47:
	v_mov_b32_e32 v0, 24
	v_cmp_lt_i16_sdwa s[4:5], v35, v0 src0_sel:BYTE_0 src1_sel:DWORD
	s_and_b64 vcc, exec, s[4:5]
	s_cbranch_vccnz .LBB212_59
; %bb.48:
	v_cmp_gt_i16_sdwa s[4:5], v35, v0 src0_sel:BYTE_0 src1_sel:DWORD
	s_and_b64 vcc, exec, s[4:5]
	s_cbranch_vccz .LBB212_60
; %bb.49:
	global_load_ubyte v0, v[2:3], off
	s_movk_i32 s4, 0x7f
                                        ; implicit-def: $sgpr10
	s_waitcnt vmcnt(0)
	v_cmp_lt_i16_e32 vcc, s4, v0
	s_mov_b64 s[4:5], 0
	s_and_saveexec_b64 s[6:7], vcc
	s_xor_b64 s[6:7], exec, s[6:7]
	s_cbranch_execz .LBB212_72
; %bb.50:
	s_movk_i32 s4, 0x80
	v_cmp_eq_u16_e32 vcc, s4, v0
	s_mov_b64 s[4:5], -1
                                        ; implicit-def: $sgpr10
	s_and_saveexec_b64 s[8:9], vcc
; %bb.51:
	s_mov_b32 s10, 0x7f800001
	s_xor_b64 s[4:5], exec, -1
; %bb.52:
	s_or_b64 exec, exec, s[8:9]
	s_and_b64 s[4:5], s[4:5], exec
	s_or_saveexec_b64 s[6:7], s[6:7]
	v_mov_b32_e32 v1, s10
	s_xor_b64 exec, exec, s[6:7]
	s_cbranch_execnz .LBB212_73
.LBB212_53:
	s_or_b64 exec, exec, s[6:7]
	s_and_saveexec_b64 s[6:7], s[4:5]
	s_cbranch_execz .LBB212_55
.LBB212_54:
	v_lshlrev_b32_e32 v1, 24, v0
	v_and_b32_e32 v0, 0xffff, v0
	v_and_b32_e32 v4, 3, v0
	v_ffbh_u32_e32 v6, v4
	v_min_u32_e32 v6, 32, v6
	v_subrev_u32_e32 v7, 29, v6
	v_bfe_u32 v5, v0, 2, 5
	v_lshlrev_b32_e32 v0, v7, v0
	v_sub_u32_e32 v6, 30, v6
	v_and_b32_e32 v0, 3, v0
	v_cmp_eq_u32_e32 vcc, 0, v5
	v_cndmask_b32_e32 v5, v5, v6, vcc
	v_cndmask_b32_e32 v0, v4, v0, vcc
	v_mov_b32_e32 v4, 0x37800000
	v_lshlrev_b32_e32 v0, 21, v0
	v_and_b32_e32 v1, 0x80000000, v1
	v_lshl_add_u32 v4, v5, 23, v4
	v_or3_b32 v1, v1, v4, v0
.LBB212_55:
	s_or_b64 exec, exec, s[6:7]
	v_bfe_u32 v0, v1, 16, 1
	s_movk_i32 s4, 0x7fff
	v_add3_u32 v0, v1, v0, s4
	v_lshrrev_b32_e32 v0, 16, v0
	v_mov_b32_e32 v4, 0x7fc0
	v_cmp_o_f32_e32 vcc, v1, v1
	v_cndmask_b32_e32 v0, v4, v0, vcc
	s_mov_b64 s[4:5], 0
	s_branch .LBB212_61
.LBB212_56:
	s_mov_b64 s[6:7], -1
                                        ; implicit-def: $vgpr0
	s_branch .LBB212_67
.LBB212_57:
	s_or_saveexec_b64 s[6:7], s[6:7]
	v_mov_b32_e32 v1, s10
	s_xor_b64 exec, exec, s[6:7]
	s_cbranch_execz .LBB212_41
.LBB212_58:
	v_cmp_ne_u16_e32 vcc, 0, v0
	s_andn2_b64 s[4:5], s[4:5], exec
	s_and_b64 s[8:9], vcc, exec
	v_mov_b32_e32 v1, 0
	s_or_b64 s[4:5], s[4:5], s[8:9]
	s_or_b64 exec, exec, s[6:7]
	s_and_saveexec_b64 s[6:7], s[4:5]
	s_cbranch_execnz .LBB212_42
	s_branch .LBB212_43
.LBB212_59:
	s_mov_b64 s[4:5], -1
                                        ; implicit-def: $vgpr0
	s_branch .LBB212_64
.LBB212_60:
	s_mov_b64 s[4:5], -1
                                        ; implicit-def: $vgpr0
.LBB212_61:
	s_and_b64 vcc, exec, s[4:5]
	s_cbranch_vccz .LBB212_63
; %bb.62:
	global_load_ubyte v0, v[2:3], off
	s_mov_b32 s4, 0x7f800000
	s_brev_b32 s5, 1
	s_movk_i32 s6, 0x7fff
	v_mov_b32_e32 v1, 0x7fc0
	s_waitcnt vmcnt(0)
	v_lshlrev_b32_e32 v0, 24, v0
	v_and_b32_e32 v4, 0x7f000000, v0
	v_ffbh_u32_e32 v5, v4
	v_min_u32_e32 v5, 32, v5
	v_sub_u32_e64 v5, v5, 4 clamp
	v_lshlrev_b32_e32 v7, v5, v4
	v_lshlrev_b32_e32 v5, 23, v5
	v_lshrrev_b32_e32 v7, 4, v7
	v_add_u32_e32 v6, 0x1000000, v4
	v_sub_u32_e32 v5, v7, v5
	v_ashrrev_i32_e32 v6, 8, v6
	v_add_u32_e32 v5, 0x3c000000, v5
	v_and_or_b32 v5, v6, s4, v5
	v_cmp_ne_u32_e32 vcc, 0, v4
	v_cndmask_b32_e32 v4, 0, v5, vcc
	v_and_or_b32 v0, v0, s5, v4
	v_bfe_u32 v4, v4, 16, 1
	v_add3_u32 v4, v0, v4, s6
	v_lshrrev_b32_e32 v4, 16, v4
	v_cmp_o_f32_e32 vcc, v0, v0
	v_cndmask_b32_e32 v0, v1, v4, vcc
.LBB212_63:
	s_mov_b64 s[4:5], 0
.LBB212_64:
	s_andn2_b64 vcc, exec, s[4:5]
	s_cbranch_vccnz .LBB212_66
; %bb.65:
	global_load_ubyte v0, v[2:3], off
	s_movk_i32 s4, 0x7f00
	s_brev_b32 s5, 16
	s_brev_b32 s6, 1
	s_movk_i32 s7, 0x7fff
	v_mov_b32_e32 v1, 0x7fc0
	s_waitcnt vmcnt(0)
	v_lshlrev_b16_e32 v4, 8, v0
	v_lshlrev_b32_e32 v0, 25, v0
	v_lshrrev_b32_e32 v5, 4, v0
	v_and_or_b32 v6, v4, s4, 0.5
	v_or_b32_e32 v5, 0x70000000, v5
	v_add_f32_e32 v6, -0.5, v6
	v_mul_f32_e32 v5, 0x7800000, v5
	v_cmp_gt_u32_e32 vcc, s5, v0
	v_bfe_i32 v4, v4, 0, 16
	v_cndmask_b32_e32 v0, v5, v6, vcc
	v_and_or_b32 v4, v4, s6, v0
	v_bfe_u32 v0, v0, 16, 1
	v_add3_u32 v0, v4, v0, s7
	v_lshrrev_b32_e32 v0, 16, v0
	v_cmp_o_f32_e32 vcc, v4, v4
	v_cndmask_b32_e32 v0, v1, v0, vcc
.LBB212_66:
	s_mov_b64 s[6:7], 0
	s_mov_b64 s[4:5], -1
.LBB212_67:
	s_andn2_b64 vcc, exec, s[6:7]
	s_cbranch_vccnz .LBB212_80
; %bb.68:
	v_mov_b32_e32 v0, 14
	v_cmp_gt_i16_sdwa s[6:7], v35, v0 src0_sel:BYTE_0 src1_sel:DWORD
	s_and_b64 vcc, exec, s[6:7]
	s_cbranch_vccz .LBB212_71
; %bb.69:
	v_mov_b32_e32 v0, 15
	v_cmp_eq_u16_sdwa s[6:7], v35, v0 src0_sel:BYTE_0 src1_sel:DWORD
	s_and_b64 vcc, exec, s[6:7]
	s_cbranch_vccz .LBB212_74
; %bb.70:
	global_load_ushort v0, v[2:3], off
	s_mov_b64 s[4:5], -1
	s_mov_b64 s[44:45], 0
	s_branch .LBB212_75
.LBB212_71:
	s_mov_b64 s[6:7], -1
                                        ; implicit-def: $vgpr0
	s_branch .LBB212_76
.LBB212_72:
	s_or_saveexec_b64 s[6:7], s[6:7]
	v_mov_b32_e32 v1, s10
	s_xor_b64 exec, exec, s[6:7]
	s_cbranch_execz .LBB212_53
.LBB212_73:
	v_cmp_ne_u16_e32 vcc, 0, v0
	s_andn2_b64 s[4:5], s[4:5], exec
	s_and_b64 s[8:9], vcc, exec
	v_mov_b32_e32 v1, 0
	s_or_b64 s[4:5], s[4:5], s[8:9]
	s_or_b64 exec, exec, s[6:7]
	s_and_saveexec_b64 s[6:7], s[4:5]
	s_cbranch_execnz .LBB212_54
	s_branch .LBB212_55
.LBB212_74:
	s_mov_b64 s[44:45], -1
                                        ; implicit-def: $vgpr0
.LBB212_75:
	s_mov_b64 s[6:7], 0
.LBB212_76:
	s_and_b64 vcc, exec, s[6:7]
	s_cbranch_vccz .LBB212_80
; %bb.77:
	s_waitcnt vmcnt(0)
	v_mov_b32_e32 v0, 11
	v_cmp_eq_u16_sdwa s[6:7], v35, v0 src0_sel:BYTE_0 src1_sel:DWORD
	s_and_b64 vcc, exec, s[6:7]
	s_cbranch_vccz .LBB212_79
; %bb.78:
	global_load_ubyte v0, v[2:3], off
	s_mov_b64 s[4:5], -1
	s_mov_b64 s[44:45], 0
	s_waitcnt vmcnt(0)
	v_cmp_ne_u16_e32 vcc, 0, v0
	v_cndmask_b32_e64 v0, 0, 1.0, vcc
	v_lshrrev_b32_e32 v0, 16, v0
	s_branch .LBB212_80
.LBB212_79:
	s_mov_b64 s[44:45], -1
                                        ; implicit-def: $vgpr0
.LBB212_80:
	s_branch .LBB212_10
.LBB212_81:
	s_waitcnt vmcnt(0)
	v_mov_b32_e32 v0, 5
	v_cmp_lt_i16_sdwa s[4:5], v35, v0 src0_sel:BYTE_0 src1_sel:DWORD
	s_and_b64 vcc, exec, s[4:5]
	s_cbranch_vccnz .LBB212_86
; %bb.82:
	v_mov_b32_e32 v0, 8
	v_cmp_lt_i16_sdwa s[4:5], v35, v0 src0_sel:BYTE_0 src1_sel:DWORD
	s_and_b64 vcc, exec, s[4:5]
	s_cbranch_vccnz .LBB212_87
; %bb.83:
	;; [unrolled: 5-line block ×3, first 2 shown]
	v_cmp_gt_i16_sdwa s[4:5], v35, v0 src0_sel:BYTE_0 src1_sel:DWORD
	s_and_b64 vcc, exec, s[4:5]
	s_cbranch_vccz .LBB212_89
; %bb.85:
	global_load_dwordx2 v[0:1], v[2:3], off
	s_movk_i32 s4, 0x7fff
	v_mov_b32_e32 v4, 0x7fc0
	s_waitcnt vmcnt(0)
	v_cvt_f32_f64_e32 v0, v[0:1]
	v_bfe_u32 v1, v0, 16, 1
	v_add3_u32 v1, v0, v1, s4
	v_lshrrev_b32_e32 v1, 16, v1
	v_cmp_o_f32_e32 vcc, v0, v0
	v_cndmask_b32_e32 v0, v4, v1, vcc
	s_mov_b64 s[4:5], 0
	s_branch .LBB212_90
.LBB212_86:
                                        ; implicit-def: $vgpr0
	s_branch .LBB212_108
.LBB212_87:
	s_mov_b64 s[4:5], -1
                                        ; implicit-def: $vgpr0
	s_branch .LBB212_96
.LBB212_88:
	s_mov_b64 s[4:5], -1
                                        ; implicit-def: $vgpr0
	s_branch .LBB212_93
.LBB212_89:
	s_mov_b64 s[4:5], -1
                                        ; implicit-def: $vgpr0
.LBB212_90:
	s_andn2_b64 vcc, exec, s[4:5]
	s_cbranch_vccnz .LBB212_92
; %bb.91:
	global_load_dword v0, v[2:3], off
	s_movk_i32 s4, 0x7fff
	v_mov_b32_e32 v1, 0x7fc0
	s_waitcnt vmcnt(0)
	v_bfe_u32 v4, v0, 16, 1
	v_add3_u32 v4, v0, v4, s4
	v_lshrrev_b32_e32 v4, 16, v4
	v_cmp_o_f32_e32 vcc, v0, v0
	v_cndmask_b32_e32 v0, v1, v4, vcc
.LBB212_92:
	s_mov_b64 s[4:5], 0
.LBB212_93:
	s_andn2_b64 vcc, exec, s[4:5]
	s_cbranch_vccnz .LBB212_95
; %bb.94:
	global_load_dword v0, v[2:3], off
	s_movk_i32 s4, 0x7fff
	v_mov_b32_e32 v4, 0x7fc0
	s_waitcnt vmcnt(0)
	v_cvt_f32_f16_e32 v1, v0
	v_cmp_o_f16_e32 vcc, v0, v0
	v_bfe_u32 v5, v1, 16, 1
	v_add3_u32 v1, v1, v5, s4
	v_lshrrev_b32_e32 v1, 16, v1
	v_cndmask_b32_e32 v0, v4, v1, vcc
.LBB212_95:
	s_mov_b64 s[4:5], 0
.LBB212_96:
	s_andn2_b64 vcc, exec, s[4:5]
	s_cbranch_vccnz .LBB212_107
; %bb.97:
	v_mov_b32_e32 v0, 6
	v_cmp_lt_i16_sdwa s[4:5], v35, v0 src0_sel:BYTE_0 src1_sel:DWORD
	s_and_b64 vcc, exec, s[4:5]
	s_cbranch_vccnz .LBB212_100
; %bb.98:
	v_cmp_gt_i16_sdwa s[4:5], v35, v0 src0_sel:BYTE_0 src1_sel:DWORD
	s_and_b64 vcc, exec, s[4:5]
	s_cbranch_vccz .LBB212_101
; %bb.99:
	global_load_dwordx2 v[0:1], v[2:3], off
	s_movk_i32 s4, 0x7fff
	v_mov_b32_e32 v4, 0x7fc0
	s_waitcnt vmcnt(0)
	v_cvt_f32_f64_e32 v0, v[0:1]
	v_bfe_u32 v1, v0, 16, 1
	v_add3_u32 v1, v0, v1, s4
	v_lshrrev_b32_e32 v1, 16, v1
	v_cmp_o_f32_e32 vcc, v0, v0
	v_cndmask_b32_e32 v0, v4, v1, vcc
	s_mov_b64 s[4:5], 0
	s_branch .LBB212_102
.LBB212_100:
	s_mov_b64 s[4:5], -1
                                        ; implicit-def: $vgpr0
	s_branch .LBB212_105
.LBB212_101:
	s_mov_b64 s[4:5], -1
                                        ; implicit-def: $vgpr0
.LBB212_102:
	s_andn2_b64 vcc, exec, s[4:5]
	s_cbranch_vccnz .LBB212_104
; %bb.103:
	global_load_dword v0, v[2:3], off
	s_movk_i32 s4, 0x7fff
	v_mov_b32_e32 v1, 0x7fc0
	s_waitcnt vmcnt(0)
	v_bfe_u32 v4, v0, 16, 1
	v_add3_u32 v4, v0, v4, s4
	v_lshrrev_b32_e32 v4, 16, v4
	v_cmp_o_f32_e32 vcc, v0, v0
	v_cndmask_b32_e32 v0, v1, v4, vcc
.LBB212_104:
	s_mov_b64 s[4:5], 0
.LBB212_105:
	s_andn2_b64 vcc, exec, s[4:5]
	s_cbranch_vccnz .LBB212_107
; %bb.106:
	global_load_ushort v0, v[2:3], off
	s_movk_i32 s4, 0x7fff
	v_mov_b32_e32 v4, 0x7fc0
	s_waitcnt vmcnt(0)
	v_cvt_f32_f16_e32 v1, v0
	v_cmp_o_f16_e32 vcc, v0, v0
	v_bfe_u32 v5, v1, 16, 1
	v_add3_u32 v1, v1, v5, s4
	v_lshrrev_b32_e32 v1, 16, v1
	v_cndmask_b32_e32 v0, v4, v1, vcc
.LBB212_107:
	s_cbranch_execnz .LBB212_127
.LBB212_108:
	v_mov_b32_e32 v0, 2
	v_cmp_lt_i16_sdwa s[4:5], v35, v0 src0_sel:BYTE_0 src1_sel:DWORD
	s_and_b64 vcc, exec, s[4:5]
	s_cbranch_vccnz .LBB212_112
; %bb.109:
	v_mov_b32_e32 v0, 3
	v_cmp_lt_i16_sdwa s[4:5], v35, v0 src0_sel:BYTE_0 src1_sel:DWORD
	s_and_b64 vcc, exec, s[4:5]
	s_cbranch_vccnz .LBB212_113
; %bb.110:
	v_cmp_gt_i16_sdwa s[4:5], v35, v0 src0_sel:BYTE_0 src1_sel:DWORD
	s_and_b64 vcc, exec, s[4:5]
	s_cbranch_vccz .LBB212_114
; %bb.111:
	global_load_dwordx2 v[0:1], v[2:3], off
	s_movk_i32 s4, 0x7fff
	s_waitcnt vmcnt(0)
	v_xor_b32_e32 v5, v0, v1
	v_ffbh_i32_e32 v4, v1
	v_ashrrev_i32_e32 v5, 31, v5
	v_add_u32_e32 v4, -1, v4
	v_add_u32_e32 v5, 32, v5
	v_min_u32_e32 v4, v4, v5
	v_lshlrev_b64 v[0:1], v4, v[0:1]
	v_min_u32_e32 v0, 1, v0
	v_or_b32_e32 v0, v1, v0
	v_cvt_f32_i32_e32 v0, v0
	v_sub_u32_e32 v1, 32, v4
	v_ldexp_f32 v0, v0, v1
	v_bfe_u32 v1, v0, 16, 1
	v_add3_u32 v0, v0, v1, s4
	v_lshrrev_b32_e32 v0, 16, v0
	s_mov_b64 s[4:5], 0
	s_branch .LBB212_115
.LBB212_112:
	s_mov_b64 s[4:5], -1
                                        ; implicit-def: $vgpr0
	s_branch .LBB212_121
.LBB212_113:
	s_mov_b64 s[4:5], -1
                                        ; implicit-def: $vgpr0
	s_branch .LBB212_118
.LBB212_114:
	s_mov_b64 s[4:5], -1
                                        ; implicit-def: $vgpr0
.LBB212_115:
	s_andn2_b64 vcc, exec, s[4:5]
	s_cbranch_vccnz .LBB212_117
; %bb.116:
	global_load_dword v0, v[2:3], off
	s_movk_i32 s4, 0x7fff
	s_waitcnt vmcnt(0)
	v_cvt_f32_i32_e32 v0, v0
	v_bfe_u32 v1, v0, 16, 1
	v_add3_u32 v0, v0, v1, s4
	v_lshrrev_b32_e32 v0, 16, v0
.LBB212_117:
	s_mov_b64 s[4:5], 0
.LBB212_118:
	s_andn2_b64 vcc, exec, s[4:5]
	s_cbranch_vccnz .LBB212_120
; %bb.119:
	global_load_sshort v0, v[2:3], off
	s_movk_i32 s4, 0x7fff
	s_waitcnt vmcnt(0)
	v_cvt_f32_i32_e32 v0, v0
	v_bfe_u32 v1, v0, 16, 1
	v_add3_u32 v0, v0, v1, s4
	v_lshrrev_b32_e32 v0, 16, v0
.LBB212_120:
	s_mov_b64 s[4:5], 0
.LBB212_121:
	s_andn2_b64 vcc, exec, s[4:5]
	s_cbranch_vccnz .LBB212_127
; %bb.122:
	v_mov_b32_e32 v0, 0
	v_cmp_gt_i16_sdwa s[4:5], v35, v0 src0_sel:BYTE_0 src1_sel:DWORD
	s_and_b64 vcc, exec, s[4:5]
	s_cbranch_vccz .LBB212_124
; %bb.123:
	global_load_sbyte v0, v[2:3], off
	s_movk_i32 s4, 0x7fff
	s_waitcnt vmcnt(0)
	v_cvt_f32_i32_e32 v0, v0
	v_bfe_u32 v1, v0, 16, 1
	v_add3_u32 v0, v0, v1, s4
	v_lshrrev_b32_e32 v0, 16, v0
	s_mov_b64 s[4:5], 0
	s_branch .LBB212_125
.LBB212_124:
	s_mov_b64 s[4:5], -1
                                        ; implicit-def: $vgpr0
.LBB212_125:
	s_andn2_b64 vcc, exec, s[4:5]
	s_cbranch_vccnz .LBB212_127
; %bb.126:
	global_load_ubyte v0, v[2:3], off
	s_movk_i32 s4, 0x7fff
	s_waitcnt vmcnt(0)
	v_cvt_f32_ubyte0_e32 v0, v0
	v_bfe_u32 v1, v0, 16, 1
	v_add3_u32 v0, v0, v1, s4
	v_lshrrev_b32_e32 v0, 16, v0
.LBB212_127:
.LBB212_128:
	v_mul_lo_u32 v1, v37, s38
	v_ashrrev_i32_e32 v3, 31, v1
	v_mov_b32_e32 v4, s23
	v_add_co_u32_e32 v2, vcc, s22, v1
	v_mov_b32_e32 v1, 11
	v_addc_co_u32_e32 v3, vcc, v4, v3, vcc
	s_waitcnt vmcnt(0)
	v_cmp_lt_i16_sdwa s[4:5], v38, v1 src0_sel:BYTE_0 src1_sel:DWORD
	s_and_b64 vcc, exec, s[4:5]
	s_cbranch_vccnz .LBB212_135
; %bb.129:
	v_mov_b32_e32 v1, 25
	v_cmp_gt_i16_sdwa s[4:5], v38, v1 src0_sel:BYTE_0 src1_sel:DWORD
	s_and_b64 vcc, exec, s[4:5]
	s_cbranch_vccz .LBB212_144
; %bb.130:
	v_mov_b32_e32 v1, 28
	v_cmp_gt_i16_sdwa s[4:5], v38, v1 src0_sel:BYTE_0 src1_sel:DWORD
	s_and_b64 vcc, exec, s[4:5]
	s_cbranch_vccz .LBB212_146
	;; [unrolled: 5-line block ×4, first 2 shown]
; %bb.133:
	v_mov_b32_e32 v1, 46
	v_cmp_eq_u16_sdwa s[4:5], v38, v1 src0_sel:BYTE_0 src1_sel:DWORD
	s_mov_b64 s[6:7], 0
	s_and_b64 vcc, exec, s[4:5]
	s_cbranch_vccz .LBB212_152
; %bb.134:
	global_load_dword v1, v[2:3], off
	s_mov_b64 s[4:5], -1
	s_branch .LBB212_154
.LBB212_135:
                                        ; implicit-def: $vgpr1
	s_mov_b64 s[4:5], 0
	s_cbranch_execnz .LBB212_330
.LBB212_136:
	s_andn2_b64 vcc, exec, s[4:5]
	s_cbranch_vccnz .LBB212_378
.LBB212_137:
	s_getpc_b64 s[4:5]
	s_add_u32 s4, s4, _ZZZZN2at6native33launch_standard_gamma_grad_kernelERNS_18TensorIteratorBaseEENKUlvE_clEvENKUlvE2_clEvENKUlN3c108BFloat16ES6_E_clES6_S6_@rel32@lo+4
	s_addc_u32 s5, s5, _ZZZZN2at6native33launch_standard_gamma_grad_kernelERNS_18TensorIteratorBaseEENKUlvE_clEvENKUlvE2_clEvENKUlN3c108BFloat16ES6_E_clES6_S6_@rel32@hi+12
	s_swappc_b64 s[30:31], s[4:5]
	v_mul_lo_u32 v1, v37, s36
	v_ashrrev_i32_e32 v3, 31, v1
	v_mov_b32_e32 v4, s25
	v_add_co_u32_e32 v2, vcc, s24, v1
	v_mov_b32_e32 v1, 11
	v_addc_co_u32_e32 v3, vcc, v4, v3, vcc
	v_cmp_lt_i16_sdwa s[4:5], v36, v1 src0_sel:BYTE_0 src1_sel:DWORD
	s_and_b64 vcc, exec, s[4:5]
	s_cbranch_vccnz .LBB212_145
; %bb.138:
	v_mov_b32_e32 v1, 25
	v_cmp_gt_i16_sdwa s[4:5], v36, v1 src0_sel:BYTE_0 src1_sel:DWORD
	s_and_b64 vcc, exec, s[4:5]
	s_cbranch_vccz .LBB212_147
; %bb.139:
	v_mov_b32_e32 v1, 28
	v_cmp_gt_i16_sdwa s[4:5], v36, v1 src0_sel:BYTE_0 src1_sel:DWORD
	s_and_b64 vcc, exec, s[4:5]
	s_cbranch_vccz .LBB212_149
	;; [unrolled: 5-line block ×4, first 2 shown]
; %bb.142:
	v_mov_b32_e32 v1, 46
	v_cmp_eq_u16_sdwa s[6:7], v36, v1 src0_sel:BYTE_0 src1_sel:DWORD
	s_mov_b64 s[8:9], 0
	s_mov_b64 s[4:5], -1
	s_and_b64 vcc, exec, s[6:7]
	s_mov_b64 s[6:7], 0
	s_cbranch_vccz .LBB212_158
; %bb.143:
	v_and_b32_e32 v1, 0xffff, v0
	global_store_dword v[2:3], v1, off
	s_mov_b64 s[6:7], -1
	s_mov_b64 s[4:5], 0
	s_branch .LBB212_158
.LBB212_144:
	s_mov_b64 s[6:7], -1
	s_mov_b64 s[4:5], 0
                                        ; implicit-def: $vgpr1
	s_branch .LBB212_294
.LBB212_145:
	s_mov_b64 s[8:9], -1
	s_mov_b64 s[4:5], 0
	s_mov_b64 s[6:7], 0
	s_branch .LBB212_227
.LBB212_146:
	s_mov_b64 s[6:7], -1
	s_mov_b64 s[4:5], 0
                                        ; implicit-def: $vgpr1
	s_branch .LBB212_275
.LBB212_147:
	s_mov_b64 s[8:9], -1
	s_mov_b64 s[4:5], 0
	s_mov_b64 s[6:7], 0
	s_branch .LBB212_185
.LBB212_148:
	s_mov_b64 s[6:7], -1
	s_mov_b64 s[4:5], 0
                                        ; implicit-def: $vgpr1
	s_branch .LBB212_270
.LBB212_149:
	s_mov_b64 s[8:9], -1
	s_mov_b64 s[4:5], 0
	s_mov_b64 s[6:7], 0
	s_branch .LBB212_168
.LBB212_150:
	s_mov_b64 s[6:7], -1
	s_branch .LBB212_153
.LBB212_151:
	s_mov_b64 s[8:9], -1
	s_mov_b64 s[4:5], 0
	s_mov_b64 s[6:7], 0
	s_branch .LBB212_164
.LBB212_152:
	s_mov_b64 s[42:43], -1
.LBB212_153:
	s_mov_b64 s[4:5], 0
                                        ; implicit-def: $vgpr1
.LBB212_154:
	s_and_b64 vcc, exec, s[6:7]
	s_cbranch_vccz .LBB212_269
; %bb.155:
	s_waitcnt vmcnt(0)
	v_mov_b32_e32 v1, 44
	v_cmp_eq_u16_sdwa s[6:7], v38, v1 src0_sel:BYTE_0 src1_sel:DWORD
	s_and_b64 vcc, exec, s[6:7]
	s_cbranch_vccz .LBB212_268
; %bb.156:
	global_load_ubyte v1, v[2:3], off
	s_movk_i32 s6, 0xff
	v_mov_b32_e32 v4, 0x7f800001
	v_mov_b32_e32 v5, 0x400000
	v_mov_b32_e32 v6, 0x7fc0
	s_mov_b64 s[4:5], -1
	s_mov_b64 s[42:43], 0
	s_waitcnt vmcnt(0)
	v_lshlrev_b32_e32 v7, 23, v1
	v_cmp_ne_u32_e32 vcc, s6, v1
	v_cndmask_b32_e32 v4, v4, v7, vcc
	v_cmp_ne_u32_e32 vcc, 0, v1
	v_cndmask_b32_e32 v1, v5, v4, vcc
	v_add_u32_e32 v4, 0x7fff, v1
	v_lshrrev_b32_e32 v4, 16, v4
	v_cmp_o_f32_e32 vcc, v1, v1
	v_cndmask_b32_e32 v1, v6, v4, vcc
	s_branch .LBB212_269
.LBB212_157:
	s_mov_b64 s[8:9], -1
	s_mov_b64 s[4:5], 0
	s_mov_b64 s[6:7], 0
.LBB212_158:
	s_and_b64 vcc, exec, s[8:9]
	s_cbranch_vccz .LBB212_163
; %bb.159:
	v_mov_b32_e32 v1, 44
	v_cmp_eq_u16_sdwa s[8:9], v36, v1 src0_sel:BYTE_0 src1_sel:DWORD
	s_mov_b64 s[4:5], -1
	s_and_b64 vcc, exec, s[8:9]
	s_cbranch_vccz .LBB212_163
; %bb.160:
	v_and_b32_e32 v4, 0xffff, v0
	v_bfe_u32 v1, v4, 7, 8
	s_movk_i32 s4, 0xff
	v_cmp_ne_u32_e32 vcc, s4, v1
	v_mov_b32_e32 v5, 0xff
	s_and_saveexec_b64 s[6:7], vcc
; %bb.161:
	v_lshlrev_b32_e32 v6, 16, v4
	s_mov_b32 s4, 0x3f0000
	v_lshrrev_b32_e32 v5, 7, v4
	v_and_b32_e32 v4, 64, v4
	v_and_or_b32 v1, v6, s4, v1
	v_cmp_ne_u32_e32 vcc, 0, v4
	v_cmp_ne_u32_e64 s[4:5], 0, v1
	s_and_b64 s[4:5], vcc, s[4:5]
	v_cndmask_b32_e64 v1, 0, 1, s[4:5]
	v_add_u32_e32 v5, v5, v1
; %bb.162:
	s_or_b64 exec, exec, s[6:7]
	s_mov_b64 s[6:7], -1
	s_mov_b64 s[4:5], 0
	global_store_byte v[2:3], v5, off
.LBB212_163:
	s_mov_b64 s[8:9], 0
.LBB212_164:
	s_and_b64 vcc, exec, s[8:9]
	s_cbranch_vccz .LBB212_167
; %bb.165:
	v_mov_b32_e32 v1, 29
	v_cmp_eq_u16_sdwa s[8:9], v36, v1 src0_sel:BYTE_0 src1_sel:DWORD
	s_mov_b64 s[4:5], -1
	s_and_b64 vcc, exec, s[8:9]
	s_cbranch_vccz .LBB212_167
; %bb.166:
	v_lshlrev_b32_e32 v1, 16, v0
	v_trunc_f32_e32 v1, v1
	v_mul_f32_e32 v4, 0x2f800000, v1
	v_floor_f32_e32 v4, v4
	v_fmac_f32_e32 v1, 0xcf800000, v4
	v_cvt_u32_f32_e32 v5, v4
	v_cvt_u32_f32_e32 v4, v1
	s_mov_b64 s[6:7], -1
	s_mov_b64 s[4:5], 0
	s_mov_b64 s[8:9], 0
	global_store_dwordx2 v[2:3], v[4:5], off
	s_branch .LBB212_168
.LBB212_167:
	s_mov_b64 s[8:9], 0
.LBB212_168:
	s_and_b64 vcc, exec, s[8:9]
	s_cbranch_vccz .LBB212_184
; %bb.169:
	v_mov_b32_e32 v1, 27
	v_cmp_lt_i16_sdwa s[8:9], v36, v1 src0_sel:BYTE_0 src1_sel:DWORD
	s_mov_b64 s[6:7], -1
	s_and_b64 vcc, exec, s[8:9]
	s_cbranch_vccnz .LBB212_175
; %bb.170:
	v_cmp_gt_i16_sdwa s[8:9], v36, v1 src0_sel:BYTE_0 src1_sel:DWORD
	s_and_b64 vcc, exec, s[8:9]
	s_cbranch_vccz .LBB212_172
; %bb.171:
	v_lshlrev_b32_e32 v1, 16, v0
	v_cvt_u32_f32_e32 v1, v1
	s_mov_b64 s[6:7], 0
	global_store_dword v[2:3], v1, off
.LBB212_172:
	s_andn2_b64 vcc, exec, s[6:7]
	s_cbranch_vccnz .LBB212_174
; %bb.173:
	v_lshlrev_b32_e32 v1, 16, v0
	v_cvt_u32_f32_e32 v1, v1
	global_store_short v[2:3], v1, off
.LBB212_174:
	s_mov_b64 s[6:7], 0
.LBB212_175:
	s_andn2_b64 vcc, exec, s[6:7]
	s_cbranch_vccnz .LBB212_183
; %bb.176:
	v_lshlrev_b32_e32 v5, 16, v0
	v_and_b32_e32 v4, 0x7fffffff, v5
	s_mov_b32 s6, 0x43800000
	v_cmp_gt_u32_e32 vcc, s6, v4
	v_mov_b32_e32 v6, 0x80
	s_and_saveexec_b64 s[6:7], vcc
	s_cbranch_execz .LBB212_182
; %bb.177:
	s_mov_b32 s8, 0x3bffffff
	v_and_b32_e32 v1, 0xffff, v0
	v_cmp_lt_u32_e32 vcc, s8, v4
	s_mov_b64 s[8:9], 0
                                        ; implicit-def: $vgpr4
	s_and_saveexec_b64 s[10:11], vcc
	s_xor_b64 s[10:11], exec, s[10:11]
	s_cbranch_execz .LBB212_410
; %bb.178:
	v_bfe_u32 v4, v1, 4, 1
	s_mov_b32 s12, 0x487ffff
	v_add3_u32 v4, v5, v4, s12
	s_mov_b64 s[8:9], exec
	v_lshrrev_b32_e32 v4, 20, v4
                                        ; implicit-def: $vgpr5
	s_or_saveexec_b64 s[10:11], s[10:11]
                                        ; implicit-def: $sgpr12
	s_xor_b64 exec, exec, s[10:11]
	s_cbranch_execnz .LBB212_411
.LBB212_179:
	s_or_b64 exec, exec, s[10:11]
	v_mov_b32_e32 v6, s12
	s_and_saveexec_b64 s[10:11], s[8:9]
.LBB212_180:
	v_lshrrev_b32_e32 v1, 8, v1
	s_movk_i32 s8, 0x80
	v_and_or_b32 v6, v1, s8, v4
.LBB212_181:
	s_or_b64 exec, exec, s[10:11]
.LBB212_182:
	s_or_b64 exec, exec, s[6:7]
	global_store_byte v[2:3], v6, off
.LBB212_183:
	s_mov_b64 s[6:7], -1
.LBB212_184:
	s_mov_b64 s[8:9], 0
.LBB212_185:
	s_and_b64 vcc, exec, s[8:9]
	s_cbranch_vccz .LBB212_226
; %bb.186:
	v_mov_b32_e32 v1, 22
	v_cmp_gt_i16_sdwa s[10:11], v36, v1 src0_sel:BYTE_0 src1_sel:DWORD
	s_mov_b64 s[8:9], -1
	s_and_b64 vcc, exec, s[10:11]
	s_cbranch_vccz .LBB212_218
; %bb.187:
	v_mov_b32_e32 v1, 24
	v_cmp_lt_i16_sdwa s[8:9], v36, v1 src0_sel:BYTE_0 src1_sel:DWORD
	s_mov_b64 s[6:7], -1
	s_and_b64 vcc, exec, s[8:9]
	s_cbranch_vccnz .LBB212_207
; %bb.188:
	v_cmp_gt_i16_sdwa s[8:9], v36, v1 src0_sel:BYTE_0 src1_sel:DWORD
	s_and_b64 vcc, exec, s[8:9]
	s_cbranch_vccz .LBB212_196
; %bb.189:
	v_lshlrev_b32_e32 v5, 16, v0
	v_and_b32_e32 v4, 0x7fffffff, v5
	s_mov_b32 s6, 0x47800000
	v_cmp_gt_u32_e32 vcc, s6, v4
	v_mov_b32_e32 v6, 0x80
	s_and_saveexec_b64 s[6:7], vcc
	s_cbranch_execz .LBB212_195
; %bb.190:
	s_mov_b32 s8, 0x37ffffff
	v_and_b32_e32 v1, 0xffff, v0
	v_cmp_lt_u32_e32 vcc, s8, v4
	s_mov_b64 s[8:9], 0
                                        ; implicit-def: $vgpr4
	s_and_saveexec_b64 s[10:11], vcc
	s_xor_b64 s[10:11], exec, s[10:11]
	s_cbranch_execz .LBB212_529
; %bb.191:
	v_bfe_u32 v4, v1, 5, 1
	s_mov_b32 s12, 0x88fffff
	v_add3_u32 v4, v5, v4, s12
	s_mov_b64 s[8:9], exec
	v_lshrrev_b32_e32 v4, 21, v4
                                        ; implicit-def: $vgpr5
	s_or_saveexec_b64 s[10:11], s[10:11]
                                        ; implicit-def: $sgpr12
	s_xor_b64 exec, exec, s[10:11]
	s_cbranch_execnz .LBB212_530
.LBB212_192:
	s_or_b64 exec, exec, s[10:11]
	v_mov_b32_e32 v6, s12
	s_and_saveexec_b64 s[10:11], s[8:9]
.LBB212_193:
	v_lshrrev_b32_e32 v1, 8, v1
	s_movk_i32 s8, 0x80
	v_and_or_b32 v6, v1, s8, v4
.LBB212_194:
	s_or_b64 exec, exec, s[10:11]
.LBB212_195:
	s_or_b64 exec, exec, s[6:7]
	s_mov_b64 s[6:7], 0
	global_store_byte v[2:3], v6, off
.LBB212_196:
	s_and_b64 vcc, exec, s[6:7]
	s_cbranch_vccz .LBB212_206
; %bb.197:
	v_lshlrev_b32_e32 v5, 16, v0
	v_and_b32_e32 v6, 0x7fffffff, v5
	s_mov_b32 s6, 0x43f00000
	v_and_b32_e32 v1, 0xffff, v0
	v_cmp_gt_u32_e32 vcc, s6, v6
                                        ; implicit-def: $vgpr4
	s_and_saveexec_b64 s[6:7], vcc
	s_xor_b64 s[6:7], exec, s[6:7]
	s_cbranch_execz .LBB212_203
; %bb.198:
	s_mov_b32 s8, 0x3c7fffff
	v_cmp_lt_u32_e32 vcc, s8, v6
                                        ; implicit-def: $vgpr4
	s_and_saveexec_b64 s[8:9], vcc
	s_xor_b64 s[8:9], exec, s[8:9]
; %bb.199:
	v_bfe_u32 v4, v1, 4, 1
	s_mov_b32 s10, 0x407ffff
	v_add3_u32 v4, v5, v4, s10
	v_lshrrev_b32_e32 v5, 20, v4
	v_and_b32_e32 v4, 0xff00000, v4
	s_mov_b32 s10, 0x7f00000
	v_mov_b32_e32 v6, 0x7e
	v_cmp_ne_u32_e32 vcc, s10, v4
	v_cndmask_b32_e32 v4, v6, v5, vcc
                                        ; implicit-def: $vgpr5
; %bb.200:
	s_andn2_saveexec_b64 s[8:9], s[8:9]
; %bb.201:
	s_mov_b32 s10, 0x46800000
	v_add_f32_e64 v4, |v5|, s10
; %bb.202:
	s_or_b64 exec, exec, s[8:9]
                                        ; implicit-def: $vgpr6
.LBB212_203:
	s_andn2_saveexec_b64 s[6:7], s[6:7]
; %bb.204:
	s_mov_b32 s8, 0x7f800000
	v_mov_b32_e32 v4, 0x7e
	v_mov_b32_e32 v5, 0x7f
	v_cmp_lt_u32_e32 vcc, s8, v6
	v_cndmask_b32_e32 v4, v4, v5, vcc
; %bb.205:
	s_or_b64 exec, exec, s[6:7]
	v_lshrrev_b32_e32 v1, 8, v1
	s_movk_i32 s6, 0x80
	v_and_or_b32 v1, v1, s6, v4
	global_store_byte v[2:3], v1, off
.LBB212_206:
	s_mov_b64 s[6:7], 0
.LBB212_207:
	s_andn2_b64 vcc, exec, s[6:7]
	s_cbranch_vccnz .LBB212_217
; %bb.208:
	v_lshlrev_b32_e32 v5, 16, v0
	v_and_b32_e32 v6, 0x7fffffff, v5
	s_mov_b32 s6, 0x47800000
	v_and_b32_e32 v1, 0xffff, v0
	v_cmp_gt_u32_e32 vcc, s6, v6
                                        ; implicit-def: $vgpr4
	s_and_saveexec_b64 s[6:7], vcc
	s_xor_b64 s[6:7], exec, s[6:7]
	s_cbranch_execz .LBB212_214
; %bb.209:
	s_mov_b32 s8, 0x387fffff
	v_cmp_lt_u32_e32 vcc, s8, v6
                                        ; implicit-def: $vgpr4
	s_and_saveexec_b64 s[8:9], vcc
	s_xor_b64 s[8:9], exec, s[8:9]
; %bb.210:
	v_bfe_u32 v4, v1, 5, 1
	s_mov_b32 s10, 0x80fffff
	v_add3_u32 v4, v5, v4, s10
	v_lshrrev_b32_e32 v4, 21, v4
                                        ; implicit-def: $vgpr5
; %bb.211:
	s_andn2_saveexec_b64 s[8:9], s[8:9]
; %bb.212:
	s_mov_b32 s10, 0x43000000
	v_add_f32_e64 v4, |v5|, s10
; %bb.213:
	s_or_b64 exec, exec, s[8:9]
                                        ; implicit-def: $vgpr6
.LBB212_214:
	s_andn2_saveexec_b64 s[6:7], s[6:7]
; %bb.215:
	s_mov_b32 s8, 0x7f800000
	v_mov_b32_e32 v4, 0x7c
	v_mov_b32_e32 v5, 0x7f
	v_cmp_lt_u32_e32 vcc, s8, v6
	v_cndmask_b32_e32 v4, v4, v5, vcc
; %bb.216:
	s_or_b64 exec, exec, s[6:7]
	v_lshrrev_b32_e32 v1, 8, v1
	s_movk_i32 s6, 0x80
	v_and_or_b32 v1, v1, s6, v4
	global_store_byte v[2:3], v1, off
.LBB212_217:
	s_mov_b64 s[8:9], 0
	s_mov_b64 s[6:7], -1
.LBB212_218:
	s_andn2_b64 vcc, exec, s[8:9]
	s_cbranch_vccnz .LBB212_226
; %bb.219:
	v_mov_b32_e32 v1, 14
	v_cmp_gt_i16_sdwa s[10:11], v36, v1 src0_sel:BYTE_0 src1_sel:DWORD
	s_mov_b64 s[8:9], -1
	s_and_b64 vcc, exec, s[10:11]
	s_cbranch_vccz .LBB212_223
; %bb.220:
	v_mov_b32_e32 v1, 15
	v_cmp_eq_u16_sdwa s[8:9], v36, v1 src0_sel:BYTE_0 src1_sel:DWORD
	s_mov_b64 s[4:5], -1
	s_and_b64 vcc, exec, s[8:9]
	s_cbranch_vccz .LBB212_222
; %bb.221:
	global_store_short v[2:3], v0, off
	s_mov_b64 s[6:7], -1
	s_mov_b64 s[4:5], 0
.LBB212_222:
	s_mov_b64 s[8:9], 0
.LBB212_223:
	s_and_b64 vcc, exec, s[8:9]
	s_cbranch_vccz .LBB212_226
; %bb.224:
	v_mov_b32_e32 v1, 11
	v_cmp_eq_u16_sdwa s[8:9], v36, v1 src0_sel:BYTE_0 src1_sel:DWORD
	s_mov_b64 s[4:5], -1
	s_and_b64 vcc, exec, s[8:9]
	s_cbranch_vccz .LBB212_226
; %bb.225:
	v_and_b32_e32 v1, 0x7fff, v0
	v_cmp_ne_u16_e32 vcc, 0, v1
	v_cndmask_b32_e64 v1, 0, 1, vcc
	s_mov_b64 s[6:7], -1
	s_mov_b64 s[4:5], 0
	global_store_byte v[2:3], v1, off
.LBB212_226:
	s_mov_b64 s[8:9], 0
.LBB212_227:
	s_and_b64 vcc, exec, s[8:9]
	s_cbranch_vccz .LBB212_266
; %bb.228:
	v_mov_b32_e32 v1, 5
	v_cmp_lt_i16_sdwa s[8:9], v36, v1 src0_sel:BYTE_0 src1_sel:DWORD
	s_mov_b64 s[6:7], -1
	s_and_b64 vcc, exec, s[8:9]
	s_cbranch_vccnz .LBB212_249
; %bb.229:
	v_mov_b32_e32 v1, 8
	v_cmp_lt_i16_sdwa s[8:9], v36, v1 src0_sel:BYTE_0 src1_sel:DWORD
	s_and_b64 vcc, exec, s[8:9]
	s_cbranch_vccnz .LBB212_239
; %bb.230:
	v_mov_b32_e32 v1, 9
	v_cmp_lt_i16_sdwa s[8:9], v36, v1 src0_sel:BYTE_0 src1_sel:DWORD
	s_and_b64 vcc, exec, s[8:9]
	s_cbranch_vccnz .LBB212_236
; %bb.231:
	v_cmp_gt_i16_sdwa s[8:9], v36, v1 src0_sel:BYTE_0 src1_sel:DWORD
	s_and_b64 vcc, exec, s[8:9]
	s_cbranch_vccz .LBB212_233
; %bb.232:
	v_lshlrev_b32_e32 v1, 16, v0
	v_mov_b32_e32 v6, 0
	v_cvt_f64_f32_e32 v[4:5], v1
	v_mov_b32_e32 v7, v6
	global_store_dwordx4 v[2:3], v[4:7], off
	s_mov_b64 s[6:7], 0
.LBB212_233:
	s_andn2_b64 vcc, exec, s[6:7]
	s_cbranch_vccnz .LBB212_235
; %bb.234:
	v_lshlrev_b32_e32 v4, 16, v0
	v_mov_b32_e32 v5, 0
	global_store_dwordx2 v[2:3], v[4:5], off
.LBB212_235:
	s_mov_b64 s[6:7], 0
.LBB212_236:
	s_andn2_b64 vcc, exec, s[6:7]
	s_cbranch_vccnz .LBB212_238
; %bb.237:
	v_lshlrev_b32_e32 v1, 16, v0
	v_cvt_f16_f32_e32 v1, v1
	global_store_dword v[2:3], v1, off
.LBB212_238:
	s_mov_b64 s[6:7], 0
.LBB212_239:
	s_andn2_b64 vcc, exec, s[6:7]
	s_cbranch_vccnz .LBB212_248
; %bb.240:
	v_mov_b32_e32 v1, 6
	v_cmp_lt_i16_sdwa s[8:9], v36, v1 src0_sel:BYTE_0 src1_sel:DWORD
	s_mov_b64 s[6:7], -1
	s_and_b64 vcc, exec, s[8:9]
	s_cbranch_vccnz .LBB212_246
; %bb.241:
	v_cmp_gt_i16_sdwa s[8:9], v36, v1 src0_sel:BYTE_0 src1_sel:DWORD
	s_and_b64 vcc, exec, s[8:9]
	s_cbranch_vccz .LBB212_243
; %bb.242:
	v_lshlrev_b32_e32 v1, 16, v0
	v_cvt_f64_f32_e32 v[4:5], v1
	global_store_dwordx2 v[2:3], v[4:5], off
	s_mov_b64 s[6:7], 0
.LBB212_243:
	s_andn2_b64 vcc, exec, s[6:7]
	s_cbranch_vccnz .LBB212_245
; %bb.244:
	v_lshlrev_b32_e32 v1, 16, v0
	global_store_dword v[2:3], v1, off
.LBB212_245:
	s_mov_b64 s[6:7], 0
.LBB212_246:
	s_andn2_b64 vcc, exec, s[6:7]
	s_cbranch_vccnz .LBB212_248
; %bb.247:
	v_lshlrev_b32_e32 v1, 16, v0
	v_cvt_f16_f32_e32 v1, v1
	global_store_short v[2:3], v1, off
.LBB212_248:
	s_mov_b64 s[6:7], 0
.LBB212_249:
	s_andn2_b64 vcc, exec, s[6:7]
	s_cbranch_vccnz .LBB212_265
; %bb.250:
	v_mov_b32_e32 v1, 2
	v_cmp_lt_i16_sdwa s[8:9], v36, v1 src0_sel:BYTE_0 src1_sel:DWORD
	s_mov_b64 s[6:7], -1
	s_and_b64 vcc, exec, s[8:9]
	s_cbranch_vccnz .LBB212_260
; %bb.251:
	v_mov_b32_e32 v1, 3
	v_cmp_lt_i16_sdwa s[8:9], v36, v1 src0_sel:BYTE_0 src1_sel:DWORD
	s_and_b64 vcc, exec, s[8:9]
	s_cbranch_vccnz .LBB212_257
; %bb.252:
	v_cmp_gt_i16_sdwa s[8:9], v36, v1 src0_sel:BYTE_0 src1_sel:DWORD
	s_and_b64 vcc, exec, s[8:9]
	s_cbranch_vccz .LBB212_254
; %bb.253:
	v_lshlrev_b32_e32 v1, 16, v0
	v_trunc_f32_e32 v1, v1
	s_mov_b32 s6, 0x2f800000
	v_mul_f32_e64 v4, |v1|, s6
	v_floor_f32_e32 v4, v4
	s_mov_b32 s6, 0xcf800000
	v_cvt_u32_f32_e32 v5, v4
	v_fma_f32 v4, v4, s6, |v1|
	v_cvt_u32_f32_e32 v4, v4
	v_ashrrev_i32_e32 v1, 31, v1
	v_xor_b32_e32 v5, v5, v1
	s_mov_b64 s[6:7], 0
	v_xor_b32_e32 v4, v4, v1
	v_sub_co_u32_e32 v4, vcc, v4, v1
	v_subb_co_u32_e32 v5, vcc, v5, v1, vcc
	global_store_dwordx2 v[2:3], v[4:5], off
.LBB212_254:
	s_andn2_b64 vcc, exec, s[6:7]
	s_cbranch_vccnz .LBB212_256
; %bb.255:
	v_lshlrev_b32_e32 v1, 16, v0
	v_cvt_i32_f32_e32 v1, v1
	global_store_dword v[2:3], v1, off
.LBB212_256:
	s_mov_b64 s[6:7], 0
.LBB212_257:
	s_andn2_b64 vcc, exec, s[6:7]
	s_cbranch_vccnz .LBB212_259
; %bb.258:
	v_lshlrev_b32_e32 v1, 16, v0
	v_cvt_i32_f32_e32 v1, v1
	global_store_short v[2:3], v1, off
.LBB212_259:
	s_mov_b64 s[6:7], 0
.LBB212_260:
	s_andn2_b64 vcc, exec, s[6:7]
	s_cbranch_vccnz .LBB212_265
; %bb.261:
	v_mov_b32_e32 v1, 0
	v_cmp_gt_i16_sdwa s[8:9], v36, v1 src0_sel:BYTE_0 src1_sel:DWORD
	s_mov_b64 s[6:7], -1
	s_and_b64 vcc, exec, s[8:9]
	v_lshlrev_b32_e32 v0, 16, v0
	s_cbranch_vccz .LBB212_263
; %bb.262:
	v_cvt_i32_f32_e32 v1, v0
	s_mov_b64 s[6:7], 0
	global_store_byte v[2:3], v1, off
.LBB212_263:
	s_andn2_b64 vcc, exec, s[6:7]
	s_cbranch_vccnz .LBB212_265
; %bb.264:
	v_trunc_f32_e32 v0, v0
	s_mov_b32 s6, 0x2f800000
	v_mul_f32_e64 v1, |v0|, s6
	v_floor_f32_e32 v1, v1
	s_mov_b32 s6, 0xcf800000
	v_fma_f32 v1, v1, s6, |v0|
	v_cvt_u32_f32_e32 v1, v1
	v_ashrrev_i32_e32 v0, 31, v0
	v_xor_b32_e32 v1, v1, v0
	v_sub_u32_e32 v0, v1, v0
	global_store_byte v[2:3], v0, off
.LBB212_265:
	s_mov_b64 s[6:7], -1
.LBB212_266:
	s_andn2_b64 vcc, exec, s[6:7]
	s_cbranch_vccnz .LBB212_379
; %bb.267:
	v_add_u32_e32 v37, 0x80, v37
	s_mov_b64 s[6:7], -1
	s_branch .LBB212_380
.LBB212_268:
	s_mov_b64 s[42:43], -1
                                        ; implicit-def: $vgpr1
.LBB212_269:
	s_mov_b64 s[6:7], 0
.LBB212_270:
	s_and_b64 vcc, exec, s[6:7]
	s_cbranch_vccz .LBB212_274
; %bb.271:
	s_waitcnt vmcnt(0)
	v_mov_b32_e32 v1, 29
	v_cmp_eq_u16_sdwa s[6:7], v38, v1 src0_sel:BYTE_0 src1_sel:DWORD
	s_and_b64 vcc, exec, s[6:7]
	s_cbranch_vccz .LBB212_273
; %bb.272:
	global_load_dwordx2 v[4:5], v[2:3], off
	s_movk_i32 s6, 0x7fff
	s_mov_b64 s[4:5], -1
	s_mov_b64 s[42:43], 0
	s_waitcnt vmcnt(0)
	v_ffbh_u32_e32 v1, v5
	v_min_u32_e32 v1, 32, v1
	v_lshlrev_b64 v[4:5], v1, v[4:5]
	v_min_u32_e32 v4, 1, v4
	v_or_b32_e32 v4, v5, v4
	v_cvt_f32_u32_e32 v4, v4
	v_sub_u32_e32 v1, 32, v1
	v_ldexp_f32 v1, v4, v1
	v_bfe_u32 v4, v1, 16, 1
	v_add3_u32 v1, v1, v4, s6
	v_lshrrev_b32_e32 v1, 16, v1
	s_branch .LBB212_274
.LBB212_273:
	s_mov_b64 s[42:43], -1
                                        ; implicit-def: $vgpr1
.LBB212_274:
	s_mov_b64 s[6:7], 0
.LBB212_275:
	s_and_b64 vcc, exec, s[6:7]
	s_cbranch_vccz .LBB212_293
; %bb.276:
	s_waitcnt vmcnt(0)
	v_mov_b32_e32 v1, 27
	v_cmp_lt_i16_sdwa s[4:5], v38, v1 src0_sel:BYTE_0 src1_sel:DWORD
	s_and_b64 vcc, exec, s[4:5]
	s_cbranch_vccnz .LBB212_279
; %bb.277:
	v_cmp_gt_i16_sdwa s[4:5], v38, v1 src0_sel:BYTE_0 src1_sel:DWORD
	s_and_b64 vcc, exec, s[4:5]
	s_cbranch_vccz .LBB212_280
; %bb.278:
	global_load_dword v1, v[2:3], off
	s_movk_i32 s4, 0x7fff
	s_waitcnt vmcnt(0)
	v_cvt_f32_u32_e32 v1, v1
	v_bfe_u32 v4, v1, 16, 1
	v_add3_u32 v1, v1, v4, s4
	v_lshrrev_b32_e32 v1, 16, v1
	s_mov_b64 s[4:5], 0
	s_branch .LBB212_281
.LBB212_279:
	s_mov_b64 s[4:5], -1
                                        ; implicit-def: $vgpr1
	s_branch .LBB212_284
.LBB212_280:
	s_mov_b64 s[4:5], -1
                                        ; implicit-def: $vgpr1
.LBB212_281:
	s_andn2_b64 vcc, exec, s[4:5]
	s_cbranch_vccnz .LBB212_283
; %bb.282:
	global_load_ushort v1, v[2:3], off
	s_movk_i32 s4, 0x7fff
	s_waitcnt vmcnt(0)
	v_cvt_f32_u32_e32 v1, v1
	v_bfe_u32 v4, v1, 16, 1
	v_add3_u32 v1, v1, v4, s4
	v_lshrrev_b32_e32 v1, 16, v1
.LBB212_283:
	s_mov_b64 s[4:5], 0
.LBB212_284:
	s_andn2_b64 vcc, exec, s[4:5]
	s_cbranch_vccnz .LBB212_292
; %bb.285:
	global_load_ubyte v1, v[2:3], off
	s_movk_i32 s4, 0x7f
                                        ; implicit-def: $sgpr10
	s_waitcnt vmcnt(0)
	v_cmp_lt_i16_e32 vcc, s4, v1
	s_mov_b64 s[4:5], 0
	s_and_saveexec_b64 s[6:7], vcc
	s_xor_b64 s[6:7], exec, s[6:7]
	s_cbranch_execz .LBB212_306
; %bb.286:
	s_movk_i32 s4, 0x80
	v_cmp_eq_u16_e32 vcc, s4, v1
	s_mov_b64 s[4:5], -1
                                        ; implicit-def: $sgpr10
	s_and_saveexec_b64 s[8:9], vcc
; %bb.287:
	s_mov_b32 s10, 0x7f800001
	s_xor_b64 s[4:5], exec, -1
; %bb.288:
	s_or_b64 exec, exec, s[8:9]
	s_and_b64 s[4:5], s[4:5], exec
	s_or_saveexec_b64 s[6:7], s[6:7]
	v_mov_b32_e32 v4, s10
	s_xor_b64 exec, exec, s[6:7]
	s_cbranch_execnz .LBB212_307
.LBB212_289:
	s_or_b64 exec, exec, s[6:7]
	s_and_saveexec_b64 s[6:7], s[4:5]
	s_cbranch_execz .LBB212_291
.LBB212_290:
	v_lshlrev_b32_e32 v4, 24, v1
	v_and_b32_e32 v1, 0xffff, v1
	v_and_b32_e32 v5, 7, v1
	v_ffbh_u32_e32 v7, v5
	v_min_u32_e32 v7, 32, v7
	v_subrev_u32_e32 v8, 28, v7
	v_bfe_u32 v6, v1, 3, 4
	v_lshlrev_b32_e32 v1, v8, v1
	v_sub_u32_e32 v7, 29, v7
	v_and_b32_e32 v1, 7, v1
	v_cmp_eq_u32_e32 vcc, 0, v6
	v_cndmask_b32_e32 v6, v6, v7, vcc
	v_cndmask_b32_e32 v1, v5, v1, vcc
	v_mov_b32_e32 v5, 0x3b800000
	v_lshlrev_b32_e32 v1, 20, v1
	v_and_b32_e32 v4, 0x80000000, v4
	v_lshl_add_u32 v5, v6, 23, v5
	v_or3_b32 v4, v4, v5, v1
.LBB212_291:
	s_or_b64 exec, exec, s[6:7]
	v_bfe_u32 v1, v4, 16, 1
	s_movk_i32 s4, 0x7fff
	v_add3_u32 v1, v4, v1, s4
	v_lshrrev_b32_e32 v1, 16, v1
	v_mov_b32_e32 v5, 0x7fc0
	v_cmp_o_f32_e32 vcc, v4, v4
	v_cndmask_b32_e32 v1, v5, v1, vcc
.LBB212_292:
	s_mov_b64 s[4:5], -1
.LBB212_293:
	s_mov_b64 s[6:7], 0
.LBB212_294:
	s_and_b64 vcc, exec, s[6:7]
	s_cbranch_vccz .LBB212_329
; %bb.295:
	s_waitcnt vmcnt(0)
	v_mov_b32_e32 v1, 22
	v_cmp_gt_i16_sdwa s[6:7], v38, v1 src0_sel:BYTE_0 src1_sel:DWORD
	s_and_b64 vcc, exec, s[6:7]
	s_cbranch_vccz .LBB212_305
; %bb.296:
	v_mov_b32_e32 v1, 24
	v_cmp_lt_i16_sdwa s[4:5], v38, v1 src0_sel:BYTE_0 src1_sel:DWORD
	s_and_b64 vcc, exec, s[4:5]
	s_cbranch_vccnz .LBB212_308
; %bb.297:
	v_cmp_gt_i16_sdwa s[4:5], v38, v1 src0_sel:BYTE_0 src1_sel:DWORD
	s_and_b64 vcc, exec, s[4:5]
	s_cbranch_vccz .LBB212_309
; %bb.298:
	global_load_ubyte v1, v[2:3], off
	s_movk_i32 s4, 0x7f
                                        ; implicit-def: $sgpr10
	s_waitcnt vmcnt(0)
	v_cmp_lt_i16_e32 vcc, s4, v1
	s_mov_b64 s[4:5], 0
	s_and_saveexec_b64 s[6:7], vcc
	s_xor_b64 s[6:7], exec, s[6:7]
	s_cbranch_execz .LBB212_321
; %bb.299:
	s_movk_i32 s4, 0x80
	v_cmp_eq_u16_e32 vcc, s4, v1
	s_mov_b64 s[4:5], -1
                                        ; implicit-def: $sgpr10
	s_and_saveexec_b64 s[8:9], vcc
; %bb.300:
	s_mov_b32 s10, 0x7f800001
	s_xor_b64 s[4:5], exec, -1
; %bb.301:
	s_or_b64 exec, exec, s[8:9]
	s_and_b64 s[4:5], s[4:5], exec
	s_or_saveexec_b64 s[6:7], s[6:7]
	v_mov_b32_e32 v4, s10
	s_xor_b64 exec, exec, s[6:7]
	s_cbranch_execnz .LBB212_322
.LBB212_302:
	s_or_b64 exec, exec, s[6:7]
	s_and_saveexec_b64 s[6:7], s[4:5]
	s_cbranch_execz .LBB212_304
.LBB212_303:
	v_lshlrev_b32_e32 v4, 24, v1
	v_and_b32_e32 v1, 0xffff, v1
	v_and_b32_e32 v5, 3, v1
	v_ffbh_u32_e32 v7, v5
	v_min_u32_e32 v7, 32, v7
	v_subrev_u32_e32 v8, 29, v7
	v_bfe_u32 v6, v1, 2, 5
	v_lshlrev_b32_e32 v1, v8, v1
	v_sub_u32_e32 v7, 30, v7
	v_and_b32_e32 v1, 3, v1
	v_cmp_eq_u32_e32 vcc, 0, v6
	v_cndmask_b32_e32 v6, v6, v7, vcc
	v_cndmask_b32_e32 v1, v5, v1, vcc
	v_mov_b32_e32 v5, 0x37800000
	v_lshlrev_b32_e32 v1, 21, v1
	v_and_b32_e32 v4, 0x80000000, v4
	v_lshl_add_u32 v5, v6, 23, v5
	v_or3_b32 v4, v4, v5, v1
.LBB212_304:
	s_or_b64 exec, exec, s[6:7]
	v_bfe_u32 v1, v4, 16, 1
	s_movk_i32 s4, 0x7fff
	v_add3_u32 v1, v4, v1, s4
	v_lshrrev_b32_e32 v1, 16, v1
	v_mov_b32_e32 v5, 0x7fc0
	v_cmp_o_f32_e32 vcc, v4, v4
	v_cndmask_b32_e32 v1, v5, v1, vcc
	s_mov_b64 s[4:5], 0
	s_branch .LBB212_310
.LBB212_305:
	s_mov_b64 s[6:7], -1
                                        ; implicit-def: $vgpr1
	s_branch .LBB212_316
.LBB212_306:
	s_or_saveexec_b64 s[6:7], s[6:7]
	v_mov_b32_e32 v4, s10
	s_xor_b64 exec, exec, s[6:7]
	s_cbranch_execz .LBB212_289
.LBB212_307:
	v_cmp_ne_u16_e32 vcc, 0, v1
	s_andn2_b64 s[4:5], s[4:5], exec
	s_and_b64 s[8:9], vcc, exec
	v_mov_b32_e32 v4, 0
	s_or_b64 s[4:5], s[4:5], s[8:9]
	s_or_b64 exec, exec, s[6:7]
	s_and_saveexec_b64 s[6:7], s[4:5]
	s_cbranch_execnz .LBB212_290
	s_branch .LBB212_291
.LBB212_308:
	s_mov_b64 s[4:5], -1
                                        ; implicit-def: $vgpr1
	s_branch .LBB212_313
.LBB212_309:
	s_mov_b64 s[4:5], -1
                                        ; implicit-def: $vgpr1
.LBB212_310:
	s_and_b64 vcc, exec, s[4:5]
	s_cbranch_vccz .LBB212_312
; %bb.311:
	global_load_ubyte v1, v[2:3], off
	s_mov_b32 s4, 0x7f800000
	s_brev_b32 s5, 1
	s_movk_i32 s6, 0x7fff
	v_mov_b32_e32 v4, 0x7fc0
	s_waitcnt vmcnt(0)
	v_lshlrev_b32_e32 v1, 24, v1
	v_and_b32_e32 v5, 0x7f000000, v1
	v_ffbh_u32_e32 v6, v5
	v_min_u32_e32 v6, 32, v6
	v_sub_u32_e64 v6, v6, 4 clamp
	v_lshlrev_b32_e32 v8, v6, v5
	v_lshlrev_b32_e32 v6, 23, v6
	v_lshrrev_b32_e32 v8, 4, v8
	v_add_u32_e32 v7, 0x1000000, v5
	v_sub_u32_e32 v6, v8, v6
	v_ashrrev_i32_e32 v7, 8, v7
	v_add_u32_e32 v6, 0x3c000000, v6
	v_and_or_b32 v6, v7, s4, v6
	v_cmp_ne_u32_e32 vcc, 0, v5
	v_cndmask_b32_e32 v5, 0, v6, vcc
	v_and_or_b32 v1, v1, s5, v5
	v_bfe_u32 v5, v5, 16, 1
	v_add3_u32 v5, v1, v5, s6
	v_lshrrev_b32_e32 v5, 16, v5
	v_cmp_o_f32_e32 vcc, v1, v1
	v_cndmask_b32_e32 v1, v4, v5, vcc
.LBB212_312:
	s_mov_b64 s[4:5], 0
.LBB212_313:
	s_andn2_b64 vcc, exec, s[4:5]
	s_cbranch_vccnz .LBB212_315
; %bb.314:
	global_load_ubyte v1, v[2:3], off
	s_movk_i32 s4, 0x7f00
	s_brev_b32 s5, 16
	s_brev_b32 s6, 1
	s_movk_i32 s7, 0x7fff
	v_mov_b32_e32 v4, 0x7fc0
	s_waitcnt vmcnt(0)
	v_lshlrev_b16_e32 v5, 8, v1
	v_lshlrev_b32_e32 v1, 25, v1
	v_lshrrev_b32_e32 v6, 4, v1
	v_and_or_b32 v7, v5, s4, 0.5
	v_or_b32_e32 v6, 0x70000000, v6
	v_add_f32_e32 v7, -0.5, v7
	v_mul_f32_e32 v6, 0x7800000, v6
	v_cmp_gt_u32_e32 vcc, s5, v1
	v_bfe_i32 v5, v5, 0, 16
	v_cndmask_b32_e32 v1, v6, v7, vcc
	v_and_or_b32 v5, v5, s6, v1
	v_bfe_u32 v1, v1, 16, 1
	v_add3_u32 v1, v5, v1, s7
	v_lshrrev_b32_e32 v1, 16, v1
	v_cmp_o_f32_e32 vcc, v5, v5
	v_cndmask_b32_e32 v1, v4, v1, vcc
.LBB212_315:
	s_mov_b64 s[6:7], 0
	s_mov_b64 s[4:5], -1
.LBB212_316:
	s_andn2_b64 vcc, exec, s[6:7]
	s_cbranch_vccnz .LBB212_329
; %bb.317:
	v_mov_b32_e32 v1, 14
	v_cmp_gt_i16_sdwa s[6:7], v38, v1 src0_sel:BYTE_0 src1_sel:DWORD
	s_and_b64 vcc, exec, s[6:7]
	s_cbranch_vccz .LBB212_320
; %bb.318:
	v_mov_b32_e32 v1, 15
	v_cmp_eq_u16_sdwa s[6:7], v38, v1 src0_sel:BYTE_0 src1_sel:DWORD
	s_and_b64 vcc, exec, s[6:7]
	s_cbranch_vccz .LBB212_323
; %bb.319:
	global_load_ushort v1, v[2:3], off
	s_mov_b64 s[4:5], -1
	s_mov_b64 s[42:43], 0
	s_branch .LBB212_324
.LBB212_320:
	s_mov_b64 s[6:7], -1
                                        ; implicit-def: $vgpr1
	s_branch .LBB212_325
.LBB212_321:
	s_or_saveexec_b64 s[6:7], s[6:7]
	v_mov_b32_e32 v4, s10
	s_xor_b64 exec, exec, s[6:7]
	s_cbranch_execz .LBB212_302
.LBB212_322:
	v_cmp_ne_u16_e32 vcc, 0, v1
	s_andn2_b64 s[4:5], s[4:5], exec
	s_and_b64 s[8:9], vcc, exec
	v_mov_b32_e32 v4, 0
	s_or_b64 s[4:5], s[4:5], s[8:9]
	s_or_b64 exec, exec, s[6:7]
	s_and_saveexec_b64 s[6:7], s[4:5]
	s_cbranch_execnz .LBB212_303
	s_branch .LBB212_304
.LBB212_323:
	s_mov_b64 s[42:43], -1
                                        ; implicit-def: $vgpr1
.LBB212_324:
	s_mov_b64 s[6:7], 0
.LBB212_325:
	s_and_b64 vcc, exec, s[6:7]
	s_cbranch_vccz .LBB212_329
; %bb.326:
	s_waitcnt vmcnt(0)
	v_mov_b32_e32 v1, 11
	v_cmp_eq_u16_sdwa s[6:7], v38, v1 src0_sel:BYTE_0 src1_sel:DWORD
	s_and_b64 vcc, exec, s[6:7]
	s_cbranch_vccz .LBB212_328
; %bb.327:
	global_load_ubyte v1, v[2:3], off
	s_mov_b64 s[4:5], -1
	s_mov_b64 s[42:43], 0
	s_waitcnt vmcnt(0)
	v_cmp_ne_u16_e32 vcc, 0, v1
	v_cndmask_b32_e64 v1, 0, 1.0, vcc
	v_lshrrev_b32_e32 v1, 16, v1
	s_branch .LBB212_329
.LBB212_328:
	s_mov_b64 s[42:43], -1
                                        ; implicit-def: $vgpr1
.LBB212_329:
	s_branch .LBB212_136
.LBB212_330:
	s_waitcnt vmcnt(0)
	v_mov_b32_e32 v1, 5
	v_cmp_lt_i16_sdwa s[4:5], v38, v1 src0_sel:BYTE_0 src1_sel:DWORD
	s_and_b64 vcc, exec, s[4:5]
	s_cbranch_vccnz .LBB212_335
; %bb.331:
	v_mov_b32_e32 v1, 8
	v_cmp_lt_i16_sdwa s[4:5], v38, v1 src0_sel:BYTE_0 src1_sel:DWORD
	s_and_b64 vcc, exec, s[4:5]
	s_cbranch_vccnz .LBB212_336
; %bb.332:
	;; [unrolled: 5-line block ×3, first 2 shown]
	v_cmp_gt_i16_sdwa s[4:5], v38, v1 src0_sel:BYTE_0 src1_sel:DWORD
	s_and_b64 vcc, exec, s[4:5]
	s_cbranch_vccz .LBB212_338
; %bb.334:
	global_load_dwordx2 v[4:5], v[2:3], off
	s_movk_i32 s4, 0x7fff
	v_mov_b32_e32 v1, 0x7fc0
	s_waitcnt vmcnt(0)
	v_cvt_f32_f64_e32 v4, v[4:5]
	v_bfe_u32 v5, v4, 16, 1
	v_add3_u32 v5, v4, v5, s4
	v_lshrrev_b32_e32 v5, 16, v5
	v_cmp_o_f32_e32 vcc, v4, v4
	v_cndmask_b32_e32 v1, v1, v5, vcc
	s_mov_b64 s[4:5], 0
	s_branch .LBB212_339
.LBB212_335:
	s_mov_b64 s[4:5], -1
                                        ; implicit-def: $vgpr1
	s_branch .LBB212_357
.LBB212_336:
	s_mov_b64 s[4:5], -1
                                        ; implicit-def: $vgpr1
	s_branch .LBB212_345
.LBB212_337:
	s_mov_b64 s[4:5], -1
                                        ; implicit-def: $vgpr1
	s_branch .LBB212_342
.LBB212_338:
	s_mov_b64 s[4:5], -1
                                        ; implicit-def: $vgpr1
.LBB212_339:
	s_andn2_b64 vcc, exec, s[4:5]
	s_cbranch_vccnz .LBB212_341
; %bb.340:
	global_load_dword v1, v[2:3], off
	s_movk_i32 s4, 0x7fff
	v_mov_b32_e32 v4, 0x7fc0
	s_waitcnt vmcnt(0)
	v_bfe_u32 v5, v1, 16, 1
	v_add3_u32 v5, v1, v5, s4
	v_lshrrev_b32_e32 v5, 16, v5
	v_cmp_o_f32_e32 vcc, v1, v1
	v_cndmask_b32_e32 v1, v4, v5, vcc
.LBB212_341:
	s_mov_b64 s[4:5], 0
.LBB212_342:
	s_andn2_b64 vcc, exec, s[4:5]
	s_cbranch_vccnz .LBB212_344
; %bb.343:
	global_load_dword v1, v[2:3], off
	s_movk_i32 s4, 0x7fff
	v_mov_b32_e32 v5, 0x7fc0
	s_waitcnt vmcnt(0)
	v_cvt_f32_f16_e32 v4, v1
	v_cmp_o_f16_e32 vcc, v1, v1
	v_bfe_u32 v6, v4, 16, 1
	v_add3_u32 v4, v4, v6, s4
	v_lshrrev_b32_e32 v4, 16, v4
	v_cndmask_b32_e32 v1, v5, v4, vcc
.LBB212_344:
	s_mov_b64 s[4:5], 0
.LBB212_345:
	s_andn2_b64 vcc, exec, s[4:5]
	s_cbranch_vccnz .LBB212_356
; %bb.346:
	v_mov_b32_e32 v1, 6
	v_cmp_lt_i16_sdwa s[4:5], v38, v1 src0_sel:BYTE_0 src1_sel:DWORD
	s_and_b64 vcc, exec, s[4:5]
	s_cbranch_vccnz .LBB212_349
; %bb.347:
	v_cmp_gt_i16_sdwa s[4:5], v38, v1 src0_sel:BYTE_0 src1_sel:DWORD
	s_and_b64 vcc, exec, s[4:5]
	s_cbranch_vccz .LBB212_350
; %bb.348:
	global_load_dwordx2 v[4:5], v[2:3], off
	s_movk_i32 s4, 0x7fff
	v_mov_b32_e32 v1, 0x7fc0
	s_waitcnt vmcnt(0)
	v_cvt_f32_f64_e32 v4, v[4:5]
	v_bfe_u32 v5, v4, 16, 1
	v_add3_u32 v5, v4, v5, s4
	v_lshrrev_b32_e32 v5, 16, v5
	v_cmp_o_f32_e32 vcc, v4, v4
	v_cndmask_b32_e32 v1, v1, v5, vcc
	s_mov_b64 s[4:5], 0
	s_branch .LBB212_351
.LBB212_349:
	s_mov_b64 s[4:5], -1
                                        ; implicit-def: $vgpr1
	s_branch .LBB212_354
.LBB212_350:
	s_mov_b64 s[4:5], -1
                                        ; implicit-def: $vgpr1
.LBB212_351:
	s_andn2_b64 vcc, exec, s[4:5]
	s_cbranch_vccnz .LBB212_353
; %bb.352:
	global_load_dword v1, v[2:3], off
	s_movk_i32 s4, 0x7fff
	v_mov_b32_e32 v4, 0x7fc0
	s_waitcnt vmcnt(0)
	v_bfe_u32 v5, v1, 16, 1
	v_add3_u32 v5, v1, v5, s4
	v_lshrrev_b32_e32 v5, 16, v5
	v_cmp_o_f32_e32 vcc, v1, v1
	v_cndmask_b32_e32 v1, v4, v5, vcc
.LBB212_353:
	s_mov_b64 s[4:5], 0
.LBB212_354:
	s_andn2_b64 vcc, exec, s[4:5]
	s_cbranch_vccnz .LBB212_356
; %bb.355:
	global_load_ushort v1, v[2:3], off
	s_movk_i32 s4, 0x7fff
	v_mov_b32_e32 v5, 0x7fc0
	s_waitcnt vmcnt(0)
	v_cvt_f32_f16_e32 v4, v1
	v_cmp_o_f16_e32 vcc, v1, v1
	v_bfe_u32 v6, v4, 16, 1
	v_add3_u32 v4, v4, v6, s4
	v_lshrrev_b32_e32 v4, 16, v4
	v_cndmask_b32_e32 v1, v5, v4, vcc
.LBB212_356:
	s_mov_b64 s[4:5], 0
.LBB212_357:
	s_andn2_b64 vcc, exec, s[4:5]
	s_cbranch_vccnz .LBB212_377
; %bb.358:
	v_mov_b32_e32 v1, 2
	v_cmp_lt_i16_sdwa s[4:5], v38, v1 src0_sel:BYTE_0 src1_sel:DWORD
	s_and_b64 vcc, exec, s[4:5]
	s_cbranch_vccnz .LBB212_362
; %bb.359:
	v_mov_b32_e32 v1, 3
	v_cmp_lt_i16_sdwa s[4:5], v38, v1 src0_sel:BYTE_0 src1_sel:DWORD
	s_and_b64 vcc, exec, s[4:5]
	s_cbranch_vccnz .LBB212_363
; %bb.360:
	v_cmp_gt_i16_sdwa s[4:5], v38, v1 src0_sel:BYTE_0 src1_sel:DWORD
	s_and_b64 vcc, exec, s[4:5]
	s_cbranch_vccz .LBB212_364
; %bb.361:
	global_load_dwordx2 v[4:5], v[2:3], off
	s_movk_i32 s4, 0x7fff
	s_waitcnt vmcnt(0)
	v_xor_b32_e32 v6, v4, v5
	v_ffbh_i32_e32 v1, v5
	v_ashrrev_i32_e32 v6, 31, v6
	v_add_u32_e32 v1, -1, v1
	v_add_u32_e32 v6, 32, v6
	v_min_u32_e32 v1, v1, v6
	v_lshlrev_b64 v[4:5], v1, v[4:5]
	v_min_u32_e32 v4, 1, v4
	v_or_b32_e32 v4, v5, v4
	v_cvt_f32_i32_e32 v4, v4
	v_sub_u32_e32 v1, 32, v1
	v_ldexp_f32 v1, v4, v1
	v_bfe_u32 v4, v1, 16, 1
	v_add3_u32 v1, v1, v4, s4
	v_lshrrev_b32_e32 v1, 16, v1
	s_mov_b64 s[4:5], 0
	s_branch .LBB212_365
.LBB212_362:
	s_mov_b64 s[4:5], -1
                                        ; implicit-def: $vgpr1
	s_branch .LBB212_371
.LBB212_363:
	s_mov_b64 s[4:5], -1
                                        ; implicit-def: $vgpr1
	s_branch .LBB212_368
.LBB212_364:
	s_mov_b64 s[4:5], -1
                                        ; implicit-def: $vgpr1
.LBB212_365:
	s_andn2_b64 vcc, exec, s[4:5]
	s_cbranch_vccnz .LBB212_367
; %bb.366:
	global_load_dword v1, v[2:3], off
	s_movk_i32 s4, 0x7fff
	s_waitcnt vmcnt(0)
	v_cvt_f32_i32_e32 v1, v1
	v_bfe_u32 v4, v1, 16, 1
	v_add3_u32 v1, v1, v4, s4
	v_lshrrev_b32_e32 v1, 16, v1
.LBB212_367:
	s_mov_b64 s[4:5], 0
.LBB212_368:
	s_andn2_b64 vcc, exec, s[4:5]
	s_cbranch_vccnz .LBB212_370
; %bb.369:
	global_load_sshort v1, v[2:3], off
	s_movk_i32 s4, 0x7fff
	s_waitcnt vmcnt(0)
	v_cvt_f32_i32_e32 v1, v1
	v_bfe_u32 v4, v1, 16, 1
	v_add3_u32 v1, v1, v4, s4
	v_lshrrev_b32_e32 v1, 16, v1
.LBB212_370:
	s_mov_b64 s[4:5], 0
.LBB212_371:
	s_andn2_b64 vcc, exec, s[4:5]
	s_cbranch_vccnz .LBB212_377
; %bb.372:
	v_mov_b32_e32 v1, 0
	v_cmp_gt_i16_sdwa s[4:5], v38, v1 src0_sel:BYTE_0 src1_sel:DWORD
	s_and_b64 vcc, exec, s[4:5]
	s_cbranch_vccz .LBB212_374
; %bb.373:
	global_load_sbyte v1, v[2:3], off
	s_movk_i32 s4, 0x7fff
	s_waitcnt vmcnt(0)
	v_cvt_f32_i32_e32 v1, v1
	v_bfe_u32 v4, v1, 16, 1
	v_add3_u32 v1, v1, v4, s4
	v_lshrrev_b32_e32 v1, 16, v1
	s_mov_b64 s[4:5], 0
	s_branch .LBB212_375
.LBB212_374:
	s_mov_b64 s[4:5], -1
                                        ; implicit-def: $vgpr1
.LBB212_375:
	s_andn2_b64 vcc, exec, s[4:5]
	s_cbranch_vccnz .LBB212_377
; %bb.376:
	global_load_ubyte v1, v[2:3], off
	s_movk_i32 s4, 0x7fff
	s_waitcnt vmcnt(0)
	v_cvt_f32_ubyte0_e32 v1, v1
	v_bfe_u32 v2, v1, 16, 1
	v_add3_u32 v1, v1, v2, s4
	v_lshrrev_b32_e32 v1, 16, v1
.LBB212_377:
	s_branch .LBB212_137
.LBB212_378:
	s_mov_b64 s[4:5], 0
.LBB212_379:
	s_mov_b64 s[6:7], 0
                                        ; implicit-def: $vgpr37
.LBB212_380:
	s_and_b64 s[40:41], s[4:5], exec
	s_and_b64 s[42:43], s[42:43], exec
	;; [unrolled: 1-line block ×3, first 2 shown]
	s_orn2_b64 s[4:5], s[6:7], exec
.LBB212_381:
	s_or_b64 exec, exec, s[46:47]
	s_mov_b64 s[8:9], 0
	s_mov_b64 s[6:7], 0
                                        ; implicit-def: $vgpr1
                                        ; implicit-def: $vgpr2_vgpr3
                                        ; implicit-def: $vgpr0
	s_and_saveexec_b64 s[46:47], s[4:5]
	s_cbranch_execz .LBB212_390
; %bb.382:
	v_cmp_gt_i32_e32 vcc, s33, v37
	s_mov_b64 s[4:5], -1
	s_mov_b64 s[48:49], s[44:45]
	s_mov_b64 s[50:51], s[42:43]
	;; [unrolled: 1-line block ×3, first 2 shown]
	s_and_saveexec_b64 s[54:55], vcc
	s_cbranch_execz .LBB212_771
; %bb.383:
	s_waitcnt vmcnt(0)
	v_mul_lo_u32 v0, v37, s37
	v_ashrrev_i32_e32 v1, 31, v0
	v_mov_b32_e32 v3, s27
	v_add_co_u32_e32 v2, vcc, s26, v0
	v_mov_b32_e32 v0, 11
	v_addc_co_u32_e32 v3, vcc, v3, v1, vcc
	v_cmp_lt_i16_sdwa s[4:5], v35, v0 src0_sel:BYTE_0 src1_sel:DWORD
	s_and_b64 vcc, exec, s[4:5]
	s_cbranch_vccnz .LBB212_393
; %bb.384:
	v_mov_b32_e32 v0, 25
	v_cmp_gt_i16_sdwa s[4:5], v35, v0 src0_sel:BYTE_0 src1_sel:DWORD
	s_and_b64 vcc, exec, s[4:5]
	s_cbranch_vccz .LBB212_402
; %bb.385:
	v_mov_b32_e32 v0, 28
	v_cmp_gt_i16_sdwa s[4:5], v35, v0 src0_sel:BYTE_0 src1_sel:DWORD
	s_and_b64 vcc, exec, s[4:5]
	s_cbranch_vccz .LBB212_404
	;; [unrolled: 5-line block ×4, first 2 shown]
; %bb.388:
	v_mov_b32_e32 v0, 46
	v_cmp_eq_u16_sdwa s[4:5], v35, v0 src0_sel:BYTE_0 src1_sel:DWORD
	s_and_b64 vcc, exec, s[4:5]
	s_cbranch_vccz .LBB212_412
; %bb.389:
	global_load_dword v0, v[2:3], off
	s_mov_b64 s[4:5], -1
	s_mov_b64 s[48:49], 0
	s_branch .LBB212_413
.LBB212_390:
	s_or_b64 exec, exec, s[46:47]
	s_mov_b64 s[46:47], 0
	s_and_saveexec_b64 s[4:5], s[44:45]
	s_cbranch_execnz .LBB212_1246
.LBB212_391:
	s_or_b64 exec, exec, s[4:5]
	s_and_saveexec_b64 s[4:5], s[50:51]
	s_xor_b64 s[4:5], exec, s[4:5]
	s_cbranch_execz .LBB212_1247
.LBB212_392:
	global_load_ubyte v0, v[2:3], off
	s_or_b64 s[6:7], s[6:7], exec
	s_waitcnt vmcnt(0)
	v_cmp_ne_u16_e32 vcc, 0, v0
	v_cndmask_b32_e64 v0, 0, 1.0, vcc
	v_lshrrev_b32_e32 v0, 16, v0
	s_or_b64 exec, exec, s[4:5]
	s_and_saveexec_b64 s[4:5], s[8:9]
	s_cbranch_execz .LBB212_1293
	s_branch .LBB212_1248
.LBB212_393:
	s_mov_b64 s[4:5], 0
                                        ; implicit-def: $vgpr0
	s_mov_b64 s[48:49], s[44:45]
	s_cbranch_execnz .LBB212_479
.LBB212_394:
	s_andn2_b64 vcc, exec, s[4:5]
	s_cbranch_vccnz .LBB212_527
.LBB212_395:
	v_mul_lo_u32 v1, v37, s38
	v_ashrrev_i32_e32 v3, 31, v1
	v_mov_b32_e32 v4, s23
	v_add_co_u32_e32 v2, vcc, s22, v1
	v_mov_b32_e32 v1, 11
	v_addc_co_u32_e32 v3, vcc, v4, v3, vcc
	v_cmp_lt_i16_sdwa s[4:5], v38, v1 src0_sel:BYTE_0 src1_sel:DWORD
	s_and_b64 vcc, exec, s[4:5]
	s_cbranch_vccnz .LBB212_403
; %bb.396:
	v_mov_b32_e32 v1, 25
	v_cmp_gt_i16_sdwa s[4:5], v38, v1 src0_sel:BYTE_0 src1_sel:DWORD
	s_and_b64 vcc, exec, s[4:5]
	s_cbranch_vccz .LBB212_405
; %bb.397:
	v_mov_b32_e32 v1, 28
	v_cmp_gt_i16_sdwa s[4:5], v38, v1 src0_sel:BYTE_0 src1_sel:DWORD
	s_and_b64 vcc, exec, s[4:5]
	s_cbranch_vccz .LBB212_407
	;; [unrolled: 5-line block ×4, first 2 shown]
; %bb.400:
	v_mov_b32_e32 v1, 46
	v_cmp_eq_u16_sdwa s[4:5], v38, v1 src0_sel:BYTE_0 src1_sel:DWORD
	s_mov_b64 s[6:7], 0
	s_and_b64 vcc, exec, s[4:5]
	s_cbranch_vccz .LBB212_531
; %bb.401:
	global_load_dword v1, v[2:3], off
	s_mov_b64 s[4:5], -1
	s_mov_b64 s[50:51], 0
	s_branch .LBB212_532
.LBB212_402:
	s_mov_b64 s[6:7], -1
	s_mov_b64 s[4:5], 0
	s_mov_b64 s[48:49], s[44:45]
                                        ; implicit-def: $vgpr0
	s_branch .LBB212_443
.LBB212_403:
	s_mov_b64 s[6:7], -1
	s_mov_b64 s[4:5], 0
                                        ; implicit-def: $vgpr1
	s_mov_b64 s[50:51], s[42:43]
	s_branch .LBB212_597
.LBB212_404:
	s_mov_b64 s[6:7], -1
	s_mov_b64 s[4:5], 0
	s_mov_b64 s[48:49], s[44:45]
                                        ; implicit-def: $vgpr0
	s_branch .LBB212_424
.LBB212_405:
	s_mov_b64 s[6:7], -1
	s_mov_b64 s[4:5], 0
	s_mov_b64 s[50:51], s[42:43]
                                        ; implicit-def: $vgpr1
	s_branch .LBB212_561
.LBB212_406:
	s_mov_b64 s[6:7], -1
	s_mov_b64 s[4:5], 0
	s_mov_b64 s[48:49], s[44:45]
                                        ; implicit-def: $vgpr0
	s_branch .LBB212_419
.LBB212_407:
	s_mov_b64 s[6:7], -1
	s_mov_b64 s[4:5], 0
	s_mov_b64 s[50:51], s[42:43]
                                        ; implicit-def: $vgpr1
	s_branch .LBB212_542
.LBB212_408:
	s_mov_b64 s[6:7], -1
	s_mov_b64 s[4:5], 0
	s_mov_b64 s[48:49], s[44:45]
                                        ; implicit-def: $vgpr0
	s_branch .LBB212_413
.LBB212_409:
	s_mov_b64 s[6:7], -1
	s_mov_b64 s[4:5], 0
	s_mov_b64 s[50:51], s[42:43]
                                        ; implicit-def: $vgpr1
	s_branch .LBB212_537
.LBB212_410:
	s_or_saveexec_b64 s[10:11], s[10:11]
                                        ; implicit-def: $sgpr12
	s_xor_b64 exec, exec, s[10:11]
	s_cbranch_execz .LBB212_179
.LBB212_411:
	s_mov_b32 s12, 0x46000000
	v_add_f32_e64 v4, |v5|, s12
	v_and_b32_e32 v4, 0xff, v4
	v_cmp_ne_u32_e32 vcc, 0, v4
	s_andn2_b64 s[8:9], s[8:9], exec
	s_and_b64 s[14:15], vcc, exec
	s_mov_b32 s12, 0
	s_or_b64 s[8:9], s[8:9], s[14:15]
	s_or_b64 exec, exec, s[10:11]
	v_mov_b32_e32 v6, s12
	s_and_saveexec_b64 s[10:11], s[8:9]
	s_cbranch_execnz .LBB212_180
	s_branch .LBB212_181
.LBB212_412:
	s_mov_b64 s[48:49], -1
                                        ; implicit-def: $vgpr0
	s_mov_b64 s[4:5], 0
.LBB212_413:
	s_and_b64 vcc, exec, s[6:7]
	s_cbranch_vccz .LBB212_418
; %bb.414:
	s_waitcnt vmcnt(0)
	v_mov_b32_e32 v0, 44
	v_cmp_eq_u16_sdwa s[6:7], v35, v0 src0_sel:BYTE_0 src1_sel:DWORD
	s_and_b64 vcc, exec, s[6:7]
	s_cbranch_vccz .LBB212_417
; %bb.415:
	global_load_ubyte v0, v[2:3], off
	s_movk_i32 s6, 0xff
	v_mov_b32_e32 v1, 0x7f800001
	v_mov_b32_e32 v4, 0x400000
	;; [unrolled: 1-line block ×3, first 2 shown]
	s_mov_b64 s[4:5], -1
	s_mov_b64 s[48:49], 0
	s_waitcnt vmcnt(0)
	v_lshlrev_b32_e32 v6, 23, v0
	v_cmp_ne_u32_e32 vcc, s6, v0
	v_cndmask_b32_e32 v1, v1, v6, vcc
	v_cmp_ne_u32_e32 vcc, 0, v0
	v_cndmask_b32_e32 v0, v4, v1, vcc
	v_add_u32_e32 v1, 0x7fff, v0
	v_lshrrev_b32_e32 v1, 16, v1
	v_cmp_o_f32_e32 vcc, v0, v0
	v_cndmask_b32_e32 v0, v5, v1, vcc
	s_branch .LBB212_418
.LBB212_416:
	s_mov_b64 s[6:7], -1
	s_mov_b64 s[4:5], 0
	s_mov_b64 s[50:51], s[42:43]
                                        ; implicit-def: $vgpr1
	s_branch .LBB212_532
.LBB212_417:
	s_mov_b64 s[48:49], -1
                                        ; implicit-def: $vgpr0
.LBB212_418:
	s_mov_b64 s[6:7], 0
.LBB212_419:
	s_and_b64 vcc, exec, s[6:7]
	s_cbranch_vccz .LBB212_423
; %bb.420:
	s_waitcnt vmcnt(0)
	v_mov_b32_e32 v0, 29
	v_cmp_eq_u16_sdwa s[6:7], v35, v0 src0_sel:BYTE_0 src1_sel:DWORD
	s_and_b64 vcc, exec, s[6:7]
	s_cbranch_vccz .LBB212_422
; %bb.421:
	global_load_dwordx2 v[0:1], v[2:3], off
	s_movk_i32 s6, 0x7fff
	s_mov_b64 s[4:5], -1
	s_mov_b64 s[48:49], 0
	s_waitcnt vmcnt(0)
	v_ffbh_u32_e32 v4, v1
	v_min_u32_e32 v4, 32, v4
	v_lshlrev_b64 v[0:1], v4, v[0:1]
	v_min_u32_e32 v0, 1, v0
	v_or_b32_e32 v0, v1, v0
	v_cvt_f32_u32_e32 v0, v0
	v_sub_u32_e32 v1, 32, v4
	v_ldexp_f32 v0, v0, v1
	v_bfe_u32 v1, v0, 16, 1
	v_add3_u32 v0, v0, v1, s6
	v_lshrrev_b32_e32 v0, 16, v0
	s_branch .LBB212_423
.LBB212_422:
	s_mov_b64 s[48:49], -1
                                        ; implicit-def: $vgpr0
.LBB212_423:
	s_mov_b64 s[6:7], 0
.LBB212_424:
	s_and_b64 vcc, exec, s[6:7]
	s_cbranch_vccz .LBB212_442
; %bb.425:
	s_waitcnt vmcnt(0)
	v_mov_b32_e32 v0, 27
	v_cmp_lt_i16_sdwa s[4:5], v35, v0 src0_sel:BYTE_0 src1_sel:DWORD
	s_and_b64 vcc, exec, s[4:5]
	s_cbranch_vccnz .LBB212_428
; %bb.426:
	v_cmp_gt_i16_sdwa s[4:5], v35, v0 src0_sel:BYTE_0 src1_sel:DWORD
	s_and_b64 vcc, exec, s[4:5]
	s_cbranch_vccz .LBB212_429
; %bb.427:
	global_load_dword v0, v[2:3], off
	s_movk_i32 s4, 0x7fff
	s_waitcnt vmcnt(0)
	v_cvt_f32_u32_e32 v0, v0
	v_bfe_u32 v1, v0, 16, 1
	v_add3_u32 v0, v0, v1, s4
	v_lshrrev_b32_e32 v0, 16, v0
	s_mov_b64 s[4:5], 0
	s_branch .LBB212_430
.LBB212_428:
	s_mov_b64 s[4:5], -1
                                        ; implicit-def: $vgpr0
	s_branch .LBB212_433
.LBB212_429:
	s_mov_b64 s[4:5], -1
                                        ; implicit-def: $vgpr0
.LBB212_430:
	s_andn2_b64 vcc, exec, s[4:5]
	s_cbranch_vccnz .LBB212_432
; %bb.431:
	global_load_ushort v0, v[2:3], off
	s_movk_i32 s4, 0x7fff
	s_waitcnt vmcnt(0)
	v_cvt_f32_u32_e32 v0, v0
	v_bfe_u32 v1, v0, 16, 1
	v_add3_u32 v0, v0, v1, s4
	v_lshrrev_b32_e32 v0, 16, v0
.LBB212_432:
	s_mov_b64 s[4:5], 0
.LBB212_433:
	s_andn2_b64 vcc, exec, s[4:5]
	s_cbranch_vccnz .LBB212_441
; %bb.434:
	global_load_ubyte v0, v[2:3], off
	s_movk_i32 s4, 0x7f
                                        ; implicit-def: $sgpr10
	s_waitcnt vmcnt(0)
	v_cmp_lt_i16_e32 vcc, s4, v0
	s_mov_b64 s[4:5], 0
	s_and_saveexec_b64 s[6:7], vcc
	s_xor_b64 s[6:7], exec, s[6:7]
	s_cbranch_execz .LBB212_455
; %bb.435:
	s_movk_i32 s4, 0x80
	v_cmp_eq_u16_e32 vcc, s4, v0
	s_mov_b64 s[4:5], -1
                                        ; implicit-def: $sgpr10
	s_and_saveexec_b64 s[8:9], vcc
; %bb.436:
	s_mov_b32 s10, 0x7f800001
	s_xor_b64 s[4:5], exec, -1
; %bb.437:
	s_or_b64 exec, exec, s[8:9]
	s_and_b64 s[4:5], s[4:5], exec
	s_or_saveexec_b64 s[6:7], s[6:7]
	v_mov_b32_e32 v1, s10
	s_xor_b64 exec, exec, s[6:7]
	s_cbranch_execnz .LBB212_456
.LBB212_438:
	s_or_b64 exec, exec, s[6:7]
	s_and_saveexec_b64 s[6:7], s[4:5]
	s_cbranch_execz .LBB212_440
.LBB212_439:
	v_lshlrev_b32_e32 v1, 24, v0
	v_and_b32_e32 v0, 0xffff, v0
	v_and_b32_e32 v4, 7, v0
	v_ffbh_u32_e32 v6, v4
	v_min_u32_e32 v6, 32, v6
	v_subrev_u32_e32 v7, 28, v6
	v_bfe_u32 v5, v0, 3, 4
	v_lshlrev_b32_e32 v0, v7, v0
	v_sub_u32_e32 v6, 29, v6
	v_and_b32_e32 v0, 7, v0
	v_cmp_eq_u32_e32 vcc, 0, v5
	v_cndmask_b32_e32 v5, v5, v6, vcc
	v_cndmask_b32_e32 v0, v4, v0, vcc
	v_mov_b32_e32 v4, 0x3b800000
	v_lshlrev_b32_e32 v0, 20, v0
	v_and_b32_e32 v1, 0x80000000, v1
	v_lshl_add_u32 v4, v5, 23, v4
	v_or3_b32 v1, v1, v4, v0
.LBB212_440:
	s_or_b64 exec, exec, s[6:7]
	v_bfe_u32 v0, v1, 16, 1
	s_movk_i32 s4, 0x7fff
	v_add3_u32 v0, v1, v0, s4
	v_lshrrev_b32_e32 v0, 16, v0
	v_mov_b32_e32 v4, 0x7fc0
	v_cmp_o_f32_e32 vcc, v1, v1
	v_cndmask_b32_e32 v0, v4, v0, vcc
.LBB212_441:
	s_mov_b64 s[4:5], -1
.LBB212_442:
	s_mov_b64 s[6:7], 0
.LBB212_443:
	s_and_b64 vcc, exec, s[6:7]
	s_cbranch_vccz .LBB212_478
; %bb.444:
	s_waitcnt vmcnt(0)
	v_mov_b32_e32 v0, 22
	v_cmp_gt_i16_sdwa s[6:7], v35, v0 src0_sel:BYTE_0 src1_sel:DWORD
	s_and_b64 vcc, exec, s[6:7]
	s_cbranch_vccz .LBB212_454
; %bb.445:
	v_mov_b32_e32 v0, 24
	v_cmp_lt_i16_sdwa s[4:5], v35, v0 src0_sel:BYTE_0 src1_sel:DWORD
	s_and_b64 vcc, exec, s[4:5]
	s_cbranch_vccnz .LBB212_457
; %bb.446:
	v_cmp_gt_i16_sdwa s[4:5], v35, v0 src0_sel:BYTE_0 src1_sel:DWORD
	s_and_b64 vcc, exec, s[4:5]
	s_cbranch_vccz .LBB212_458
; %bb.447:
	global_load_ubyte v0, v[2:3], off
	s_movk_i32 s4, 0x7f
                                        ; implicit-def: $sgpr10
	s_waitcnt vmcnt(0)
	v_cmp_lt_i16_e32 vcc, s4, v0
	s_mov_b64 s[4:5], 0
	s_and_saveexec_b64 s[6:7], vcc
	s_xor_b64 s[6:7], exec, s[6:7]
	s_cbranch_execz .LBB212_470
; %bb.448:
	s_movk_i32 s4, 0x80
	v_cmp_eq_u16_e32 vcc, s4, v0
	s_mov_b64 s[4:5], -1
                                        ; implicit-def: $sgpr10
	s_and_saveexec_b64 s[8:9], vcc
; %bb.449:
	s_mov_b32 s10, 0x7f800001
	s_xor_b64 s[4:5], exec, -1
; %bb.450:
	s_or_b64 exec, exec, s[8:9]
	s_and_b64 s[4:5], s[4:5], exec
	s_or_saveexec_b64 s[6:7], s[6:7]
	v_mov_b32_e32 v1, s10
	s_xor_b64 exec, exec, s[6:7]
	s_cbranch_execnz .LBB212_471
.LBB212_451:
	s_or_b64 exec, exec, s[6:7]
	s_and_saveexec_b64 s[6:7], s[4:5]
	s_cbranch_execz .LBB212_453
.LBB212_452:
	v_lshlrev_b32_e32 v1, 24, v0
	v_and_b32_e32 v0, 0xffff, v0
	v_and_b32_e32 v4, 3, v0
	v_ffbh_u32_e32 v6, v4
	v_min_u32_e32 v6, 32, v6
	v_subrev_u32_e32 v7, 29, v6
	v_bfe_u32 v5, v0, 2, 5
	v_lshlrev_b32_e32 v0, v7, v0
	v_sub_u32_e32 v6, 30, v6
	v_and_b32_e32 v0, 3, v0
	v_cmp_eq_u32_e32 vcc, 0, v5
	v_cndmask_b32_e32 v5, v5, v6, vcc
	v_cndmask_b32_e32 v0, v4, v0, vcc
	v_mov_b32_e32 v4, 0x37800000
	v_lshlrev_b32_e32 v0, 21, v0
	v_and_b32_e32 v1, 0x80000000, v1
	v_lshl_add_u32 v4, v5, 23, v4
	v_or3_b32 v1, v1, v4, v0
.LBB212_453:
	s_or_b64 exec, exec, s[6:7]
	v_bfe_u32 v0, v1, 16, 1
	s_movk_i32 s4, 0x7fff
	v_add3_u32 v0, v1, v0, s4
	v_lshrrev_b32_e32 v0, 16, v0
	v_mov_b32_e32 v4, 0x7fc0
	v_cmp_o_f32_e32 vcc, v1, v1
	v_cndmask_b32_e32 v0, v4, v0, vcc
	s_mov_b64 s[4:5], 0
	s_branch .LBB212_459
.LBB212_454:
	s_mov_b64 s[6:7], -1
                                        ; implicit-def: $vgpr0
	s_branch .LBB212_465
.LBB212_455:
	s_or_saveexec_b64 s[6:7], s[6:7]
	v_mov_b32_e32 v1, s10
	s_xor_b64 exec, exec, s[6:7]
	s_cbranch_execz .LBB212_438
.LBB212_456:
	v_cmp_ne_u16_e32 vcc, 0, v0
	s_andn2_b64 s[4:5], s[4:5], exec
	s_and_b64 s[8:9], vcc, exec
	v_mov_b32_e32 v1, 0
	s_or_b64 s[4:5], s[4:5], s[8:9]
	s_or_b64 exec, exec, s[6:7]
	s_and_saveexec_b64 s[6:7], s[4:5]
	s_cbranch_execnz .LBB212_439
	s_branch .LBB212_440
.LBB212_457:
	s_mov_b64 s[4:5], -1
                                        ; implicit-def: $vgpr0
	s_branch .LBB212_462
.LBB212_458:
	s_mov_b64 s[4:5], -1
                                        ; implicit-def: $vgpr0
.LBB212_459:
	s_and_b64 vcc, exec, s[4:5]
	s_cbranch_vccz .LBB212_461
; %bb.460:
	global_load_ubyte v0, v[2:3], off
	s_mov_b32 s4, 0x7f800000
	s_brev_b32 s5, 1
	s_movk_i32 s6, 0x7fff
	v_mov_b32_e32 v1, 0x7fc0
	s_waitcnt vmcnt(0)
	v_lshlrev_b32_e32 v0, 24, v0
	v_and_b32_e32 v4, 0x7f000000, v0
	v_ffbh_u32_e32 v5, v4
	v_min_u32_e32 v5, 32, v5
	v_sub_u32_e64 v5, v5, 4 clamp
	v_lshlrev_b32_e32 v7, v5, v4
	v_lshlrev_b32_e32 v5, 23, v5
	v_lshrrev_b32_e32 v7, 4, v7
	v_add_u32_e32 v6, 0x1000000, v4
	v_sub_u32_e32 v5, v7, v5
	v_ashrrev_i32_e32 v6, 8, v6
	v_add_u32_e32 v5, 0x3c000000, v5
	v_and_or_b32 v5, v6, s4, v5
	v_cmp_ne_u32_e32 vcc, 0, v4
	v_cndmask_b32_e32 v4, 0, v5, vcc
	v_and_or_b32 v0, v0, s5, v4
	v_bfe_u32 v4, v4, 16, 1
	v_add3_u32 v4, v0, v4, s6
	v_lshrrev_b32_e32 v4, 16, v4
	v_cmp_o_f32_e32 vcc, v0, v0
	v_cndmask_b32_e32 v0, v1, v4, vcc
.LBB212_461:
	s_mov_b64 s[4:5], 0
.LBB212_462:
	s_andn2_b64 vcc, exec, s[4:5]
	s_cbranch_vccnz .LBB212_464
; %bb.463:
	global_load_ubyte v0, v[2:3], off
	s_movk_i32 s4, 0x7f00
	s_brev_b32 s5, 16
	s_brev_b32 s6, 1
	s_movk_i32 s7, 0x7fff
	v_mov_b32_e32 v1, 0x7fc0
	s_waitcnt vmcnt(0)
	v_lshlrev_b16_e32 v4, 8, v0
	v_lshlrev_b32_e32 v0, 25, v0
	v_lshrrev_b32_e32 v5, 4, v0
	v_and_or_b32 v6, v4, s4, 0.5
	v_or_b32_e32 v5, 0x70000000, v5
	v_add_f32_e32 v6, -0.5, v6
	v_mul_f32_e32 v5, 0x7800000, v5
	v_cmp_gt_u32_e32 vcc, s5, v0
	v_bfe_i32 v4, v4, 0, 16
	v_cndmask_b32_e32 v0, v5, v6, vcc
	v_and_or_b32 v4, v4, s6, v0
	v_bfe_u32 v0, v0, 16, 1
	v_add3_u32 v0, v4, v0, s7
	v_lshrrev_b32_e32 v0, 16, v0
	v_cmp_o_f32_e32 vcc, v4, v4
	v_cndmask_b32_e32 v0, v1, v0, vcc
.LBB212_464:
	s_mov_b64 s[6:7], 0
	s_mov_b64 s[4:5], -1
.LBB212_465:
	s_andn2_b64 vcc, exec, s[6:7]
	s_cbranch_vccnz .LBB212_478
; %bb.466:
	v_mov_b32_e32 v0, 14
	v_cmp_gt_i16_sdwa s[6:7], v35, v0 src0_sel:BYTE_0 src1_sel:DWORD
	s_and_b64 vcc, exec, s[6:7]
	s_cbranch_vccz .LBB212_469
; %bb.467:
	v_mov_b32_e32 v0, 15
	v_cmp_eq_u16_sdwa s[6:7], v35, v0 src0_sel:BYTE_0 src1_sel:DWORD
	s_and_b64 vcc, exec, s[6:7]
	s_cbranch_vccz .LBB212_472
; %bb.468:
	global_load_ushort v0, v[2:3], off
	s_mov_b64 s[4:5], -1
	s_mov_b64 s[48:49], 0
	s_branch .LBB212_473
.LBB212_469:
	s_mov_b64 s[6:7], -1
                                        ; implicit-def: $vgpr0
	s_branch .LBB212_474
.LBB212_470:
	s_or_saveexec_b64 s[6:7], s[6:7]
	v_mov_b32_e32 v1, s10
	s_xor_b64 exec, exec, s[6:7]
	s_cbranch_execz .LBB212_451
.LBB212_471:
	v_cmp_ne_u16_e32 vcc, 0, v0
	s_andn2_b64 s[4:5], s[4:5], exec
	s_and_b64 s[8:9], vcc, exec
	v_mov_b32_e32 v1, 0
	s_or_b64 s[4:5], s[4:5], s[8:9]
	s_or_b64 exec, exec, s[6:7]
	s_and_saveexec_b64 s[6:7], s[4:5]
	s_cbranch_execnz .LBB212_452
	s_branch .LBB212_453
.LBB212_472:
	s_mov_b64 s[48:49], -1
                                        ; implicit-def: $vgpr0
.LBB212_473:
	s_mov_b64 s[6:7], 0
.LBB212_474:
	s_and_b64 vcc, exec, s[6:7]
	s_cbranch_vccz .LBB212_478
; %bb.475:
	s_waitcnt vmcnt(0)
	v_mov_b32_e32 v0, 11
	v_cmp_eq_u16_sdwa s[6:7], v35, v0 src0_sel:BYTE_0 src1_sel:DWORD
	s_and_b64 vcc, exec, s[6:7]
	s_cbranch_vccz .LBB212_477
; %bb.476:
	global_load_ubyte v0, v[2:3], off
	s_mov_b64 s[4:5], -1
	s_mov_b64 s[48:49], 0
	s_waitcnt vmcnt(0)
	v_cmp_ne_u16_e32 vcc, 0, v0
	v_cndmask_b32_e64 v0, 0, 1.0, vcc
	v_lshrrev_b32_e32 v0, 16, v0
	s_branch .LBB212_478
.LBB212_477:
	s_mov_b64 s[48:49], -1
                                        ; implicit-def: $vgpr0
.LBB212_478:
	s_branch .LBB212_394
.LBB212_479:
	s_waitcnt vmcnt(0)
	v_mov_b32_e32 v0, 5
	v_cmp_lt_i16_sdwa s[4:5], v35, v0 src0_sel:BYTE_0 src1_sel:DWORD
	s_and_b64 vcc, exec, s[4:5]
	s_cbranch_vccnz .LBB212_484
; %bb.480:
	v_mov_b32_e32 v0, 8
	v_cmp_lt_i16_sdwa s[4:5], v35, v0 src0_sel:BYTE_0 src1_sel:DWORD
	s_and_b64 vcc, exec, s[4:5]
	s_cbranch_vccnz .LBB212_485
; %bb.481:
	;; [unrolled: 5-line block ×3, first 2 shown]
	v_cmp_gt_i16_sdwa s[4:5], v35, v0 src0_sel:BYTE_0 src1_sel:DWORD
	s_and_b64 vcc, exec, s[4:5]
	s_cbranch_vccz .LBB212_487
; %bb.483:
	global_load_dwordx2 v[0:1], v[2:3], off
	s_movk_i32 s4, 0x7fff
	v_mov_b32_e32 v4, 0x7fc0
	s_waitcnt vmcnt(0)
	v_cvt_f32_f64_e32 v0, v[0:1]
	v_bfe_u32 v1, v0, 16, 1
	v_add3_u32 v1, v0, v1, s4
	v_lshrrev_b32_e32 v1, 16, v1
	v_cmp_o_f32_e32 vcc, v0, v0
	v_cndmask_b32_e32 v0, v4, v1, vcc
	s_mov_b64 s[4:5], 0
	s_branch .LBB212_488
.LBB212_484:
	s_mov_b64 s[4:5], -1
                                        ; implicit-def: $vgpr0
	s_branch .LBB212_506
.LBB212_485:
	s_mov_b64 s[4:5], -1
                                        ; implicit-def: $vgpr0
	s_branch .LBB212_494
.LBB212_486:
	s_mov_b64 s[4:5], -1
                                        ; implicit-def: $vgpr0
	s_branch .LBB212_491
.LBB212_487:
	s_mov_b64 s[4:5], -1
                                        ; implicit-def: $vgpr0
.LBB212_488:
	s_andn2_b64 vcc, exec, s[4:5]
	s_cbranch_vccnz .LBB212_490
; %bb.489:
	global_load_dword v0, v[2:3], off
	s_movk_i32 s4, 0x7fff
	v_mov_b32_e32 v1, 0x7fc0
	s_waitcnt vmcnt(0)
	v_bfe_u32 v4, v0, 16, 1
	v_add3_u32 v4, v0, v4, s4
	v_lshrrev_b32_e32 v4, 16, v4
	v_cmp_o_f32_e32 vcc, v0, v0
	v_cndmask_b32_e32 v0, v1, v4, vcc
.LBB212_490:
	s_mov_b64 s[4:5], 0
.LBB212_491:
	s_andn2_b64 vcc, exec, s[4:5]
	s_cbranch_vccnz .LBB212_493
; %bb.492:
	global_load_dword v0, v[2:3], off
	s_movk_i32 s4, 0x7fff
	v_mov_b32_e32 v4, 0x7fc0
	s_waitcnt vmcnt(0)
	v_cvt_f32_f16_e32 v1, v0
	v_cmp_o_f16_e32 vcc, v0, v0
	v_bfe_u32 v5, v1, 16, 1
	v_add3_u32 v1, v1, v5, s4
	v_lshrrev_b32_e32 v1, 16, v1
	v_cndmask_b32_e32 v0, v4, v1, vcc
.LBB212_493:
	s_mov_b64 s[4:5], 0
.LBB212_494:
	s_andn2_b64 vcc, exec, s[4:5]
	s_cbranch_vccnz .LBB212_505
; %bb.495:
	v_mov_b32_e32 v0, 6
	v_cmp_lt_i16_sdwa s[4:5], v35, v0 src0_sel:BYTE_0 src1_sel:DWORD
	s_and_b64 vcc, exec, s[4:5]
	s_cbranch_vccnz .LBB212_498
; %bb.496:
	v_cmp_gt_i16_sdwa s[4:5], v35, v0 src0_sel:BYTE_0 src1_sel:DWORD
	s_and_b64 vcc, exec, s[4:5]
	s_cbranch_vccz .LBB212_499
; %bb.497:
	global_load_dwordx2 v[0:1], v[2:3], off
	s_movk_i32 s4, 0x7fff
	v_mov_b32_e32 v4, 0x7fc0
	s_waitcnt vmcnt(0)
	v_cvt_f32_f64_e32 v0, v[0:1]
	v_bfe_u32 v1, v0, 16, 1
	v_add3_u32 v1, v0, v1, s4
	v_lshrrev_b32_e32 v1, 16, v1
	v_cmp_o_f32_e32 vcc, v0, v0
	v_cndmask_b32_e32 v0, v4, v1, vcc
	s_mov_b64 s[4:5], 0
	s_branch .LBB212_500
.LBB212_498:
	s_mov_b64 s[4:5], -1
                                        ; implicit-def: $vgpr0
	s_branch .LBB212_503
.LBB212_499:
	s_mov_b64 s[4:5], -1
                                        ; implicit-def: $vgpr0
.LBB212_500:
	s_andn2_b64 vcc, exec, s[4:5]
	s_cbranch_vccnz .LBB212_502
; %bb.501:
	global_load_dword v0, v[2:3], off
	s_movk_i32 s4, 0x7fff
	v_mov_b32_e32 v1, 0x7fc0
	s_waitcnt vmcnt(0)
	v_bfe_u32 v4, v0, 16, 1
	v_add3_u32 v4, v0, v4, s4
	v_lshrrev_b32_e32 v4, 16, v4
	v_cmp_o_f32_e32 vcc, v0, v0
	v_cndmask_b32_e32 v0, v1, v4, vcc
.LBB212_502:
	s_mov_b64 s[4:5], 0
.LBB212_503:
	s_andn2_b64 vcc, exec, s[4:5]
	s_cbranch_vccnz .LBB212_505
; %bb.504:
	global_load_ushort v0, v[2:3], off
	s_movk_i32 s4, 0x7fff
	v_mov_b32_e32 v4, 0x7fc0
	s_waitcnt vmcnt(0)
	v_cvt_f32_f16_e32 v1, v0
	v_cmp_o_f16_e32 vcc, v0, v0
	v_bfe_u32 v5, v1, 16, 1
	v_add3_u32 v1, v1, v5, s4
	v_lshrrev_b32_e32 v1, 16, v1
	v_cndmask_b32_e32 v0, v4, v1, vcc
.LBB212_505:
	s_mov_b64 s[4:5], 0
.LBB212_506:
	s_andn2_b64 vcc, exec, s[4:5]
	s_cbranch_vccnz .LBB212_526
; %bb.507:
	v_mov_b32_e32 v0, 2
	v_cmp_lt_i16_sdwa s[4:5], v35, v0 src0_sel:BYTE_0 src1_sel:DWORD
	s_and_b64 vcc, exec, s[4:5]
	s_cbranch_vccnz .LBB212_511
; %bb.508:
	v_mov_b32_e32 v0, 3
	v_cmp_lt_i16_sdwa s[4:5], v35, v0 src0_sel:BYTE_0 src1_sel:DWORD
	s_and_b64 vcc, exec, s[4:5]
	s_cbranch_vccnz .LBB212_512
; %bb.509:
	v_cmp_gt_i16_sdwa s[4:5], v35, v0 src0_sel:BYTE_0 src1_sel:DWORD
	s_and_b64 vcc, exec, s[4:5]
	s_cbranch_vccz .LBB212_513
; %bb.510:
	global_load_dwordx2 v[0:1], v[2:3], off
	s_movk_i32 s4, 0x7fff
	s_waitcnt vmcnt(0)
	v_xor_b32_e32 v5, v0, v1
	v_ffbh_i32_e32 v4, v1
	v_ashrrev_i32_e32 v5, 31, v5
	v_add_u32_e32 v4, -1, v4
	v_add_u32_e32 v5, 32, v5
	v_min_u32_e32 v4, v4, v5
	v_lshlrev_b64 v[0:1], v4, v[0:1]
	v_min_u32_e32 v0, 1, v0
	v_or_b32_e32 v0, v1, v0
	v_cvt_f32_i32_e32 v0, v0
	v_sub_u32_e32 v1, 32, v4
	v_ldexp_f32 v0, v0, v1
	v_bfe_u32 v1, v0, 16, 1
	v_add3_u32 v0, v0, v1, s4
	v_lshrrev_b32_e32 v0, 16, v0
	s_mov_b64 s[4:5], 0
	s_branch .LBB212_514
.LBB212_511:
	s_mov_b64 s[4:5], -1
                                        ; implicit-def: $vgpr0
	s_branch .LBB212_520
.LBB212_512:
	s_mov_b64 s[4:5], -1
                                        ; implicit-def: $vgpr0
	s_branch .LBB212_517
.LBB212_513:
	s_mov_b64 s[4:5], -1
                                        ; implicit-def: $vgpr0
.LBB212_514:
	s_andn2_b64 vcc, exec, s[4:5]
	s_cbranch_vccnz .LBB212_516
; %bb.515:
	global_load_dword v0, v[2:3], off
	s_movk_i32 s4, 0x7fff
	s_waitcnt vmcnt(0)
	v_cvt_f32_i32_e32 v0, v0
	v_bfe_u32 v1, v0, 16, 1
	v_add3_u32 v0, v0, v1, s4
	v_lshrrev_b32_e32 v0, 16, v0
.LBB212_516:
	s_mov_b64 s[4:5], 0
.LBB212_517:
	s_andn2_b64 vcc, exec, s[4:5]
	s_cbranch_vccnz .LBB212_519
; %bb.518:
	global_load_sshort v0, v[2:3], off
	s_movk_i32 s4, 0x7fff
	s_waitcnt vmcnt(0)
	v_cvt_f32_i32_e32 v0, v0
	v_bfe_u32 v1, v0, 16, 1
	v_add3_u32 v0, v0, v1, s4
	v_lshrrev_b32_e32 v0, 16, v0
.LBB212_519:
	s_mov_b64 s[4:5], 0
.LBB212_520:
	s_andn2_b64 vcc, exec, s[4:5]
	s_cbranch_vccnz .LBB212_526
; %bb.521:
	v_mov_b32_e32 v0, 0
	v_cmp_gt_i16_sdwa s[4:5], v35, v0 src0_sel:BYTE_0 src1_sel:DWORD
	s_and_b64 vcc, exec, s[4:5]
	s_cbranch_vccz .LBB212_523
; %bb.522:
	global_load_sbyte v0, v[2:3], off
	s_movk_i32 s4, 0x7fff
	s_waitcnt vmcnt(0)
	v_cvt_f32_i32_e32 v0, v0
	v_bfe_u32 v1, v0, 16, 1
	v_add3_u32 v0, v0, v1, s4
	v_lshrrev_b32_e32 v0, 16, v0
	s_mov_b64 s[4:5], 0
	s_branch .LBB212_524
.LBB212_523:
	s_mov_b64 s[4:5], -1
                                        ; implicit-def: $vgpr0
.LBB212_524:
	s_andn2_b64 vcc, exec, s[4:5]
	s_cbranch_vccnz .LBB212_526
; %bb.525:
	global_load_ubyte v0, v[2:3], off
	s_movk_i32 s4, 0x7fff
	s_waitcnt vmcnt(0)
	v_cvt_f32_ubyte0_e32 v0, v0
	v_bfe_u32 v1, v0, 16, 1
	v_add3_u32 v0, v0, v1, s4
	v_lshrrev_b32_e32 v0, 16, v0
.LBB212_526:
	s_branch .LBB212_395
.LBB212_527:
	s_mov_b64 s[6:7], 0
	s_mov_b64 s[4:5], s[40:41]
	;; [unrolled: 1-line block ×3, first 2 shown]
.LBB212_528:
                                        ; implicit-def: $vgpr37
	s_branch .LBB212_770
.LBB212_529:
	s_or_saveexec_b64 s[10:11], s[10:11]
                                        ; implicit-def: $sgpr12
	s_xor_b64 exec, exec, s[10:11]
	s_cbranch_execz .LBB212_192
.LBB212_530:
	s_mov_b32 s12, 0x42800000
	v_add_f32_e64 v4, |v5|, s12
	v_and_b32_e32 v4, 0xff, v4
	v_cmp_ne_u32_e32 vcc, 0, v4
	s_andn2_b64 s[8:9], s[8:9], exec
	s_and_b64 s[14:15], vcc, exec
	s_mov_b32 s12, 0
	s_or_b64 s[8:9], s[8:9], s[14:15]
	s_or_b64 exec, exec, s[10:11]
	v_mov_b32_e32 v6, s12
	s_and_saveexec_b64 s[10:11], s[8:9]
	s_cbranch_execnz .LBB212_193
	s_branch .LBB212_194
.LBB212_531:
	s_mov_b64 s[50:51], -1
                                        ; implicit-def: $vgpr1
	s_mov_b64 s[4:5], 0
.LBB212_532:
	s_and_b64 vcc, exec, s[6:7]
	s_cbranch_vccz .LBB212_536
; %bb.533:
	s_waitcnt vmcnt(0)
	v_mov_b32_e32 v1, 44
	v_cmp_eq_u16_sdwa s[6:7], v38, v1 src0_sel:BYTE_0 src1_sel:DWORD
	s_and_b64 vcc, exec, s[6:7]
	s_cbranch_vccz .LBB212_535
; %bb.534:
	global_load_ubyte v1, v[2:3], off
	s_movk_i32 s6, 0xff
	v_mov_b32_e32 v4, 0x7f800001
	v_mov_b32_e32 v5, 0x400000
	;; [unrolled: 1-line block ×3, first 2 shown]
	s_mov_b64 s[4:5], -1
	s_mov_b64 s[50:51], 0
	s_waitcnt vmcnt(0)
	v_lshlrev_b32_e32 v7, 23, v1
	v_cmp_ne_u32_e32 vcc, s6, v1
	v_cndmask_b32_e32 v4, v4, v7, vcc
	v_cmp_ne_u32_e32 vcc, 0, v1
	v_cndmask_b32_e32 v1, v5, v4, vcc
	v_add_u32_e32 v4, 0x7fff, v1
	v_lshrrev_b32_e32 v4, 16, v4
	v_cmp_o_f32_e32 vcc, v1, v1
	v_cndmask_b32_e32 v1, v6, v4, vcc
	s_branch .LBB212_536
.LBB212_535:
	s_mov_b64 s[50:51], -1
                                        ; implicit-def: $vgpr1
.LBB212_536:
	s_mov_b64 s[6:7], 0
.LBB212_537:
	s_and_b64 vcc, exec, s[6:7]
	s_cbranch_vccz .LBB212_541
; %bb.538:
	s_waitcnt vmcnt(0)
	v_mov_b32_e32 v1, 29
	v_cmp_eq_u16_sdwa s[6:7], v38, v1 src0_sel:BYTE_0 src1_sel:DWORD
	s_and_b64 vcc, exec, s[6:7]
	s_cbranch_vccz .LBB212_540
; %bb.539:
	global_load_dwordx2 v[4:5], v[2:3], off
	s_movk_i32 s6, 0x7fff
	s_mov_b64 s[4:5], -1
	s_mov_b64 s[50:51], 0
	s_waitcnt vmcnt(0)
	v_ffbh_u32_e32 v1, v5
	v_min_u32_e32 v1, 32, v1
	v_lshlrev_b64 v[4:5], v1, v[4:5]
	v_min_u32_e32 v4, 1, v4
	v_or_b32_e32 v4, v5, v4
	v_cvt_f32_u32_e32 v4, v4
	v_sub_u32_e32 v1, 32, v1
	v_ldexp_f32 v1, v4, v1
	v_bfe_u32 v4, v1, 16, 1
	v_add3_u32 v1, v1, v4, s6
	v_lshrrev_b32_e32 v1, 16, v1
	s_branch .LBB212_541
.LBB212_540:
	s_mov_b64 s[50:51], -1
                                        ; implicit-def: $vgpr1
.LBB212_541:
	s_mov_b64 s[6:7], 0
.LBB212_542:
	s_and_b64 vcc, exec, s[6:7]
	s_cbranch_vccz .LBB212_560
; %bb.543:
	s_waitcnt vmcnt(0)
	v_mov_b32_e32 v1, 27
	v_cmp_lt_i16_sdwa s[4:5], v38, v1 src0_sel:BYTE_0 src1_sel:DWORD
	s_and_b64 vcc, exec, s[4:5]
	s_cbranch_vccnz .LBB212_546
; %bb.544:
	v_cmp_gt_i16_sdwa s[4:5], v38, v1 src0_sel:BYTE_0 src1_sel:DWORD
	s_and_b64 vcc, exec, s[4:5]
	s_cbranch_vccz .LBB212_547
; %bb.545:
	global_load_dword v1, v[2:3], off
	s_movk_i32 s4, 0x7fff
	s_waitcnt vmcnt(0)
	v_cvt_f32_u32_e32 v1, v1
	v_bfe_u32 v4, v1, 16, 1
	v_add3_u32 v1, v1, v4, s4
	v_lshrrev_b32_e32 v1, 16, v1
	s_mov_b64 s[4:5], 0
	s_branch .LBB212_548
.LBB212_546:
	s_mov_b64 s[4:5], -1
                                        ; implicit-def: $vgpr1
	s_branch .LBB212_551
.LBB212_547:
	s_mov_b64 s[4:5], -1
                                        ; implicit-def: $vgpr1
.LBB212_548:
	s_andn2_b64 vcc, exec, s[4:5]
	s_cbranch_vccnz .LBB212_550
; %bb.549:
	global_load_ushort v1, v[2:3], off
	s_movk_i32 s4, 0x7fff
	s_waitcnt vmcnt(0)
	v_cvt_f32_u32_e32 v1, v1
	v_bfe_u32 v4, v1, 16, 1
	v_add3_u32 v1, v1, v4, s4
	v_lshrrev_b32_e32 v1, 16, v1
.LBB212_550:
	s_mov_b64 s[4:5], 0
.LBB212_551:
	s_andn2_b64 vcc, exec, s[4:5]
	s_cbranch_vccnz .LBB212_559
; %bb.552:
	global_load_ubyte v1, v[2:3], off
	s_movk_i32 s4, 0x7f
                                        ; implicit-def: $sgpr10
	s_waitcnt vmcnt(0)
	v_cmp_lt_i16_e32 vcc, s4, v1
	s_mov_b64 s[4:5], 0
	s_and_saveexec_b64 s[6:7], vcc
	s_xor_b64 s[6:7], exec, s[6:7]
	s_cbranch_execz .LBB212_573
; %bb.553:
	s_movk_i32 s4, 0x80
	v_cmp_eq_u16_e32 vcc, s4, v1
	s_mov_b64 s[4:5], -1
                                        ; implicit-def: $sgpr10
	s_and_saveexec_b64 s[8:9], vcc
; %bb.554:
	s_mov_b32 s10, 0x7f800001
	s_xor_b64 s[4:5], exec, -1
; %bb.555:
	s_or_b64 exec, exec, s[8:9]
	s_and_b64 s[4:5], s[4:5], exec
	s_or_saveexec_b64 s[6:7], s[6:7]
	v_mov_b32_e32 v4, s10
	s_xor_b64 exec, exec, s[6:7]
	s_cbranch_execnz .LBB212_574
.LBB212_556:
	s_or_b64 exec, exec, s[6:7]
	s_and_saveexec_b64 s[6:7], s[4:5]
	s_cbranch_execz .LBB212_558
.LBB212_557:
	v_lshlrev_b32_e32 v4, 24, v1
	v_and_b32_e32 v1, 0xffff, v1
	v_and_b32_e32 v5, 7, v1
	v_ffbh_u32_e32 v7, v5
	v_min_u32_e32 v7, 32, v7
	v_subrev_u32_e32 v8, 28, v7
	v_bfe_u32 v6, v1, 3, 4
	v_lshlrev_b32_e32 v1, v8, v1
	v_sub_u32_e32 v7, 29, v7
	v_and_b32_e32 v1, 7, v1
	v_cmp_eq_u32_e32 vcc, 0, v6
	v_cndmask_b32_e32 v6, v6, v7, vcc
	v_cndmask_b32_e32 v1, v5, v1, vcc
	v_mov_b32_e32 v5, 0x3b800000
	v_lshlrev_b32_e32 v1, 20, v1
	v_and_b32_e32 v4, 0x80000000, v4
	v_lshl_add_u32 v5, v6, 23, v5
	v_or3_b32 v4, v4, v5, v1
.LBB212_558:
	s_or_b64 exec, exec, s[6:7]
	v_bfe_u32 v1, v4, 16, 1
	s_movk_i32 s4, 0x7fff
	v_add3_u32 v1, v4, v1, s4
	v_lshrrev_b32_e32 v1, 16, v1
	v_mov_b32_e32 v5, 0x7fc0
	v_cmp_o_f32_e32 vcc, v4, v4
	v_cndmask_b32_e32 v1, v5, v1, vcc
.LBB212_559:
	s_mov_b64 s[4:5], -1
.LBB212_560:
	s_mov_b64 s[6:7], 0
.LBB212_561:
	s_and_b64 vcc, exec, s[6:7]
	s_cbranch_vccz .LBB212_596
; %bb.562:
	s_waitcnt vmcnt(0)
	v_mov_b32_e32 v1, 22
	v_cmp_gt_i16_sdwa s[6:7], v38, v1 src0_sel:BYTE_0 src1_sel:DWORD
	s_and_b64 vcc, exec, s[6:7]
	s_cbranch_vccz .LBB212_572
; %bb.563:
	v_mov_b32_e32 v1, 24
	v_cmp_lt_i16_sdwa s[4:5], v38, v1 src0_sel:BYTE_0 src1_sel:DWORD
	s_and_b64 vcc, exec, s[4:5]
	s_cbranch_vccnz .LBB212_575
; %bb.564:
	v_cmp_gt_i16_sdwa s[4:5], v38, v1 src0_sel:BYTE_0 src1_sel:DWORD
	s_and_b64 vcc, exec, s[4:5]
	s_cbranch_vccz .LBB212_576
; %bb.565:
	global_load_ubyte v1, v[2:3], off
	s_movk_i32 s4, 0x7f
                                        ; implicit-def: $sgpr10
	s_waitcnt vmcnt(0)
	v_cmp_lt_i16_e32 vcc, s4, v1
	s_mov_b64 s[4:5], 0
	s_and_saveexec_b64 s[6:7], vcc
	s_xor_b64 s[6:7], exec, s[6:7]
	s_cbranch_execz .LBB212_588
; %bb.566:
	s_movk_i32 s4, 0x80
	v_cmp_eq_u16_e32 vcc, s4, v1
	s_mov_b64 s[4:5], -1
                                        ; implicit-def: $sgpr10
	s_and_saveexec_b64 s[8:9], vcc
; %bb.567:
	s_mov_b32 s10, 0x7f800001
	s_xor_b64 s[4:5], exec, -1
; %bb.568:
	s_or_b64 exec, exec, s[8:9]
	s_and_b64 s[4:5], s[4:5], exec
	s_or_saveexec_b64 s[6:7], s[6:7]
	v_mov_b32_e32 v4, s10
	s_xor_b64 exec, exec, s[6:7]
	s_cbranch_execnz .LBB212_589
.LBB212_569:
	s_or_b64 exec, exec, s[6:7]
	s_and_saveexec_b64 s[6:7], s[4:5]
	s_cbranch_execz .LBB212_571
.LBB212_570:
	v_lshlrev_b32_e32 v4, 24, v1
	v_and_b32_e32 v1, 0xffff, v1
	v_and_b32_e32 v5, 3, v1
	v_ffbh_u32_e32 v7, v5
	v_min_u32_e32 v7, 32, v7
	v_subrev_u32_e32 v8, 29, v7
	v_bfe_u32 v6, v1, 2, 5
	v_lshlrev_b32_e32 v1, v8, v1
	v_sub_u32_e32 v7, 30, v7
	v_and_b32_e32 v1, 3, v1
	v_cmp_eq_u32_e32 vcc, 0, v6
	v_cndmask_b32_e32 v6, v6, v7, vcc
	v_cndmask_b32_e32 v1, v5, v1, vcc
	v_mov_b32_e32 v5, 0x37800000
	v_lshlrev_b32_e32 v1, 21, v1
	v_and_b32_e32 v4, 0x80000000, v4
	v_lshl_add_u32 v5, v6, 23, v5
	v_or3_b32 v4, v4, v5, v1
.LBB212_571:
	s_or_b64 exec, exec, s[6:7]
	v_bfe_u32 v1, v4, 16, 1
	s_movk_i32 s4, 0x7fff
	v_add3_u32 v1, v4, v1, s4
	v_lshrrev_b32_e32 v1, 16, v1
	v_mov_b32_e32 v5, 0x7fc0
	v_cmp_o_f32_e32 vcc, v4, v4
	v_cndmask_b32_e32 v1, v5, v1, vcc
	s_mov_b64 s[4:5], 0
	s_branch .LBB212_577
.LBB212_572:
	s_mov_b64 s[6:7], -1
                                        ; implicit-def: $vgpr1
	s_branch .LBB212_583
.LBB212_573:
	s_or_saveexec_b64 s[6:7], s[6:7]
	v_mov_b32_e32 v4, s10
	s_xor_b64 exec, exec, s[6:7]
	s_cbranch_execz .LBB212_556
.LBB212_574:
	v_cmp_ne_u16_e32 vcc, 0, v1
	s_andn2_b64 s[4:5], s[4:5], exec
	s_and_b64 s[8:9], vcc, exec
	v_mov_b32_e32 v4, 0
	s_or_b64 s[4:5], s[4:5], s[8:9]
	s_or_b64 exec, exec, s[6:7]
	s_and_saveexec_b64 s[6:7], s[4:5]
	s_cbranch_execnz .LBB212_557
	s_branch .LBB212_558
.LBB212_575:
	s_mov_b64 s[4:5], -1
                                        ; implicit-def: $vgpr1
	s_branch .LBB212_580
.LBB212_576:
	s_mov_b64 s[4:5], -1
                                        ; implicit-def: $vgpr1
.LBB212_577:
	s_and_b64 vcc, exec, s[4:5]
	s_cbranch_vccz .LBB212_579
; %bb.578:
	global_load_ubyte v1, v[2:3], off
	s_mov_b32 s4, 0x7f800000
	s_brev_b32 s5, 1
	s_movk_i32 s6, 0x7fff
	v_mov_b32_e32 v4, 0x7fc0
	s_waitcnt vmcnt(0)
	v_lshlrev_b32_e32 v1, 24, v1
	v_and_b32_e32 v5, 0x7f000000, v1
	v_ffbh_u32_e32 v6, v5
	v_min_u32_e32 v6, 32, v6
	v_sub_u32_e64 v6, v6, 4 clamp
	v_lshlrev_b32_e32 v8, v6, v5
	v_lshlrev_b32_e32 v6, 23, v6
	v_lshrrev_b32_e32 v8, 4, v8
	v_add_u32_e32 v7, 0x1000000, v5
	v_sub_u32_e32 v6, v8, v6
	v_ashrrev_i32_e32 v7, 8, v7
	v_add_u32_e32 v6, 0x3c000000, v6
	v_and_or_b32 v6, v7, s4, v6
	v_cmp_ne_u32_e32 vcc, 0, v5
	v_cndmask_b32_e32 v5, 0, v6, vcc
	v_and_or_b32 v1, v1, s5, v5
	v_bfe_u32 v5, v5, 16, 1
	v_add3_u32 v5, v1, v5, s6
	v_lshrrev_b32_e32 v5, 16, v5
	v_cmp_o_f32_e32 vcc, v1, v1
	v_cndmask_b32_e32 v1, v4, v5, vcc
.LBB212_579:
	s_mov_b64 s[4:5], 0
.LBB212_580:
	s_andn2_b64 vcc, exec, s[4:5]
	s_cbranch_vccnz .LBB212_582
; %bb.581:
	global_load_ubyte v1, v[2:3], off
	s_movk_i32 s4, 0x7f00
	s_brev_b32 s5, 16
	s_brev_b32 s6, 1
	s_movk_i32 s7, 0x7fff
	v_mov_b32_e32 v4, 0x7fc0
	s_waitcnt vmcnt(0)
	v_lshlrev_b16_e32 v5, 8, v1
	v_lshlrev_b32_e32 v1, 25, v1
	v_lshrrev_b32_e32 v6, 4, v1
	v_and_or_b32 v7, v5, s4, 0.5
	v_or_b32_e32 v6, 0x70000000, v6
	v_add_f32_e32 v7, -0.5, v7
	v_mul_f32_e32 v6, 0x7800000, v6
	v_cmp_gt_u32_e32 vcc, s5, v1
	v_bfe_i32 v5, v5, 0, 16
	v_cndmask_b32_e32 v1, v6, v7, vcc
	v_and_or_b32 v5, v5, s6, v1
	v_bfe_u32 v1, v1, 16, 1
	v_add3_u32 v1, v5, v1, s7
	v_lshrrev_b32_e32 v1, 16, v1
	v_cmp_o_f32_e32 vcc, v5, v5
	v_cndmask_b32_e32 v1, v4, v1, vcc
.LBB212_582:
	s_mov_b64 s[6:7], 0
	s_mov_b64 s[4:5], -1
.LBB212_583:
	s_andn2_b64 vcc, exec, s[6:7]
	s_cbranch_vccnz .LBB212_596
; %bb.584:
	v_mov_b32_e32 v1, 14
	v_cmp_gt_i16_sdwa s[6:7], v38, v1 src0_sel:BYTE_0 src1_sel:DWORD
	s_and_b64 vcc, exec, s[6:7]
	s_cbranch_vccz .LBB212_587
; %bb.585:
	v_mov_b32_e32 v1, 15
	v_cmp_eq_u16_sdwa s[6:7], v38, v1 src0_sel:BYTE_0 src1_sel:DWORD
	s_and_b64 vcc, exec, s[6:7]
	s_cbranch_vccz .LBB212_590
; %bb.586:
	global_load_ushort v1, v[2:3], off
	s_mov_b64 s[4:5], -1
	s_mov_b64 s[50:51], 0
	s_branch .LBB212_591
.LBB212_587:
	s_mov_b64 s[6:7], -1
                                        ; implicit-def: $vgpr1
	s_branch .LBB212_592
.LBB212_588:
	s_or_saveexec_b64 s[6:7], s[6:7]
	v_mov_b32_e32 v4, s10
	s_xor_b64 exec, exec, s[6:7]
	s_cbranch_execz .LBB212_569
.LBB212_589:
	v_cmp_ne_u16_e32 vcc, 0, v1
	s_andn2_b64 s[4:5], s[4:5], exec
	s_and_b64 s[8:9], vcc, exec
	v_mov_b32_e32 v4, 0
	s_or_b64 s[4:5], s[4:5], s[8:9]
	s_or_b64 exec, exec, s[6:7]
	s_and_saveexec_b64 s[6:7], s[4:5]
	s_cbranch_execnz .LBB212_570
	s_branch .LBB212_571
.LBB212_590:
	s_mov_b64 s[50:51], -1
                                        ; implicit-def: $vgpr1
.LBB212_591:
	s_mov_b64 s[6:7], 0
.LBB212_592:
	s_and_b64 vcc, exec, s[6:7]
	s_cbranch_vccz .LBB212_596
; %bb.593:
	s_waitcnt vmcnt(0)
	v_mov_b32_e32 v1, 11
	v_cmp_eq_u16_sdwa s[6:7], v38, v1 src0_sel:BYTE_0 src1_sel:DWORD
	s_and_b64 vcc, exec, s[6:7]
	s_cbranch_vccz .LBB212_595
; %bb.594:
	global_load_ubyte v1, v[2:3], off
	s_mov_b64 s[4:5], -1
	s_mov_b64 s[50:51], 0
	s_waitcnt vmcnt(0)
	v_cmp_ne_u16_e32 vcc, 0, v1
	v_cndmask_b32_e64 v1, 0, 1.0, vcc
	v_lshrrev_b32_e32 v1, 16, v1
	s_branch .LBB212_596
.LBB212_595:
	s_mov_b64 s[50:51], -1
                                        ; implicit-def: $vgpr1
.LBB212_596:
	s_mov_b64 s[6:7], 0
.LBB212_597:
	s_and_b64 vcc, exec, s[6:7]
	s_cbranch_vccz .LBB212_646
; %bb.598:
	s_waitcnt vmcnt(0)
	v_mov_b32_e32 v1, 5
	v_cmp_lt_i16_sdwa s[4:5], v38, v1 src0_sel:BYTE_0 src1_sel:DWORD
	s_and_b64 vcc, exec, s[4:5]
	s_cbranch_vccnz .LBB212_603
; %bb.599:
	v_mov_b32_e32 v1, 8
	v_cmp_lt_i16_sdwa s[4:5], v38, v1 src0_sel:BYTE_0 src1_sel:DWORD
	s_and_b64 vcc, exec, s[4:5]
	s_cbranch_vccnz .LBB212_604
; %bb.600:
	;; [unrolled: 5-line block ×3, first 2 shown]
	v_cmp_gt_i16_sdwa s[4:5], v38, v1 src0_sel:BYTE_0 src1_sel:DWORD
	s_and_b64 vcc, exec, s[4:5]
	s_cbranch_vccz .LBB212_606
; %bb.602:
	global_load_dwordx2 v[4:5], v[2:3], off
	s_movk_i32 s4, 0x7fff
	v_mov_b32_e32 v1, 0x7fc0
	s_waitcnt vmcnt(0)
	v_cvt_f32_f64_e32 v4, v[4:5]
	v_bfe_u32 v5, v4, 16, 1
	v_add3_u32 v5, v4, v5, s4
	v_lshrrev_b32_e32 v5, 16, v5
	v_cmp_o_f32_e32 vcc, v4, v4
	v_cndmask_b32_e32 v1, v1, v5, vcc
	s_mov_b64 s[4:5], 0
	s_branch .LBB212_607
.LBB212_603:
	s_mov_b64 s[4:5], -1
                                        ; implicit-def: $vgpr1
	s_branch .LBB212_625
.LBB212_604:
	s_mov_b64 s[4:5], -1
                                        ; implicit-def: $vgpr1
	s_branch .LBB212_613
.LBB212_605:
	s_mov_b64 s[4:5], -1
                                        ; implicit-def: $vgpr1
	s_branch .LBB212_610
.LBB212_606:
	s_mov_b64 s[4:5], -1
                                        ; implicit-def: $vgpr1
.LBB212_607:
	s_andn2_b64 vcc, exec, s[4:5]
	s_cbranch_vccnz .LBB212_609
; %bb.608:
	global_load_dword v1, v[2:3], off
	s_movk_i32 s4, 0x7fff
	v_mov_b32_e32 v4, 0x7fc0
	s_waitcnt vmcnt(0)
	v_bfe_u32 v5, v1, 16, 1
	v_add3_u32 v5, v1, v5, s4
	v_lshrrev_b32_e32 v5, 16, v5
	v_cmp_o_f32_e32 vcc, v1, v1
	v_cndmask_b32_e32 v1, v4, v5, vcc
.LBB212_609:
	s_mov_b64 s[4:5], 0
.LBB212_610:
	s_andn2_b64 vcc, exec, s[4:5]
	s_cbranch_vccnz .LBB212_612
; %bb.611:
	global_load_dword v1, v[2:3], off
	s_movk_i32 s4, 0x7fff
	v_mov_b32_e32 v5, 0x7fc0
	s_waitcnt vmcnt(0)
	v_cvt_f32_f16_e32 v4, v1
	v_cmp_o_f16_e32 vcc, v1, v1
	v_bfe_u32 v6, v4, 16, 1
	v_add3_u32 v4, v4, v6, s4
	v_lshrrev_b32_e32 v4, 16, v4
	v_cndmask_b32_e32 v1, v5, v4, vcc
.LBB212_612:
	s_mov_b64 s[4:5], 0
.LBB212_613:
	s_andn2_b64 vcc, exec, s[4:5]
	s_cbranch_vccnz .LBB212_624
; %bb.614:
	v_mov_b32_e32 v1, 6
	v_cmp_lt_i16_sdwa s[4:5], v38, v1 src0_sel:BYTE_0 src1_sel:DWORD
	s_and_b64 vcc, exec, s[4:5]
	s_cbranch_vccnz .LBB212_617
; %bb.615:
	v_cmp_gt_i16_sdwa s[4:5], v38, v1 src0_sel:BYTE_0 src1_sel:DWORD
	s_and_b64 vcc, exec, s[4:5]
	s_cbranch_vccz .LBB212_618
; %bb.616:
	global_load_dwordx2 v[4:5], v[2:3], off
	s_movk_i32 s4, 0x7fff
	v_mov_b32_e32 v1, 0x7fc0
	s_waitcnt vmcnt(0)
	v_cvt_f32_f64_e32 v4, v[4:5]
	v_bfe_u32 v5, v4, 16, 1
	v_add3_u32 v5, v4, v5, s4
	v_lshrrev_b32_e32 v5, 16, v5
	v_cmp_o_f32_e32 vcc, v4, v4
	v_cndmask_b32_e32 v1, v1, v5, vcc
	s_mov_b64 s[4:5], 0
	s_branch .LBB212_619
.LBB212_617:
	s_mov_b64 s[4:5], -1
                                        ; implicit-def: $vgpr1
	s_branch .LBB212_622
.LBB212_618:
	s_mov_b64 s[4:5], -1
                                        ; implicit-def: $vgpr1
.LBB212_619:
	s_andn2_b64 vcc, exec, s[4:5]
	s_cbranch_vccnz .LBB212_621
; %bb.620:
	global_load_dword v1, v[2:3], off
	s_movk_i32 s4, 0x7fff
	v_mov_b32_e32 v4, 0x7fc0
	s_waitcnt vmcnt(0)
	v_bfe_u32 v5, v1, 16, 1
	v_add3_u32 v5, v1, v5, s4
	v_lshrrev_b32_e32 v5, 16, v5
	v_cmp_o_f32_e32 vcc, v1, v1
	v_cndmask_b32_e32 v1, v4, v5, vcc
.LBB212_621:
	s_mov_b64 s[4:5], 0
.LBB212_622:
	s_andn2_b64 vcc, exec, s[4:5]
	s_cbranch_vccnz .LBB212_624
; %bb.623:
	global_load_ushort v1, v[2:3], off
	s_movk_i32 s4, 0x7fff
	v_mov_b32_e32 v5, 0x7fc0
	s_waitcnt vmcnt(0)
	v_cvt_f32_f16_e32 v4, v1
	v_cmp_o_f16_e32 vcc, v1, v1
	v_bfe_u32 v6, v4, 16, 1
	v_add3_u32 v4, v4, v6, s4
	v_lshrrev_b32_e32 v4, 16, v4
	v_cndmask_b32_e32 v1, v5, v4, vcc
.LBB212_624:
	s_mov_b64 s[4:5], 0
.LBB212_625:
	s_andn2_b64 vcc, exec, s[4:5]
	s_cbranch_vccnz .LBB212_645
; %bb.626:
	v_mov_b32_e32 v1, 2
	v_cmp_lt_i16_sdwa s[4:5], v38, v1 src0_sel:BYTE_0 src1_sel:DWORD
	s_and_b64 vcc, exec, s[4:5]
	s_cbranch_vccnz .LBB212_630
; %bb.627:
	v_mov_b32_e32 v1, 3
	v_cmp_lt_i16_sdwa s[4:5], v38, v1 src0_sel:BYTE_0 src1_sel:DWORD
	s_and_b64 vcc, exec, s[4:5]
	s_cbranch_vccnz .LBB212_631
; %bb.628:
	v_cmp_gt_i16_sdwa s[4:5], v38, v1 src0_sel:BYTE_0 src1_sel:DWORD
	s_and_b64 vcc, exec, s[4:5]
	s_cbranch_vccz .LBB212_632
; %bb.629:
	global_load_dwordx2 v[4:5], v[2:3], off
	s_movk_i32 s4, 0x7fff
	s_waitcnt vmcnt(0)
	v_xor_b32_e32 v6, v4, v5
	v_ffbh_i32_e32 v1, v5
	v_ashrrev_i32_e32 v6, 31, v6
	v_add_u32_e32 v1, -1, v1
	v_add_u32_e32 v6, 32, v6
	v_min_u32_e32 v1, v1, v6
	v_lshlrev_b64 v[4:5], v1, v[4:5]
	v_min_u32_e32 v4, 1, v4
	v_or_b32_e32 v4, v5, v4
	v_cvt_f32_i32_e32 v4, v4
	v_sub_u32_e32 v1, 32, v1
	v_ldexp_f32 v1, v4, v1
	v_bfe_u32 v4, v1, 16, 1
	v_add3_u32 v1, v1, v4, s4
	v_lshrrev_b32_e32 v1, 16, v1
	s_mov_b64 s[4:5], 0
	s_branch .LBB212_633
.LBB212_630:
	s_mov_b64 s[4:5], -1
                                        ; implicit-def: $vgpr1
	s_branch .LBB212_639
.LBB212_631:
	s_mov_b64 s[4:5], -1
                                        ; implicit-def: $vgpr1
	s_branch .LBB212_636
.LBB212_632:
	s_mov_b64 s[4:5], -1
                                        ; implicit-def: $vgpr1
.LBB212_633:
	s_andn2_b64 vcc, exec, s[4:5]
	s_cbranch_vccnz .LBB212_635
; %bb.634:
	global_load_dword v1, v[2:3], off
	s_movk_i32 s4, 0x7fff
	s_waitcnt vmcnt(0)
	v_cvt_f32_i32_e32 v1, v1
	v_bfe_u32 v4, v1, 16, 1
	v_add3_u32 v1, v1, v4, s4
	v_lshrrev_b32_e32 v1, 16, v1
.LBB212_635:
	s_mov_b64 s[4:5], 0
.LBB212_636:
	s_andn2_b64 vcc, exec, s[4:5]
	s_cbranch_vccnz .LBB212_638
; %bb.637:
	global_load_sshort v1, v[2:3], off
	s_movk_i32 s4, 0x7fff
	s_waitcnt vmcnt(0)
	v_cvt_f32_i32_e32 v1, v1
	v_bfe_u32 v4, v1, 16, 1
	v_add3_u32 v1, v1, v4, s4
	v_lshrrev_b32_e32 v1, 16, v1
.LBB212_638:
	s_mov_b64 s[4:5], 0
.LBB212_639:
	s_andn2_b64 vcc, exec, s[4:5]
	s_cbranch_vccnz .LBB212_645
; %bb.640:
	v_mov_b32_e32 v1, 0
	v_cmp_gt_i16_sdwa s[4:5], v38, v1 src0_sel:BYTE_0 src1_sel:DWORD
	s_and_b64 vcc, exec, s[4:5]
	s_cbranch_vccz .LBB212_642
; %bb.641:
	global_load_sbyte v1, v[2:3], off
	s_movk_i32 s4, 0x7fff
	s_waitcnt vmcnt(0)
	v_cvt_f32_i32_e32 v1, v1
	v_bfe_u32 v4, v1, 16, 1
	v_add3_u32 v1, v1, v4, s4
	v_lshrrev_b32_e32 v1, 16, v1
	s_mov_b64 s[4:5], 0
	s_branch .LBB212_643
.LBB212_642:
	s_mov_b64 s[4:5], -1
                                        ; implicit-def: $vgpr1
.LBB212_643:
	s_andn2_b64 vcc, exec, s[4:5]
	s_cbranch_vccnz .LBB212_645
; %bb.644:
	global_load_ubyte v1, v[2:3], off
	s_movk_i32 s4, 0x7fff
	s_waitcnt vmcnt(0)
	v_cvt_f32_ubyte0_e32 v1, v1
	v_bfe_u32 v2, v1, 16, 1
	v_add3_u32 v1, v1, v2, s4
	v_lshrrev_b32_e32 v1, 16, v1
.LBB212_645:
	s_mov_b64 s[4:5], -1
.LBB212_646:
	s_andn2_b64 vcc, exec, s[4:5]
	s_cbranch_vccnz .LBB212_654
; %bb.647:
	s_getpc_b64 s[4:5]
	s_add_u32 s4, s4, _ZZZZN2at6native33launch_standard_gamma_grad_kernelERNS_18TensorIteratorBaseEENKUlvE_clEvENKUlvE2_clEvENKUlN3c108BFloat16ES6_E_clES6_S6_@rel32@lo+4
	s_addc_u32 s5, s5, _ZZZZN2at6native33launch_standard_gamma_grad_kernelERNS_18TensorIteratorBaseEENKUlvE_clEvENKUlvE2_clEvENKUlN3c108BFloat16ES6_E_clES6_S6_@rel32@hi+12
	s_swappc_b64 s[30:31], s[4:5]
	v_mul_lo_u32 v1, v37, s36
	v_ashrrev_i32_e32 v3, 31, v1
	v_mov_b32_e32 v4, s25
	v_add_co_u32_e32 v2, vcc, s24, v1
	v_mov_b32_e32 v1, 11
	v_addc_co_u32_e32 v3, vcc, v4, v3, vcc
	v_cmp_lt_i16_sdwa s[4:5], v36, v1 src0_sel:BYTE_0 src1_sel:DWORD
	s_and_b64 vcc, exec, s[4:5]
	s_cbranch_vccnz .LBB212_655
; %bb.648:
	v_mov_b32_e32 v1, 25
	v_cmp_gt_i16_sdwa s[4:5], v36, v1 src0_sel:BYTE_0 src1_sel:DWORD
	s_and_b64 vcc, exec, s[4:5]
	s_cbranch_vccz .LBB212_656
; %bb.649:
	v_mov_b32_e32 v1, 28
	v_cmp_gt_i16_sdwa s[4:5], v36, v1 src0_sel:BYTE_0 src1_sel:DWORD
	s_and_b64 vcc, exec, s[4:5]
	s_cbranch_vccz .LBB212_657
	;; [unrolled: 5-line block ×4, first 2 shown]
; %bb.652:
	v_mov_b32_e32 v1, 46
	v_cmp_eq_u16_sdwa s[6:7], v36, v1 src0_sel:BYTE_0 src1_sel:DWORD
	s_mov_b64 s[8:9], 0
	s_mov_b64 s[4:5], -1
	s_and_b64 vcc, exec, s[6:7]
	s_mov_b64 s[6:7], 0
	s_cbranch_vccz .LBB212_660
; %bb.653:
	v_and_b32_e32 v1, 0xffff, v0
	global_store_dword v[2:3], v1, off
	s_mov_b64 s[6:7], -1
	s_mov_b64 s[4:5], 0
	s_branch .LBB212_660
.LBB212_654:
	s_mov_b64 s[6:7], 0
                                        ; implicit-def: $vgpr37
	s_mov_b64 s[4:5], s[40:41]
	s_branch .LBB212_770
.LBB212_655:
	s_mov_b64 s[8:9], -1
	s_mov_b64 s[6:7], 0
	s_mov_b64 s[4:5], s[40:41]
	s_branch .LBB212_729
.LBB212_656:
	s_mov_b64 s[8:9], -1
	s_mov_b64 s[6:7], 0
	s_mov_b64 s[4:5], s[40:41]
	s_branch .LBB212_687
.LBB212_657:
	s_mov_b64 s[8:9], -1
	s_mov_b64 s[6:7], 0
	s_mov_b64 s[4:5], s[40:41]
	s_branch .LBB212_670
.LBB212_658:
	s_mov_b64 s[8:9], -1
	s_mov_b64 s[6:7], 0
	s_mov_b64 s[4:5], s[40:41]
	s_branch .LBB212_666
.LBB212_659:
	s_mov_b64 s[8:9], -1
	s_mov_b64 s[6:7], 0
	s_mov_b64 s[4:5], s[40:41]
.LBB212_660:
	s_and_b64 vcc, exec, s[8:9]
	s_cbranch_vccz .LBB212_665
; %bb.661:
	v_mov_b32_e32 v1, 44
	v_cmp_eq_u16_sdwa s[8:9], v36, v1 src0_sel:BYTE_0 src1_sel:DWORD
	s_mov_b64 s[4:5], -1
	s_and_b64 vcc, exec, s[8:9]
	s_cbranch_vccz .LBB212_665
; %bb.662:
	v_and_b32_e32 v4, 0xffff, v0
	v_bfe_u32 v1, v4, 7, 8
	s_movk_i32 s4, 0xff
	v_cmp_ne_u32_e32 vcc, s4, v1
	v_mov_b32_e32 v5, 0xff
	s_and_saveexec_b64 s[6:7], vcc
; %bb.663:
	v_lshlrev_b32_e32 v6, 16, v4
	s_mov_b32 s4, 0x3f0000
	v_lshrrev_b32_e32 v5, 7, v4
	v_and_b32_e32 v4, 64, v4
	v_and_or_b32 v1, v6, s4, v1
	v_cmp_ne_u32_e32 vcc, 0, v4
	v_cmp_ne_u32_e64 s[4:5], 0, v1
	s_and_b64 s[4:5], vcc, s[4:5]
	v_cndmask_b32_e64 v1, 0, 1, s[4:5]
	v_add_u32_e32 v5, v5, v1
; %bb.664:
	s_or_b64 exec, exec, s[6:7]
	s_mov_b64 s[6:7], -1
	s_mov_b64 s[4:5], 0
	global_store_byte v[2:3], v5, off
.LBB212_665:
	s_mov_b64 s[8:9], 0
.LBB212_666:
	s_and_b64 vcc, exec, s[8:9]
	s_cbranch_vccz .LBB212_669
; %bb.667:
	v_mov_b32_e32 v1, 29
	v_cmp_eq_u16_sdwa s[8:9], v36, v1 src0_sel:BYTE_0 src1_sel:DWORD
	s_mov_b64 s[4:5], -1
	s_and_b64 vcc, exec, s[8:9]
	s_cbranch_vccz .LBB212_669
; %bb.668:
	v_lshlrev_b32_e32 v1, 16, v0
	v_trunc_f32_e32 v1, v1
	v_mul_f32_e32 v4, 0x2f800000, v1
	v_floor_f32_e32 v4, v4
	v_fmac_f32_e32 v1, 0xcf800000, v4
	v_cvt_u32_f32_e32 v5, v4
	v_cvt_u32_f32_e32 v4, v1
	s_mov_b64 s[6:7], -1
	s_mov_b64 s[4:5], 0
	s_mov_b64 s[8:9], 0
	global_store_dwordx2 v[2:3], v[4:5], off
	s_branch .LBB212_670
.LBB212_669:
	s_mov_b64 s[8:9], 0
.LBB212_670:
	s_and_b64 vcc, exec, s[8:9]
	s_cbranch_vccz .LBB212_686
; %bb.671:
	v_mov_b32_e32 v1, 27
	v_cmp_lt_i16_sdwa s[8:9], v36, v1 src0_sel:BYTE_0 src1_sel:DWORD
	s_mov_b64 s[6:7], -1
	s_and_b64 vcc, exec, s[8:9]
	s_cbranch_vccnz .LBB212_677
; %bb.672:
	v_cmp_gt_i16_sdwa s[8:9], v36, v1 src0_sel:BYTE_0 src1_sel:DWORD
	s_and_b64 vcc, exec, s[8:9]
	s_cbranch_vccz .LBB212_674
; %bb.673:
	v_lshlrev_b32_e32 v1, 16, v0
	v_cvt_u32_f32_e32 v1, v1
	s_mov_b64 s[6:7], 0
	global_store_dword v[2:3], v1, off
.LBB212_674:
	s_andn2_b64 vcc, exec, s[6:7]
	s_cbranch_vccnz .LBB212_676
; %bb.675:
	v_lshlrev_b32_e32 v1, 16, v0
	v_cvt_u32_f32_e32 v1, v1
	global_store_short v[2:3], v1, off
.LBB212_676:
	s_mov_b64 s[6:7], 0
.LBB212_677:
	s_andn2_b64 vcc, exec, s[6:7]
	s_cbranch_vccnz .LBB212_685
; %bb.678:
	v_lshlrev_b32_e32 v5, 16, v0
	v_and_b32_e32 v4, 0x7fffffff, v5
	s_mov_b32 s6, 0x43800000
	v_cmp_gt_u32_e32 vcc, s6, v4
	v_mov_b32_e32 v6, 0x80
	s_and_saveexec_b64 s[6:7], vcc
	s_cbranch_execz .LBB212_684
; %bb.679:
	s_mov_b32 s8, 0x3bffffff
	v_and_b32_e32 v1, 0xffff, v0
	v_cmp_lt_u32_e32 vcc, s8, v4
	s_mov_b64 s[8:9], 0
                                        ; implicit-def: $vgpr4
	s_and_saveexec_b64 s[10:11], vcc
	s_xor_b64 s[10:11], exec, s[10:11]
	s_cbranch_execz .LBB212_786
; %bb.680:
	v_bfe_u32 v4, v1, 4, 1
	s_mov_b32 s12, 0x487ffff
	v_add3_u32 v4, v5, v4, s12
	s_mov_b64 s[8:9], exec
	v_lshrrev_b32_e32 v4, 20, v4
                                        ; implicit-def: $vgpr5
	s_or_saveexec_b64 s[10:11], s[10:11]
                                        ; implicit-def: $sgpr12
	s_xor_b64 exec, exec, s[10:11]
	s_cbranch_execnz .LBB212_787
.LBB212_681:
	s_or_b64 exec, exec, s[10:11]
	v_mov_b32_e32 v6, s12
	s_and_saveexec_b64 s[10:11], s[8:9]
.LBB212_682:
	v_lshrrev_b32_e32 v1, 8, v1
	s_movk_i32 s8, 0x80
	v_and_or_b32 v6, v1, s8, v4
.LBB212_683:
	s_or_b64 exec, exec, s[10:11]
.LBB212_684:
	s_or_b64 exec, exec, s[6:7]
	global_store_byte v[2:3], v6, off
.LBB212_685:
	s_mov_b64 s[6:7], -1
.LBB212_686:
	s_mov_b64 s[8:9], 0
.LBB212_687:
	s_and_b64 vcc, exec, s[8:9]
	s_cbranch_vccz .LBB212_728
; %bb.688:
	v_mov_b32_e32 v1, 22
	v_cmp_gt_i16_sdwa s[10:11], v36, v1 src0_sel:BYTE_0 src1_sel:DWORD
	s_mov_b64 s[8:9], -1
	s_and_b64 vcc, exec, s[10:11]
	s_cbranch_vccz .LBB212_720
; %bb.689:
	v_mov_b32_e32 v1, 24
	v_cmp_lt_i16_sdwa s[8:9], v36, v1 src0_sel:BYTE_0 src1_sel:DWORD
	s_mov_b64 s[6:7], -1
	s_and_b64 vcc, exec, s[8:9]
	s_cbranch_vccnz .LBB212_709
; %bb.690:
	v_cmp_gt_i16_sdwa s[8:9], v36, v1 src0_sel:BYTE_0 src1_sel:DWORD
	s_and_b64 vcc, exec, s[8:9]
	s_cbranch_vccz .LBB212_698
; %bb.691:
	v_lshlrev_b32_e32 v5, 16, v0
	v_and_b32_e32 v4, 0x7fffffff, v5
	s_mov_b32 s6, 0x47800000
	v_cmp_gt_u32_e32 vcc, s6, v4
	v_mov_b32_e32 v6, 0x80
	s_and_saveexec_b64 s[6:7], vcc
	s_cbranch_execz .LBB212_697
; %bb.692:
	s_mov_b32 s8, 0x37ffffff
	v_and_b32_e32 v1, 0xffff, v0
	v_cmp_lt_u32_e32 vcc, s8, v4
	s_mov_b64 s[8:9], 0
                                        ; implicit-def: $vgpr4
	s_and_saveexec_b64 s[10:11], vcc
	s_xor_b64 s[10:11], exec, s[10:11]
	s_cbranch_execz .LBB212_918
; %bb.693:
	v_bfe_u32 v4, v1, 5, 1
	s_mov_b32 s12, 0x88fffff
	v_add3_u32 v4, v5, v4, s12
	s_mov_b64 s[8:9], exec
	v_lshrrev_b32_e32 v4, 21, v4
                                        ; implicit-def: $vgpr5
	s_or_saveexec_b64 s[10:11], s[10:11]
                                        ; implicit-def: $sgpr12
	s_xor_b64 exec, exec, s[10:11]
	s_cbranch_execnz .LBB212_919
.LBB212_694:
	s_or_b64 exec, exec, s[10:11]
	v_mov_b32_e32 v6, s12
	s_and_saveexec_b64 s[10:11], s[8:9]
.LBB212_695:
	v_lshrrev_b32_e32 v1, 8, v1
	s_movk_i32 s8, 0x80
	v_and_or_b32 v6, v1, s8, v4
.LBB212_696:
	s_or_b64 exec, exec, s[10:11]
.LBB212_697:
	s_or_b64 exec, exec, s[6:7]
	s_mov_b64 s[6:7], 0
	global_store_byte v[2:3], v6, off
.LBB212_698:
	s_and_b64 vcc, exec, s[6:7]
	s_cbranch_vccz .LBB212_708
; %bb.699:
	v_lshlrev_b32_e32 v5, 16, v0
	v_and_b32_e32 v6, 0x7fffffff, v5
	s_mov_b32 s6, 0x43f00000
	v_and_b32_e32 v1, 0xffff, v0
	v_cmp_gt_u32_e32 vcc, s6, v6
                                        ; implicit-def: $vgpr4
	s_and_saveexec_b64 s[6:7], vcc
	s_xor_b64 s[6:7], exec, s[6:7]
	s_cbranch_execz .LBB212_705
; %bb.700:
	s_mov_b32 s8, 0x3c7fffff
	v_cmp_lt_u32_e32 vcc, s8, v6
                                        ; implicit-def: $vgpr4
	s_and_saveexec_b64 s[8:9], vcc
	s_xor_b64 s[8:9], exec, s[8:9]
; %bb.701:
	v_bfe_u32 v4, v1, 4, 1
	s_mov_b32 s10, 0x407ffff
	v_add3_u32 v4, v5, v4, s10
	v_lshrrev_b32_e32 v5, 20, v4
	v_and_b32_e32 v4, 0xff00000, v4
	s_mov_b32 s10, 0x7f00000
	v_mov_b32_e32 v6, 0x7e
	v_cmp_ne_u32_e32 vcc, s10, v4
	v_cndmask_b32_e32 v4, v6, v5, vcc
                                        ; implicit-def: $vgpr5
; %bb.702:
	s_andn2_saveexec_b64 s[8:9], s[8:9]
; %bb.703:
	s_mov_b32 s10, 0x46800000
	v_add_f32_e64 v4, |v5|, s10
; %bb.704:
	s_or_b64 exec, exec, s[8:9]
                                        ; implicit-def: $vgpr6
.LBB212_705:
	s_andn2_saveexec_b64 s[6:7], s[6:7]
; %bb.706:
	s_mov_b32 s8, 0x7f800000
	v_mov_b32_e32 v4, 0x7e
	v_mov_b32_e32 v5, 0x7f
	v_cmp_lt_u32_e32 vcc, s8, v6
	v_cndmask_b32_e32 v4, v4, v5, vcc
; %bb.707:
	s_or_b64 exec, exec, s[6:7]
	v_lshrrev_b32_e32 v1, 8, v1
	s_movk_i32 s6, 0x80
	v_and_or_b32 v1, v1, s6, v4
	global_store_byte v[2:3], v1, off
.LBB212_708:
	s_mov_b64 s[6:7], 0
.LBB212_709:
	s_andn2_b64 vcc, exec, s[6:7]
	s_cbranch_vccnz .LBB212_719
; %bb.710:
	v_lshlrev_b32_e32 v5, 16, v0
	v_and_b32_e32 v6, 0x7fffffff, v5
	s_mov_b32 s6, 0x47800000
	v_and_b32_e32 v1, 0xffff, v0
	v_cmp_gt_u32_e32 vcc, s6, v6
                                        ; implicit-def: $vgpr4
	s_and_saveexec_b64 s[6:7], vcc
	s_xor_b64 s[6:7], exec, s[6:7]
	s_cbranch_execz .LBB212_716
; %bb.711:
	s_mov_b32 s8, 0x387fffff
	v_cmp_lt_u32_e32 vcc, s8, v6
                                        ; implicit-def: $vgpr4
	s_and_saveexec_b64 s[8:9], vcc
	s_xor_b64 s[8:9], exec, s[8:9]
; %bb.712:
	v_bfe_u32 v4, v1, 5, 1
	s_mov_b32 s10, 0x80fffff
	v_add3_u32 v4, v5, v4, s10
	v_lshrrev_b32_e32 v4, 21, v4
                                        ; implicit-def: $vgpr5
; %bb.713:
	s_andn2_saveexec_b64 s[8:9], s[8:9]
; %bb.714:
	s_mov_b32 s10, 0x43000000
	v_add_f32_e64 v4, |v5|, s10
; %bb.715:
	s_or_b64 exec, exec, s[8:9]
                                        ; implicit-def: $vgpr6
.LBB212_716:
	s_andn2_saveexec_b64 s[6:7], s[6:7]
; %bb.717:
	s_mov_b32 s8, 0x7f800000
	v_mov_b32_e32 v4, 0x7c
	v_mov_b32_e32 v5, 0x7f
	v_cmp_lt_u32_e32 vcc, s8, v6
	v_cndmask_b32_e32 v4, v4, v5, vcc
; %bb.718:
	s_or_b64 exec, exec, s[6:7]
	v_lshrrev_b32_e32 v1, 8, v1
	s_movk_i32 s6, 0x80
	v_and_or_b32 v1, v1, s6, v4
	global_store_byte v[2:3], v1, off
.LBB212_719:
	s_mov_b64 s[8:9], 0
	s_mov_b64 s[6:7], -1
.LBB212_720:
	s_andn2_b64 vcc, exec, s[8:9]
	s_cbranch_vccnz .LBB212_728
; %bb.721:
	v_mov_b32_e32 v1, 14
	v_cmp_gt_i16_sdwa s[10:11], v36, v1 src0_sel:BYTE_0 src1_sel:DWORD
	s_mov_b64 s[8:9], -1
	s_and_b64 vcc, exec, s[10:11]
	s_cbranch_vccz .LBB212_725
; %bb.722:
	v_mov_b32_e32 v1, 15
	v_cmp_eq_u16_sdwa s[8:9], v36, v1 src0_sel:BYTE_0 src1_sel:DWORD
	s_mov_b64 s[4:5], -1
	s_and_b64 vcc, exec, s[8:9]
	s_cbranch_vccz .LBB212_724
; %bb.723:
	global_store_short v[2:3], v0, off
	s_mov_b64 s[6:7], -1
	s_mov_b64 s[4:5], 0
.LBB212_724:
	s_mov_b64 s[8:9], 0
.LBB212_725:
	s_and_b64 vcc, exec, s[8:9]
	s_cbranch_vccz .LBB212_728
; %bb.726:
	v_mov_b32_e32 v1, 11
	v_cmp_eq_u16_sdwa s[8:9], v36, v1 src0_sel:BYTE_0 src1_sel:DWORD
	s_mov_b64 s[4:5], -1
	s_and_b64 vcc, exec, s[8:9]
	s_cbranch_vccz .LBB212_728
; %bb.727:
	v_and_b32_e32 v1, 0x7fff, v0
	v_cmp_ne_u16_e32 vcc, 0, v1
	v_cndmask_b32_e64 v1, 0, 1, vcc
	s_mov_b64 s[6:7], -1
	s_mov_b64 s[4:5], 0
	global_store_byte v[2:3], v1, off
.LBB212_728:
	s_mov_b64 s[8:9], 0
.LBB212_729:
	s_and_b64 vcc, exec, s[8:9]
	s_cbranch_vccz .LBB212_768
; %bb.730:
	v_mov_b32_e32 v1, 5
	v_cmp_lt_i16_sdwa s[8:9], v36, v1 src0_sel:BYTE_0 src1_sel:DWORD
	s_mov_b64 s[6:7], -1
	s_and_b64 vcc, exec, s[8:9]
	s_cbranch_vccnz .LBB212_751
; %bb.731:
	v_mov_b32_e32 v1, 8
	v_cmp_lt_i16_sdwa s[8:9], v36, v1 src0_sel:BYTE_0 src1_sel:DWORD
	s_and_b64 vcc, exec, s[8:9]
	s_cbranch_vccnz .LBB212_741
; %bb.732:
	v_mov_b32_e32 v1, 9
	v_cmp_lt_i16_sdwa s[8:9], v36, v1 src0_sel:BYTE_0 src1_sel:DWORD
	s_and_b64 vcc, exec, s[8:9]
	s_cbranch_vccnz .LBB212_738
; %bb.733:
	v_cmp_gt_i16_sdwa s[8:9], v36, v1 src0_sel:BYTE_0 src1_sel:DWORD
	s_and_b64 vcc, exec, s[8:9]
	s_cbranch_vccz .LBB212_735
; %bb.734:
	v_lshlrev_b32_e32 v1, 16, v0
	v_mov_b32_e32 v6, 0
	v_cvt_f64_f32_e32 v[4:5], v1
	v_mov_b32_e32 v7, v6
	s_mov_b64 s[6:7], 0
	global_store_dwordx4 v[2:3], v[4:7], off
.LBB212_735:
	s_andn2_b64 vcc, exec, s[6:7]
	s_cbranch_vccnz .LBB212_737
; %bb.736:
	v_lshlrev_b32_e32 v4, 16, v0
	v_mov_b32_e32 v5, 0
	global_store_dwordx2 v[2:3], v[4:5], off
.LBB212_737:
	s_mov_b64 s[6:7], 0
.LBB212_738:
	s_andn2_b64 vcc, exec, s[6:7]
	s_cbranch_vccnz .LBB212_740
; %bb.739:
	v_lshlrev_b32_e32 v1, 16, v0
	v_cvt_f16_f32_e32 v1, v1
	global_store_dword v[2:3], v1, off
.LBB212_740:
	s_mov_b64 s[6:7], 0
.LBB212_741:
	s_andn2_b64 vcc, exec, s[6:7]
	s_cbranch_vccnz .LBB212_750
; %bb.742:
	v_mov_b32_e32 v1, 6
	v_cmp_lt_i16_sdwa s[8:9], v36, v1 src0_sel:BYTE_0 src1_sel:DWORD
	s_mov_b64 s[6:7], -1
	s_and_b64 vcc, exec, s[8:9]
	s_cbranch_vccnz .LBB212_748
; %bb.743:
	v_cmp_gt_i16_sdwa s[8:9], v36, v1 src0_sel:BYTE_0 src1_sel:DWORD
	s_and_b64 vcc, exec, s[8:9]
	s_cbranch_vccz .LBB212_745
; %bb.744:
	v_lshlrev_b32_e32 v1, 16, v0
	v_cvt_f64_f32_e32 v[4:5], v1
	s_mov_b64 s[6:7], 0
	global_store_dwordx2 v[2:3], v[4:5], off
.LBB212_745:
	s_andn2_b64 vcc, exec, s[6:7]
	s_cbranch_vccnz .LBB212_747
; %bb.746:
	v_lshlrev_b32_e32 v1, 16, v0
	global_store_dword v[2:3], v1, off
.LBB212_747:
	s_mov_b64 s[6:7], 0
.LBB212_748:
	s_andn2_b64 vcc, exec, s[6:7]
	s_cbranch_vccnz .LBB212_750
; %bb.749:
	v_lshlrev_b32_e32 v1, 16, v0
	v_cvt_f16_f32_e32 v1, v1
	global_store_short v[2:3], v1, off
.LBB212_750:
	s_mov_b64 s[6:7], 0
.LBB212_751:
	s_andn2_b64 vcc, exec, s[6:7]
	s_cbranch_vccnz .LBB212_767
; %bb.752:
	v_mov_b32_e32 v1, 2
	v_cmp_lt_i16_sdwa s[8:9], v36, v1 src0_sel:BYTE_0 src1_sel:DWORD
	s_mov_b64 s[6:7], -1
	s_and_b64 vcc, exec, s[8:9]
	s_cbranch_vccnz .LBB212_762
; %bb.753:
	v_mov_b32_e32 v1, 3
	v_cmp_lt_i16_sdwa s[8:9], v36, v1 src0_sel:BYTE_0 src1_sel:DWORD
	s_and_b64 vcc, exec, s[8:9]
	s_cbranch_vccnz .LBB212_759
; %bb.754:
	v_cmp_gt_i16_sdwa s[8:9], v36, v1 src0_sel:BYTE_0 src1_sel:DWORD
	s_and_b64 vcc, exec, s[8:9]
	s_cbranch_vccz .LBB212_756
; %bb.755:
	v_lshlrev_b32_e32 v1, 16, v0
	v_trunc_f32_e32 v1, v1
	s_mov_b32 s6, 0x2f800000
	v_mul_f32_e64 v4, |v1|, s6
	v_floor_f32_e32 v4, v4
	s_mov_b32 s6, 0xcf800000
	v_cvt_u32_f32_e32 v5, v4
	v_fma_f32 v4, v4, s6, |v1|
	v_cvt_u32_f32_e32 v4, v4
	v_ashrrev_i32_e32 v1, 31, v1
	v_xor_b32_e32 v5, v5, v1
	s_mov_b64 s[6:7], 0
	v_xor_b32_e32 v4, v4, v1
	v_sub_co_u32_e32 v4, vcc, v4, v1
	v_subb_co_u32_e32 v5, vcc, v5, v1, vcc
	global_store_dwordx2 v[2:3], v[4:5], off
.LBB212_756:
	s_andn2_b64 vcc, exec, s[6:7]
	s_cbranch_vccnz .LBB212_758
; %bb.757:
	v_lshlrev_b32_e32 v1, 16, v0
	v_cvt_i32_f32_e32 v1, v1
	global_store_dword v[2:3], v1, off
.LBB212_758:
	s_mov_b64 s[6:7], 0
.LBB212_759:
	s_andn2_b64 vcc, exec, s[6:7]
	s_cbranch_vccnz .LBB212_761
; %bb.760:
	v_lshlrev_b32_e32 v1, 16, v0
	v_cvt_i32_f32_e32 v1, v1
	global_store_short v[2:3], v1, off
.LBB212_761:
	s_mov_b64 s[6:7], 0
.LBB212_762:
	s_andn2_b64 vcc, exec, s[6:7]
	s_cbranch_vccnz .LBB212_767
; %bb.763:
	v_mov_b32_e32 v1, 0
	v_cmp_gt_i16_sdwa s[8:9], v36, v1 src0_sel:BYTE_0 src1_sel:DWORD
	s_mov_b64 s[6:7], -1
	s_and_b64 vcc, exec, s[8:9]
	v_lshlrev_b32_e32 v0, 16, v0
	s_cbranch_vccz .LBB212_765
; %bb.764:
	v_cvt_i32_f32_e32 v1, v0
	s_mov_b64 s[6:7], 0
	global_store_byte v[2:3], v1, off
.LBB212_765:
	s_andn2_b64 vcc, exec, s[6:7]
	s_cbranch_vccnz .LBB212_767
; %bb.766:
	v_trunc_f32_e32 v0, v0
	s_mov_b32 s6, 0x2f800000
	v_mul_f32_e64 v1, |v0|, s6
	v_floor_f32_e32 v1, v1
	s_mov_b32 s6, 0xcf800000
	v_fma_f32 v1, v1, s6, |v0|
	v_cvt_u32_f32_e32 v1, v1
	v_ashrrev_i32_e32 v0, 31, v0
	v_xor_b32_e32 v1, v1, v0
	v_sub_u32_e32 v0, v1, v0
	global_store_byte v[2:3], v0, off
.LBB212_767:
	s_mov_b64 s[6:7], -1
.LBB212_768:
	s_andn2_b64 vcc, exec, s[6:7]
	s_cbranch_vccnz .LBB212_781
; %bb.769:
	v_add_u32_e32 v37, 0x80, v37
	s_mov_b64 s[6:7], -1
.LBB212_770:
	s_andn2_b64 s[8:9], s[40:41], exec
	s_and_b64 s[4:5], s[4:5], exec
	s_or_b64 s[52:53], s[8:9], s[4:5]
	s_andn2_b64 s[4:5], s[42:43], exec
	s_and_b64 s[8:9], s[50:51], exec
	s_or_b64 s[50:51], s[4:5], s[8:9]
	;; [unrolled: 3-line block ×3, first 2 shown]
	s_orn2_b64 s[4:5], s[6:7], exec
.LBB212_771:
	s_or_b64 exec, exec, s[54:55]
	s_mov_b64 s[10:11], 0
	s_mov_b64 s[8:9], 0
	;; [unrolled: 1-line block ×3, first 2 shown]
                                        ; implicit-def: $vgpr1
                                        ; implicit-def: $vgpr2_vgpr3
                                        ; implicit-def: $vgpr0
	s_and_saveexec_b64 s[54:55], s[4:5]
	s_cbranch_execz .LBB212_1245
; %bb.772:
	v_cmp_gt_i32_e32 vcc, s33, v37
	s_mov_b64 s[18:19], -1
	s_mov_b64 s[4:5], s[48:49]
	s_mov_b64 s[6:7], s[50:51]
	;; [unrolled: 1-line block ×3, first 2 shown]
	s_and_saveexec_b64 s[56:57], vcc
	s_cbranch_execz .LBB212_1160
; %bb.773:
	s_waitcnt vmcnt(0)
	v_mul_lo_u32 v0, v37, s37
	v_ashrrev_i32_e32 v1, 31, v0
	v_mov_b32_e32 v3, s27
	v_add_co_u32_e32 v2, vcc, s26, v0
	v_mov_b32_e32 v0, 11
	v_addc_co_u32_e32 v3, vcc, v3, v1, vcc
	v_cmp_lt_i16_sdwa s[4:5], v35, v0 src0_sel:BYTE_0 src1_sel:DWORD
	s_and_b64 vcc, exec, s[4:5]
	s_cbranch_vccnz .LBB212_780
; %bb.774:
	v_mov_b32_e32 v0, 25
	v_cmp_gt_i16_sdwa s[4:5], v35, v0 src0_sel:BYTE_0 src1_sel:DWORD
	s_and_b64 vcc, exec, s[4:5]
	s_cbranch_vccz .LBB212_782
; %bb.775:
	v_mov_b32_e32 v0, 28
	v_cmp_gt_i16_sdwa s[4:5], v35, v0 src0_sel:BYTE_0 src1_sel:DWORD
	s_and_b64 vcc, exec, s[4:5]
	s_cbranch_vccz .LBB212_783
	;; [unrolled: 5-line block ×4, first 2 shown]
; %bb.778:
	v_mov_b32_e32 v0, 46
	v_cmp_eq_u16_sdwa s[4:5], v35, v0 src0_sel:BYTE_0 src1_sel:DWORD
	s_mov_b64 s[6:7], 0
	s_and_b64 vcc, exec, s[4:5]
	s_cbranch_vccz .LBB212_788
; %bb.779:
	global_load_dword v0, v[2:3], off
	s_mov_b64 s[4:5], -1
	s_mov_b64 s[58:59], 0
	s_branch .LBB212_789
.LBB212_780:
	s_mov_b64 s[6:7], -1
	s_mov_b64 s[4:5], 0
                                        ; implicit-def: $vgpr0
	s_mov_b64 s[58:59], s[48:49]
	s_branch .LBB212_854
.LBB212_781:
	s_mov_b64 s[6:7], 0
	s_branch .LBB212_528
.LBB212_782:
	s_mov_b64 s[6:7], -1
	s_mov_b64 s[4:5], 0
	s_mov_b64 s[58:59], s[48:49]
                                        ; implicit-def: $vgpr0
	s_branch .LBB212_818
.LBB212_783:
	s_mov_b64 s[6:7], -1
	s_mov_b64 s[4:5], 0
	s_mov_b64 s[58:59], s[48:49]
                                        ; implicit-def: $vgpr0
	s_branch .LBB212_799
.LBB212_784:
	s_mov_b64 s[6:7], -1
	s_mov_b64 s[4:5], 0
	s_mov_b64 s[58:59], s[48:49]
                                        ; implicit-def: $vgpr0
	s_branch .LBB212_794
.LBB212_785:
	s_mov_b64 s[6:7], -1
	s_mov_b64 s[4:5], 0
	s_mov_b64 s[58:59], s[48:49]
                                        ; implicit-def: $vgpr0
	s_branch .LBB212_789
.LBB212_786:
	s_or_saveexec_b64 s[10:11], s[10:11]
                                        ; implicit-def: $sgpr12
	s_xor_b64 exec, exec, s[10:11]
	s_cbranch_execz .LBB212_681
.LBB212_787:
	s_mov_b32 s12, 0x46000000
	v_add_f32_e64 v4, |v5|, s12
	v_and_b32_e32 v4, 0xff, v4
	v_cmp_ne_u32_e32 vcc, 0, v4
	s_andn2_b64 s[8:9], s[8:9], exec
	s_and_b64 s[14:15], vcc, exec
	s_mov_b32 s12, 0
	s_or_b64 s[8:9], s[8:9], s[14:15]
	s_or_b64 exec, exec, s[10:11]
	v_mov_b32_e32 v6, s12
	s_and_saveexec_b64 s[10:11], s[8:9]
	s_cbranch_execnz .LBB212_682
	s_branch .LBB212_683
.LBB212_788:
	s_mov_b64 s[58:59], -1
                                        ; implicit-def: $vgpr0
	s_mov_b64 s[4:5], 0
.LBB212_789:
	s_and_b64 vcc, exec, s[6:7]
	s_cbranch_vccz .LBB212_793
; %bb.790:
	s_waitcnt vmcnt(0)
	v_mov_b32_e32 v0, 44
	v_cmp_eq_u16_sdwa s[6:7], v35, v0 src0_sel:BYTE_0 src1_sel:DWORD
	s_and_b64 vcc, exec, s[6:7]
	s_cbranch_vccz .LBB212_792
; %bb.791:
	global_load_ubyte v0, v[2:3], off
	s_movk_i32 s6, 0xff
	v_mov_b32_e32 v1, 0x7f800001
	v_mov_b32_e32 v4, 0x400000
	;; [unrolled: 1-line block ×3, first 2 shown]
	s_mov_b64 s[4:5], -1
	s_mov_b64 s[58:59], 0
	s_waitcnt vmcnt(0)
	v_lshlrev_b32_e32 v6, 23, v0
	v_cmp_ne_u32_e32 vcc, s6, v0
	v_cndmask_b32_e32 v1, v1, v6, vcc
	v_cmp_ne_u32_e32 vcc, 0, v0
	v_cndmask_b32_e32 v0, v4, v1, vcc
	v_add_u32_e32 v1, 0x7fff, v0
	v_lshrrev_b32_e32 v1, 16, v1
	v_cmp_o_f32_e32 vcc, v0, v0
	v_cndmask_b32_e32 v0, v5, v1, vcc
	s_branch .LBB212_793
.LBB212_792:
	s_mov_b64 s[58:59], -1
                                        ; implicit-def: $vgpr0
.LBB212_793:
	s_mov_b64 s[6:7], 0
.LBB212_794:
	s_and_b64 vcc, exec, s[6:7]
	s_cbranch_vccz .LBB212_798
; %bb.795:
	s_waitcnt vmcnt(0)
	v_mov_b32_e32 v0, 29
	v_cmp_eq_u16_sdwa s[6:7], v35, v0 src0_sel:BYTE_0 src1_sel:DWORD
	s_and_b64 vcc, exec, s[6:7]
	s_cbranch_vccz .LBB212_797
; %bb.796:
	global_load_dwordx2 v[0:1], v[2:3], off
	s_movk_i32 s6, 0x7fff
	s_mov_b64 s[4:5], -1
	s_mov_b64 s[58:59], 0
	s_waitcnt vmcnt(0)
	v_ffbh_u32_e32 v4, v1
	v_min_u32_e32 v4, 32, v4
	v_lshlrev_b64 v[0:1], v4, v[0:1]
	v_min_u32_e32 v0, 1, v0
	v_or_b32_e32 v0, v1, v0
	v_cvt_f32_u32_e32 v0, v0
	v_sub_u32_e32 v1, 32, v4
	v_ldexp_f32 v0, v0, v1
	v_bfe_u32 v1, v0, 16, 1
	v_add3_u32 v0, v0, v1, s6
	v_lshrrev_b32_e32 v0, 16, v0
	s_branch .LBB212_798
.LBB212_797:
	s_mov_b64 s[58:59], -1
                                        ; implicit-def: $vgpr0
.LBB212_798:
	s_mov_b64 s[6:7], 0
.LBB212_799:
	s_and_b64 vcc, exec, s[6:7]
	s_cbranch_vccz .LBB212_817
; %bb.800:
	s_waitcnt vmcnt(0)
	v_mov_b32_e32 v0, 27
	v_cmp_lt_i16_sdwa s[4:5], v35, v0 src0_sel:BYTE_0 src1_sel:DWORD
	s_and_b64 vcc, exec, s[4:5]
	s_cbranch_vccnz .LBB212_803
; %bb.801:
	v_cmp_gt_i16_sdwa s[4:5], v35, v0 src0_sel:BYTE_0 src1_sel:DWORD
	s_and_b64 vcc, exec, s[4:5]
	s_cbranch_vccz .LBB212_804
; %bb.802:
	global_load_dword v0, v[2:3], off
	s_movk_i32 s4, 0x7fff
	s_waitcnt vmcnt(0)
	v_cvt_f32_u32_e32 v0, v0
	v_bfe_u32 v1, v0, 16, 1
	v_add3_u32 v0, v0, v1, s4
	v_lshrrev_b32_e32 v0, 16, v0
	s_mov_b64 s[4:5], 0
	s_branch .LBB212_805
.LBB212_803:
	s_mov_b64 s[4:5], -1
                                        ; implicit-def: $vgpr0
	s_branch .LBB212_808
.LBB212_804:
	s_mov_b64 s[4:5], -1
                                        ; implicit-def: $vgpr0
.LBB212_805:
	s_andn2_b64 vcc, exec, s[4:5]
	s_cbranch_vccnz .LBB212_807
; %bb.806:
	global_load_ushort v0, v[2:3], off
	s_movk_i32 s4, 0x7fff
	s_waitcnt vmcnt(0)
	v_cvt_f32_u32_e32 v0, v0
	v_bfe_u32 v1, v0, 16, 1
	v_add3_u32 v0, v0, v1, s4
	v_lshrrev_b32_e32 v0, 16, v0
.LBB212_807:
	s_mov_b64 s[4:5], 0
.LBB212_808:
	s_andn2_b64 vcc, exec, s[4:5]
	s_cbranch_vccnz .LBB212_816
; %bb.809:
	global_load_ubyte v0, v[2:3], off
	s_movk_i32 s4, 0x7f
                                        ; implicit-def: $sgpr10
	s_waitcnt vmcnt(0)
	v_cmp_lt_i16_e32 vcc, s4, v0
	s_mov_b64 s[4:5], 0
	s_and_saveexec_b64 s[6:7], vcc
	s_xor_b64 s[6:7], exec, s[6:7]
	s_cbranch_execz .LBB212_830
; %bb.810:
	s_movk_i32 s4, 0x80
	v_cmp_eq_u16_e32 vcc, s4, v0
	s_mov_b64 s[4:5], -1
                                        ; implicit-def: $sgpr10
	s_and_saveexec_b64 s[8:9], vcc
; %bb.811:
	s_mov_b32 s10, 0x7f800001
	s_xor_b64 s[4:5], exec, -1
; %bb.812:
	s_or_b64 exec, exec, s[8:9]
	s_and_b64 s[4:5], s[4:5], exec
	s_or_saveexec_b64 s[6:7], s[6:7]
	v_mov_b32_e32 v1, s10
	s_xor_b64 exec, exec, s[6:7]
	s_cbranch_execnz .LBB212_831
.LBB212_813:
	s_or_b64 exec, exec, s[6:7]
	s_and_saveexec_b64 s[6:7], s[4:5]
	s_cbranch_execz .LBB212_815
.LBB212_814:
	v_lshlrev_b32_e32 v1, 24, v0
	v_and_b32_e32 v0, 0xffff, v0
	v_and_b32_e32 v4, 7, v0
	v_ffbh_u32_e32 v6, v4
	v_min_u32_e32 v6, 32, v6
	v_subrev_u32_e32 v7, 28, v6
	v_bfe_u32 v5, v0, 3, 4
	v_lshlrev_b32_e32 v0, v7, v0
	v_sub_u32_e32 v6, 29, v6
	v_and_b32_e32 v0, 7, v0
	v_cmp_eq_u32_e32 vcc, 0, v5
	v_cndmask_b32_e32 v5, v5, v6, vcc
	v_cndmask_b32_e32 v0, v4, v0, vcc
	v_mov_b32_e32 v4, 0x3b800000
	v_lshlrev_b32_e32 v0, 20, v0
	v_and_b32_e32 v1, 0x80000000, v1
	v_lshl_add_u32 v4, v5, 23, v4
	v_or3_b32 v1, v1, v4, v0
.LBB212_815:
	s_or_b64 exec, exec, s[6:7]
	v_bfe_u32 v0, v1, 16, 1
	s_movk_i32 s4, 0x7fff
	v_add3_u32 v0, v1, v0, s4
	v_lshrrev_b32_e32 v0, 16, v0
	v_mov_b32_e32 v4, 0x7fc0
	v_cmp_o_f32_e32 vcc, v1, v1
	v_cndmask_b32_e32 v0, v4, v0, vcc
.LBB212_816:
	s_mov_b64 s[4:5], -1
.LBB212_817:
	s_mov_b64 s[6:7], 0
.LBB212_818:
	s_and_b64 vcc, exec, s[6:7]
	s_cbranch_vccz .LBB212_853
; %bb.819:
	s_waitcnt vmcnt(0)
	v_mov_b32_e32 v0, 22
	v_cmp_gt_i16_sdwa s[6:7], v35, v0 src0_sel:BYTE_0 src1_sel:DWORD
	s_and_b64 vcc, exec, s[6:7]
	s_cbranch_vccz .LBB212_829
; %bb.820:
	v_mov_b32_e32 v0, 24
	v_cmp_lt_i16_sdwa s[4:5], v35, v0 src0_sel:BYTE_0 src1_sel:DWORD
	s_and_b64 vcc, exec, s[4:5]
	s_cbranch_vccnz .LBB212_832
; %bb.821:
	v_cmp_gt_i16_sdwa s[4:5], v35, v0 src0_sel:BYTE_0 src1_sel:DWORD
	s_and_b64 vcc, exec, s[4:5]
	s_cbranch_vccz .LBB212_833
; %bb.822:
	global_load_ubyte v0, v[2:3], off
	s_movk_i32 s4, 0x7f
                                        ; implicit-def: $sgpr10
	s_waitcnt vmcnt(0)
	v_cmp_lt_i16_e32 vcc, s4, v0
	s_mov_b64 s[4:5], 0
	s_and_saveexec_b64 s[6:7], vcc
	s_xor_b64 s[6:7], exec, s[6:7]
	s_cbranch_execz .LBB212_845
; %bb.823:
	s_movk_i32 s4, 0x80
	v_cmp_eq_u16_e32 vcc, s4, v0
	s_mov_b64 s[4:5], -1
                                        ; implicit-def: $sgpr10
	s_and_saveexec_b64 s[8:9], vcc
; %bb.824:
	s_mov_b32 s10, 0x7f800001
	s_xor_b64 s[4:5], exec, -1
; %bb.825:
	s_or_b64 exec, exec, s[8:9]
	s_and_b64 s[4:5], s[4:5], exec
	s_or_saveexec_b64 s[6:7], s[6:7]
	v_mov_b32_e32 v1, s10
	s_xor_b64 exec, exec, s[6:7]
	s_cbranch_execnz .LBB212_846
.LBB212_826:
	s_or_b64 exec, exec, s[6:7]
	s_and_saveexec_b64 s[6:7], s[4:5]
	s_cbranch_execz .LBB212_828
.LBB212_827:
	v_lshlrev_b32_e32 v1, 24, v0
	v_and_b32_e32 v0, 0xffff, v0
	v_and_b32_e32 v4, 3, v0
	v_ffbh_u32_e32 v6, v4
	v_min_u32_e32 v6, 32, v6
	v_subrev_u32_e32 v7, 29, v6
	v_bfe_u32 v5, v0, 2, 5
	v_lshlrev_b32_e32 v0, v7, v0
	v_sub_u32_e32 v6, 30, v6
	v_and_b32_e32 v0, 3, v0
	v_cmp_eq_u32_e32 vcc, 0, v5
	v_cndmask_b32_e32 v5, v5, v6, vcc
	v_cndmask_b32_e32 v0, v4, v0, vcc
	v_mov_b32_e32 v4, 0x37800000
	v_lshlrev_b32_e32 v0, 21, v0
	v_and_b32_e32 v1, 0x80000000, v1
	v_lshl_add_u32 v4, v5, 23, v4
	v_or3_b32 v1, v1, v4, v0
.LBB212_828:
	s_or_b64 exec, exec, s[6:7]
	v_bfe_u32 v0, v1, 16, 1
	s_movk_i32 s4, 0x7fff
	v_add3_u32 v0, v1, v0, s4
	v_lshrrev_b32_e32 v0, 16, v0
	v_mov_b32_e32 v4, 0x7fc0
	v_cmp_o_f32_e32 vcc, v1, v1
	v_cndmask_b32_e32 v0, v4, v0, vcc
	s_mov_b64 s[4:5], 0
	s_branch .LBB212_834
.LBB212_829:
	s_mov_b64 s[6:7], -1
                                        ; implicit-def: $vgpr0
	s_branch .LBB212_840
.LBB212_830:
	s_or_saveexec_b64 s[6:7], s[6:7]
	v_mov_b32_e32 v1, s10
	s_xor_b64 exec, exec, s[6:7]
	s_cbranch_execz .LBB212_813
.LBB212_831:
	v_cmp_ne_u16_e32 vcc, 0, v0
	s_andn2_b64 s[4:5], s[4:5], exec
	s_and_b64 s[8:9], vcc, exec
	v_mov_b32_e32 v1, 0
	s_or_b64 s[4:5], s[4:5], s[8:9]
	s_or_b64 exec, exec, s[6:7]
	s_and_saveexec_b64 s[6:7], s[4:5]
	s_cbranch_execnz .LBB212_814
	s_branch .LBB212_815
.LBB212_832:
	s_mov_b64 s[4:5], -1
                                        ; implicit-def: $vgpr0
	s_branch .LBB212_837
.LBB212_833:
	s_mov_b64 s[4:5], -1
                                        ; implicit-def: $vgpr0
.LBB212_834:
	s_and_b64 vcc, exec, s[4:5]
	s_cbranch_vccz .LBB212_836
; %bb.835:
	global_load_ubyte v0, v[2:3], off
	s_mov_b32 s4, 0x7f800000
	s_brev_b32 s5, 1
	s_movk_i32 s6, 0x7fff
	v_mov_b32_e32 v1, 0x7fc0
	s_waitcnt vmcnt(0)
	v_lshlrev_b32_e32 v0, 24, v0
	v_and_b32_e32 v4, 0x7f000000, v0
	v_ffbh_u32_e32 v5, v4
	v_min_u32_e32 v5, 32, v5
	v_sub_u32_e64 v5, v5, 4 clamp
	v_lshlrev_b32_e32 v7, v5, v4
	v_lshlrev_b32_e32 v5, 23, v5
	v_lshrrev_b32_e32 v7, 4, v7
	v_add_u32_e32 v6, 0x1000000, v4
	v_sub_u32_e32 v5, v7, v5
	v_ashrrev_i32_e32 v6, 8, v6
	v_add_u32_e32 v5, 0x3c000000, v5
	v_and_or_b32 v5, v6, s4, v5
	v_cmp_ne_u32_e32 vcc, 0, v4
	v_cndmask_b32_e32 v4, 0, v5, vcc
	v_and_or_b32 v0, v0, s5, v4
	v_bfe_u32 v4, v4, 16, 1
	v_add3_u32 v4, v0, v4, s6
	v_lshrrev_b32_e32 v4, 16, v4
	v_cmp_o_f32_e32 vcc, v0, v0
	v_cndmask_b32_e32 v0, v1, v4, vcc
.LBB212_836:
	s_mov_b64 s[4:5], 0
.LBB212_837:
	s_andn2_b64 vcc, exec, s[4:5]
	s_cbranch_vccnz .LBB212_839
; %bb.838:
	global_load_ubyte v0, v[2:3], off
	s_movk_i32 s4, 0x7f00
	s_brev_b32 s5, 16
	s_brev_b32 s6, 1
	s_movk_i32 s7, 0x7fff
	v_mov_b32_e32 v1, 0x7fc0
	s_waitcnt vmcnt(0)
	v_lshlrev_b16_e32 v4, 8, v0
	v_lshlrev_b32_e32 v0, 25, v0
	v_lshrrev_b32_e32 v5, 4, v0
	v_and_or_b32 v6, v4, s4, 0.5
	v_or_b32_e32 v5, 0x70000000, v5
	v_add_f32_e32 v6, -0.5, v6
	v_mul_f32_e32 v5, 0x7800000, v5
	v_cmp_gt_u32_e32 vcc, s5, v0
	v_bfe_i32 v4, v4, 0, 16
	v_cndmask_b32_e32 v0, v5, v6, vcc
	v_and_or_b32 v4, v4, s6, v0
	v_bfe_u32 v0, v0, 16, 1
	v_add3_u32 v0, v4, v0, s7
	v_lshrrev_b32_e32 v0, 16, v0
	v_cmp_o_f32_e32 vcc, v4, v4
	v_cndmask_b32_e32 v0, v1, v0, vcc
.LBB212_839:
	s_mov_b64 s[6:7], 0
	s_mov_b64 s[4:5], -1
.LBB212_840:
	s_andn2_b64 vcc, exec, s[6:7]
	s_cbranch_vccnz .LBB212_853
; %bb.841:
	v_mov_b32_e32 v0, 14
	v_cmp_gt_i16_sdwa s[6:7], v35, v0 src0_sel:BYTE_0 src1_sel:DWORD
	s_and_b64 vcc, exec, s[6:7]
	s_cbranch_vccz .LBB212_844
; %bb.842:
	v_mov_b32_e32 v0, 15
	v_cmp_eq_u16_sdwa s[6:7], v35, v0 src0_sel:BYTE_0 src1_sel:DWORD
	s_and_b64 vcc, exec, s[6:7]
	s_cbranch_vccz .LBB212_847
; %bb.843:
	global_load_ushort v0, v[2:3], off
	s_mov_b64 s[4:5], -1
	s_mov_b64 s[58:59], 0
	s_branch .LBB212_848
.LBB212_844:
	s_mov_b64 s[6:7], -1
                                        ; implicit-def: $vgpr0
	s_branch .LBB212_849
.LBB212_845:
	s_or_saveexec_b64 s[6:7], s[6:7]
	v_mov_b32_e32 v1, s10
	s_xor_b64 exec, exec, s[6:7]
	s_cbranch_execz .LBB212_826
.LBB212_846:
	v_cmp_ne_u16_e32 vcc, 0, v0
	s_andn2_b64 s[4:5], s[4:5], exec
	s_and_b64 s[8:9], vcc, exec
	v_mov_b32_e32 v1, 0
	s_or_b64 s[4:5], s[4:5], s[8:9]
	s_or_b64 exec, exec, s[6:7]
	s_and_saveexec_b64 s[6:7], s[4:5]
	s_cbranch_execnz .LBB212_827
	s_branch .LBB212_828
.LBB212_847:
	s_mov_b64 s[58:59], -1
                                        ; implicit-def: $vgpr0
.LBB212_848:
	s_mov_b64 s[6:7], 0
.LBB212_849:
	s_and_b64 vcc, exec, s[6:7]
	s_cbranch_vccz .LBB212_853
; %bb.850:
	s_waitcnt vmcnt(0)
	v_mov_b32_e32 v0, 11
	v_cmp_eq_u16_sdwa s[6:7], v35, v0 src0_sel:BYTE_0 src1_sel:DWORD
	s_and_b64 vcc, exec, s[6:7]
	s_cbranch_vccz .LBB212_852
; %bb.851:
	global_load_ubyte v0, v[2:3], off
	s_mov_b64 s[4:5], -1
	s_mov_b64 s[58:59], 0
	s_waitcnt vmcnt(0)
	v_cmp_ne_u16_e32 vcc, 0, v0
	v_cndmask_b32_e64 v0, 0, 1.0, vcc
	v_lshrrev_b32_e32 v0, 16, v0
	s_branch .LBB212_853
.LBB212_852:
	s_mov_b64 s[58:59], -1
                                        ; implicit-def: $vgpr0
.LBB212_853:
	s_mov_b64 s[6:7], 0
.LBB212_854:
	s_and_b64 vcc, exec, s[6:7]
	s_cbranch_vccz .LBB212_903
; %bb.855:
	s_waitcnt vmcnt(0)
	v_mov_b32_e32 v0, 5
	v_cmp_lt_i16_sdwa s[4:5], v35, v0 src0_sel:BYTE_0 src1_sel:DWORD
	s_and_b64 vcc, exec, s[4:5]
	s_cbranch_vccnz .LBB212_860
; %bb.856:
	v_mov_b32_e32 v0, 8
	v_cmp_lt_i16_sdwa s[4:5], v35, v0 src0_sel:BYTE_0 src1_sel:DWORD
	s_and_b64 vcc, exec, s[4:5]
	s_cbranch_vccnz .LBB212_861
; %bb.857:
	;; [unrolled: 5-line block ×3, first 2 shown]
	v_cmp_gt_i16_sdwa s[4:5], v35, v0 src0_sel:BYTE_0 src1_sel:DWORD
	s_and_b64 vcc, exec, s[4:5]
	s_cbranch_vccz .LBB212_863
; %bb.859:
	global_load_dwordx2 v[0:1], v[2:3], off
	s_movk_i32 s4, 0x7fff
	v_mov_b32_e32 v4, 0x7fc0
	s_waitcnt vmcnt(0)
	v_cvt_f32_f64_e32 v0, v[0:1]
	v_bfe_u32 v1, v0, 16, 1
	v_add3_u32 v1, v0, v1, s4
	v_lshrrev_b32_e32 v1, 16, v1
	v_cmp_o_f32_e32 vcc, v0, v0
	v_cndmask_b32_e32 v0, v4, v1, vcc
	s_mov_b64 s[4:5], 0
	s_branch .LBB212_864
.LBB212_860:
	s_mov_b64 s[4:5], -1
                                        ; implicit-def: $vgpr0
	s_branch .LBB212_882
.LBB212_861:
	s_mov_b64 s[4:5], -1
                                        ; implicit-def: $vgpr0
	s_branch .LBB212_870
.LBB212_862:
	s_mov_b64 s[4:5], -1
                                        ; implicit-def: $vgpr0
	s_branch .LBB212_867
.LBB212_863:
	s_mov_b64 s[4:5], -1
                                        ; implicit-def: $vgpr0
.LBB212_864:
	s_andn2_b64 vcc, exec, s[4:5]
	s_cbranch_vccnz .LBB212_866
; %bb.865:
	global_load_dword v0, v[2:3], off
	s_movk_i32 s4, 0x7fff
	v_mov_b32_e32 v1, 0x7fc0
	s_waitcnt vmcnt(0)
	v_bfe_u32 v4, v0, 16, 1
	v_add3_u32 v4, v0, v4, s4
	v_lshrrev_b32_e32 v4, 16, v4
	v_cmp_o_f32_e32 vcc, v0, v0
	v_cndmask_b32_e32 v0, v1, v4, vcc
.LBB212_866:
	s_mov_b64 s[4:5], 0
.LBB212_867:
	s_andn2_b64 vcc, exec, s[4:5]
	s_cbranch_vccnz .LBB212_869
; %bb.868:
	global_load_dword v0, v[2:3], off
	s_movk_i32 s4, 0x7fff
	v_mov_b32_e32 v4, 0x7fc0
	s_waitcnt vmcnt(0)
	v_cvt_f32_f16_e32 v1, v0
	v_cmp_o_f16_e32 vcc, v0, v0
	v_bfe_u32 v5, v1, 16, 1
	v_add3_u32 v1, v1, v5, s4
	v_lshrrev_b32_e32 v1, 16, v1
	v_cndmask_b32_e32 v0, v4, v1, vcc
.LBB212_869:
	s_mov_b64 s[4:5], 0
.LBB212_870:
	s_andn2_b64 vcc, exec, s[4:5]
	s_cbranch_vccnz .LBB212_881
; %bb.871:
	v_mov_b32_e32 v0, 6
	v_cmp_lt_i16_sdwa s[4:5], v35, v0 src0_sel:BYTE_0 src1_sel:DWORD
	s_and_b64 vcc, exec, s[4:5]
	s_cbranch_vccnz .LBB212_874
; %bb.872:
	v_cmp_gt_i16_sdwa s[4:5], v35, v0 src0_sel:BYTE_0 src1_sel:DWORD
	s_and_b64 vcc, exec, s[4:5]
	s_cbranch_vccz .LBB212_875
; %bb.873:
	global_load_dwordx2 v[0:1], v[2:3], off
	s_movk_i32 s4, 0x7fff
	v_mov_b32_e32 v4, 0x7fc0
	s_waitcnt vmcnt(0)
	v_cvt_f32_f64_e32 v0, v[0:1]
	v_bfe_u32 v1, v0, 16, 1
	v_add3_u32 v1, v0, v1, s4
	v_lshrrev_b32_e32 v1, 16, v1
	v_cmp_o_f32_e32 vcc, v0, v0
	v_cndmask_b32_e32 v0, v4, v1, vcc
	s_mov_b64 s[4:5], 0
	s_branch .LBB212_876
.LBB212_874:
	s_mov_b64 s[4:5], -1
                                        ; implicit-def: $vgpr0
	s_branch .LBB212_879
.LBB212_875:
	s_mov_b64 s[4:5], -1
                                        ; implicit-def: $vgpr0
.LBB212_876:
	s_andn2_b64 vcc, exec, s[4:5]
	s_cbranch_vccnz .LBB212_878
; %bb.877:
	global_load_dword v0, v[2:3], off
	s_movk_i32 s4, 0x7fff
	v_mov_b32_e32 v1, 0x7fc0
	s_waitcnt vmcnt(0)
	v_bfe_u32 v4, v0, 16, 1
	v_add3_u32 v4, v0, v4, s4
	v_lshrrev_b32_e32 v4, 16, v4
	v_cmp_o_f32_e32 vcc, v0, v0
	v_cndmask_b32_e32 v0, v1, v4, vcc
.LBB212_878:
	s_mov_b64 s[4:5], 0
.LBB212_879:
	s_andn2_b64 vcc, exec, s[4:5]
	s_cbranch_vccnz .LBB212_881
; %bb.880:
	global_load_ushort v0, v[2:3], off
	s_movk_i32 s4, 0x7fff
	v_mov_b32_e32 v4, 0x7fc0
	s_waitcnt vmcnt(0)
	v_cvt_f32_f16_e32 v1, v0
	v_cmp_o_f16_e32 vcc, v0, v0
	v_bfe_u32 v5, v1, 16, 1
	v_add3_u32 v1, v1, v5, s4
	v_lshrrev_b32_e32 v1, 16, v1
	v_cndmask_b32_e32 v0, v4, v1, vcc
.LBB212_881:
	s_mov_b64 s[4:5], 0
.LBB212_882:
	s_andn2_b64 vcc, exec, s[4:5]
	s_cbranch_vccnz .LBB212_902
; %bb.883:
	v_mov_b32_e32 v0, 2
	v_cmp_lt_i16_sdwa s[4:5], v35, v0 src0_sel:BYTE_0 src1_sel:DWORD
	s_and_b64 vcc, exec, s[4:5]
	s_cbranch_vccnz .LBB212_887
; %bb.884:
	v_mov_b32_e32 v0, 3
	v_cmp_lt_i16_sdwa s[4:5], v35, v0 src0_sel:BYTE_0 src1_sel:DWORD
	s_and_b64 vcc, exec, s[4:5]
	s_cbranch_vccnz .LBB212_888
; %bb.885:
	v_cmp_gt_i16_sdwa s[4:5], v35, v0 src0_sel:BYTE_0 src1_sel:DWORD
	s_and_b64 vcc, exec, s[4:5]
	s_cbranch_vccz .LBB212_889
; %bb.886:
	global_load_dwordx2 v[0:1], v[2:3], off
	s_movk_i32 s4, 0x7fff
	s_waitcnt vmcnt(0)
	v_xor_b32_e32 v5, v0, v1
	v_ffbh_i32_e32 v4, v1
	v_ashrrev_i32_e32 v5, 31, v5
	v_add_u32_e32 v4, -1, v4
	v_add_u32_e32 v5, 32, v5
	v_min_u32_e32 v4, v4, v5
	v_lshlrev_b64 v[0:1], v4, v[0:1]
	v_min_u32_e32 v0, 1, v0
	v_or_b32_e32 v0, v1, v0
	v_cvt_f32_i32_e32 v0, v0
	v_sub_u32_e32 v1, 32, v4
	v_ldexp_f32 v0, v0, v1
	v_bfe_u32 v1, v0, 16, 1
	v_add3_u32 v0, v0, v1, s4
	v_lshrrev_b32_e32 v0, 16, v0
	s_mov_b64 s[4:5], 0
	s_branch .LBB212_890
.LBB212_887:
	s_mov_b64 s[4:5], -1
                                        ; implicit-def: $vgpr0
	s_branch .LBB212_896
.LBB212_888:
	s_mov_b64 s[4:5], -1
                                        ; implicit-def: $vgpr0
	s_branch .LBB212_893
.LBB212_889:
	s_mov_b64 s[4:5], -1
                                        ; implicit-def: $vgpr0
.LBB212_890:
	s_andn2_b64 vcc, exec, s[4:5]
	s_cbranch_vccnz .LBB212_892
; %bb.891:
	global_load_dword v0, v[2:3], off
	s_movk_i32 s4, 0x7fff
	s_waitcnt vmcnt(0)
	v_cvt_f32_i32_e32 v0, v0
	v_bfe_u32 v1, v0, 16, 1
	v_add3_u32 v0, v0, v1, s4
	v_lshrrev_b32_e32 v0, 16, v0
.LBB212_892:
	s_mov_b64 s[4:5], 0
.LBB212_893:
	s_andn2_b64 vcc, exec, s[4:5]
	s_cbranch_vccnz .LBB212_895
; %bb.894:
	global_load_sshort v0, v[2:3], off
	s_movk_i32 s4, 0x7fff
	s_waitcnt vmcnt(0)
	v_cvt_f32_i32_e32 v0, v0
	v_bfe_u32 v1, v0, 16, 1
	v_add3_u32 v0, v0, v1, s4
	v_lshrrev_b32_e32 v0, 16, v0
.LBB212_895:
	s_mov_b64 s[4:5], 0
.LBB212_896:
	s_andn2_b64 vcc, exec, s[4:5]
	s_cbranch_vccnz .LBB212_902
; %bb.897:
	v_mov_b32_e32 v0, 0
	v_cmp_gt_i16_sdwa s[4:5], v35, v0 src0_sel:BYTE_0 src1_sel:DWORD
	s_and_b64 vcc, exec, s[4:5]
	s_cbranch_vccz .LBB212_899
; %bb.898:
	global_load_sbyte v0, v[2:3], off
	s_movk_i32 s4, 0x7fff
	s_waitcnt vmcnt(0)
	v_cvt_f32_i32_e32 v0, v0
	v_bfe_u32 v1, v0, 16, 1
	v_add3_u32 v0, v0, v1, s4
	v_lshrrev_b32_e32 v0, 16, v0
	s_mov_b64 s[4:5], 0
	s_branch .LBB212_900
.LBB212_899:
	s_mov_b64 s[4:5], -1
                                        ; implicit-def: $vgpr0
.LBB212_900:
	s_andn2_b64 vcc, exec, s[4:5]
	s_cbranch_vccnz .LBB212_902
; %bb.901:
	global_load_ubyte v0, v[2:3], off
	s_movk_i32 s4, 0x7fff
	s_waitcnt vmcnt(0)
	v_cvt_f32_ubyte0_e32 v0, v0
	v_bfe_u32 v1, v0, 16, 1
	v_add3_u32 v0, v0, v1, s4
	v_lshrrev_b32_e32 v0, 16, v0
.LBB212_902:
	s_mov_b64 s[4:5], -1
.LBB212_903:
	s_andn2_b64 vcc, exec, s[4:5]
	s_cbranch_vccnz .LBB212_911
; %bb.904:
	v_mul_lo_u32 v1, v37, s38
	v_ashrrev_i32_e32 v3, 31, v1
	v_mov_b32_e32 v4, s23
	v_add_co_u32_e32 v2, vcc, s22, v1
	v_mov_b32_e32 v1, 11
	v_addc_co_u32_e32 v3, vcc, v4, v3, vcc
	v_cmp_lt_i16_sdwa s[4:5], v38, v1 src0_sel:BYTE_0 src1_sel:DWORD
	s_and_b64 vcc, exec, s[4:5]
	s_cbranch_vccnz .LBB212_913
; %bb.905:
	v_mov_b32_e32 v1, 25
	v_cmp_gt_i16_sdwa s[4:5], v38, v1 src0_sel:BYTE_0 src1_sel:DWORD
	s_and_b64 vcc, exec, s[4:5]
	s_cbranch_vccz .LBB212_914
; %bb.906:
	v_mov_b32_e32 v1, 28
	v_cmp_gt_i16_sdwa s[4:5], v38, v1 src0_sel:BYTE_0 src1_sel:DWORD
	s_and_b64 vcc, exec, s[4:5]
	s_cbranch_vccz .LBB212_915
	;; [unrolled: 5-line block ×4, first 2 shown]
; %bb.909:
	v_mov_b32_e32 v1, 46
	v_cmp_eq_u16_sdwa s[4:5], v38, v1 src0_sel:BYTE_0 src1_sel:DWORD
	s_mov_b64 s[6:7], 0
	s_and_b64 vcc, exec, s[4:5]
	s_cbranch_vccz .LBB212_920
; %bb.910:
	global_load_dword v1, v[2:3], off
	s_mov_b64 s[4:5], -1
	s_mov_b64 s[60:61], 0
	s_branch .LBB212_921
.LBB212_911:
	s_mov_b64 s[10:11], 0
	s_mov_b64 s[4:5], s[52:53]
	;; [unrolled: 1-line block ×3, first 2 shown]
.LBB212_912:
                                        ; implicit-def: $vgpr37
	s_branch .LBB212_1159
.LBB212_913:
	s_mov_b64 s[6:7], -1
	s_mov_b64 s[4:5], 0
                                        ; implicit-def: $vgpr1
	s_mov_b64 s[60:61], s[50:51]
	s_branch .LBB212_986
.LBB212_914:
	s_mov_b64 s[6:7], -1
	s_mov_b64 s[4:5], 0
	s_mov_b64 s[60:61], s[50:51]
                                        ; implicit-def: $vgpr1
	s_branch .LBB212_950
.LBB212_915:
	s_mov_b64 s[6:7], -1
	s_mov_b64 s[4:5], 0
	s_mov_b64 s[60:61], s[50:51]
                                        ; implicit-def: $vgpr1
	s_branch .LBB212_931
.LBB212_916:
	s_mov_b64 s[6:7], -1
	s_mov_b64 s[4:5], 0
	s_mov_b64 s[60:61], s[50:51]
                                        ; implicit-def: $vgpr1
	s_branch .LBB212_926
.LBB212_917:
	s_mov_b64 s[6:7], -1
	s_mov_b64 s[4:5], 0
	s_mov_b64 s[60:61], s[50:51]
                                        ; implicit-def: $vgpr1
	s_branch .LBB212_921
.LBB212_918:
	s_or_saveexec_b64 s[10:11], s[10:11]
                                        ; implicit-def: $sgpr12
	s_xor_b64 exec, exec, s[10:11]
	s_cbranch_execz .LBB212_694
.LBB212_919:
	s_mov_b32 s12, 0x42800000
	v_add_f32_e64 v4, |v5|, s12
	v_and_b32_e32 v4, 0xff, v4
	v_cmp_ne_u32_e32 vcc, 0, v4
	s_andn2_b64 s[8:9], s[8:9], exec
	s_and_b64 s[14:15], vcc, exec
	s_mov_b32 s12, 0
	s_or_b64 s[8:9], s[8:9], s[14:15]
	s_or_b64 exec, exec, s[10:11]
	v_mov_b32_e32 v6, s12
	s_and_saveexec_b64 s[10:11], s[8:9]
	s_cbranch_execnz .LBB212_695
	s_branch .LBB212_696
.LBB212_920:
	s_mov_b64 s[60:61], -1
                                        ; implicit-def: $vgpr1
	s_mov_b64 s[4:5], 0
.LBB212_921:
	s_and_b64 vcc, exec, s[6:7]
	s_cbranch_vccz .LBB212_925
; %bb.922:
	s_waitcnt vmcnt(0)
	v_mov_b32_e32 v1, 44
	v_cmp_eq_u16_sdwa s[6:7], v38, v1 src0_sel:BYTE_0 src1_sel:DWORD
	s_and_b64 vcc, exec, s[6:7]
	s_cbranch_vccz .LBB212_924
; %bb.923:
	global_load_ubyte v1, v[2:3], off
	s_movk_i32 s6, 0xff
	v_mov_b32_e32 v4, 0x7f800001
	v_mov_b32_e32 v5, 0x400000
	;; [unrolled: 1-line block ×3, first 2 shown]
	s_mov_b64 s[4:5], -1
	s_mov_b64 s[60:61], 0
	s_waitcnt vmcnt(0)
	v_lshlrev_b32_e32 v7, 23, v1
	v_cmp_ne_u32_e32 vcc, s6, v1
	v_cndmask_b32_e32 v4, v4, v7, vcc
	v_cmp_ne_u32_e32 vcc, 0, v1
	v_cndmask_b32_e32 v1, v5, v4, vcc
	v_add_u32_e32 v4, 0x7fff, v1
	v_lshrrev_b32_e32 v4, 16, v4
	v_cmp_o_f32_e32 vcc, v1, v1
	v_cndmask_b32_e32 v1, v6, v4, vcc
	s_branch .LBB212_925
.LBB212_924:
	s_mov_b64 s[60:61], -1
                                        ; implicit-def: $vgpr1
.LBB212_925:
	s_mov_b64 s[6:7], 0
.LBB212_926:
	s_and_b64 vcc, exec, s[6:7]
	s_cbranch_vccz .LBB212_930
; %bb.927:
	s_waitcnt vmcnt(0)
	v_mov_b32_e32 v1, 29
	v_cmp_eq_u16_sdwa s[6:7], v38, v1 src0_sel:BYTE_0 src1_sel:DWORD
	s_and_b64 vcc, exec, s[6:7]
	s_cbranch_vccz .LBB212_929
; %bb.928:
	global_load_dwordx2 v[4:5], v[2:3], off
	s_movk_i32 s6, 0x7fff
	s_mov_b64 s[4:5], -1
	s_mov_b64 s[60:61], 0
	s_waitcnt vmcnt(0)
	v_ffbh_u32_e32 v1, v5
	v_min_u32_e32 v1, 32, v1
	v_lshlrev_b64 v[4:5], v1, v[4:5]
	v_min_u32_e32 v4, 1, v4
	v_or_b32_e32 v4, v5, v4
	v_cvt_f32_u32_e32 v4, v4
	v_sub_u32_e32 v1, 32, v1
	v_ldexp_f32 v1, v4, v1
	v_bfe_u32 v4, v1, 16, 1
	v_add3_u32 v1, v1, v4, s6
	v_lshrrev_b32_e32 v1, 16, v1
	s_branch .LBB212_930
.LBB212_929:
	s_mov_b64 s[60:61], -1
                                        ; implicit-def: $vgpr1
.LBB212_930:
	s_mov_b64 s[6:7], 0
.LBB212_931:
	s_and_b64 vcc, exec, s[6:7]
	s_cbranch_vccz .LBB212_949
; %bb.932:
	s_waitcnt vmcnt(0)
	v_mov_b32_e32 v1, 27
	v_cmp_lt_i16_sdwa s[4:5], v38, v1 src0_sel:BYTE_0 src1_sel:DWORD
	s_and_b64 vcc, exec, s[4:5]
	s_cbranch_vccnz .LBB212_935
; %bb.933:
	v_cmp_gt_i16_sdwa s[4:5], v38, v1 src0_sel:BYTE_0 src1_sel:DWORD
	s_and_b64 vcc, exec, s[4:5]
	s_cbranch_vccz .LBB212_936
; %bb.934:
	global_load_dword v1, v[2:3], off
	s_movk_i32 s4, 0x7fff
	s_waitcnt vmcnt(0)
	v_cvt_f32_u32_e32 v1, v1
	v_bfe_u32 v4, v1, 16, 1
	v_add3_u32 v1, v1, v4, s4
	v_lshrrev_b32_e32 v1, 16, v1
	s_mov_b64 s[4:5], 0
	s_branch .LBB212_937
.LBB212_935:
	s_mov_b64 s[4:5], -1
                                        ; implicit-def: $vgpr1
	s_branch .LBB212_940
.LBB212_936:
	s_mov_b64 s[4:5], -1
                                        ; implicit-def: $vgpr1
.LBB212_937:
	s_andn2_b64 vcc, exec, s[4:5]
	s_cbranch_vccnz .LBB212_939
; %bb.938:
	global_load_ushort v1, v[2:3], off
	s_movk_i32 s4, 0x7fff
	s_waitcnt vmcnt(0)
	v_cvt_f32_u32_e32 v1, v1
	v_bfe_u32 v4, v1, 16, 1
	v_add3_u32 v1, v1, v4, s4
	v_lshrrev_b32_e32 v1, 16, v1
.LBB212_939:
	s_mov_b64 s[4:5], 0
.LBB212_940:
	s_andn2_b64 vcc, exec, s[4:5]
	s_cbranch_vccnz .LBB212_948
; %bb.941:
	global_load_ubyte v1, v[2:3], off
	s_movk_i32 s4, 0x7f
                                        ; implicit-def: $sgpr10
	s_waitcnt vmcnt(0)
	v_cmp_lt_i16_e32 vcc, s4, v1
	s_mov_b64 s[4:5], 0
	s_and_saveexec_b64 s[6:7], vcc
	s_xor_b64 s[6:7], exec, s[6:7]
	s_cbranch_execz .LBB212_962
; %bb.942:
	s_movk_i32 s4, 0x80
	v_cmp_eq_u16_e32 vcc, s4, v1
	s_mov_b64 s[4:5], -1
                                        ; implicit-def: $sgpr10
	s_and_saveexec_b64 s[8:9], vcc
; %bb.943:
	s_mov_b32 s10, 0x7f800001
	s_xor_b64 s[4:5], exec, -1
; %bb.944:
	s_or_b64 exec, exec, s[8:9]
	s_and_b64 s[4:5], s[4:5], exec
	s_or_saveexec_b64 s[6:7], s[6:7]
	v_mov_b32_e32 v4, s10
	s_xor_b64 exec, exec, s[6:7]
	s_cbranch_execnz .LBB212_963
.LBB212_945:
	s_or_b64 exec, exec, s[6:7]
	s_and_saveexec_b64 s[6:7], s[4:5]
	s_cbranch_execz .LBB212_947
.LBB212_946:
	v_lshlrev_b32_e32 v4, 24, v1
	v_and_b32_e32 v1, 0xffff, v1
	v_and_b32_e32 v5, 7, v1
	v_ffbh_u32_e32 v7, v5
	v_min_u32_e32 v7, 32, v7
	v_subrev_u32_e32 v8, 28, v7
	v_bfe_u32 v6, v1, 3, 4
	v_lshlrev_b32_e32 v1, v8, v1
	v_sub_u32_e32 v7, 29, v7
	v_and_b32_e32 v1, 7, v1
	v_cmp_eq_u32_e32 vcc, 0, v6
	v_cndmask_b32_e32 v6, v6, v7, vcc
	v_cndmask_b32_e32 v1, v5, v1, vcc
	v_mov_b32_e32 v5, 0x3b800000
	v_lshlrev_b32_e32 v1, 20, v1
	v_and_b32_e32 v4, 0x80000000, v4
	v_lshl_add_u32 v5, v6, 23, v5
	v_or3_b32 v4, v4, v5, v1
.LBB212_947:
	s_or_b64 exec, exec, s[6:7]
	v_bfe_u32 v1, v4, 16, 1
	s_movk_i32 s4, 0x7fff
	v_add3_u32 v1, v4, v1, s4
	v_lshrrev_b32_e32 v1, 16, v1
	v_mov_b32_e32 v5, 0x7fc0
	v_cmp_o_f32_e32 vcc, v4, v4
	v_cndmask_b32_e32 v1, v5, v1, vcc
.LBB212_948:
	s_mov_b64 s[4:5], -1
.LBB212_949:
	s_mov_b64 s[6:7], 0
.LBB212_950:
	s_and_b64 vcc, exec, s[6:7]
	s_cbranch_vccz .LBB212_985
; %bb.951:
	s_waitcnt vmcnt(0)
	v_mov_b32_e32 v1, 22
	v_cmp_gt_i16_sdwa s[6:7], v38, v1 src0_sel:BYTE_0 src1_sel:DWORD
	s_and_b64 vcc, exec, s[6:7]
	s_cbranch_vccz .LBB212_961
; %bb.952:
	v_mov_b32_e32 v1, 24
	v_cmp_lt_i16_sdwa s[4:5], v38, v1 src0_sel:BYTE_0 src1_sel:DWORD
	s_and_b64 vcc, exec, s[4:5]
	s_cbranch_vccnz .LBB212_964
; %bb.953:
	v_cmp_gt_i16_sdwa s[4:5], v38, v1 src0_sel:BYTE_0 src1_sel:DWORD
	s_and_b64 vcc, exec, s[4:5]
	s_cbranch_vccz .LBB212_965
; %bb.954:
	global_load_ubyte v1, v[2:3], off
	s_movk_i32 s4, 0x7f
                                        ; implicit-def: $sgpr10
	s_waitcnt vmcnt(0)
	v_cmp_lt_i16_e32 vcc, s4, v1
	s_mov_b64 s[4:5], 0
	s_and_saveexec_b64 s[6:7], vcc
	s_xor_b64 s[6:7], exec, s[6:7]
	s_cbranch_execz .LBB212_977
; %bb.955:
	s_movk_i32 s4, 0x80
	v_cmp_eq_u16_e32 vcc, s4, v1
	s_mov_b64 s[4:5], -1
                                        ; implicit-def: $sgpr10
	s_and_saveexec_b64 s[8:9], vcc
; %bb.956:
	s_mov_b32 s10, 0x7f800001
	s_xor_b64 s[4:5], exec, -1
; %bb.957:
	s_or_b64 exec, exec, s[8:9]
	s_and_b64 s[4:5], s[4:5], exec
	s_or_saveexec_b64 s[6:7], s[6:7]
	v_mov_b32_e32 v4, s10
	s_xor_b64 exec, exec, s[6:7]
	s_cbranch_execnz .LBB212_978
.LBB212_958:
	s_or_b64 exec, exec, s[6:7]
	s_and_saveexec_b64 s[6:7], s[4:5]
	s_cbranch_execz .LBB212_960
.LBB212_959:
	v_lshlrev_b32_e32 v4, 24, v1
	v_and_b32_e32 v1, 0xffff, v1
	v_and_b32_e32 v5, 3, v1
	v_ffbh_u32_e32 v7, v5
	v_min_u32_e32 v7, 32, v7
	v_subrev_u32_e32 v8, 29, v7
	v_bfe_u32 v6, v1, 2, 5
	v_lshlrev_b32_e32 v1, v8, v1
	v_sub_u32_e32 v7, 30, v7
	v_and_b32_e32 v1, 3, v1
	v_cmp_eq_u32_e32 vcc, 0, v6
	v_cndmask_b32_e32 v6, v6, v7, vcc
	v_cndmask_b32_e32 v1, v5, v1, vcc
	v_mov_b32_e32 v5, 0x37800000
	v_lshlrev_b32_e32 v1, 21, v1
	v_and_b32_e32 v4, 0x80000000, v4
	v_lshl_add_u32 v5, v6, 23, v5
	v_or3_b32 v4, v4, v5, v1
.LBB212_960:
	s_or_b64 exec, exec, s[6:7]
	v_bfe_u32 v1, v4, 16, 1
	s_movk_i32 s4, 0x7fff
	v_add3_u32 v1, v4, v1, s4
	v_lshrrev_b32_e32 v1, 16, v1
	v_mov_b32_e32 v5, 0x7fc0
	v_cmp_o_f32_e32 vcc, v4, v4
	v_cndmask_b32_e32 v1, v5, v1, vcc
	s_mov_b64 s[4:5], 0
	s_branch .LBB212_966
.LBB212_961:
	s_mov_b64 s[6:7], -1
                                        ; implicit-def: $vgpr1
	s_branch .LBB212_972
.LBB212_962:
	s_or_saveexec_b64 s[6:7], s[6:7]
	v_mov_b32_e32 v4, s10
	s_xor_b64 exec, exec, s[6:7]
	s_cbranch_execz .LBB212_945
.LBB212_963:
	v_cmp_ne_u16_e32 vcc, 0, v1
	s_andn2_b64 s[4:5], s[4:5], exec
	s_and_b64 s[8:9], vcc, exec
	v_mov_b32_e32 v4, 0
	s_or_b64 s[4:5], s[4:5], s[8:9]
	s_or_b64 exec, exec, s[6:7]
	s_and_saveexec_b64 s[6:7], s[4:5]
	s_cbranch_execnz .LBB212_946
	s_branch .LBB212_947
.LBB212_964:
	s_mov_b64 s[4:5], -1
                                        ; implicit-def: $vgpr1
	s_branch .LBB212_969
.LBB212_965:
	s_mov_b64 s[4:5], -1
                                        ; implicit-def: $vgpr1
.LBB212_966:
	s_and_b64 vcc, exec, s[4:5]
	s_cbranch_vccz .LBB212_968
; %bb.967:
	global_load_ubyte v1, v[2:3], off
	s_mov_b32 s4, 0x7f800000
	s_brev_b32 s5, 1
	s_movk_i32 s6, 0x7fff
	v_mov_b32_e32 v4, 0x7fc0
	s_waitcnt vmcnt(0)
	v_lshlrev_b32_e32 v1, 24, v1
	v_and_b32_e32 v5, 0x7f000000, v1
	v_ffbh_u32_e32 v6, v5
	v_min_u32_e32 v6, 32, v6
	v_sub_u32_e64 v6, v6, 4 clamp
	v_lshlrev_b32_e32 v8, v6, v5
	v_lshlrev_b32_e32 v6, 23, v6
	v_lshrrev_b32_e32 v8, 4, v8
	v_add_u32_e32 v7, 0x1000000, v5
	v_sub_u32_e32 v6, v8, v6
	v_ashrrev_i32_e32 v7, 8, v7
	v_add_u32_e32 v6, 0x3c000000, v6
	v_and_or_b32 v6, v7, s4, v6
	v_cmp_ne_u32_e32 vcc, 0, v5
	v_cndmask_b32_e32 v5, 0, v6, vcc
	v_and_or_b32 v1, v1, s5, v5
	v_bfe_u32 v5, v5, 16, 1
	v_add3_u32 v5, v1, v5, s6
	v_lshrrev_b32_e32 v5, 16, v5
	v_cmp_o_f32_e32 vcc, v1, v1
	v_cndmask_b32_e32 v1, v4, v5, vcc
.LBB212_968:
	s_mov_b64 s[4:5], 0
.LBB212_969:
	s_andn2_b64 vcc, exec, s[4:5]
	s_cbranch_vccnz .LBB212_971
; %bb.970:
	global_load_ubyte v1, v[2:3], off
	s_movk_i32 s4, 0x7f00
	s_brev_b32 s5, 16
	s_brev_b32 s6, 1
	s_movk_i32 s7, 0x7fff
	v_mov_b32_e32 v4, 0x7fc0
	s_waitcnt vmcnt(0)
	v_lshlrev_b16_e32 v5, 8, v1
	v_lshlrev_b32_e32 v1, 25, v1
	v_lshrrev_b32_e32 v6, 4, v1
	v_and_or_b32 v7, v5, s4, 0.5
	v_or_b32_e32 v6, 0x70000000, v6
	v_add_f32_e32 v7, -0.5, v7
	v_mul_f32_e32 v6, 0x7800000, v6
	v_cmp_gt_u32_e32 vcc, s5, v1
	v_bfe_i32 v5, v5, 0, 16
	v_cndmask_b32_e32 v1, v6, v7, vcc
	v_and_or_b32 v5, v5, s6, v1
	v_bfe_u32 v1, v1, 16, 1
	v_add3_u32 v1, v5, v1, s7
	v_lshrrev_b32_e32 v1, 16, v1
	v_cmp_o_f32_e32 vcc, v5, v5
	v_cndmask_b32_e32 v1, v4, v1, vcc
.LBB212_971:
	s_mov_b64 s[6:7], 0
	s_mov_b64 s[4:5], -1
.LBB212_972:
	s_andn2_b64 vcc, exec, s[6:7]
	s_cbranch_vccnz .LBB212_985
; %bb.973:
	v_mov_b32_e32 v1, 14
	v_cmp_gt_i16_sdwa s[6:7], v38, v1 src0_sel:BYTE_0 src1_sel:DWORD
	s_and_b64 vcc, exec, s[6:7]
	s_cbranch_vccz .LBB212_976
; %bb.974:
	v_mov_b32_e32 v1, 15
	v_cmp_eq_u16_sdwa s[6:7], v38, v1 src0_sel:BYTE_0 src1_sel:DWORD
	s_and_b64 vcc, exec, s[6:7]
	s_cbranch_vccz .LBB212_979
; %bb.975:
	global_load_ushort v1, v[2:3], off
	s_mov_b64 s[4:5], -1
	s_mov_b64 s[60:61], 0
	s_branch .LBB212_980
.LBB212_976:
	s_mov_b64 s[6:7], -1
                                        ; implicit-def: $vgpr1
	s_branch .LBB212_981
.LBB212_977:
	s_or_saveexec_b64 s[6:7], s[6:7]
	v_mov_b32_e32 v4, s10
	s_xor_b64 exec, exec, s[6:7]
	s_cbranch_execz .LBB212_958
.LBB212_978:
	v_cmp_ne_u16_e32 vcc, 0, v1
	s_andn2_b64 s[4:5], s[4:5], exec
	s_and_b64 s[8:9], vcc, exec
	v_mov_b32_e32 v4, 0
	s_or_b64 s[4:5], s[4:5], s[8:9]
	s_or_b64 exec, exec, s[6:7]
	s_and_saveexec_b64 s[6:7], s[4:5]
	s_cbranch_execnz .LBB212_959
	s_branch .LBB212_960
.LBB212_979:
	s_mov_b64 s[60:61], -1
                                        ; implicit-def: $vgpr1
.LBB212_980:
	s_mov_b64 s[6:7], 0
.LBB212_981:
	s_and_b64 vcc, exec, s[6:7]
	s_cbranch_vccz .LBB212_985
; %bb.982:
	s_waitcnt vmcnt(0)
	v_mov_b32_e32 v1, 11
	v_cmp_eq_u16_sdwa s[6:7], v38, v1 src0_sel:BYTE_0 src1_sel:DWORD
	s_and_b64 vcc, exec, s[6:7]
	s_cbranch_vccz .LBB212_984
; %bb.983:
	global_load_ubyte v1, v[2:3], off
	s_mov_b64 s[4:5], -1
	s_mov_b64 s[60:61], 0
	s_waitcnt vmcnt(0)
	v_cmp_ne_u16_e32 vcc, 0, v1
	v_cndmask_b32_e64 v1, 0, 1.0, vcc
	v_lshrrev_b32_e32 v1, 16, v1
	s_branch .LBB212_985
.LBB212_984:
	s_mov_b64 s[60:61], -1
                                        ; implicit-def: $vgpr1
.LBB212_985:
	s_mov_b64 s[6:7], 0
.LBB212_986:
	s_and_b64 vcc, exec, s[6:7]
	s_cbranch_vccz .LBB212_1035
; %bb.987:
	s_waitcnt vmcnt(0)
	v_mov_b32_e32 v1, 5
	v_cmp_lt_i16_sdwa s[4:5], v38, v1 src0_sel:BYTE_0 src1_sel:DWORD
	s_and_b64 vcc, exec, s[4:5]
	s_cbranch_vccnz .LBB212_992
; %bb.988:
	v_mov_b32_e32 v1, 8
	v_cmp_lt_i16_sdwa s[4:5], v38, v1 src0_sel:BYTE_0 src1_sel:DWORD
	s_and_b64 vcc, exec, s[4:5]
	s_cbranch_vccnz .LBB212_993
; %bb.989:
	;; [unrolled: 5-line block ×3, first 2 shown]
	v_cmp_gt_i16_sdwa s[4:5], v38, v1 src0_sel:BYTE_0 src1_sel:DWORD
	s_and_b64 vcc, exec, s[4:5]
	s_cbranch_vccz .LBB212_995
; %bb.991:
	global_load_dwordx2 v[4:5], v[2:3], off
	s_movk_i32 s4, 0x7fff
	v_mov_b32_e32 v1, 0x7fc0
	s_waitcnt vmcnt(0)
	v_cvt_f32_f64_e32 v4, v[4:5]
	v_bfe_u32 v5, v4, 16, 1
	v_add3_u32 v5, v4, v5, s4
	v_lshrrev_b32_e32 v5, 16, v5
	v_cmp_o_f32_e32 vcc, v4, v4
	v_cndmask_b32_e32 v1, v1, v5, vcc
	s_mov_b64 s[4:5], 0
	s_branch .LBB212_996
.LBB212_992:
	s_mov_b64 s[4:5], -1
                                        ; implicit-def: $vgpr1
	s_branch .LBB212_1014
.LBB212_993:
	s_mov_b64 s[4:5], -1
                                        ; implicit-def: $vgpr1
	s_branch .LBB212_1002
.LBB212_994:
	s_mov_b64 s[4:5], -1
                                        ; implicit-def: $vgpr1
	s_branch .LBB212_999
.LBB212_995:
	s_mov_b64 s[4:5], -1
                                        ; implicit-def: $vgpr1
.LBB212_996:
	s_andn2_b64 vcc, exec, s[4:5]
	s_cbranch_vccnz .LBB212_998
; %bb.997:
	global_load_dword v1, v[2:3], off
	s_movk_i32 s4, 0x7fff
	v_mov_b32_e32 v4, 0x7fc0
	s_waitcnt vmcnt(0)
	v_bfe_u32 v5, v1, 16, 1
	v_add3_u32 v5, v1, v5, s4
	v_lshrrev_b32_e32 v5, 16, v5
	v_cmp_o_f32_e32 vcc, v1, v1
	v_cndmask_b32_e32 v1, v4, v5, vcc
.LBB212_998:
	s_mov_b64 s[4:5], 0
.LBB212_999:
	s_andn2_b64 vcc, exec, s[4:5]
	s_cbranch_vccnz .LBB212_1001
; %bb.1000:
	global_load_dword v1, v[2:3], off
	s_movk_i32 s4, 0x7fff
	v_mov_b32_e32 v5, 0x7fc0
	s_waitcnt vmcnt(0)
	v_cvt_f32_f16_e32 v4, v1
	v_cmp_o_f16_e32 vcc, v1, v1
	v_bfe_u32 v6, v4, 16, 1
	v_add3_u32 v4, v4, v6, s4
	v_lshrrev_b32_e32 v4, 16, v4
	v_cndmask_b32_e32 v1, v5, v4, vcc
.LBB212_1001:
	s_mov_b64 s[4:5], 0
.LBB212_1002:
	s_andn2_b64 vcc, exec, s[4:5]
	s_cbranch_vccnz .LBB212_1013
; %bb.1003:
	v_mov_b32_e32 v1, 6
	v_cmp_lt_i16_sdwa s[4:5], v38, v1 src0_sel:BYTE_0 src1_sel:DWORD
	s_and_b64 vcc, exec, s[4:5]
	s_cbranch_vccnz .LBB212_1006
; %bb.1004:
	v_cmp_gt_i16_sdwa s[4:5], v38, v1 src0_sel:BYTE_0 src1_sel:DWORD
	s_and_b64 vcc, exec, s[4:5]
	s_cbranch_vccz .LBB212_1007
; %bb.1005:
	global_load_dwordx2 v[4:5], v[2:3], off
	s_movk_i32 s4, 0x7fff
	v_mov_b32_e32 v1, 0x7fc0
	s_waitcnt vmcnt(0)
	v_cvt_f32_f64_e32 v4, v[4:5]
	v_bfe_u32 v5, v4, 16, 1
	v_add3_u32 v5, v4, v5, s4
	v_lshrrev_b32_e32 v5, 16, v5
	v_cmp_o_f32_e32 vcc, v4, v4
	v_cndmask_b32_e32 v1, v1, v5, vcc
	s_mov_b64 s[4:5], 0
	s_branch .LBB212_1008
.LBB212_1006:
	s_mov_b64 s[4:5], -1
                                        ; implicit-def: $vgpr1
	s_branch .LBB212_1011
.LBB212_1007:
	s_mov_b64 s[4:5], -1
                                        ; implicit-def: $vgpr1
.LBB212_1008:
	s_andn2_b64 vcc, exec, s[4:5]
	s_cbranch_vccnz .LBB212_1010
; %bb.1009:
	global_load_dword v1, v[2:3], off
	s_movk_i32 s4, 0x7fff
	v_mov_b32_e32 v4, 0x7fc0
	s_waitcnt vmcnt(0)
	v_bfe_u32 v5, v1, 16, 1
	v_add3_u32 v5, v1, v5, s4
	v_lshrrev_b32_e32 v5, 16, v5
	v_cmp_o_f32_e32 vcc, v1, v1
	v_cndmask_b32_e32 v1, v4, v5, vcc
.LBB212_1010:
	s_mov_b64 s[4:5], 0
.LBB212_1011:
	s_andn2_b64 vcc, exec, s[4:5]
	s_cbranch_vccnz .LBB212_1013
; %bb.1012:
	global_load_ushort v1, v[2:3], off
	s_movk_i32 s4, 0x7fff
	v_mov_b32_e32 v5, 0x7fc0
	s_waitcnt vmcnt(0)
	v_cvt_f32_f16_e32 v4, v1
	v_cmp_o_f16_e32 vcc, v1, v1
	v_bfe_u32 v6, v4, 16, 1
	v_add3_u32 v4, v4, v6, s4
	v_lshrrev_b32_e32 v4, 16, v4
	v_cndmask_b32_e32 v1, v5, v4, vcc
.LBB212_1013:
	s_mov_b64 s[4:5], 0
.LBB212_1014:
	s_andn2_b64 vcc, exec, s[4:5]
	s_cbranch_vccnz .LBB212_1034
; %bb.1015:
	v_mov_b32_e32 v1, 2
	v_cmp_lt_i16_sdwa s[4:5], v38, v1 src0_sel:BYTE_0 src1_sel:DWORD
	s_and_b64 vcc, exec, s[4:5]
	s_cbranch_vccnz .LBB212_1019
; %bb.1016:
	v_mov_b32_e32 v1, 3
	v_cmp_lt_i16_sdwa s[4:5], v38, v1 src0_sel:BYTE_0 src1_sel:DWORD
	s_and_b64 vcc, exec, s[4:5]
	s_cbranch_vccnz .LBB212_1020
; %bb.1017:
	v_cmp_gt_i16_sdwa s[4:5], v38, v1 src0_sel:BYTE_0 src1_sel:DWORD
	s_and_b64 vcc, exec, s[4:5]
	s_cbranch_vccz .LBB212_1021
; %bb.1018:
	global_load_dwordx2 v[4:5], v[2:3], off
	s_movk_i32 s4, 0x7fff
	s_waitcnt vmcnt(0)
	v_xor_b32_e32 v6, v4, v5
	v_ffbh_i32_e32 v1, v5
	v_ashrrev_i32_e32 v6, 31, v6
	v_add_u32_e32 v1, -1, v1
	v_add_u32_e32 v6, 32, v6
	v_min_u32_e32 v1, v1, v6
	v_lshlrev_b64 v[4:5], v1, v[4:5]
	v_min_u32_e32 v4, 1, v4
	v_or_b32_e32 v4, v5, v4
	v_cvt_f32_i32_e32 v4, v4
	v_sub_u32_e32 v1, 32, v1
	v_ldexp_f32 v1, v4, v1
	v_bfe_u32 v4, v1, 16, 1
	v_add3_u32 v1, v1, v4, s4
	v_lshrrev_b32_e32 v1, 16, v1
	s_mov_b64 s[4:5], 0
	s_branch .LBB212_1022
.LBB212_1019:
	s_mov_b64 s[4:5], -1
                                        ; implicit-def: $vgpr1
	s_branch .LBB212_1028
.LBB212_1020:
	s_mov_b64 s[4:5], -1
                                        ; implicit-def: $vgpr1
	s_branch .LBB212_1025
.LBB212_1021:
	s_mov_b64 s[4:5], -1
                                        ; implicit-def: $vgpr1
.LBB212_1022:
	s_andn2_b64 vcc, exec, s[4:5]
	s_cbranch_vccnz .LBB212_1024
; %bb.1023:
	global_load_dword v1, v[2:3], off
	s_movk_i32 s4, 0x7fff
	s_waitcnt vmcnt(0)
	v_cvt_f32_i32_e32 v1, v1
	v_bfe_u32 v4, v1, 16, 1
	v_add3_u32 v1, v1, v4, s4
	v_lshrrev_b32_e32 v1, 16, v1
.LBB212_1024:
	s_mov_b64 s[4:5], 0
.LBB212_1025:
	s_andn2_b64 vcc, exec, s[4:5]
	s_cbranch_vccnz .LBB212_1027
; %bb.1026:
	global_load_sshort v1, v[2:3], off
	s_movk_i32 s4, 0x7fff
	s_waitcnt vmcnt(0)
	v_cvt_f32_i32_e32 v1, v1
	v_bfe_u32 v4, v1, 16, 1
	v_add3_u32 v1, v1, v4, s4
	v_lshrrev_b32_e32 v1, 16, v1
.LBB212_1027:
	s_mov_b64 s[4:5], 0
.LBB212_1028:
	s_andn2_b64 vcc, exec, s[4:5]
	s_cbranch_vccnz .LBB212_1034
; %bb.1029:
	v_mov_b32_e32 v1, 0
	v_cmp_gt_i16_sdwa s[4:5], v38, v1 src0_sel:BYTE_0 src1_sel:DWORD
	s_and_b64 vcc, exec, s[4:5]
	s_cbranch_vccz .LBB212_1031
; %bb.1030:
	global_load_sbyte v1, v[2:3], off
	s_movk_i32 s4, 0x7fff
	s_waitcnt vmcnt(0)
	v_cvt_f32_i32_e32 v1, v1
	v_bfe_u32 v4, v1, 16, 1
	v_add3_u32 v1, v1, v4, s4
	v_lshrrev_b32_e32 v1, 16, v1
	s_mov_b64 s[4:5], 0
	s_branch .LBB212_1032
.LBB212_1031:
	s_mov_b64 s[4:5], -1
                                        ; implicit-def: $vgpr1
.LBB212_1032:
	s_andn2_b64 vcc, exec, s[4:5]
	s_cbranch_vccnz .LBB212_1034
; %bb.1033:
	global_load_ubyte v1, v[2:3], off
	s_movk_i32 s4, 0x7fff
	s_waitcnt vmcnt(0)
	v_cvt_f32_ubyte0_e32 v1, v1
	v_bfe_u32 v2, v1, 16, 1
	v_add3_u32 v1, v1, v2, s4
	v_lshrrev_b32_e32 v1, 16, v1
.LBB212_1034:
	s_mov_b64 s[4:5], -1
.LBB212_1035:
	s_andn2_b64 vcc, exec, s[4:5]
	s_cbranch_vccnz .LBB212_1043
; %bb.1036:
	s_getpc_b64 s[4:5]
	s_add_u32 s4, s4, _ZZZZN2at6native33launch_standard_gamma_grad_kernelERNS_18TensorIteratorBaseEENKUlvE_clEvENKUlvE2_clEvENKUlN3c108BFloat16ES6_E_clES6_S6_@rel32@lo+4
	s_addc_u32 s5, s5, _ZZZZN2at6native33launch_standard_gamma_grad_kernelERNS_18TensorIteratorBaseEENKUlvE_clEvENKUlvE2_clEvENKUlN3c108BFloat16ES6_E_clES6_S6_@rel32@hi+12
	s_swappc_b64 s[30:31], s[4:5]
	v_mul_lo_u32 v1, v37, s36
	v_ashrrev_i32_e32 v3, 31, v1
	v_mov_b32_e32 v4, s25
	v_add_co_u32_e32 v2, vcc, s24, v1
	v_mov_b32_e32 v1, 11
	v_addc_co_u32_e32 v3, vcc, v4, v3, vcc
	v_cmp_lt_i16_sdwa s[4:5], v36, v1 src0_sel:BYTE_0 src1_sel:DWORD
	s_and_b64 vcc, exec, s[4:5]
	s_cbranch_vccnz .LBB212_1044
; %bb.1037:
	v_mov_b32_e32 v1, 25
	v_cmp_gt_i16_sdwa s[4:5], v36, v1 src0_sel:BYTE_0 src1_sel:DWORD
	s_and_b64 vcc, exec, s[4:5]
	s_cbranch_vccz .LBB212_1045
; %bb.1038:
	v_mov_b32_e32 v1, 28
	v_cmp_gt_i16_sdwa s[4:5], v36, v1 src0_sel:BYTE_0 src1_sel:DWORD
	s_and_b64 vcc, exec, s[4:5]
	s_cbranch_vccz .LBB212_1046
	;; [unrolled: 5-line block ×4, first 2 shown]
; %bb.1041:
	v_mov_b32_e32 v1, 46
	v_cmp_eq_u16_sdwa s[6:7], v36, v1 src0_sel:BYTE_0 src1_sel:DWORD
	s_mov_b64 s[8:9], 0
	s_mov_b64 s[4:5], -1
	s_and_b64 vcc, exec, s[6:7]
	s_mov_b64 s[6:7], 0
	s_cbranch_vccz .LBB212_1049
; %bb.1042:
	v_and_b32_e32 v1, 0xffff, v0
	global_store_dword v[2:3], v1, off
	s_mov_b64 s[6:7], -1
	s_mov_b64 s[4:5], 0
	s_branch .LBB212_1049
.LBB212_1043:
	s_mov_b64 s[10:11], 0
                                        ; implicit-def: $vgpr37
	s_mov_b64 s[4:5], s[52:53]
	s_branch .LBB212_1159
.LBB212_1044:
	s_mov_b64 s[8:9], -1
	s_mov_b64 s[6:7], 0
	s_mov_b64 s[4:5], s[52:53]
	s_branch .LBB212_1118
.LBB212_1045:
	s_mov_b64 s[8:9], -1
	s_mov_b64 s[6:7], 0
	s_mov_b64 s[4:5], s[52:53]
	s_branch .LBB212_1076
.LBB212_1046:
	s_mov_b64 s[8:9], -1
	s_mov_b64 s[6:7], 0
	s_mov_b64 s[4:5], s[52:53]
	s_branch .LBB212_1059
.LBB212_1047:
	s_mov_b64 s[8:9], -1
	s_mov_b64 s[6:7], 0
	s_mov_b64 s[4:5], s[52:53]
	s_branch .LBB212_1055
.LBB212_1048:
	s_mov_b64 s[8:9], -1
	s_mov_b64 s[6:7], 0
	s_mov_b64 s[4:5], s[52:53]
.LBB212_1049:
	s_and_b64 vcc, exec, s[8:9]
	s_cbranch_vccz .LBB212_1054
; %bb.1050:
	v_mov_b32_e32 v1, 44
	v_cmp_eq_u16_sdwa s[8:9], v36, v1 src0_sel:BYTE_0 src1_sel:DWORD
	s_mov_b64 s[4:5], -1
	s_and_b64 vcc, exec, s[8:9]
	s_cbranch_vccz .LBB212_1054
; %bb.1051:
	v_and_b32_e32 v4, 0xffff, v0
	v_bfe_u32 v1, v4, 7, 8
	s_movk_i32 s4, 0xff
	v_cmp_ne_u32_e32 vcc, s4, v1
	v_mov_b32_e32 v5, 0xff
	s_and_saveexec_b64 s[6:7], vcc
; %bb.1052:
	v_lshlrev_b32_e32 v6, 16, v4
	s_mov_b32 s4, 0x3f0000
	v_lshrrev_b32_e32 v5, 7, v4
	v_and_b32_e32 v4, 64, v4
	v_and_or_b32 v1, v6, s4, v1
	v_cmp_ne_u32_e32 vcc, 0, v4
	v_cmp_ne_u32_e64 s[4:5], 0, v1
	s_and_b64 s[4:5], vcc, s[4:5]
	v_cndmask_b32_e64 v1, 0, 1, s[4:5]
	v_add_u32_e32 v5, v5, v1
; %bb.1053:
	s_or_b64 exec, exec, s[6:7]
	s_mov_b64 s[6:7], -1
	s_mov_b64 s[4:5], 0
	global_store_byte v[2:3], v5, off
.LBB212_1054:
	s_mov_b64 s[8:9], 0
.LBB212_1055:
	s_and_b64 vcc, exec, s[8:9]
	s_cbranch_vccz .LBB212_1058
; %bb.1056:
	v_mov_b32_e32 v1, 29
	v_cmp_eq_u16_sdwa s[8:9], v36, v1 src0_sel:BYTE_0 src1_sel:DWORD
	s_mov_b64 s[4:5], -1
	s_and_b64 vcc, exec, s[8:9]
	s_cbranch_vccz .LBB212_1058
; %bb.1057:
	v_lshlrev_b32_e32 v1, 16, v0
	v_trunc_f32_e32 v1, v1
	v_mul_f32_e32 v4, 0x2f800000, v1
	v_floor_f32_e32 v4, v4
	v_fmac_f32_e32 v1, 0xcf800000, v4
	v_cvt_u32_f32_e32 v5, v4
	v_cvt_u32_f32_e32 v4, v1
	s_mov_b64 s[6:7], -1
	s_mov_b64 s[4:5], 0
	s_mov_b64 s[8:9], 0
	global_store_dwordx2 v[2:3], v[4:5], off
	s_branch .LBB212_1059
.LBB212_1058:
	s_mov_b64 s[8:9], 0
.LBB212_1059:
	s_and_b64 vcc, exec, s[8:9]
	s_cbranch_vccz .LBB212_1075
; %bb.1060:
	v_mov_b32_e32 v1, 27
	v_cmp_lt_i16_sdwa s[8:9], v36, v1 src0_sel:BYTE_0 src1_sel:DWORD
	s_mov_b64 s[6:7], -1
	s_and_b64 vcc, exec, s[8:9]
	s_cbranch_vccnz .LBB212_1066
; %bb.1061:
	v_cmp_gt_i16_sdwa s[8:9], v36, v1 src0_sel:BYTE_0 src1_sel:DWORD
	s_and_b64 vcc, exec, s[8:9]
	s_cbranch_vccz .LBB212_1063
; %bb.1062:
	v_lshlrev_b32_e32 v1, 16, v0
	v_cvt_u32_f32_e32 v1, v1
	s_mov_b64 s[6:7], 0
	global_store_dword v[2:3], v1, off
.LBB212_1063:
	s_andn2_b64 vcc, exec, s[6:7]
	s_cbranch_vccnz .LBB212_1065
; %bb.1064:
	v_lshlrev_b32_e32 v1, 16, v0
	v_cvt_u32_f32_e32 v1, v1
	global_store_short v[2:3], v1, off
.LBB212_1065:
	s_mov_b64 s[6:7], 0
.LBB212_1066:
	s_andn2_b64 vcc, exec, s[6:7]
	s_cbranch_vccnz .LBB212_1074
; %bb.1067:
	v_lshlrev_b32_e32 v5, 16, v0
	v_and_b32_e32 v4, 0x7fffffff, v5
	s_mov_b32 s6, 0x43800000
	v_cmp_gt_u32_e32 vcc, s6, v4
	v_mov_b32_e32 v6, 0x80
	s_and_saveexec_b64 s[6:7], vcc
	s_cbranch_execz .LBB212_1073
; %bb.1068:
	s_mov_b32 s8, 0x3bffffff
	v_and_b32_e32 v1, 0xffff, v0
	v_cmp_lt_u32_e32 vcc, s8, v4
	s_mov_b64 s[8:9], 0
                                        ; implicit-def: $vgpr4
	s_and_saveexec_b64 s[10:11], vcc
	s_xor_b64 s[10:11], exec, s[10:11]
	s_cbranch_execz .LBB212_1175
; %bb.1069:
	v_bfe_u32 v4, v1, 4, 1
	s_mov_b32 s12, 0x487ffff
	v_add3_u32 v4, v5, v4, s12
	s_mov_b64 s[8:9], exec
	v_lshrrev_b32_e32 v4, 20, v4
                                        ; implicit-def: $vgpr5
	s_or_saveexec_b64 s[10:11], s[10:11]
                                        ; implicit-def: $sgpr12
	s_xor_b64 exec, exec, s[10:11]
	s_cbranch_execnz .LBB212_1176
.LBB212_1070:
	s_or_b64 exec, exec, s[10:11]
	v_mov_b32_e32 v6, s12
	s_and_saveexec_b64 s[10:11], s[8:9]
.LBB212_1071:
	v_lshrrev_b32_e32 v1, 8, v1
	s_movk_i32 s8, 0x80
	v_and_or_b32 v6, v1, s8, v4
.LBB212_1072:
	s_or_b64 exec, exec, s[10:11]
.LBB212_1073:
	s_or_b64 exec, exec, s[6:7]
	global_store_byte v[2:3], v6, off
.LBB212_1074:
	s_mov_b64 s[6:7], -1
.LBB212_1075:
	s_mov_b64 s[8:9], 0
.LBB212_1076:
	s_and_b64 vcc, exec, s[8:9]
	s_cbranch_vccz .LBB212_1117
; %bb.1077:
	v_mov_b32_e32 v1, 22
	v_cmp_gt_i16_sdwa s[10:11], v36, v1 src0_sel:BYTE_0 src1_sel:DWORD
	s_mov_b64 s[8:9], -1
	s_and_b64 vcc, exec, s[10:11]
	s_cbranch_vccz .LBB212_1109
; %bb.1078:
	v_mov_b32_e32 v1, 24
	v_cmp_lt_i16_sdwa s[8:9], v36, v1 src0_sel:BYTE_0 src1_sel:DWORD
	s_mov_b64 s[6:7], -1
	s_and_b64 vcc, exec, s[8:9]
	s_cbranch_vccnz .LBB212_1098
; %bb.1079:
	v_cmp_gt_i16_sdwa s[8:9], v36, v1 src0_sel:BYTE_0 src1_sel:DWORD
	s_and_b64 vcc, exec, s[8:9]
	s_cbranch_vccz .LBB212_1087
; %bb.1080:
	v_lshlrev_b32_e32 v5, 16, v0
	v_and_b32_e32 v4, 0x7fffffff, v5
	s_mov_b32 s6, 0x47800000
	v_cmp_gt_u32_e32 vcc, s6, v4
	v_mov_b32_e32 v6, 0x80
	s_and_saveexec_b64 s[6:7], vcc
	s_cbranch_execz .LBB212_1086
; %bb.1081:
	s_mov_b32 s8, 0x37ffffff
	v_and_b32_e32 v1, 0xffff, v0
	v_cmp_lt_u32_e32 vcc, s8, v4
	s_mov_b64 s[8:9], 0
                                        ; implicit-def: $vgpr4
	s_and_saveexec_b64 s[10:11], vcc
	s_xor_b64 s[10:11], exec, s[10:11]
	s_cbranch_execz .LBB212_2198
; %bb.1082:
	v_bfe_u32 v4, v1, 5, 1
	s_mov_b32 s12, 0x88fffff
	v_add3_u32 v4, v5, v4, s12
	s_mov_b64 s[8:9], exec
	v_lshrrev_b32_e32 v4, 21, v4
                                        ; implicit-def: $vgpr5
	s_or_saveexec_b64 s[10:11], s[10:11]
                                        ; implicit-def: $sgpr12
	s_xor_b64 exec, exec, s[10:11]
	s_cbranch_execnz .LBB212_2199
.LBB212_1083:
	s_or_b64 exec, exec, s[10:11]
	v_mov_b32_e32 v6, s12
	s_and_saveexec_b64 s[10:11], s[8:9]
.LBB212_1084:
	v_lshrrev_b32_e32 v1, 8, v1
	s_movk_i32 s8, 0x80
	v_and_or_b32 v6, v1, s8, v4
.LBB212_1085:
	s_or_b64 exec, exec, s[10:11]
.LBB212_1086:
	s_or_b64 exec, exec, s[6:7]
	s_mov_b64 s[6:7], 0
	global_store_byte v[2:3], v6, off
.LBB212_1087:
	s_and_b64 vcc, exec, s[6:7]
	s_cbranch_vccz .LBB212_1097
; %bb.1088:
	v_lshlrev_b32_e32 v5, 16, v0
	v_and_b32_e32 v6, 0x7fffffff, v5
	s_mov_b32 s6, 0x43f00000
	v_and_b32_e32 v1, 0xffff, v0
	v_cmp_gt_u32_e32 vcc, s6, v6
                                        ; implicit-def: $vgpr4
	s_and_saveexec_b64 s[6:7], vcc
	s_xor_b64 s[6:7], exec, s[6:7]
	s_cbranch_execz .LBB212_1094
; %bb.1089:
	s_mov_b32 s8, 0x3c7fffff
	v_cmp_lt_u32_e32 vcc, s8, v6
                                        ; implicit-def: $vgpr4
	s_and_saveexec_b64 s[8:9], vcc
	s_xor_b64 s[8:9], exec, s[8:9]
; %bb.1090:
	v_bfe_u32 v4, v1, 4, 1
	s_mov_b32 s10, 0x407ffff
	v_add3_u32 v4, v5, v4, s10
	v_lshrrev_b32_e32 v5, 20, v4
	v_and_b32_e32 v4, 0xff00000, v4
	s_mov_b32 s10, 0x7f00000
	v_mov_b32_e32 v6, 0x7e
	v_cmp_ne_u32_e32 vcc, s10, v4
	v_cndmask_b32_e32 v4, v6, v5, vcc
                                        ; implicit-def: $vgpr5
; %bb.1091:
	s_andn2_saveexec_b64 s[8:9], s[8:9]
; %bb.1092:
	s_mov_b32 s10, 0x46800000
	v_add_f32_e64 v4, |v5|, s10
; %bb.1093:
	s_or_b64 exec, exec, s[8:9]
                                        ; implicit-def: $vgpr6
.LBB212_1094:
	s_andn2_saveexec_b64 s[6:7], s[6:7]
; %bb.1095:
	s_mov_b32 s8, 0x7f800000
	v_mov_b32_e32 v4, 0x7e
	v_mov_b32_e32 v5, 0x7f
	v_cmp_lt_u32_e32 vcc, s8, v6
	v_cndmask_b32_e32 v4, v4, v5, vcc
; %bb.1096:
	s_or_b64 exec, exec, s[6:7]
	v_lshrrev_b32_e32 v1, 8, v1
	s_movk_i32 s6, 0x80
	v_and_or_b32 v1, v1, s6, v4
	global_store_byte v[2:3], v1, off
.LBB212_1097:
	s_mov_b64 s[6:7], 0
.LBB212_1098:
	s_andn2_b64 vcc, exec, s[6:7]
	s_cbranch_vccnz .LBB212_1108
; %bb.1099:
	v_lshlrev_b32_e32 v5, 16, v0
	v_and_b32_e32 v6, 0x7fffffff, v5
	s_mov_b32 s6, 0x47800000
	v_and_b32_e32 v1, 0xffff, v0
	v_cmp_gt_u32_e32 vcc, s6, v6
                                        ; implicit-def: $vgpr4
	s_and_saveexec_b64 s[6:7], vcc
	s_xor_b64 s[6:7], exec, s[6:7]
	s_cbranch_execz .LBB212_1105
; %bb.1100:
	s_mov_b32 s8, 0x387fffff
	v_cmp_lt_u32_e32 vcc, s8, v6
                                        ; implicit-def: $vgpr4
	s_and_saveexec_b64 s[8:9], vcc
	s_xor_b64 s[8:9], exec, s[8:9]
; %bb.1101:
	v_bfe_u32 v4, v1, 5, 1
	s_mov_b32 s10, 0x80fffff
	v_add3_u32 v4, v5, v4, s10
	v_lshrrev_b32_e32 v4, 21, v4
                                        ; implicit-def: $vgpr5
; %bb.1102:
	s_andn2_saveexec_b64 s[8:9], s[8:9]
; %bb.1103:
	s_mov_b32 s10, 0x43000000
	v_add_f32_e64 v4, |v5|, s10
; %bb.1104:
	s_or_b64 exec, exec, s[8:9]
                                        ; implicit-def: $vgpr6
.LBB212_1105:
	s_andn2_saveexec_b64 s[6:7], s[6:7]
; %bb.1106:
	s_mov_b32 s8, 0x7f800000
	v_mov_b32_e32 v4, 0x7c
	v_mov_b32_e32 v5, 0x7f
	v_cmp_lt_u32_e32 vcc, s8, v6
	v_cndmask_b32_e32 v4, v4, v5, vcc
; %bb.1107:
	s_or_b64 exec, exec, s[6:7]
	v_lshrrev_b32_e32 v1, 8, v1
	s_movk_i32 s6, 0x80
	v_and_or_b32 v1, v1, s6, v4
	global_store_byte v[2:3], v1, off
.LBB212_1108:
	s_mov_b64 s[8:9], 0
	s_mov_b64 s[6:7], -1
.LBB212_1109:
	s_andn2_b64 vcc, exec, s[8:9]
	s_cbranch_vccnz .LBB212_1117
; %bb.1110:
	v_mov_b32_e32 v1, 14
	v_cmp_gt_i16_sdwa s[10:11], v36, v1 src0_sel:BYTE_0 src1_sel:DWORD
	s_mov_b64 s[8:9], -1
	s_and_b64 vcc, exec, s[10:11]
	s_cbranch_vccz .LBB212_1114
; %bb.1111:
	v_mov_b32_e32 v1, 15
	v_cmp_eq_u16_sdwa s[8:9], v36, v1 src0_sel:BYTE_0 src1_sel:DWORD
	s_mov_b64 s[4:5], -1
	s_and_b64 vcc, exec, s[8:9]
	s_cbranch_vccz .LBB212_1113
; %bb.1112:
	global_store_short v[2:3], v0, off
	s_mov_b64 s[6:7], -1
	s_mov_b64 s[4:5], 0
.LBB212_1113:
	s_mov_b64 s[8:9], 0
.LBB212_1114:
	s_and_b64 vcc, exec, s[8:9]
	s_cbranch_vccz .LBB212_1117
; %bb.1115:
	v_mov_b32_e32 v1, 11
	v_cmp_eq_u16_sdwa s[8:9], v36, v1 src0_sel:BYTE_0 src1_sel:DWORD
	s_mov_b64 s[4:5], -1
	s_and_b64 vcc, exec, s[8:9]
	s_cbranch_vccz .LBB212_1117
; %bb.1116:
	v_and_b32_e32 v1, 0x7fff, v0
	v_cmp_ne_u16_e32 vcc, 0, v1
	v_cndmask_b32_e64 v1, 0, 1, vcc
	s_mov_b64 s[6:7], -1
	s_mov_b64 s[4:5], 0
	global_store_byte v[2:3], v1, off
.LBB212_1117:
	s_mov_b64 s[8:9], 0
.LBB212_1118:
	s_and_b64 vcc, exec, s[8:9]
	s_cbranch_vccz .LBB212_1157
; %bb.1119:
	v_mov_b32_e32 v1, 5
	v_cmp_lt_i16_sdwa s[8:9], v36, v1 src0_sel:BYTE_0 src1_sel:DWORD
	s_mov_b64 s[6:7], -1
	s_and_b64 vcc, exec, s[8:9]
	s_cbranch_vccnz .LBB212_1140
; %bb.1120:
	v_mov_b32_e32 v1, 8
	v_cmp_lt_i16_sdwa s[8:9], v36, v1 src0_sel:BYTE_0 src1_sel:DWORD
	s_and_b64 vcc, exec, s[8:9]
	s_cbranch_vccnz .LBB212_1130
; %bb.1121:
	v_mov_b32_e32 v1, 9
	v_cmp_lt_i16_sdwa s[8:9], v36, v1 src0_sel:BYTE_0 src1_sel:DWORD
	s_and_b64 vcc, exec, s[8:9]
	s_cbranch_vccnz .LBB212_1127
; %bb.1122:
	v_cmp_gt_i16_sdwa s[8:9], v36, v1 src0_sel:BYTE_0 src1_sel:DWORD
	s_and_b64 vcc, exec, s[8:9]
	s_cbranch_vccz .LBB212_1124
; %bb.1123:
	v_lshlrev_b32_e32 v1, 16, v0
	v_mov_b32_e32 v6, 0
	v_cvt_f64_f32_e32 v[4:5], v1
	v_mov_b32_e32 v7, v6
	s_mov_b64 s[6:7], 0
	global_store_dwordx4 v[2:3], v[4:7], off
.LBB212_1124:
	s_andn2_b64 vcc, exec, s[6:7]
	s_cbranch_vccnz .LBB212_1126
; %bb.1125:
	v_lshlrev_b32_e32 v4, 16, v0
	v_mov_b32_e32 v5, 0
	global_store_dwordx2 v[2:3], v[4:5], off
.LBB212_1126:
	s_mov_b64 s[6:7], 0
.LBB212_1127:
	s_andn2_b64 vcc, exec, s[6:7]
	s_cbranch_vccnz .LBB212_1129
; %bb.1128:
	v_lshlrev_b32_e32 v1, 16, v0
	v_cvt_f16_f32_e32 v1, v1
	global_store_dword v[2:3], v1, off
.LBB212_1129:
	s_mov_b64 s[6:7], 0
.LBB212_1130:
	s_andn2_b64 vcc, exec, s[6:7]
	s_cbranch_vccnz .LBB212_1139
; %bb.1131:
	v_mov_b32_e32 v1, 6
	v_cmp_lt_i16_sdwa s[8:9], v36, v1 src0_sel:BYTE_0 src1_sel:DWORD
	s_mov_b64 s[6:7], -1
	s_and_b64 vcc, exec, s[8:9]
	s_cbranch_vccnz .LBB212_1137
; %bb.1132:
	v_cmp_gt_i16_sdwa s[8:9], v36, v1 src0_sel:BYTE_0 src1_sel:DWORD
	s_and_b64 vcc, exec, s[8:9]
	s_cbranch_vccz .LBB212_1134
; %bb.1133:
	v_lshlrev_b32_e32 v1, 16, v0
	v_cvt_f64_f32_e32 v[4:5], v1
	s_mov_b64 s[6:7], 0
	global_store_dwordx2 v[2:3], v[4:5], off
.LBB212_1134:
	s_andn2_b64 vcc, exec, s[6:7]
	s_cbranch_vccnz .LBB212_1136
; %bb.1135:
	v_lshlrev_b32_e32 v1, 16, v0
	global_store_dword v[2:3], v1, off
.LBB212_1136:
	s_mov_b64 s[6:7], 0
.LBB212_1137:
	s_andn2_b64 vcc, exec, s[6:7]
	s_cbranch_vccnz .LBB212_1139
; %bb.1138:
	v_lshlrev_b32_e32 v1, 16, v0
	v_cvt_f16_f32_e32 v1, v1
	global_store_short v[2:3], v1, off
.LBB212_1139:
	s_mov_b64 s[6:7], 0
.LBB212_1140:
	s_andn2_b64 vcc, exec, s[6:7]
	s_cbranch_vccnz .LBB212_1156
; %bb.1141:
	v_mov_b32_e32 v1, 2
	v_cmp_lt_i16_sdwa s[8:9], v36, v1 src0_sel:BYTE_0 src1_sel:DWORD
	s_mov_b64 s[6:7], -1
	s_and_b64 vcc, exec, s[8:9]
	s_cbranch_vccnz .LBB212_1151
; %bb.1142:
	v_mov_b32_e32 v1, 3
	v_cmp_lt_i16_sdwa s[8:9], v36, v1 src0_sel:BYTE_0 src1_sel:DWORD
	s_and_b64 vcc, exec, s[8:9]
	s_cbranch_vccnz .LBB212_1148
; %bb.1143:
	v_cmp_gt_i16_sdwa s[8:9], v36, v1 src0_sel:BYTE_0 src1_sel:DWORD
	s_and_b64 vcc, exec, s[8:9]
	s_cbranch_vccz .LBB212_1145
; %bb.1144:
	v_lshlrev_b32_e32 v1, 16, v0
	v_trunc_f32_e32 v1, v1
	s_mov_b32 s6, 0x2f800000
	v_mul_f32_e64 v4, |v1|, s6
	v_floor_f32_e32 v4, v4
	s_mov_b32 s6, 0xcf800000
	v_cvt_u32_f32_e32 v5, v4
	v_fma_f32 v4, v4, s6, |v1|
	v_cvt_u32_f32_e32 v4, v4
	v_ashrrev_i32_e32 v1, 31, v1
	v_xor_b32_e32 v5, v5, v1
	s_mov_b64 s[6:7], 0
	v_xor_b32_e32 v4, v4, v1
	v_sub_co_u32_e32 v4, vcc, v4, v1
	v_subb_co_u32_e32 v5, vcc, v5, v1, vcc
	global_store_dwordx2 v[2:3], v[4:5], off
.LBB212_1145:
	s_andn2_b64 vcc, exec, s[6:7]
	s_cbranch_vccnz .LBB212_1147
; %bb.1146:
	v_lshlrev_b32_e32 v1, 16, v0
	v_cvt_i32_f32_e32 v1, v1
	global_store_dword v[2:3], v1, off
.LBB212_1147:
	s_mov_b64 s[6:7], 0
.LBB212_1148:
	s_andn2_b64 vcc, exec, s[6:7]
	s_cbranch_vccnz .LBB212_1150
; %bb.1149:
	v_lshlrev_b32_e32 v1, 16, v0
	v_cvt_i32_f32_e32 v1, v1
	global_store_short v[2:3], v1, off
.LBB212_1150:
	s_mov_b64 s[6:7], 0
.LBB212_1151:
	s_andn2_b64 vcc, exec, s[6:7]
	s_cbranch_vccnz .LBB212_1156
; %bb.1152:
	v_mov_b32_e32 v1, 0
	v_cmp_gt_i16_sdwa s[8:9], v36, v1 src0_sel:BYTE_0 src1_sel:DWORD
	s_mov_b64 s[6:7], -1
	s_and_b64 vcc, exec, s[8:9]
	v_lshlrev_b32_e32 v0, 16, v0
	s_cbranch_vccz .LBB212_1154
; %bb.1153:
	v_cvt_i32_f32_e32 v1, v0
	s_mov_b64 s[6:7], 0
	global_store_byte v[2:3], v1, off
.LBB212_1154:
	s_andn2_b64 vcc, exec, s[6:7]
	s_cbranch_vccnz .LBB212_1156
; %bb.1155:
	v_trunc_f32_e32 v0, v0
	s_mov_b32 s6, 0x2f800000
	v_mul_f32_e64 v1, |v0|, s6
	v_floor_f32_e32 v1, v1
	s_mov_b32 s6, 0xcf800000
	v_fma_f32 v1, v1, s6, |v0|
	v_cvt_u32_f32_e32 v1, v1
	v_ashrrev_i32_e32 v0, 31, v0
	v_xor_b32_e32 v1, v1, v0
	v_sub_u32_e32 v0, v1, v0
	global_store_byte v[2:3], v0, off
.LBB212_1156:
	s_mov_b64 s[6:7], -1
.LBB212_1157:
	s_andn2_b64 vcc, exec, s[6:7]
	s_cbranch_vccnz .LBB212_1170
; %bb.1158:
	v_add_u32_e32 v37, 0x80, v37
	s_mov_b64 s[10:11], -1
.LBB212_1159:
	s_andn2_b64 s[6:7], s[52:53], exec
	s_and_b64 s[4:5], s[4:5], exec
	s_or_b64 s[8:9], s[6:7], s[4:5]
	s_andn2_b64 s[4:5], s[50:51], exec
	s_and_b64 s[6:7], s[60:61], exec
	s_or_b64 s[6:7], s[4:5], s[6:7]
	;; [unrolled: 3-line block ×3, first 2 shown]
	s_orn2_b64 s[18:19], s[10:11], exec
.LBB212_1160:
	s_or_b64 exec, exec, s[56:57]
	s_mov_b64 s[12:13], 0
	s_mov_b64 s[14:15], 0
	;; [unrolled: 1-line block ×3, first 2 shown]
                                        ; implicit-def: $vgpr1
                                        ; implicit-def: $vgpr2_vgpr3
                                        ; implicit-def: $vgpr0
	s_and_saveexec_b64 s[10:11], s[18:19]
	s_cbranch_execz .LBB212_1244
; %bb.1161:
	v_cmp_gt_i32_e32 vcc, s33, v37
	s_mov_b64 s[18:19], 0
	s_mov_b64 s[20:21], s[4:5]
	;; [unrolled: 1-line block ×4, first 2 shown]
                                        ; implicit-def: $vgpr1
                                        ; implicit-def: $vgpr2_vgpr3
                                        ; implicit-def: $vgpr0
	s_and_saveexec_b64 s[12:13], vcc
	s_cbranch_execz .LBB212_1243
; %bb.1162:
	s_waitcnt vmcnt(0)
	v_mul_lo_u32 v0, v37, s37
	v_ashrrev_i32_e32 v1, 31, v0
	v_mov_b32_e32 v3, s27
	v_add_co_u32_e32 v2, vcc, s26, v0
	v_addc_co_u32_e32 v3, vcc, v3, v1, vcc
	v_and_b32_e32 v1, 0xff, v35
	v_cmp_gt_i16_e32 vcc, 11, v1
	s_cbranch_vccnz .LBB212_1169
; %bb.1163:
	v_cmp_lt_i16_e32 vcc, 25, v1
	s_cbranch_vccz .LBB212_1171
; %bb.1164:
	v_cmp_lt_i16_e32 vcc, 28, v1
	s_cbranch_vccz .LBB212_1172
	;; [unrolled: 3-line block ×4, first 2 shown]
; %bb.1167:
	v_cmp_eq_u16_e32 vcc, 46, v1
	s_mov_b64 s[20:21], 0
	s_cbranch_vccz .LBB212_1177
; %bb.1168:
	global_load_dword v0, v[2:3], off
	s_mov_b64 s[18:19], -1
	s_branch .LBB212_1179
.LBB212_1169:
	s_mov_b64 s[20:21], -1
                                        ; implicit-def: $vgpr0
	s_mov_b64 s[14:15], s[4:5]
	s_branch .LBB212_1242
.LBB212_1170:
	s_mov_b64 s[10:11], 0
	s_branch .LBB212_912
.LBB212_1171:
	s_mov_b64 s[20:21], -1
	s_mov_b64 s[14:15], s[4:5]
                                        ; implicit-def: $vgpr0
	s_branch .LBB212_1208
.LBB212_1172:
	s_mov_b64 s[20:21], -1
	s_mov_b64 s[14:15], s[4:5]
                                        ; implicit-def: $vgpr0
	s_branch .LBB212_1189
.LBB212_1173:
	s_mov_b64 s[20:21], -1
	s_mov_b64 s[14:15], s[4:5]
                                        ; implicit-def: $vgpr0
	s_branch .LBB212_1184
.LBB212_1174:
	s_mov_b64 s[20:21], -1
	s_mov_b64 s[14:15], s[4:5]
	s_branch .LBB212_1178
.LBB212_1175:
	s_or_saveexec_b64 s[10:11], s[10:11]
                                        ; implicit-def: $sgpr12
	s_xor_b64 exec, exec, s[10:11]
	s_cbranch_execz .LBB212_1070
.LBB212_1176:
	s_mov_b32 s12, 0x46000000
	v_add_f32_e64 v4, |v5|, s12
	v_and_b32_e32 v4, 0xff, v4
	v_cmp_ne_u32_e32 vcc, 0, v4
	s_andn2_b64 s[8:9], s[8:9], exec
	s_and_b64 s[14:15], vcc, exec
	s_mov_b32 s12, 0
	s_or_b64 s[8:9], s[8:9], s[14:15]
	s_or_b64 exec, exec, s[10:11]
	v_mov_b32_e32 v6, s12
	s_and_saveexec_b64 s[10:11], s[8:9]
	s_cbranch_execnz .LBB212_1071
	s_branch .LBB212_1072
.LBB212_1177:
	s_mov_b64 s[14:15], -1
.LBB212_1178:
                                        ; implicit-def: $vgpr0
.LBB212_1179:
	s_and_b64 vcc, exec, s[20:21]
	s_cbranch_vccz .LBB212_1183
; %bb.1180:
	v_cmp_eq_u16_e32 vcc, 44, v1
	s_cbranch_vccz .LBB212_1182
; %bb.1181:
	global_load_ubyte v0, v[2:3], off
	s_movk_i32 s18, 0xff
	v_mov_b32_e32 v4, 0x7f800001
	v_mov_b32_e32 v5, 0x400000
	;; [unrolled: 1-line block ×3, first 2 shown]
	s_mov_b64 s[14:15], 0
	s_waitcnt vmcnt(0)
	v_lshlrev_b32_e32 v7, 23, v0
	v_cmp_ne_u32_e32 vcc, s18, v0
	v_cndmask_b32_e32 v4, v4, v7, vcc
	v_cmp_ne_u32_e32 vcc, 0, v0
	v_cndmask_b32_e32 v0, v5, v4, vcc
	v_add_u32_e32 v4, 0x7fff, v0
	v_lshrrev_b32_e32 v4, 16, v4
	v_cmp_o_f32_e32 vcc, v0, v0
	v_cndmask_b32_e32 v0, v6, v4, vcc
	s_mov_b64 s[18:19], -1
	s_branch .LBB212_1183
.LBB212_1182:
	s_mov_b64 s[14:15], -1
                                        ; implicit-def: $vgpr0
.LBB212_1183:
	s_mov_b64 s[20:21], 0
.LBB212_1184:
	s_and_b64 vcc, exec, s[20:21]
	s_cbranch_vccz .LBB212_1188
; %bb.1185:
	v_cmp_eq_u16_e32 vcc, 29, v1
	s_cbranch_vccz .LBB212_1187
; %bb.1186:
	global_load_dwordx2 v[4:5], v[2:3], off
	s_movk_i32 s18, 0x7fff
	s_mov_b64 s[14:15], 0
	s_mov_b64 s[20:21], 0
	s_waitcnt vmcnt(0)
	v_ffbh_u32_e32 v0, v5
	v_min_u32_e32 v0, 32, v0
	v_lshlrev_b64 v[4:5], v0, v[4:5]
	v_min_u32_e32 v4, 1, v4
	v_or_b32_e32 v4, v5, v4
	v_cvt_f32_u32_e32 v4, v4
	v_sub_u32_e32 v0, 32, v0
	v_ldexp_f32 v0, v4, v0
	v_bfe_u32 v4, v0, 16, 1
	v_add3_u32 v0, v0, v4, s18
	v_lshrrev_b32_e32 v0, 16, v0
	s_mov_b64 s[18:19], -1
	s_branch .LBB212_1189
.LBB212_1187:
	s_mov_b64 s[14:15], -1
                                        ; implicit-def: $vgpr0
.LBB212_1188:
	s_mov_b64 s[20:21], 0
.LBB212_1189:
	s_and_b64 vcc, exec, s[20:21]
	s_cbranch_vccz .LBB212_1207
; %bb.1190:
	v_cmp_gt_i16_e32 vcc, 27, v1
	s_cbranch_vccnz .LBB212_1193
; %bb.1191:
	v_cmp_lt_i16_e32 vcc, 27, v1
	s_cbranch_vccz .LBB212_1194
; %bb.1192:
	global_load_dword v0, v[2:3], off
	s_movk_i32 s18, 0x7fff
	s_waitcnt vmcnt(0)
	v_cvt_f32_u32_e32 v0, v0
	v_bfe_u32 v4, v0, 16, 1
	v_add3_u32 v0, v0, v4, s18
	v_lshrrev_b32_e32 v0, 16, v0
	s_mov_b64 s[18:19], 0
	s_branch .LBB212_1195
.LBB212_1193:
	s_mov_b64 s[18:19], -1
                                        ; implicit-def: $vgpr0
	s_branch .LBB212_1198
.LBB212_1194:
	s_mov_b64 s[18:19], -1
                                        ; implicit-def: $vgpr0
.LBB212_1195:
	s_andn2_b64 vcc, exec, s[18:19]
	s_cbranch_vccnz .LBB212_1197
; %bb.1196:
	global_load_ushort v0, v[2:3], off
	s_movk_i32 s18, 0x7fff
	s_waitcnt vmcnt(0)
	v_cvt_f32_u32_e32 v0, v0
	v_bfe_u32 v4, v0, 16, 1
	v_add3_u32 v0, v0, v4, s18
	v_lshrrev_b32_e32 v0, 16, v0
.LBB212_1197:
	s_mov_b64 s[18:19], 0
.LBB212_1198:
	s_andn2_b64 vcc, exec, s[18:19]
	s_cbranch_vccnz .LBB212_1206
; %bb.1199:
	global_load_ubyte v0, v[2:3], off
	s_movk_i32 s18, 0x7f
                                        ; implicit-def: $sgpr33
	s_waitcnt vmcnt(0)
	v_cmp_lt_i16_e32 vcc, s18, v0
	s_mov_b64 s[18:19], 0
	s_and_saveexec_b64 s[20:21], vcc
	s_xor_b64 s[20:21], exec, s[20:21]
	s_cbranch_execz .LBB212_1220
; %bb.1200:
	s_movk_i32 s18, 0x80
	v_cmp_eq_u16_e32 vcc, s18, v0
	s_mov_b64 s[18:19], -1
                                        ; implicit-def: $sgpr33
	s_and_saveexec_b64 s[30:31], vcc
; %bb.1201:
	s_mov_b32 s33, 0x7f800001
	s_xor_b64 s[18:19], exec, -1
; %bb.1202:
	s_or_b64 exec, exec, s[30:31]
	s_and_b64 s[18:19], s[18:19], exec
	s_or_saveexec_b64 s[20:21], s[20:21]
	v_mov_b32_e32 v4, s33
	s_xor_b64 exec, exec, s[20:21]
	s_cbranch_execnz .LBB212_1221
.LBB212_1203:
	s_or_b64 exec, exec, s[20:21]
	s_and_saveexec_b64 s[20:21], s[18:19]
	s_cbranch_execz .LBB212_1205
.LBB212_1204:
	v_lshlrev_b32_e32 v4, 24, v0
	v_and_b32_e32 v0, 0xffff, v0
	v_and_b32_e32 v5, 7, v0
	v_ffbh_u32_e32 v7, v5
	v_min_u32_e32 v7, 32, v7
	v_subrev_u32_e32 v8, 28, v7
	v_bfe_u32 v6, v0, 3, 4
	v_lshlrev_b32_e32 v0, v8, v0
	v_sub_u32_e32 v7, 29, v7
	v_and_b32_e32 v0, 7, v0
	v_cmp_eq_u32_e32 vcc, 0, v6
	v_cndmask_b32_e32 v6, v6, v7, vcc
	v_cndmask_b32_e32 v0, v5, v0, vcc
	v_mov_b32_e32 v5, 0x3b800000
	v_lshlrev_b32_e32 v0, 20, v0
	v_and_b32_e32 v4, 0x80000000, v4
	v_lshl_add_u32 v5, v6, 23, v5
	v_or3_b32 v4, v4, v5, v0
.LBB212_1205:
	s_or_b64 exec, exec, s[20:21]
	v_bfe_u32 v0, v4, 16, 1
	s_movk_i32 s18, 0x7fff
	v_add3_u32 v0, v4, v0, s18
	v_lshrrev_b32_e32 v0, 16, v0
	v_mov_b32_e32 v5, 0x7fc0
	v_cmp_o_f32_e32 vcc, v4, v4
	v_cndmask_b32_e32 v0, v5, v0, vcc
.LBB212_1206:
	s_mov_b64 s[18:19], -1
.LBB212_1207:
	s_mov_b64 s[20:21], 0
.LBB212_1208:
	s_and_b64 vcc, exec, s[20:21]
	s_cbranch_vccz .LBB212_1241
; %bb.1209:
	v_cmp_lt_i16_e32 vcc, 22, v1
	s_cbranch_vccz .LBB212_1219
; %bb.1210:
	v_cmp_gt_i16_e32 vcc, 24, v1
	s_cbranch_vccnz .LBB212_1222
; %bb.1211:
	v_cmp_lt_i16_e32 vcc, 24, v1
	s_cbranch_vccz .LBB212_1223
; %bb.1212:
	global_load_ubyte v0, v[2:3], off
	s_movk_i32 s16, 0x7f
                                        ; implicit-def: $sgpr30
	s_waitcnt vmcnt(0)
	v_cmp_lt_i16_e32 vcc, s16, v0
	s_mov_b64 s[16:17], 0
	s_and_saveexec_b64 s[18:19], vcc
	s_xor_b64 s[18:19], exec, s[18:19]
	s_cbranch_execz .LBB212_1235
; %bb.1213:
	s_movk_i32 s16, 0x80
	v_cmp_eq_u16_e32 vcc, s16, v0
	s_mov_b64 s[16:17], -1
                                        ; implicit-def: $sgpr30
	s_and_saveexec_b64 s[20:21], vcc
; %bb.1214:
	s_mov_b32 s30, 0x7f800001
	s_xor_b64 s[16:17], exec, -1
; %bb.1215:
	s_or_b64 exec, exec, s[20:21]
	s_and_b64 s[16:17], s[16:17], exec
	s_or_saveexec_b64 s[18:19], s[18:19]
	v_mov_b32_e32 v4, s30
	s_xor_b64 exec, exec, s[18:19]
	s_cbranch_execnz .LBB212_1236
.LBB212_1216:
	s_or_b64 exec, exec, s[18:19]
	s_and_saveexec_b64 s[18:19], s[16:17]
	s_cbranch_execz .LBB212_1218
.LBB212_1217:
	v_lshlrev_b32_e32 v4, 24, v0
	v_and_b32_e32 v0, 0xffff, v0
	v_and_b32_e32 v5, 3, v0
	v_ffbh_u32_e32 v7, v5
	v_min_u32_e32 v7, 32, v7
	v_subrev_u32_e32 v8, 29, v7
	v_bfe_u32 v6, v0, 2, 5
	v_lshlrev_b32_e32 v0, v8, v0
	v_sub_u32_e32 v7, 30, v7
	v_and_b32_e32 v0, 3, v0
	v_cmp_eq_u32_e32 vcc, 0, v6
	v_cndmask_b32_e32 v6, v6, v7, vcc
	v_cndmask_b32_e32 v0, v5, v0, vcc
	v_mov_b32_e32 v5, 0x37800000
	v_lshlrev_b32_e32 v0, 21, v0
	v_and_b32_e32 v4, 0x80000000, v4
	v_lshl_add_u32 v5, v6, 23, v5
	v_or3_b32 v4, v4, v5, v0
.LBB212_1218:
	s_or_b64 exec, exec, s[18:19]
	v_bfe_u32 v0, v4, 16, 1
	s_movk_i32 s16, 0x7fff
	v_add3_u32 v0, v4, v0, s16
	v_lshrrev_b32_e32 v0, 16, v0
	v_mov_b32_e32 v5, 0x7fc0
	v_cmp_o_f32_e32 vcc, v4, v4
	v_cndmask_b32_e32 v0, v5, v0, vcc
	s_mov_b64 s[16:17], 0
	s_branch .LBB212_1224
.LBB212_1219:
	s_mov_b64 s[16:17], -1
                                        ; implicit-def: $vgpr0
	s_branch .LBB212_1230
.LBB212_1220:
	s_or_saveexec_b64 s[20:21], s[20:21]
	v_mov_b32_e32 v4, s33
	s_xor_b64 exec, exec, s[20:21]
	s_cbranch_execz .LBB212_1203
.LBB212_1221:
	v_cmp_ne_u16_e32 vcc, 0, v0
	s_andn2_b64 s[18:19], s[18:19], exec
	s_and_b64 s[30:31], vcc, exec
	v_mov_b32_e32 v4, 0
	s_or_b64 s[18:19], s[18:19], s[30:31]
	s_or_b64 exec, exec, s[20:21]
	s_and_saveexec_b64 s[20:21], s[18:19]
	s_cbranch_execnz .LBB212_1204
	s_branch .LBB212_1205
.LBB212_1222:
	s_mov_b64 s[16:17], -1
                                        ; implicit-def: $vgpr0
	s_branch .LBB212_1227
.LBB212_1223:
	s_mov_b64 s[16:17], -1
                                        ; implicit-def: $vgpr0
.LBB212_1224:
	s_and_b64 vcc, exec, s[16:17]
	s_cbranch_vccz .LBB212_1226
; %bb.1225:
	global_load_ubyte v0, v[2:3], off
	s_mov_b32 s16, 0x7f800000
	s_brev_b32 s17, 1
	s_movk_i32 s18, 0x7fff
	v_mov_b32_e32 v4, 0x7fc0
	s_waitcnt vmcnt(0)
	v_lshlrev_b32_e32 v0, 24, v0
	v_and_b32_e32 v5, 0x7f000000, v0
	v_ffbh_u32_e32 v6, v5
	v_min_u32_e32 v6, 32, v6
	v_sub_u32_e64 v6, v6, 4 clamp
	v_lshlrev_b32_e32 v8, v6, v5
	v_lshlrev_b32_e32 v6, 23, v6
	v_lshrrev_b32_e32 v8, 4, v8
	v_add_u32_e32 v7, 0x1000000, v5
	v_sub_u32_e32 v6, v8, v6
	v_ashrrev_i32_e32 v7, 8, v7
	v_add_u32_e32 v6, 0x3c000000, v6
	v_and_or_b32 v6, v7, s16, v6
	v_cmp_ne_u32_e32 vcc, 0, v5
	v_cndmask_b32_e32 v5, 0, v6, vcc
	v_and_or_b32 v0, v0, s17, v5
	v_bfe_u32 v5, v5, 16, 1
	v_add3_u32 v5, v0, v5, s18
	v_lshrrev_b32_e32 v5, 16, v5
	v_cmp_o_f32_e32 vcc, v0, v0
	v_cndmask_b32_e32 v0, v4, v5, vcc
.LBB212_1226:
	s_mov_b64 s[16:17], 0
.LBB212_1227:
	s_andn2_b64 vcc, exec, s[16:17]
	s_cbranch_vccnz .LBB212_1229
; %bb.1228:
	global_load_ubyte v0, v[2:3], off
	s_movk_i32 s16, 0x7f00
	s_brev_b32 s17, 16
	s_brev_b32 s18, 1
	s_movk_i32 s19, 0x7fff
	v_mov_b32_e32 v4, 0x7fc0
	s_waitcnt vmcnt(0)
	v_lshlrev_b16_e32 v5, 8, v0
	v_lshlrev_b32_e32 v0, 25, v0
	v_lshrrev_b32_e32 v6, 4, v0
	v_and_or_b32 v7, v5, s16, 0.5
	v_or_b32_e32 v6, 0x70000000, v6
	v_add_f32_e32 v7, -0.5, v7
	v_mul_f32_e32 v6, 0x7800000, v6
	v_cmp_gt_u32_e32 vcc, s17, v0
	v_bfe_i32 v5, v5, 0, 16
	v_cndmask_b32_e32 v0, v6, v7, vcc
	v_and_or_b32 v5, v5, s18, v0
	v_bfe_u32 v0, v0, 16, 1
	v_add3_u32 v0, v5, v0, s19
	v_lshrrev_b32_e32 v0, 16, v0
	v_cmp_o_f32_e32 vcc, v5, v5
	v_cndmask_b32_e32 v0, v4, v0, vcc
.LBB212_1229:
	s_mov_b64 s[16:17], 0
	s_mov_b64 s[18:19], -1
.LBB212_1230:
	s_andn2_b64 vcc, exec, s[16:17]
	s_mov_b64 s[16:17], 0
	s_cbranch_vccnz .LBB212_1241
; %bb.1231:
	v_cmp_lt_i16_e32 vcc, 14, v1
	s_cbranch_vccz .LBB212_1234
; %bb.1232:
	v_cmp_eq_u16_e32 vcc, 15, v1
	s_cbranch_vccz .LBB212_1237
; %bb.1233:
	global_load_ushort v0, v[2:3], off
	s_mov_b64 s[14:15], 0
	s_mov_b64 s[18:19], -1
	s_branch .LBB212_1238
.LBB212_1234:
	s_mov_b64 s[20:21], -1
                                        ; implicit-def: $vgpr0
	s_branch .LBB212_1239
.LBB212_1235:
	s_or_saveexec_b64 s[18:19], s[18:19]
	v_mov_b32_e32 v4, s30
	s_xor_b64 exec, exec, s[18:19]
	s_cbranch_execz .LBB212_1216
.LBB212_1236:
	v_cmp_ne_u16_e32 vcc, 0, v0
	s_andn2_b64 s[16:17], s[16:17], exec
	s_and_b64 s[20:21], vcc, exec
	v_mov_b32_e32 v4, 0
	s_or_b64 s[16:17], s[16:17], s[20:21]
	s_or_b64 exec, exec, s[18:19]
	s_and_saveexec_b64 s[18:19], s[16:17]
	s_cbranch_execnz .LBB212_1217
	s_branch .LBB212_1218
.LBB212_1237:
	s_mov_b64 s[14:15], -1
                                        ; implicit-def: $vgpr0
.LBB212_1238:
	s_mov_b64 s[20:21], 0
.LBB212_1239:
	s_and_b64 vcc, exec, s[20:21]
	s_cbranch_vccz .LBB212_1241
; %bb.1240:
	v_cmp_ne_u16_e32 vcc, 11, v1
	s_andn2_b64 s[14:15], s[14:15], exec
	s_and_b64 s[20:21], vcc, exec
	s_mov_b64 s[16:17], -1
	s_or_b64 s[14:15], s[14:15], s[20:21]
                                        ; implicit-def: $vgpr0
.LBB212_1241:
	s_mov_b64 s[20:21], 0
.LBB212_1242:
	s_and_b64 s[56:57], s[18:19], exec
	s_and_b64 s[18:19], s[16:17], exec
	s_andn2_b64 s[16:17], s[4:5], exec
	s_and_b64 s[14:15], s[14:15], exec
	s_and_b64 s[30:31], s[20:21], exec
	s_or_b64 s[20:21], s[16:17], s[14:15]
.LBB212_1243:
	s_or_b64 exec, exec, s[12:13]
	s_and_b64 s[12:13], s[18:19], exec
	s_andn2_b64 s[4:5], s[4:5], exec
	s_and_b64 s[18:19], s[20:21], exec
	s_and_b64 s[16:17], s[56:57], exec
	;; [unrolled: 1-line block ×3, first 2 shown]
	s_or_b64 s[4:5], s[4:5], s[18:19]
.LBB212_1244:
	s_or_b64 exec, exec, s[10:11]
	s_andn2_b64 s[10:11], s[52:53], exec
	s_and_b64 s[8:9], s[8:9], exec
	s_or_b64 s[52:53], s[10:11], s[8:9]
	s_andn2_b64 s[8:9], s[50:51], exec
	s_and_b64 s[6:7], s[6:7], exec
	s_and_b64 s[10:11], s[12:13], exec
	s_andn2_b64 s[12:13], s[48:49], exec
	s_and_b64 s[4:5], s[4:5], exec
	s_or_b64 s[50:51], s[8:9], s[6:7]
	s_and_b64 s[6:7], s[16:17], exec
	s_and_b64 s[8:9], s[14:15], exec
	s_or_b64 s[48:49], s[12:13], s[4:5]
.LBB212_1245:
	s_or_b64 exec, exec, s[54:55]
	s_andn2_b64 s[4:5], s[40:41], exec
	s_and_b64 s[12:13], s[52:53], exec
	s_or_b64 s[40:41], s[4:5], s[12:13]
	s_andn2_b64 s[4:5], s[42:43], exec
	s_and_b64 s[12:13], s[50:51], exec
	s_or_b64 s[42:43], s[4:5], s[12:13]
	s_and_b64 s[50:51], s[10:11], exec
	s_andn2_b64 s[4:5], s[44:45], exec
	s_and_b64 s[10:11], s[48:49], exec
	s_and_b64 s[6:7], s[6:7], exec
	;; [unrolled: 1-line block ×3, first 2 shown]
	s_or_b64 s[44:45], s[4:5], s[10:11]
	s_or_b64 exec, exec, s[46:47]
	s_mov_b64 s[46:47], 0
	s_and_saveexec_b64 s[4:5], s[44:45]
	s_cbranch_execz .LBB212_391
.LBB212_1246:
	s_mov_b64 s[46:47], exec
	s_andn2_b64 s[50:51], s[50:51], exec
	s_trap 2
                                        ; implicit-def: $vgpr0
	s_or_b64 exec, exec, s[4:5]
	s_and_saveexec_b64 s[4:5], s[50:51]
	s_xor_b64 s[4:5], exec, s[4:5]
	s_cbranch_execnz .LBB212_392
.LBB212_1247:
	s_or_b64 exec, exec, s[4:5]
	s_and_saveexec_b64 s[4:5], s[8:9]
	s_cbranch_execz .LBB212_1293
.LBB212_1248:
	s_waitcnt vmcnt(0)
	v_cmp_gt_i16_e32 vcc, 5, v1
	s_cbranch_vccnz .LBB212_1253
; %bb.1249:
	v_cmp_gt_i16_e32 vcc, 8, v1
	s_cbranch_vccnz .LBB212_1254
; %bb.1250:
	;; [unrolled: 3-line block ×3, first 2 shown]
	v_cmp_lt_i16_e32 vcc, 9, v1
	s_cbranch_vccz .LBB212_1256
; %bb.1252:
	global_load_dwordx2 v[4:5], v[2:3], off
	s_movk_i32 s8, 0x7fff
	v_mov_b32_e32 v0, 0x7fc0
	s_waitcnt vmcnt(0)
	v_cvt_f32_f64_e32 v4, v[4:5]
	v_bfe_u32 v5, v4, 16, 1
	v_add3_u32 v5, v4, v5, s8
	v_lshrrev_b32_e32 v5, 16, v5
	v_cmp_o_f32_e32 vcc, v4, v4
	v_cndmask_b32_e32 v0, v0, v5, vcc
	s_mov_b64 s[8:9], 0
	s_branch .LBB212_1257
.LBB212_1253:
                                        ; implicit-def: $vgpr0
	s_branch .LBB212_1274
.LBB212_1254:
                                        ; implicit-def: $vgpr0
	s_branch .LBB212_1263
.LBB212_1255:
	s_mov_b64 s[8:9], -1
                                        ; implicit-def: $vgpr0
	s_branch .LBB212_1260
.LBB212_1256:
	s_mov_b64 s[8:9], -1
                                        ; implicit-def: $vgpr0
.LBB212_1257:
	s_andn2_b64 vcc, exec, s[8:9]
	s_cbranch_vccnz .LBB212_1259
; %bb.1258:
	global_load_dword v0, v[2:3], off
	s_movk_i32 s8, 0x7fff
	v_mov_b32_e32 v4, 0x7fc0
	s_waitcnt vmcnt(0)
	v_bfe_u32 v5, v0, 16, 1
	v_add3_u32 v5, v0, v5, s8
	v_lshrrev_b32_e32 v5, 16, v5
	v_cmp_o_f32_e32 vcc, v0, v0
	v_cndmask_b32_e32 v0, v4, v5, vcc
.LBB212_1259:
	s_mov_b64 s[8:9], 0
.LBB212_1260:
	s_andn2_b64 vcc, exec, s[8:9]
	s_cbranch_vccnz .LBB212_1262
; %bb.1261:
	global_load_dword v0, v[2:3], off
	s_movk_i32 s8, 0x7fff
	v_mov_b32_e32 v5, 0x7fc0
	s_waitcnt vmcnt(0)
	v_cvt_f32_f16_e32 v4, v0
	v_cmp_o_f16_e32 vcc, v0, v0
	v_bfe_u32 v6, v4, 16, 1
	v_add3_u32 v4, v4, v6, s8
	v_lshrrev_b32_e32 v4, 16, v4
	v_cndmask_b32_e32 v0, v5, v4, vcc
.LBB212_1262:
	s_cbranch_execnz .LBB212_1273
.LBB212_1263:
	v_cmp_gt_i16_e32 vcc, 6, v1
	s_cbranch_vccnz .LBB212_1266
; %bb.1264:
	v_cmp_lt_i16_e32 vcc, 6, v1
	s_cbranch_vccz .LBB212_1267
; %bb.1265:
	global_load_dwordx2 v[4:5], v[2:3], off
	s_movk_i32 s8, 0x7fff
	v_mov_b32_e32 v0, 0x7fc0
	s_waitcnt vmcnt(0)
	v_cvt_f32_f64_e32 v4, v[4:5]
	v_bfe_u32 v5, v4, 16, 1
	v_add3_u32 v5, v4, v5, s8
	v_lshrrev_b32_e32 v5, 16, v5
	v_cmp_o_f32_e32 vcc, v4, v4
	v_cndmask_b32_e32 v0, v0, v5, vcc
	s_mov_b64 s[8:9], 0
	s_branch .LBB212_1268
.LBB212_1266:
	s_mov_b64 s[8:9], -1
                                        ; implicit-def: $vgpr0
	s_branch .LBB212_1271
.LBB212_1267:
	s_mov_b64 s[8:9], -1
                                        ; implicit-def: $vgpr0
.LBB212_1268:
	s_andn2_b64 vcc, exec, s[8:9]
	s_cbranch_vccnz .LBB212_1270
; %bb.1269:
	global_load_dword v0, v[2:3], off
	s_movk_i32 s8, 0x7fff
	v_mov_b32_e32 v4, 0x7fc0
	s_waitcnt vmcnt(0)
	v_bfe_u32 v5, v0, 16, 1
	v_add3_u32 v5, v0, v5, s8
	v_lshrrev_b32_e32 v5, 16, v5
	v_cmp_o_f32_e32 vcc, v0, v0
	v_cndmask_b32_e32 v0, v4, v5, vcc
.LBB212_1270:
	s_mov_b64 s[8:9], 0
.LBB212_1271:
	s_andn2_b64 vcc, exec, s[8:9]
	s_cbranch_vccnz .LBB212_1273
; %bb.1272:
	global_load_ushort v0, v[2:3], off
	s_movk_i32 s8, 0x7fff
	v_mov_b32_e32 v5, 0x7fc0
	s_waitcnt vmcnt(0)
	v_cvt_f32_f16_e32 v4, v0
	v_cmp_o_f16_e32 vcc, v0, v0
	v_bfe_u32 v6, v4, 16, 1
	v_add3_u32 v4, v4, v6, s8
	v_lshrrev_b32_e32 v4, 16, v4
	v_cndmask_b32_e32 v0, v5, v4, vcc
.LBB212_1273:
	s_cbranch_execnz .LBB212_1292
.LBB212_1274:
	v_cmp_gt_i16_e32 vcc, 2, v1
	s_cbranch_vccnz .LBB212_1278
; %bb.1275:
	v_cmp_gt_i16_e32 vcc, 3, v1
	s_cbranch_vccnz .LBB212_1279
; %bb.1276:
	v_cmp_lt_i16_e32 vcc, 3, v1
	s_cbranch_vccz .LBB212_1280
; %bb.1277:
	global_load_dwordx2 v[4:5], v[2:3], off
	s_movk_i32 s8, 0x7fff
	s_waitcnt vmcnt(0)
	v_xor_b32_e32 v6, v4, v5
	v_ffbh_i32_e32 v0, v5
	v_ashrrev_i32_e32 v6, 31, v6
	v_add_u32_e32 v0, -1, v0
	v_add_u32_e32 v6, 32, v6
	v_min_u32_e32 v0, v0, v6
	v_lshlrev_b64 v[4:5], v0, v[4:5]
	v_min_u32_e32 v4, 1, v4
	v_or_b32_e32 v4, v5, v4
	v_cvt_f32_i32_e32 v4, v4
	v_sub_u32_e32 v0, 32, v0
	v_ldexp_f32 v0, v4, v0
	v_bfe_u32 v4, v0, 16, 1
	v_add3_u32 v0, v0, v4, s8
	v_lshrrev_b32_e32 v0, 16, v0
	s_mov_b64 s[8:9], 0
	s_branch .LBB212_1281
.LBB212_1278:
                                        ; implicit-def: $vgpr0
	s_branch .LBB212_1287
.LBB212_1279:
	s_mov_b64 s[8:9], -1
                                        ; implicit-def: $vgpr0
	s_branch .LBB212_1284
.LBB212_1280:
	s_mov_b64 s[8:9], -1
                                        ; implicit-def: $vgpr0
.LBB212_1281:
	s_andn2_b64 vcc, exec, s[8:9]
	s_cbranch_vccnz .LBB212_1283
; %bb.1282:
	global_load_dword v0, v[2:3], off
	s_movk_i32 s8, 0x7fff
	s_waitcnt vmcnt(0)
	v_cvt_f32_i32_e32 v0, v0
	v_bfe_u32 v4, v0, 16, 1
	v_add3_u32 v0, v0, v4, s8
	v_lshrrev_b32_e32 v0, 16, v0
.LBB212_1283:
	s_mov_b64 s[8:9], 0
.LBB212_1284:
	s_andn2_b64 vcc, exec, s[8:9]
	s_cbranch_vccnz .LBB212_1286
; %bb.1285:
	global_load_sshort v0, v[2:3], off
	s_movk_i32 s8, 0x7fff
	s_waitcnt vmcnt(0)
	v_cvt_f32_i32_e32 v0, v0
	v_bfe_u32 v4, v0, 16, 1
	v_add3_u32 v0, v0, v4, s8
	v_lshrrev_b32_e32 v0, 16, v0
.LBB212_1286:
	s_cbranch_execnz .LBB212_1292
.LBB212_1287:
	v_cmp_lt_i16_e32 vcc, 0, v1
	s_cbranch_vccz .LBB212_1289
; %bb.1288:
	global_load_sbyte v0, v[2:3], off
	s_movk_i32 s8, 0x7fff
	s_waitcnt vmcnt(0)
	v_cvt_f32_i32_e32 v0, v0
	v_bfe_u32 v1, v0, 16, 1
	v_add3_u32 v0, v0, v1, s8
	v_lshrrev_b32_e32 v0, 16, v0
	s_mov_b64 s[8:9], 0
	s_branch .LBB212_1290
.LBB212_1289:
	s_mov_b64 s[8:9], -1
                                        ; implicit-def: $vgpr0
.LBB212_1290:
	s_andn2_b64 vcc, exec, s[8:9]
	s_cbranch_vccnz .LBB212_1292
; %bb.1291:
	global_load_ubyte v0, v[2:3], off
	s_movk_i32 s8, 0x7fff
	s_waitcnt vmcnt(0)
	v_cvt_f32_ubyte0_e32 v0, v0
	v_bfe_u32 v1, v0, 16, 1
	v_add3_u32 v0, v0, v1, s8
	v_lshrrev_b32_e32 v0, 16, v0
.LBB212_1292:
	s_or_b64 s[6:7], s[6:7], exec
.LBB212_1293:
	s_or_b64 exec, exec, s[4:5]
	s_mov_b64 s[10:11], 0
	s_mov_b64 s[12:13], 0
	;; [unrolled: 1-line block ×3, first 2 shown]
                                        ; implicit-def: $vgpr4
                                        ; implicit-def: $vgpr2_vgpr3
                                        ; implicit-def: $vgpr1
	s_and_saveexec_b64 s[4:5], s[6:7]
	s_cbranch_execz .LBB212_1301
; %bb.1294:
	s_waitcnt vmcnt(0)
	v_mul_lo_u32 v1, v37, s38
	v_ashrrev_i32_e32 v3, 31, v1
	v_mov_b32_e32 v4, s23
	v_add_co_u32_e32 v2, vcc, s22, v1
	v_addc_co_u32_e32 v3, vcc, v4, v3, vcc
	v_and_b32_e32 v4, 0xff, v38
	v_cmp_gt_i16_e32 vcc, 11, v4
	s_cbranch_vccnz .LBB212_1304
; %bb.1295:
	v_cmp_lt_i16_e32 vcc, 25, v4
	s_cbranch_vccz .LBB212_1305
; %bb.1296:
	v_cmp_lt_i16_e32 vcc, 28, v4
	s_cbranch_vccz .LBB212_1306
	;; [unrolled: 3-line block ×4, first 2 shown]
; %bb.1299:
	v_cmp_eq_u16_e32 vcc, 46, v4
	s_cbranch_vccz .LBB212_1309
; %bb.1300:
	global_load_dword v1, v[2:3], off
	s_mov_b64 s[6:7], 0
	s_mov_b64 s[8:9], -1
	s_branch .LBB212_1311
.LBB212_1301:
	s_or_b64 exec, exec, s[4:5]
	s_and_saveexec_b64 s[4:5], s[42:43]
	s_cbranch_execnz .LBB212_1374
.LBB212_1302:
	s_or_b64 exec, exec, s[4:5]
	s_and_saveexec_b64 s[4:5], s[10:11]
	s_xor_b64 s[4:5], exec, s[4:5]
	s_cbranch_execz .LBB212_1375
.LBB212_1303:
	global_load_ubyte v1, v[2:3], off
	s_or_b64 s[8:9], s[8:9], exec
	s_waitcnt vmcnt(0)
	v_cmp_ne_u16_e32 vcc, 0, v1
	v_cndmask_b32_e64 v1, 0, 1.0, vcc
	v_lshrrev_b32_e32 v1, 16, v1
	s_or_b64 exec, exec, s[4:5]
	s_and_saveexec_b64 s[4:5], s[12:13]
	s_cbranch_execz .LBB212_1421
	s_branch .LBB212_1376
.LBB212_1304:
	s_mov_b64 s[12:13], -1
                                        ; implicit-def: $vgpr1
	s_mov_b64 s[6:7], s[42:43]
	s_branch .LBB212_1373
.LBB212_1305:
	s_mov_b64 s[6:7], s[42:43]
                                        ; implicit-def: $vgpr1
	s_cbranch_execnz .LBB212_1340
	s_branch .LBB212_1372
.LBB212_1306:
	s_mov_b64 s[12:13], -1
	s_mov_b64 s[6:7], s[42:43]
                                        ; implicit-def: $vgpr1
	s_branch .LBB212_1321
.LBB212_1307:
	s_mov_b64 s[12:13], -1
	s_mov_b64 s[6:7], s[42:43]
                                        ; implicit-def: $vgpr1
	s_branch .LBB212_1316
.LBB212_1308:
	s_mov_b64 s[12:13], -1
	s_mov_b64 s[6:7], s[42:43]
	s_branch .LBB212_1310
.LBB212_1309:
	s_mov_b64 s[6:7], -1
.LBB212_1310:
                                        ; implicit-def: $vgpr1
.LBB212_1311:
	s_and_b64 vcc, exec, s[12:13]
	s_cbranch_vccz .LBB212_1315
; %bb.1312:
	v_cmp_eq_u16_e32 vcc, 44, v4
	s_cbranch_vccz .LBB212_1314
; %bb.1313:
	global_load_ubyte v1, v[2:3], off
	s_movk_i32 s8, 0xff
	v_mov_b32_e32 v5, 0x7f800001
	v_mov_b32_e32 v6, 0x400000
	;; [unrolled: 1-line block ×3, first 2 shown]
	s_mov_b64 s[6:7], 0
	s_waitcnt vmcnt(0)
	v_lshlrev_b32_e32 v8, 23, v1
	v_cmp_ne_u32_e32 vcc, s8, v1
	v_cndmask_b32_e32 v5, v5, v8, vcc
	v_cmp_ne_u32_e32 vcc, 0, v1
	v_cndmask_b32_e32 v1, v6, v5, vcc
	v_add_u32_e32 v5, 0x7fff, v1
	v_lshrrev_b32_e32 v5, 16, v5
	v_cmp_o_f32_e32 vcc, v1, v1
	v_cndmask_b32_e32 v1, v7, v5, vcc
	s_mov_b64 s[8:9], -1
	s_branch .LBB212_1315
.LBB212_1314:
	s_mov_b64 s[6:7], -1
                                        ; implicit-def: $vgpr1
.LBB212_1315:
	s_mov_b64 s[12:13], 0
.LBB212_1316:
	s_and_b64 vcc, exec, s[12:13]
	s_cbranch_vccz .LBB212_1320
; %bb.1317:
	v_cmp_eq_u16_e32 vcc, 29, v4
	s_cbranch_vccz .LBB212_1319
; %bb.1318:
	global_load_dwordx2 v[6:7], v[2:3], off
	s_movk_i32 s8, 0x7fff
	s_mov_b64 s[6:7], 0
	s_mov_b64 s[12:13], 0
	s_waitcnt vmcnt(0)
	v_ffbh_u32_e32 v1, v7
	v_min_u32_e32 v1, 32, v1
	v_lshlrev_b64 v[6:7], v1, v[6:7]
	v_min_u32_e32 v5, 1, v6
	v_or_b32_e32 v5, v7, v5
	v_cvt_f32_u32_e32 v5, v5
	v_sub_u32_e32 v1, 32, v1
	v_ldexp_f32 v1, v5, v1
	v_bfe_u32 v5, v1, 16, 1
	v_add3_u32 v1, v1, v5, s8
	v_lshrrev_b32_e32 v1, 16, v1
	s_mov_b64 s[8:9], -1
	s_branch .LBB212_1321
.LBB212_1319:
	s_mov_b64 s[6:7], -1
                                        ; implicit-def: $vgpr1
.LBB212_1320:
	s_mov_b64 s[12:13], 0
.LBB212_1321:
	s_and_b64 vcc, exec, s[12:13]
	s_cbranch_vccz .LBB212_1339
; %bb.1322:
	v_cmp_gt_i16_e32 vcc, 27, v4
	s_cbranch_vccnz .LBB212_1325
; %bb.1323:
	v_cmp_lt_i16_e32 vcc, 27, v4
	s_cbranch_vccz .LBB212_1326
; %bb.1324:
	global_load_dword v1, v[2:3], off
	s_movk_i32 s8, 0x7fff
	s_waitcnt vmcnt(0)
	v_cvt_f32_u32_e32 v1, v1
	v_bfe_u32 v5, v1, 16, 1
	v_add3_u32 v1, v1, v5, s8
	v_lshrrev_b32_e32 v1, 16, v1
	s_mov_b64 s[8:9], 0
	s_branch .LBB212_1327
.LBB212_1325:
	s_mov_b64 s[8:9], -1
                                        ; implicit-def: $vgpr1
	s_branch .LBB212_1330
.LBB212_1326:
	s_mov_b64 s[8:9], -1
                                        ; implicit-def: $vgpr1
.LBB212_1327:
	s_andn2_b64 vcc, exec, s[8:9]
	s_cbranch_vccnz .LBB212_1329
; %bb.1328:
	global_load_ushort v1, v[2:3], off
	s_movk_i32 s8, 0x7fff
	s_waitcnt vmcnt(0)
	v_cvt_f32_u32_e32 v1, v1
	v_bfe_u32 v5, v1, 16, 1
	v_add3_u32 v1, v1, v5, s8
	v_lshrrev_b32_e32 v1, 16, v1
.LBB212_1329:
	s_mov_b64 s[8:9], 0
.LBB212_1330:
	s_andn2_b64 vcc, exec, s[8:9]
	s_cbranch_vccnz .LBB212_1338
; %bb.1331:
	global_load_ubyte v1, v[2:3], off
	s_movk_i32 s8, 0x7f
                                        ; implicit-def: $sgpr16
	s_waitcnt vmcnt(0)
	v_cmp_lt_i16_e32 vcc, s8, v1
	s_mov_b64 s[8:9], 0
	s_and_saveexec_b64 s[12:13], vcc
	s_xor_b64 s[12:13], exec, s[12:13]
	s_cbranch_execz .LBB212_1351
; %bb.1332:
	s_movk_i32 s8, 0x80
	v_cmp_eq_u16_e32 vcc, s8, v1
	s_mov_b64 s[8:9], -1
                                        ; implicit-def: $sgpr16
	s_and_saveexec_b64 s[14:15], vcc
; %bb.1333:
	s_mov_b32 s16, 0x7f800001
	s_xor_b64 s[8:9], exec, -1
; %bb.1334:
	s_or_b64 exec, exec, s[14:15]
	s_and_b64 s[8:9], s[8:9], exec
	s_or_saveexec_b64 s[12:13], s[12:13]
	v_mov_b32_e32 v5, s16
	s_xor_b64 exec, exec, s[12:13]
	s_cbranch_execnz .LBB212_1352
.LBB212_1335:
	s_or_b64 exec, exec, s[12:13]
	s_and_saveexec_b64 s[12:13], s[8:9]
	s_cbranch_execz .LBB212_1337
.LBB212_1336:
	v_lshlrev_b32_e32 v5, 24, v1
	v_and_b32_e32 v1, 0xffff, v1
	v_and_b32_e32 v6, 7, v1
	v_ffbh_u32_e32 v8, v6
	v_min_u32_e32 v8, 32, v8
	v_subrev_u32_e32 v9, 28, v8
	v_bfe_u32 v7, v1, 3, 4
	v_lshlrev_b32_e32 v1, v9, v1
	v_sub_u32_e32 v8, 29, v8
	v_and_b32_e32 v1, 7, v1
	v_cmp_eq_u32_e32 vcc, 0, v7
	v_cndmask_b32_e32 v7, v7, v8, vcc
	v_cndmask_b32_e32 v1, v6, v1, vcc
	v_mov_b32_e32 v6, 0x3b800000
	v_lshlrev_b32_e32 v1, 20, v1
	v_and_b32_e32 v5, 0x80000000, v5
	v_lshl_add_u32 v6, v7, 23, v6
	v_or3_b32 v5, v5, v6, v1
.LBB212_1337:
	s_or_b64 exec, exec, s[12:13]
	v_bfe_u32 v1, v5, 16, 1
	s_movk_i32 s8, 0x7fff
	v_add3_u32 v1, v5, v1, s8
	v_lshrrev_b32_e32 v1, 16, v1
	v_mov_b32_e32 v6, 0x7fc0
	v_cmp_o_f32_e32 vcc, v5, v5
	v_cndmask_b32_e32 v1, v6, v1, vcc
.LBB212_1338:
	s_mov_b64 s[8:9], -1
.LBB212_1339:
	s_branch .LBB212_1372
.LBB212_1340:
	v_cmp_lt_i16_e32 vcc, 22, v4
	s_cbranch_vccz .LBB212_1350
; %bb.1341:
	v_cmp_gt_i16_e32 vcc, 24, v4
	s_cbranch_vccnz .LBB212_1353
; %bb.1342:
	v_cmp_lt_i16_e32 vcc, 24, v4
	s_cbranch_vccz .LBB212_1354
; %bb.1343:
	global_load_ubyte v1, v[2:3], off
	s_movk_i32 s8, 0x7f
                                        ; implicit-def: $sgpr14
	s_waitcnt vmcnt(0)
	v_cmp_lt_i16_e32 vcc, s8, v1
	s_mov_b64 s[8:9], 0
	s_and_saveexec_b64 s[10:11], vcc
	s_xor_b64 s[10:11], exec, s[10:11]
	s_cbranch_execz .LBB212_1366
; %bb.1344:
	s_movk_i32 s8, 0x80
	v_cmp_eq_u16_e32 vcc, s8, v1
	s_mov_b64 s[8:9], -1
                                        ; implicit-def: $sgpr14
	s_and_saveexec_b64 s[12:13], vcc
; %bb.1345:
	s_mov_b32 s14, 0x7f800001
	s_xor_b64 s[8:9], exec, -1
; %bb.1346:
	s_or_b64 exec, exec, s[12:13]
	s_and_b64 s[8:9], s[8:9], exec
	s_or_saveexec_b64 s[10:11], s[10:11]
	v_mov_b32_e32 v5, s14
	s_xor_b64 exec, exec, s[10:11]
	s_cbranch_execnz .LBB212_1367
.LBB212_1347:
	s_or_b64 exec, exec, s[10:11]
	s_and_saveexec_b64 s[10:11], s[8:9]
	s_cbranch_execz .LBB212_1349
.LBB212_1348:
	v_lshlrev_b32_e32 v5, 24, v1
	v_and_b32_e32 v1, 0xffff, v1
	v_and_b32_e32 v6, 3, v1
	v_ffbh_u32_e32 v8, v6
	v_min_u32_e32 v8, 32, v8
	v_subrev_u32_e32 v9, 29, v8
	v_bfe_u32 v7, v1, 2, 5
	v_lshlrev_b32_e32 v1, v9, v1
	v_sub_u32_e32 v8, 30, v8
	v_and_b32_e32 v1, 3, v1
	v_cmp_eq_u32_e32 vcc, 0, v7
	v_cndmask_b32_e32 v7, v7, v8, vcc
	v_cndmask_b32_e32 v1, v6, v1, vcc
	v_mov_b32_e32 v6, 0x37800000
	v_lshlrev_b32_e32 v1, 21, v1
	v_and_b32_e32 v5, 0x80000000, v5
	v_lshl_add_u32 v6, v7, 23, v6
	v_or3_b32 v5, v5, v6, v1
.LBB212_1349:
	s_or_b64 exec, exec, s[10:11]
	v_bfe_u32 v1, v5, 16, 1
	s_movk_i32 s8, 0x7fff
	v_add3_u32 v1, v5, v1, s8
	v_lshrrev_b32_e32 v1, 16, v1
	v_mov_b32_e32 v6, 0x7fc0
	v_cmp_o_f32_e32 vcc, v5, v5
	v_cndmask_b32_e32 v1, v6, v1, vcc
	s_mov_b64 s[8:9], 0
	s_branch .LBB212_1355
.LBB212_1350:
	s_mov_b64 s[10:11], -1
                                        ; implicit-def: $vgpr1
	s_branch .LBB212_1361
.LBB212_1351:
	s_or_saveexec_b64 s[12:13], s[12:13]
	v_mov_b32_e32 v5, s16
	s_xor_b64 exec, exec, s[12:13]
	s_cbranch_execz .LBB212_1335
.LBB212_1352:
	v_cmp_ne_u16_e32 vcc, 0, v1
	s_andn2_b64 s[8:9], s[8:9], exec
	s_and_b64 s[14:15], vcc, exec
	v_mov_b32_e32 v5, 0
	s_or_b64 s[8:9], s[8:9], s[14:15]
	s_or_b64 exec, exec, s[12:13]
	s_and_saveexec_b64 s[12:13], s[8:9]
	s_cbranch_execnz .LBB212_1336
	s_branch .LBB212_1337
.LBB212_1353:
	s_mov_b64 s[8:9], -1
                                        ; implicit-def: $vgpr1
	s_branch .LBB212_1358
.LBB212_1354:
	s_mov_b64 s[8:9], -1
                                        ; implicit-def: $vgpr1
.LBB212_1355:
	s_and_b64 vcc, exec, s[8:9]
	s_cbranch_vccz .LBB212_1357
; %bb.1356:
	global_load_ubyte v1, v[2:3], off
	s_mov_b32 s8, 0x7f800000
	s_brev_b32 s9, 1
	s_movk_i32 s10, 0x7fff
	v_mov_b32_e32 v5, 0x7fc0
	s_waitcnt vmcnt(0)
	v_lshlrev_b32_e32 v1, 24, v1
	v_and_b32_e32 v6, 0x7f000000, v1
	v_ffbh_u32_e32 v7, v6
	v_min_u32_e32 v7, 32, v7
	v_sub_u32_e64 v7, v7, 4 clamp
	v_lshlrev_b32_e32 v9, v7, v6
	v_lshlrev_b32_e32 v7, 23, v7
	v_lshrrev_b32_e32 v9, 4, v9
	v_add_u32_e32 v8, 0x1000000, v6
	v_sub_u32_e32 v7, v9, v7
	v_ashrrev_i32_e32 v8, 8, v8
	v_add_u32_e32 v7, 0x3c000000, v7
	v_and_or_b32 v7, v8, s8, v7
	v_cmp_ne_u32_e32 vcc, 0, v6
	v_cndmask_b32_e32 v6, 0, v7, vcc
	v_and_or_b32 v1, v1, s9, v6
	v_bfe_u32 v6, v6, 16, 1
	v_add3_u32 v6, v1, v6, s10
	v_lshrrev_b32_e32 v6, 16, v6
	v_cmp_o_f32_e32 vcc, v1, v1
	v_cndmask_b32_e32 v1, v5, v6, vcc
.LBB212_1357:
	s_mov_b64 s[8:9], 0
.LBB212_1358:
	s_andn2_b64 vcc, exec, s[8:9]
	s_cbranch_vccnz .LBB212_1360
; %bb.1359:
	global_load_ubyte v1, v[2:3], off
	s_movk_i32 s8, 0x7f00
	s_brev_b32 s9, 16
	s_brev_b32 s10, 1
	s_movk_i32 s11, 0x7fff
	v_mov_b32_e32 v5, 0x7fc0
	s_waitcnt vmcnt(0)
	v_lshlrev_b16_e32 v6, 8, v1
	v_lshlrev_b32_e32 v1, 25, v1
	v_lshrrev_b32_e32 v7, 4, v1
	v_and_or_b32 v8, v6, s8, 0.5
	v_or_b32_e32 v7, 0x70000000, v7
	v_add_f32_e32 v8, -0.5, v8
	v_mul_f32_e32 v7, 0x7800000, v7
	v_cmp_gt_u32_e32 vcc, s9, v1
	v_bfe_i32 v6, v6, 0, 16
	v_cndmask_b32_e32 v1, v7, v8, vcc
	v_and_or_b32 v6, v6, s10, v1
	v_bfe_u32 v1, v1, 16, 1
	v_add3_u32 v1, v6, v1, s11
	v_lshrrev_b32_e32 v1, 16, v1
	v_cmp_o_f32_e32 vcc, v6, v6
	v_cndmask_b32_e32 v1, v5, v1, vcc
.LBB212_1360:
	s_mov_b64 s[10:11], 0
	s_mov_b64 s[8:9], -1
.LBB212_1361:
	s_andn2_b64 vcc, exec, s[10:11]
	s_mov_b64 s[10:11], 0
	s_cbranch_vccnz .LBB212_1372
; %bb.1362:
	v_cmp_lt_i16_e32 vcc, 14, v4
	s_cbranch_vccz .LBB212_1365
; %bb.1363:
	v_cmp_eq_u16_e32 vcc, 15, v4
	s_cbranch_vccz .LBB212_1368
; %bb.1364:
	global_load_ushort v1, v[2:3], off
	s_mov_b64 s[6:7], 0
	s_mov_b64 s[8:9], -1
	s_branch .LBB212_1369
.LBB212_1365:
	s_mov_b64 s[12:13], -1
                                        ; implicit-def: $vgpr1
	s_branch .LBB212_1370
.LBB212_1366:
	s_or_saveexec_b64 s[10:11], s[10:11]
	v_mov_b32_e32 v5, s14
	s_xor_b64 exec, exec, s[10:11]
	s_cbranch_execz .LBB212_1347
.LBB212_1367:
	v_cmp_ne_u16_e32 vcc, 0, v1
	s_andn2_b64 s[8:9], s[8:9], exec
	s_and_b64 s[12:13], vcc, exec
	v_mov_b32_e32 v5, 0
	s_or_b64 s[8:9], s[8:9], s[12:13]
	s_or_b64 exec, exec, s[10:11]
	s_and_saveexec_b64 s[10:11], s[8:9]
	s_cbranch_execnz .LBB212_1348
	s_branch .LBB212_1349
.LBB212_1368:
	s_mov_b64 s[6:7], -1
                                        ; implicit-def: $vgpr1
.LBB212_1369:
	s_mov_b64 s[12:13], 0
.LBB212_1370:
	s_and_b64 vcc, exec, s[12:13]
	s_cbranch_vccz .LBB212_1372
; %bb.1371:
	v_cmp_ne_u16_e32 vcc, 11, v4
	s_andn2_b64 s[6:7], s[6:7], exec
	s_and_b64 s[12:13], vcc, exec
	s_mov_b64 s[10:11], -1
	s_or_b64 s[6:7], s[6:7], s[12:13]
                                        ; implicit-def: $vgpr1
.LBB212_1372:
	s_mov_b64 s[12:13], 0
.LBB212_1373:
	s_andn2_b64 s[14:15], s[42:43], exec
	s_and_b64 s[6:7], s[6:7], exec
	s_and_b64 s[8:9], s[8:9], exec
	;; [unrolled: 1-line block ×4, first 2 shown]
	s_or_b64 s[42:43], s[14:15], s[6:7]
	s_or_b64 exec, exec, s[4:5]
	s_and_saveexec_b64 s[4:5], s[42:43]
	s_cbranch_execz .LBB212_1302
.LBB212_1374:
	s_or_b64 s[46:47], s[46:47], exec
	s_andn2_b64 s[10:11], s[10:11], exec
	s_trap 2
                                        ; implicit-def: $vgpr1
	s_or_b64 exec, exec, s[4:5]
	s_and_saveexec_b64 s[4:5], s[10:11]
	s_xor_b64 s[4:5], exec, s[4:5]
	s_cbranch_execnz .LBB212_1303
.LBB212_1375:
	s_or_b64 exec, exec, s[4:5]
	s_and_saveexec_b64 s[4:5], s[12:13]
	s_cbranch_execz .LBB212_1421
.LBB212_1376:
	v_cmp_gt_i16_e32 vcc, 5, v4
	s_cbranch_vccnz .LBB212_1381
; %bb.1377:
	v_cmp_gt_i16_e32 vcc, 8, v4
	s_cbranch_vccnz .LBB212_1382
; %bb.1378:
	;; [unrolled: 3-line block ×3, first 2 shown]
	v_cmp_lt_i16_e32 vcc, 9, v4
	s_cbranch_vccz .LBB212_1384
; %bb.1380:
	global_load_dwordx2 v[6:7], v[2:3], off
	s_movk_i32 s6, 0x7fff
	s_waitcnt vmcnt(1)
	v_mov_b32_e32 v1, 0x7fc0
	s_waitcnt vmcnt(0)
	v_cvt_f32_f64_e32 v5, v[6:7]
	v_bfe_u32 v6, v5, 16, 1
	v_add3_u32 v6, v5, v6, s6
	v_lshrrev_b32_e32 v6, 16, v6
	v_cmp_o_f32_e32 vcc, v5, v5
	v_cndmask_b32_e32 v1, v1, v6, vcc
	s_mov_b64 s[6:7], 0
	s_branch .LBB212_1385
.LBB212_1381:
                                        ; implicit-def: $vgpr1
	s_branch .LBB212_1402
.LBB212_1382:
                                        ; implicit-def: $vgpr1
	s_branch .LBB212_1391
.LBB212_1383:
	s_mov_b64 s[6:7], -1
                                        ; implicit-def: $vgpr1
	s_branch .LBB212_1388
.LBB212_1384:
	s_mov_b64 s[6:7], -1
                                        ; implicit-def: $vgpr1
.LBB212_1385:
	s_andn2_b64 vcc, exec, s[6:7]
	s_cbranch_vccnz .LBB212_1387
; %bb.1386:
	global_load_dword v1, v[2:3], off
	s_movk_i32 s6, 0x7fff
	v_mov_b32_e32 v5, 0x7fc0
	s_waitcnt vmcnt(0)
	v_bfe_u32 v6, v1, 16, 1
	v_add3_u32 v6, v1, v6, s6
	v_lshrrev_b32_e32 v6, 16, v6
	v_cmp_o_f32_e32 vcc, v1, v1
	v_cndmask_b32_e32 v1, v5, v6, vcc
.LBB212_1387:
	s_mov_b64 s[6:7], 0
.LBB212_1388:
	s_andn2_b64 vcc, exec, s[6:7]
	s_cbranch_vccnz .LBB212_1390
; %bb.1389:
	global_load_dword v1, v[2:3], off
	s_movk_i32 s6, 0x7fff
	v_mov_b32_e32 v6, 0x7fc0
	s_waitcnt vmcnt(0)
	v_cvt_f32_f16_e32 v5, v1
	v_cmp_o_f16_e32 vcc, v1, v1
	v_bfe_u32 v7, v5, 16, 1
	v_add3_u32 v5, v5, v7, s6
	v_lshrrev_b32_e32 v5, 16, v5
	v_cndmask_b32_e32 v1, v6, v5, vcc
.LBB212_1390:
	s_cbranch_execnz .LBB212_1401
.LBB212_1391:
	v_cmp_gt_i16_e32 vcc, 6, v4
	s_cbranch_vccnz .LBB212_1394
; %bb.1392:
	v_cmp_lt_i16_e32 vcc, 6, v4
	s_cbranch_vccz .LBB212_1395
; %bb.1393:
	global_load_dwordx2 v[6:7], v[2:3], off
	s_movk_i32 s6, 0x7fff
	s_waitcnt vmcnt(1)
	v_mov_b32_e32 v1, 0x7fc0
	s_waitcnt vmcnt(0)
	v_cvt_f32_f64_e32 v5, v[6:7]
	v_bfe_u32 v6, v5, 16, 1
	v_add3_u32 v6, v5, v6, s6
	v_lshrrev_b32_e32 v6, 16, v6
	v_cmp_o_f32_e32 vcc, v5, v5
	v_cndmask_b32_e32 v1, v1, v6, vcc
	s_mov_b64 s[6:7], 0
	s_branch .LBB212_1396
.LBB212_1394:
	s_mov_b64 s[6:7], -1
                                        ; implicit-def: $vgpr1
	s_branch .LBB212_1399
.LBB212_1395:
	s_mov_b64 s[6:7], -1
                                        ; implicit-def: $vgpr1
.LBB212_1396:
	s_andn2_b64 vcc, exec, s[6:7]
	s_cbranch_vccnz .LBB212_1398
; %bb.1397:
	global_load_dword v1, v[2:3], off
	s_movk_i32 s6, 0x7fff
	v_mov_b32_e32 v5, 0x7fc0
	s_waitcnt vmcnt(0)
	v_bfe_u32 v6, v1, 16, 1
	v_add3_u32 v6, v1, v6, s6
	v_lshrrev_b32_e32 v6, 16, v6
	v_cmp_o_f32_e32 vcc, v1, v1
	v_cndmask_b32_e32 v1, v5, v6, vcc
.LBB212_1398:
	s_mov_b64 s[6:7], 0
.LBB212_1399:
	s_andn2_b64 vcc, exec, s[6:7]
	s_cbranch_vccnz .LBB212_1401
; %bb.1400:
	global_load_ushort v1, v[2:3], off
	s_movk_i32 s6, 0x7fff
	v_mov_b32_e32 v6, 0x7fc0
	s_waitcnt vmcnt(0)
	v_cvt_f32_f16_e32 v5, v1
	v_cmp_o_f16_e32 vcc, v1, v1
	v_bfe_u32 v7, v5, 16, 1
	v_add3_u32 v5, v5, v7, s6
	v_lshrrev_b32_e32 v5, 16, v5
	v_cndmask_b32_e32 v1, v6, v5, vcc
.LBB212_1401:
	s_cbranch_execnz .LBB212_1420
.LBB212_1402:
	v_cmp_gt_i16_e32 vcc, 2, v4
	s_cbranch_vccnz .LBB212_1406
; %bb.1403:
	v_cmp_gt_i16_e32 vcc, 3, v4
	s_cbranch_vccnz .LBB212_1407
; %bb.1404:
	v_cmp_lt_i16_e32 vcc, 3, v4
	s_cbranch_vccz .LBB212_1408
; %bb.1405:
	global_load_dwordx2 v[6:7], v[2:3], off
	s_movk_i32 s6, 0x7fff
	s_waitcnt vmcnt(0)
	v_xor_b32_e32 v5, v6, v7
	v_ffbh_i32_e32 v1, v7
	v_ashrrev_i32_e32 v5, 31, v5
	v_add_u32_e32 v1, -1, v1
	v_add_u32_e32 v5, 32, v5
	v_min_u32_e32 v1, v1, v5
	v_lshlrev_b64 v[6:7], v1, v[6:7]
	v_min_u32_e32 v5, 1, v6
	v_or_b32_e32 v5, v7, v5
	v_cvt_f32_i32_e32 v5, v5
	v_sub_u32_e32 v1, 32, v1
	v_ldexp_f32 v1, v5, v1
	v_bfe_u32 v5, v1, 16, 1
	v_add3_u32 v1, v1, v5, s6
	v_lshrrev_b32_e32 v1, 16, v1
	s_mov_b64 s[6:7], 0
	s_branch .LBB212_1409
.LBB212_1406:
                                        ; implicit-def: $vgpr1
	s_branch .LBB212_1415
.LBB212_1407:
	s_mov_b64 s[6:7], -1
                                        ; implicit-def: $vgpr1
	s_branch .LBB212_1412
.LBB212_1408:
	s_mov_b64 s[6:7], -1
                                        ; implicit-def: $vgpr1
.LBB212_1409:
	s_andn2_b64 vcc, exec, s[6:7]
	s_cbranch_vccnz .LBB212_1411
; %bb.1410:
	global_load_dword v1, v[2:3], off
	s_movk_i32 s6, 0x7fff
	s_waitcnt vmcnt(0)
	v_cvt_f32_i32_e32 v1, v1
	v_bfe_u32 v5, v1, 16, 1
	v_add3_u32 v1, v1, v5, s6
	v_lshrrev_b32_e32 v1, 16, v1
.LBB212_1411:
	s_mov_b64 s[6:7], 0
.LBB212_1412:
	s_andn2_b64 vcc, exec, s[6:7]
	s_cbranch_vccnz .LBB212_1414
; %bb.1413:
	global_load_sshort v1, v[2:3], off
	s_movk_i32 s6, 0x7fff
	s_waitcnt vmcnt(0)
	v_cvt_f32_i32_e32 v1, v1
	v_bfe_u32 v5, v1, 16, 1
	v_add3_u32 v1, v1, v5, s6
	v_lshrrev_b32_e32 v1, 16, v1
.LBB212_1414:
	s_cbranch_execnz .LBB212_1420
.LBB212_1415:
	v_cmp_lt_i16_e32 vcc, 0, v4
	s_cbranch_vccz .LBB212_1417
; %bb.1416:
	global_load_sbyte v1, v[2:3], off
	s_movk_i32 s6, 0x7fff
	s_waitcnt vmcnt(0)
	v_cvt_f32_i32_e32 v1, v1
	v_bfe_u32 v4, v1, 16, 1
	v_add3_u32 v1, v1, v4, s6
	v_lshrrev_b32_e32 v1, 16, v1
	s_mov_b64 s[6:7], 0
	s_branch .LBB212_1418
.LBB212_1417:
	s_mov_b64 s[6:7], -1
                                        ; implicit-def: $vgpr1
.LBB212_1418:
	s_andn2_b64 vcc, exec, s[6:7]
	s_cbranch_vccnz .LBB212_1420
; %bb.1419:
	global_load_ubyte v1, v[2:3], off
	s_movk_i32 s6, 0x7fff
	s_waitcnt vmcnt(0)
	v_cvt_f32_ubyte0_e32 v1, v1
	v_bfe_u32 v2, v1, 16, 1
	v_add3_u32 v1, v1, v2, s6
	v_lshrrev_b32_e32 v1, 16, v1
.LBB212_1420:
	s_or_b64 s[8:9], s[8:9], exec
.LBB212_1421:
	s_or_b64 exec, exec, s[4:5]
	s_mov_b64 s[10:11], 0
	s_mov_b64 s[6:7], 0
                                        ; implicit-def: $vgpr3
                                        ; implicit-def: $vgpr4_vgpr5
                                        ; implicit-def: $vgpr2
	s_and_saveexec_b64 s[42:43], s[8:9]
	s_cbranch_execz .LBB212_1439
; %bb.1422:
	s_getpc_b64 s[4:5]
	s_add_u32 s4, s4, _ZZZZN2at6native33launch_standard_gamma_grad_kernelERNS_18TensorIteratorBaseEENKUlvE_clEvENKUlvE2_clEvENKUlN3c108BFloat16ES6_E_clES6_S6_@rel32@lo+4
	s_addc_u32 s5, s5, _ZZZZN2at6native33launch_standard_gamma_grad_kernelERNS_18TensorIteratorBaseEENKUlvE_clEvENKUlvE2_clEvENKUlN3c108BFloat16ES6_E_clES6_S6_@rel32@hi+12
	s_swappc_b64 s[30:31], s[4:5]
	v_mov_b32_e32 v2, v0
	v_mul_lo_u32 v0, v37, s36
	v_ashrrev_i32_e32 v1, 31, v0
	v_mov_b32_e32 v3, s25
	v_add_co_u32_e32 v4, vcc, s24, v0
	v_addc_co_u32_e32 v5, vcc, v3, v1, vcc
	v_and_b32_e32 v3, 0xff, v36
	v_cmp_gt_i16_e32 vcc, 11, v3
	s_cbranch_vccnz .LBB212_1442
; %bb.1423:
	v_cmp_lt_i16_e32 vcc, 25, v3
	s_mov_b64 s[8:9], -1
	s_mov_b64 s[4:5], s[40:41]
	s_cbranch_vccz .LBB212_1460
; %bb.1424:
	v_cmp_lt_i16_e32 vcc, 28, v3
	s_mov_b64 s[6:7], -1
	s_mov_b64 s[4:5], s[40:41]
	s_cbranch_vccz .LBB212_1444
; %bb.1425:
	v_cmp_lt_i16_e32 vcc, 43, v3
	s_mov_b64 s[4:5], s[40:41]
	s_cbranch_vccz .LBB212_1436
; %bb.1426:
	v_cmp_lt_i16_e32 vcc, 45, v3
	s_mov_b64 s[4:5], s[40:41]
	s_cbranch_vccz .LBB212_1430
; %bb.1427:
	v_cmp_eq_u16_e32 vcc, 46, v3
	s_mov_b64 s[4:5], -1
	s_cbranch_vccz .LBB212_1429
; %bb.1428:
	v_and_b32_e32 v0, 0xffff, v2
	global_store_dword v[4:5], v0, off
	s_mov_b64 s[4:5], 0
.LBB212_1429:
	s_mov_b64 s[6:7], 0
.LBB212_1430:
	s_and_b64 vcc, exec, s[6:7]
	s_cbranch_vccz .LBB212_1435
; %bb.1431:
	v_cmp_eq_u16_e32 vcc, 44, v3
	s_mov_b64 s[4:5], -1
	s_cbranch_vccz .LBB212_1435
; %bb.1432:
	v_and_b32_e32 v1, 0xffff, v2
	v_bfe_u32 v0, v1, 7, 8
	s_movk_i32 s4, 0xff
	v_cmp_ne_u32_e32 vcc, s4, v0
	v_mov_b32_e32 v6, 0xff
	s_and_saveexec_b64 s[6:7], vcc
; %bb.1433:
	v_lshlrev_b32_e32 v7, 16, v1
	s_mov_b32 s4, 0x3f0000
	v_lshrrev_b32_e32 v6, 7, v1
	v_and_b32_e32 v1, 64, v1
	v_and_or_b32 v0, v7, s4, v0
	v_cmp_ne_u32_e32 vcc, 0, v1
	v_cmp_ne_u32_e64 s[4:5], 0, v0
	s_and_b64 s[4:5], vcc, s[4:5]
	v_cndmask_b32_e64 v0, 0, 1, s[4:5]
	v_add_u32_e32 v6, v6, v0
; %bb.1434:
	s_or_b64 exec, exec, s[6:7]
	s_mov_b64 s[4:5], 0
	global_store_byte v[4:5], v6, off
.LBB212_1435:
	s_mov_b64 s[6:7], 0
.LBB212_1436:
	s_and_b64 vcc, exec, s[6:7]
	s_cbranch_vccz .LBB212_1443
; %bb.1437:
	v_cmp_eq_u16_e32 vcc, 29, v3
	s_mov_b64 s[4:5], -1
	s_cbranch_vccz .LBB212_1443
; %bb.1438:
	v_lshlrev_b32_e32 v0, 16, v2
	v_trunc_f32_e32 v0, v0
	v_mul_f32_e32 v1, 0x2f800000, v0
	v_floor_f32_e32 v6, v1
	v_fmac_f32_e32 v0, 0xcf800000, v6
	v_cvt_u32_f32_e32 v1, v6
	v_cvt_u32_f32_e32 v0, v0
	s_mov_b64 s[4:5], 0
	s_mov_b64 s[6:7], 0
	global_store_dwordx2 v[4:5], v[0:1], off
	s_branch .LBB212_1444
.LBB212_1439:
	s_or_b64 exec, exec, s[42:43]
	s_and_saveexec_b64 s[4:5], s[40:41]
	s_cbranch_execnz .LBB212_1502
.LBB212_1440:
	s_or_b64 exec, exec, s[4:5]
	s_and_saveexec_b64 s[4:5], s[10:11]
	s_xor_b64 s[4:5], exec, s[4:5]
	s_cbranch_execz .LBB212_1503
.LBB212_1441:
	s_waitcnt vmcnt(0)
	v_and_b32_e32 v0, 0x7fff, v2
	v_cmp_ne_u16_e32 vcc, 0, v0
	v_cndmask_b32_e64 v0, 0, 1, vcc
	global_store_byte v[4:5], v0, off
	s_or_b64 exec, exec, s[4:5]
	s_and_saveexec_b64 s[4:5], s[6:7]
	s_xor_b64 s[4:5], exec, s[4:5]
	s_cbranch_execz .LBB212_1541
	s_branch .LBB212_1504
.LBB212_1442:
	s_mov_b64 s[8:9], 0
	s_mov_b64 s[6:7], -1
	s_mov_b64 s[4:5], s[40:41]
	s_branch .LBB212_1501
.LBB212_1443:
	s_mov_b64 s[6:7], 0
.LBB212_1444:
	s_and_b64 vcc, exec, s[6:7]
	s_cbranch_vccz .LBB212_1459
; %bb.1445:
	v_cmp_gt_i16_e32 vcc, 27, v3
	s_mov_b64 s[6:7], -1
	s_cbranch_vccnz .LBB212_1451
; %bb.1446:
	v_cmp_lt_i16_e32 vcc, 27, v3
	s_cbranch_vccz .LBB212_1448
; %bb.1447:
	v_lshlrev_b32_e32 v0, 16, v2
	v_cvt_u32_f32_e32 v0, v0
	s_mov_b64 s[6:7], 0
	global_store_dword v[4:5], v0, off
.LBB212_1448:
	s_andn2_b64 vcc, exec, s[6:7]
	s_cbranch_vccnz .LBB212_1450
; %bb.1449:
	v_lshlrev_b32_e32 v0, 16, v2
	v_cvt_u32_f32_e32 v0, v0
	global_store_short v[4:5], v0, off
.LBB212_1450:
	s_mov_b64 s[6:7], 0
.LBB212_1451:
	s_andn2_b64 vcc, exec, s[6:7]
	s_cbranch_vccnz .LBB212_1459
; %bb.1452:
	v_lshlrev_b32_e32 v6, 16, v2
	v_and_b32_e32 v1, 0x7fffffff, v6
	s_mov_b32 s6, 0x43800000
	v_cmp_gt_u32_e32 vcc, s6, v1
	v_mov_b32_e32 v7, 0x80
	s_and_saveexec_b64 s[6:7], vcc
	s_cbranch_execz .LBB212_1458
; %bb.1453:
	s_mov_b32 s8, 0x3bffffff
	v_and_b32_e32 v0, 0xffff, v2
	v_cmp_lt_u32_e32 vcc, s8, v1
	s_mov_b64 s[8:9], 0
                                        ; implicit-def: $vgpr1
	s_and_saveexec_b64 s[10:11], vcc
	s_xor_b64 s[10:11], exec, s[10:11]
	s_cbranch_execz .LBB212_1556
; %bb.1454:
	v_bfe_u32 v1, v0, 4, 1
	s_mov_b32 s12, 0x487ffff
	v_add3_u32 v1, v6, v1, s12
	s_mov_b64 s[8:9], exec
	v_lshrrev_b32_e32 v1, 20, v1
                                        ; implicit-def: $vgpr6
	s_or_saveexec_b64 s[10:11], s[10:11]
                                        ; implicit-def: $sgpr12
	s_xor_b64 exec, exec, s[10:11]
	s_cbranch_execnz .LBB212_1557
.LBB212_1455:
	s_or_b64 exec, exec, s[10:11]
	v_mov_b32_e32 v7, s12
	s_and_saveexec_b64 s[10:11], s[8:9]
.LBB212_1456:
	v_lshrrev_b32_e32 v0, 8, v0
	s_movk_i32 s8, 0x80
	v_and_or_b32 v7, v0, s8, v1
.LBB212_1457:
	s_or_b64 exec, exec, s[10:11]
.LBB212_1458:
	s_or_b64 exec, exec, s[6:7]
	global_store_byte v[4:5], v7, off
.LBB212_1459:
	s_mov_b64 s[8:9], 0
.LBB212_1460:
	s_mov_b64 s[6:7], 0
	s_and_b64 vcc, exec, s[8:9]
	s_cbranch_vccz .LBB212_1500
; %bb.1461:
	v_cmp_lt_i16_e32 vcc, 22, v3
	s_mov_b64 s[8:9], -1
	s_cbranch_vccz .LBB212_1493
; %bb.1462:
	v_cmp_gt_i16_e32 vcc, 24, v3
	s_cbranch_vccnz .LBB212_1482
; %bb.1463:
	v_cmp_lt_i16_e32 vcc, 24, v3
	s_cbranch_vccz .LBB212_1471
; %bb.1464:
	v_lshlrev_b32_e32 v6, 16, v2
	v_and_b32_e32 v1, 0x7fffffff, v6
	s_mov_b32 s8, 0x47800000
	v_cmp_gt_u32_e32 vcc, s8, v1
	v_mov_b32_e32 v7, 0x80
	s_and_saveexec_b64 s[8:9], vcc
	s_cbranch_execz .LBB212_1470
; %bb.1465:
	s_mov_b32 s10, 0x37ffffff
	v_and_b32_e32 v0, 0xffff, v2
	v_cmp_lt_u32_e32 vcc, s10, v1
	s_mov_b64 s[10:11], 0
                                        ; implicit-def: $vgpr1
	s_and_saveexec_b64 s[12:13], vcc
	s_xor_b64 s[12:13], exec, s[12:13]
	s_cbranch_execz .LBB212_1681
; %bb.1466:
	v_bfe_u32 v1, v0, 5, 1
	s_mov_b32 s14, 0x88fffff
	v_add3_u32 v1, v6, v1, s14
	s_mov_b64 s[10:11], exec
	v_lshrrev_b32_e32 v1, 21, v1
                                        ; implicit-def: $vgpr6
	s_or_saveexec_b64 s[12:13], s[12:13]
                                        ; implicit-def: $sgpr14
	s_xor_b64 exec, exec, s[12:13]
	s_cbranch_execnz .LBB212_1682
.LBB212_1467:
	s_or_b64 exec, exec, s[12:13]
	v_mov_b32_e32 v7, s14
	s_and_saveexec_b64 s[12:13], s[10:11]
.LBB212_1468:
	v_lshrrev_b32_e32 v0, 8, v0
	s_movk_i32 s10, 0x80
	v_and_or_b32 v7, v0, s10, v1
.LBB212_1469:
	s_or_b64 exec, exec, s[12:13]
.LBB212_1470:
	s_or_b64 exec, exec, s[8:9]
	s_mov_b64 s[8:9], 0
	global_store_byte v[4:5], v7, off
.LBB212_1471:
	s_and_b64 vcc, exec, s[8:9]
	s_cbranch_vccz .LBB212_1481
; %bb.1472:
	v_lshlrev_b32_e32 v6, 16, v2
	v_and_b32_e32 v7, 0x7fffffff, v6
	s_mov_b32 s8, 0x43f00000
	v_and_b32_e32 v0, 0xffff, v2
	v_cmp_gt_u32_e32 vcc, s8, v7
                                        ; implicit-def: $vgpr1
	s_and_saveexec_b64 s[8:9], vcc
	s_xor_b64 s[8:9], exec, s[8:9]
	s_cbranch_execz .LBB212_1478
; %bb.1473:
	s_mov_b32 s10, 0x3c7fffff
	v_cmp_lt_u32_e32 vcc, s10, v7
                                        ; implicit-def: $vgpr1
	s_and_saveexec_b64 s[10:11], vcc
	s_xor_b64 s[10:11], exec, s[10:11]
; %bb.1474:
	v_bfe_u32 v1, v0, 4, 1
	s_mov_b32 s12, 0x407ffff
	v_add3_u32 v1, v6, v1, s12
	v_lshrrev_b32_e32 v6, 20, v1
	v_and_b32_e32 v1, 0xff00000, v1
	s_mov_b32 s12, 0x7f00000
	v_mov_b32_e32 v7, 0x7e
	v_cmp_ne_u32_e32 vcc, s12, v1
	v_cndmask_b32_e32 v1, v7, v6, vcc
                                        ; implicit-def: $vgpr6
; %bb.1475:
	s_andn2_saveexec_b64 s[10:11], s[10:11]
; %bb.1476:
	s_mov_b32 s12, 0x46800000
	v_add_f32_e64 v1, |v6|, s12
; %bb.1477:
	s_or_b64 exec, exec, s[10:11]
                                        ; implicit-def: $vgpr7
.LBB212_1478:
	s_andn2_saveexec_b64 s[8:9], s[8:9]
; %bb.1479:
	s_mov_b32 s10, 0x7f800000
	v_mov_b32_e32 v1, 0x7e
	v_mov_b32_e32 v6, 0x7f
	v_cmp_lt_u32_e32 vcc, s10, v7
	v_cndmask_b32_e32 v1, v1, v6, vcc
; %bb.1480:
	s_or_b64 exec, exec, s[8:9]
	v_lshrrev_b32_e32 v0, 8, v0
	s_movk_i32 s8, 0x80
	v_and_or_b32 v0, v0, s8, v1
	global_store_byte v[4:5], v0, off
.LBB212_1481:
	s_mov_b64 s[8:9], 0
.LBB212_1482:
	s_andn2_b64 vcc, exec, s[8:9]
	s_cbranch_vccnz .LBB212_1492
; %bb.1483:
	v_lshlrev_b32_e32 v6, 16, v2
	v_and_b32_e32 v7, 0x7fffffff, v6
	s_mov_b32 s8, 0x47800000
	v_and_b32_e32 v0, 0xffff, v2
	v_cmp_gt_u32_e32 vcc, s8, v7
                                        ; implicit-def: $vgpr1
	s_and_saveexec_b64 s[8:9], vcc
	s_xor_b64 s[8:9], exec, s[8:9]
	s_cbranch_execz .LBB212_1489
; %bb.1484:
	s_mov_b32 s10, 0x387fffff
	v_cmp_lt_u32_e32 vcc, s10, v7
                                        ; implicit-def: $vgpr1
	s_and_saveexec_b64 s[10:11], vcc
	s_xor_b64 s[10:11], exec, s[10:11]
; %bb.1485:
	v_bfe_u32 v1, v0, 5, 1
	s_mov_b32 s12, 0x80fffff
	v_add3_u32 v1, v6, v1, s12
	v_lshrrev_b32_e32 v1, 21, v1
                                        ; implicit-def: $vgpr6
; %bb.1486:
	s_andn2_saveexec_b64 s[10:11], s[10:11]
; %bb.1487:
	s_mov_b32 s12, 0x43000000
	v_add_f32_e64 v1, |v6|, s12
; %bb.1488:
	s_or_b64 exec, exec, s[10:11]
                                        ; implicit-def: $vgpr7
.LBB212_1489:
	s_andn2_saveexec_b64 s[8:9], s[8:9]
; %bb.1490:
	s_mov_b32 s10, 0x7f800000
	v_mov_b32_e32 v1, 0x7c
	v_mov_b32_e32 v6, 0x7f
	v_cmp_lt_u32_e32 vcc, s10, v7
	v_cndmask_b32_e32 v1, v1, v6, vcc
; %bb.1491:
	s_or_b64 exec, exec, s[8:9]
	v_lshrrev_b32_e32 v0, 8, v0
	s_movk_i32 s8, 0x80
	v_and_or_b32 v0, v0, s8, v1
	global_store_byte v[4:5], v0, off
.LBB212_1492:
	s_mov_b64 s[8:9], 0
.LBB212_1493:
	s_andn2_b64 vcc, exec, s[8:9]
	s_mov_b64 s[8:9], 0
	s_cbranch_vccnz .LBB212_1501
; %bb.1494:
	v_cmp_lt_i16_e32 vcc, 14, v3
	s_mov_b64 s[10:11], -1
	s_cbranch_vccz .LBB212_1498
; %bb.1495:
	v_cmp_eq_u16_e32 vcc, 15, v3
	s_mov_b64 s[4:5], -1
	s_cbranch_vccz .LBB212_1497
; %bb.1496:
	global_store_short v[4:5], v2, off
	s_mov_b64 s[4:5], 0
.LBB212_1497:
	s_mov_b64 s[10:11], 0
.LBB212_1498:
	s_and_b64 vcc, exec, s[10:11]
	s_cbranch_vccz .LBB212_1501
; %bb.1499:
	v_cmp_ne_u16_e32 vcc, 11, v3
	s_andn2_b64 s[4:5], s[4:5], exec
	s_and_b64 s[10:11], vcc, exec
	s_mov_b64 s[8:9], -1
	s_or_b64 s[4:5], s[4:5], s[10:11]
	s_branch .LBB212_1501
.LBB212_1500:
	s_mov_b64 s[8:9], 0
.LBB212_1501:
	s_and_b64 s[10:11], s[8:9], exec
	s_andn2_b64 s[8:9], s[40:41], exec
	s_and_b64 s[4:5], s[4:5], exec
	s_and_b64 s[6:7], s[6:7], exec
	s_or_b64 s[40:41], s[8:9], s[4:5]
	s_or_b64 exec, exec, s[42:43]
	s_and_saveexec_b64 s[4:5], s[40:41]
	s_cbranch_execz .LBB212_1440
.LBB212_1502:
	s_or_b64 s[46:47], s[46:47], exec
	s_andn2_b64 s[10:11], s[10:11], exec
	s_trap 2
	s_or_b64 exec, exec, s[4:5]
	s_and_saveexec_b64 s[4:5], s[10:11]
	s_xor_b64 s[4:5], exec, s[4:5]
	s_cbranch_execnz .LBB212_1441
.LBB212_1503:
	s_or_b64 exec, exec, s[4:5]
	s_and_saveexec_b64 s[4:5], s[6:7]
	s_xor_b64 s[4:5], exec, s[4:5]
	s_cbranch_execz .LBB212_1541
.LBB212_1504:
	v_cmp_gt_i16_e32 vcc, 5, v3
	s_mov_b64 s[6:7], -1
	s_cbranch_vccnz .LBB212_1525
; %bb.1505:
	v_cmp_gt_i16_e32 vcc, 8, v3
	s_cbranch_vccnz .LBB212_1515
; %bb.1506:
	v_cmp_gt_i16_e32 vcc, 9, v3
	s_cbranch_vccnz .LBB212_1512
; %bb.1507:
	v_cmp_lt_i16_e32 vcc, 9, v3
	s_cbranch_vccz .LBB212_1509
; %bb.1508:
	s_waitcnt vmcnt(0)
	v_lshlrev_b32_e32 v0, 16, v2
	v_mov_b32_e32 v8, 0
	v_cvt_f64_f32_e32 v[6:7], v0
	v_mov_b32_e32 v9, v8
	s_mov_b64 s[6:7], 0
	global_store_dwordx4 v[4:5], v[6:9], off
.LBB212_1509:
	s_andn2_b64 vcc, exec, s[6:7]
	s_cbranch_vccnz .LBB212_1511
; %bb.1510:
	s_waitcnt vmcnt(0)
	v_lshlrev_b32_e32 v0, 16, v2
	v_mov_b32_e32 v1, 0
	global_store_dwordx2 v[4:5], v[0:1], off
.LBB212_1511:
	s_mov_b64 s[6:7], 0
.LBB212_1512:
	s_andn2_b64 vcc, exec, s[6:7]
	s_cbranch_vccnz .LBB212_1514
; %bb.1513:
	s_waitcnt vmcnt(0)
	v_lshlrev_b32_e32 v0, 16, v2
	v_cvt_f16_f32_e32 v0, v0
	global_store_dword v[4:5], v0, off
.LBB212_1514:
	s_mov_b64 s[6:7], 0
.LBB212_1515:
	s_andn2_b64 vcc, exec, s[6:7]
	s_cbranch_vccnz .LBB212_1524
; %bb.1516:
	v_cmp_gt_i16_e32 vcc, 6, v3
	s_mov_b64 s[6:7], -1
	s_cbranch_vccnz .LBB212_1522
; %bb.1517:
	v_cmp_lt_i16_e32 vcc, 6, v3
	s_cbranch_vccz .LBB212_1519
; %bb.1518:
	s_waitcnt vmcnt(0)
	v_lshlrev_b32_e32 v0, 16, v2
	v_cvt_f64_f32_e32 v[0:1], v0
	s_mov_b64 s[6:7], 0
	global_store_dwordx2 v[4:5], v[0:1], off
.LBB212_1519:
	s_andn2_b64 vcc, exec, s[6:7]
	s_cbranch_vccnz .LBB212_1521
; %bb.1520:
	s_waitcnt vmcnt(0)
	v_lshlrev_b32_e32 v0, 16, v2
	global_store_dword v[4:5], v0, off
.LBB212_1521:
	s_mov_b64 s[6:7], 0
.LBB212_1522:
	s_andn2_b64 vcc, exec, s[6:7]
	s_cbranch_vccnz .LBB212_1524
; %bb.1523:
	s_waitcnt vmcnt(0)
	v_lshlrev_b32_e32 v0, 16, v2
	v_cvt_f16_f32_e32 v0, v0
	global_store_short v[4:5], v0, off
.LBB212_1524:
	s_mov_b64 s[6:7], 0
.LBB212_1525:
	s_andn2_b64 vcc, exec, s[6:7]
	s_cbranch_vccnz .LBB212_1541
; %bb.1526:
	v_cmp_gt_i16_e32 vcc, 2, v3
	s_mov_b64 s[6:7], -1
	s_cbranch_vccnz .LBB212_1536
; %bb.1527:
	v_cmp_gt_i16_e32 vcc, 3, v3
	s_cbranch_vccnz .LBB212_1533
; %bb.1528:
	v_cmp_lt_i16_e32 vcc, 3, v3
	s_cbranch_vccz .LBB212_1530
; %bb.1529:
	s_waitcnt vmcnt(0)
	v_lshlrev_b32_e32 v0, 16, v2
	v_trunc_f32_e32 v0, v0
	s_mov_b32 s6, 0x2f800000
	v_mul_f32_e64 v1, |v0|, s6
	v_floor_f32_e32 v1, v1
	s_mov_b32 s6, 0xcf800000
	v_cvt_u32_f32_e32 v6, v1
	v_fma_f32 v1, v1, s6, |v0|
	v_cvt_u32_f32_e32 v1, v1
	v_ashrrev_i32_e32 v7, 31, v0
	v_xor_b32_e32 v6, v6, v7
	s_mov_b64 s[6:7], 0
	v_xor_b32_e32 v0, v1, v7
	v_sub_co_u32_e32 v0, vcc, v0, v7
	v_subb_co_u32_e32 v1, vcc, v6, v7, vcc
	global_store_dwordx2 v[4:5], v[0:1], off
.LBB212_1530:
	s_andn2_b64 vcc, exec, s[6:7]
	s_cbranch_vccnz .LBB212_1532
; %bb.1531:
	s_waitcnt vmcnt(0)
	v_lshlrev_b32_e32 v0, 16, v2
	v_cvt_i32_f32_e32 v0, v0
	global_store_dword v[4:5], v0, off
.LBB212_1532:
	s_mov_b64 s[6:7], 0
.LBB212_1533:
	s_andn2_b64 vcc, exec, s[6:7]
	s_cbranch_vccnz .LBB212_1535
; %bb.1534:
	s_waitcnt vmcnt(0)
	v_lshlrev_b32_e32 v0, 16, v2
	v_cvt_i32_f32_e32 v0, v0
	global_store_short v[4:5], v0, off
.LBB212_1535:
	s_mov_b64 s[6:7], 0
.LBB212_1536:
	s_andn2_b64 vcc, exec, s[6:7]
	s_cbranch_vccnz .LBB212_1541
; %bb.1537:
	v_cmp_lt_i16_e32 vcc, 0, v3
	s_mov_b64 s[6:7], -1
	s_waitcnt vmcnt(0)
	v_lshlrev_b32_e32 v0, 16, v2
	s_cbranch_vccz .LBB212_1539
; %bb.1538:
	v_cvt_i32_f32_e32 v1, v0
	s_mov_b64 s[6:7], 0
	global_store_byte v[4:5], v1, off
.LBB212_1539:
	s_andn2_b64 vcc, exec, s[6:7]
	s_cbranch_vccnz .LBB212_1541
; %bb.1540:
	v_trunc_f32_e32 v0, v0
	s_mov_b32 s6, 0x2f800000
	v_mul_f32_e64 v1, |v0|, s6
	v_floor_f32_e32 v1, v1
	s_mov_b32 s6, 0xcf800000
	v_fma_f32 v1, v1, s6, |v0|
	v_cvt_u32_f32_e32 v1, v1
	v_ashrrev_i32_e32 v0, 31, v0
	v_xor_b32_e32 v1, v1, v0
	v_sub_u32_e32 v0, v1, v0
	global_store_byte v[4:5], v0, off
.LBB212_1541:
	s_or_b64 exec, exec, s[4:5]
	s_and_b64 s[40:41], s[46:47], exec
                                        ; implicit-def: $vgpr37
                                        ; implicit-def: $vgpr35
                                        ; implicit-def: $vgpr38
                                        ; implicit-def: $vgpr36
.LBB212_1542:
	s_or_saveexec_b64 s[34:35], s[34:35]
	s_mov_b64 s[4:5], 0
                                        ; implicit-def: $vgpr1
                                        ; implicit-def: $vgpr2_vgpr3
                                        ; implicit-def: $vgpr0
	s_xor_b64 exec, exec, s[34:35]
	s_cbranch_execz .LBB212_3032
; %bb.1543:
	v_mul_lo_u32 v5, s37, v37
	s_waitcnt vmcnt(0)
	v_ashrrev_i32_e32 v0, 31, v5
	v_mov_b32_e32 v1, s27
	v_add_co_u32_e32 v2, vcc, s26, v5
	v_addc_co_u32_e32 v3, vcc, v1, v0, vcc
	v_mov_b32_e32 v0, 11
	v_cmp_lt_i16_sdwa s[4:5], v35, v0 src0_sel:BYTE_0 src1_sel:DWORD
	s_and_b64 vcc, exec, s[4:5]
	s_cbranch_vccnz .LBB212_1550
; %bb.1544:
	v_mov_b32_e32 v0, 25
	v_cmp_gt_i16_sdwa s[4:5], v35, v0 src0_sel:BYTE_0 src1_sel:DWORD
	s_mov_b64 s[6:7], 0
	s_and_b64 vcc, exec, s[4:5]
	s_cbranch_vccz .LBB212_1552
; %bb.1545:
	v_mov_b32_e32 v0, 28
	v_cmp_gt_i16_sdwa s[4:5], v35, v0 src0_sel:BYTE_0 src1_sel:DWORD
	s_and_b64 vcc, exec, s[4:5]
	s_cbranch_vccz .LBB212_1553
; %bb.1546:
	v_mov_b32_e32 v0, 43
	v_cmp_gt_i16_sdwa s[4:5], v35, v0 src0_sel:BYTE_0 src1_sel:DWORD
	;; [unrolled: 5-line block ×3, first 2 shown]
	s_and_b64 vcc, exec, s[4:5]
	s_cbranch_vccz .LBB212_1555
; %bb.1548:
	v_mov_b32_e32 v0, 46
	v_cmp_eq_u16_sdwa s[4:5], v35, v0 src0_sel:BYTE_0 src1_sel:DWORD
	s_mov_b64 s[10:11], 0
	s_and_b64 vcc, exec, s[4:5]
	s_cbranch_vccz .LBB212_1558
; %bb.1549:
	global_load_dword v0, v[2:3], off
	s_mov_b64 s[4:5], 0
	s_mov_b64 s[8:9], -1
	s_branch .LBB212_1559
.LBB212_1550:
	s_mov_b64 s[8:9], 0
                                        ; implicit-def: $vgpr0
	s_mov_b64 s[42:43], s[40:41]
	s_cbranch_execnz .LBB212_1622
.LBB212_1551:
	s_andn2_b64 vcc, exec, s[8:9]
	s_cbranch_vccz .LBB212_1667
	s_branch .LBB212_3030
.LBB212_1552:
	s_mov_b64 s[8:9], 0
	s_mov_b64 s[4:5], 0
                                        ; implicit-def: $vgpr0
	s_cbranch_execnz .LBB212_1587
	s_branch .LBB212_1618
.LBB212_1553:
	s_mov_b64 s[10:11], -1
	s_mov_b64 s[8:9], 0
	s_mov_b64 s[4:5], 0
                                        ; implicit-def: $vgpr0
	s_branch .LBB212_1568
.LBB212_1554:
	s_mov_b64 s[8:9], 0
	s_mov_b64 s[4:5], 0
                                        ; implicit-def: $vgpr0
	s_cbranch_execnz .LBB212_1564
	s_branch .LBB212_1567
.LBB212_1555:
	s_mov_b64 s[10:11], -1
	s_mov_b64 s[8:9], 0
	s_mov_b64 s[4:5], 0
                                        ; implicit-def: $vgpr0
	s_branch .LBB212_1559
.LBB212_1556:
	s_or_saveexec_b64 s[10:11], s[10:11]
                                        ; implicit-def: $sgpr12
	s_xor_b64 exec, exec, s[10:11]
	s_cbranch_execz .LBB212_1455
.LBB212_1557:
	s_mov_b32 s12, 0x46000000
	v_add_f32_e64 v1, |v6|, s12
	v_and_b32_e32 v1, 0xff, v1
	v_cmp_ne_u32_e32 vcc, 0, v1
	s_andn2_b64 s[8:9], s[8:9], exec
	s_and_b64 s[14:15], vcc, exec
	s_mov_b32 s12, 0
	s_or_b64 s[8:9], s[8:9], s[14:15]
	s_or_b64 exec, exec, s[10:11]
	v_mov_b32_e32 v7, s12
	s_and_saveexec_b64 s[10:11], s[8:9]
	s_cbranch_execnz .LBB212_1456
	s_branch .LBB212_1457
.LBB212_1558:
	s_mov_b64 s[4:5], -1
                                        ; implicit-def: $vgpr0
	s_mov_b64 s[8:9], 0
.LBB212_1559:
	s_and_b64 vcc, exec, s[10:11]
	s_cbranch_vccz .LBB212_1562
; %bb.1560:
	s_waitcnt vmcnt(0)
	v_mov_b32_e32 v0, 44
	v_cmp_eq_u16_sdwa s[4:5], v35, v0 src0_sel:BYTE_0 src1_sel:DWORD
	s_and_b64 vcc, exec, s[4:5]
	s_cbranch_vccz .LBB212_1563
; %bb.1561:
	global_load_ubyte v0, v[2:3], off
	s_movk_i32 s8, 0xff
	v_mov_b32_e32 v1, 0x7f800001
	v_mov_b32_e32 v4, 0x400000
	v_mov_b32_e32 v6, 0x7fc0
	s_mov_b64 s[4:5], 0
	s_waitcnt vmcnt(0)
	v_lshlrev_b32_e32 v7, 23, v0
	v_cmp_ne_u32_e32 vcc, s8, v0
	v_cndmask_b32_e32 v1, v1, v7, vcc
	v_cmp_ne_u32_e32 vcc, 0, v0
	v_cndmask_b32_e32 v0, v4, v1, vcc
	v_add_u32_e32 v1, 0x7fff, v0
	v_lshrrev_b32_e32 v1, 16, v1
	v_cmp_o_f32_e32 vcc, v0, v0
	v_cndmask_b32_e32 v0, v6, v1, vcc
	s_mov_b64 s[8:9], -1
.LBB212_1562:
	s_branch .LBB212_1567
.LBB212_1563:
	s_mov_b64 s[4:5], -1
                                        ; implicit-def: $vgpr0
	s_branch .LBB212_1567
.LBB212_1564:
	s_waitcnt vmcnt(0)
	v_mov_b32_e32 v0, 29
	v_cmp_eq_u16_sdwa s[4:5], v35, v0 src0_sel:BYTE_0 src1_sel:DWORD
	s_and_b64 vcc, exec, s[4:5]
	s_cbranch_vccz .LBB212_1566
; %bb.1565:
	global_load_dwordx2 v[0:1], v[2:3], off
	s_movk_i32 s8, 0x7fff
	s_mov_b64 s[4:5], 0
	s_mov_b64 s[10:11], 0
	s_waitcnt vmcnt(0)
	v_ffbh_u32_e32 v4, v1
	v_min_u32_e32 v4, 32, v4
	v_lshlrev_b64 v[0:1], v4, v[0:1]
	v_min_u32_e32 v0, 1, v0
	v_or_b32_e32 v0, v1, v0
	v_cvt_f32_u32_e32 v0, v0
	v_sub_u32_e32 v1, 32, v4
	v_ldexp_f32 v0, v0, v1
	v_bfe_u32 v1, v0, 16, 1
	v_add3_u32 v0, v0, v1, s8
	v_lshrrev_b32_e32 v0, 16, v0
	s_mov_b64 s[8:9], -1
	s_branch .LBB212_1568
.LBB212_1566:
	s_mov_b64 s[4:5], -1
                                        ; implicit-def: $vgpr0
.LBB212_1567:
	s_mov_b64 s[10:11], 0
.LBB212_1568:
	s_and_b64 vcc, exec, s[10:11]
	s_cbranch_vccz .LBB212_1586
; %bb.1569:
	s_waitcnt vmcnt(0)
	v_mov_b32_e32 v0, 27
	v_cmp_lt_i16_sdwa s[8:9], v35, v0 src0_sel:BYTE_0 src1_sel:DWORD
	s_and_b64 vcc, exec, s[8:9]
	s_cbranch_vccnz .LBB212_1572
; %bb.1570:
	v_cmp_gt_i16_sdwa s[8:9], v35, v0 src0_sel:BYTE_0 src1_sel:DWORD
	s_and_b64 vcc, exec, s[8:9]
	s_cbranch_vccz .LBB212_1573
; %bb.1571:
	global_load_dword v0, v[2:3], off
	s_movk_i32 s8, 0x7fff
	s_waitcnt vmcnt(0)
	v_cvt_f32_u32_e32 v0, v0
	v_bfe_u32 v1, v0, 16, 1
	v_add3_u32 v0, v0, v1, s8
	v_lshrrev_b32_e32 v0, 16, v0
	s_mov_b64 s[8:9], 0
	s_branch .LBB212_1574
.LBB212_1572:
	s_mov_b64 s[8:9], -1
                                        ; implicit-def: $vgpr0
	s_branch .LBB212_1577
.LBB212_1573:
	s_mov_b64 s[8:9], -1
                                        ; implicit-def: $vgpr0
.LBB212_1574:
	s_andn2_b64 vcc, exec, s[8:9]
	s_cbranch_vccnz .LBB212_1576
; %bb.1575:
	global_load_ushort v0, v[2:3], off
	s_movk_i32 s8, 0x7fff
	s_waitcnt vmcnt(0)
	v_cvt_f32_u32_e32 v0, v0
	v_bfe_u32 v1, v0, 16, 1
	v_add3_u32 v0, v0, v1, s8
	v_lshrrev_b32_e32 v0, 16, v0
.LBB212_1576:
	s_mov_b64 s[8:9], 0
.LBB212_1577:
	s_andn2_b64 vcc, exec, s[8:9]
	s_cbranch_vccnz .LBB212_1585
; %bb.1578:
	global_load_ubyte v0, v[2:3], off
	s_movk_i32 s8, 0x7f
                                        ; implicit-def: $sgpr14
	s_waitcnt vmcnt(0)
	v_cmp_lt_i16_e32 vcc, s8, v0
	s_mov_b64 s[8:9], 0
	s_and_saveexec_b64 s[10:11], vcc
	s_xor_b64 s[10:11], exec, s[10:11]
	s_cbranch_execz .LBB212_1598
; %bb.1579:
	s_movk_i32 s8, 0x80
	v_cmp_eq_u16_e32 vcc, s8, v0
	s_mov_b64 s[8:9], -1
                                        ; implicit-def: $sgpr14
	s_and_saveexec_b64 s[12:13], vcc
; %bb.1580:
	s_mov_b32 s14, 0x7f800001
	s_xor_b64 s[8:9], exec, -1
; %bb.1581:
	s_or_b64 exec, exec, s[12:13]
	s_and_b64 s[8:9], s[8:9], exec
	s_or_saveexec_b64 s[10:11], s[10:11]
	v_mov_b32_e32 v1, s14
	s_xor_b64 exec, exec, s[10:11]
	s_cbranch_execnz .LBB212_1599
.LBB212_1582:
	s_or_b64 exec, exec, s[10:11]
	s_and_saveexec_b64 s[10:11], s[8:9]
	s_cbranch_execz .LBB212_1584
.LBB212_1583:
	v_lshlrev_b32_e32 v1, 24, v0
	v_and_b32_e32 v0, 0xffff, v0
	v_and_b32_e32 v4, 7, v0
	v_ffbh_u32_e32 v7, v4
	v_min_u32_e32 v7, 32, v7
	v_subrev_u32_e32 v8, 28, v7
	v_bfe_u32 v6, v0, 3, 4
	v_lshlrev_b32_e32 v0, v8, v0
	v_sub_u32_e32 v7, 29, v7
	v_and_b32_e32 v0, 7, v0
	v_cmp_eq_u32_e32 vcc, 0, v6
	v_cndmask_b32_e32 v6, v6, v7, vcc
	v_cndmask_b32_e32 v0, v4, v0, vcc
	v_mov_b32_e32 v4, 0x3b800000
	v_lshlrev_b32_e32 v0, 20, v0
	v_and_b32_e32 v1, 0x80000000, v1
	v_lshl_add_u32 v4, v6, 23, v4
	v_or3_b32 v1, v1, v4, v0
.LBB212_1584:
	s_or_b64 exec, exec, s[10:11]
	v_bfe_u32 v0, v1, 16, 1
	s_movk_i32 s8, 0x7fff
	v_add3_u32 v0, v1, v0, s8
	v_lshrrev_b32_e32 v0, 16, v0
	v_mov_b32_e32 v4, 0x7fc0
	v_cmp_o_f32_e32 vcc, v1, v1
	v_cndmask_b32_e32 v0, v4, v0, vcc
.LBB212_1585:
	s_mov_b64 s[8:9], -1
.LBB212_1586:
	s_branch .LBB212_1618
.LBB212_1587:
	s_waitcnt vmcnt(0)
	v_mov_b32_e32 v0, 22
	v_cmp_gt_i16_sdwa s[6:7], v35, v0 src0_sel:BYTE_0 src1_sel:DWORD
	s_and_b64 vcc, exec, s[6:7]
	s_cbranch_vccz .LBB212_1597
; %bb.1588:
	v_mov_b32_e32 v0, 24
	v_cmp_lt_i16_sdwa s[6:7], v35, v0 src0_sel:BYTE_0 src1_sel:DWORD
	s_and_b64 vcc, exec, s[6:7]
	s_cbranch_vccnz .LBB212_1600
; %bb.1589:
	v_cmp_gt_i16_sdwa s[6:7], v35, v0 src0_sel:BYTE_0 src1_sel:DWORD
	s_and_b64 vcc, exec, s[6:7]
	s_cbranch_vccz .LBB212_1601
; %bb.1590:
	global_load_ubyte v0, v[2:3], off
	s_movk_i32 s6, 0x7f
                                        ; implicit-def: $sgpr12
	s_waitcnt vmcnt(0)
	v_cmp_lt_i16_e32 vcc, s6, v0
	s_mov_b64 s[6:7], 0
	s_and_saveexec_b64 s[8:9], vcc
	s_xor_b64 s[8:9], exec, s[8:9]
	s_cbranch_execz .LBB212_1612
; %bb.1591:
	s_movk_i32 s6, 0x80
	v_cmp_eq_u16_e32 vcc, s6, v0
	s_mov_b64 s[6:7], -1
                                        ; implicit-def: $sgpr12
	s_and_saveexec_b64 s[10:11], vcc
; %bb.1592:
	s_mov_b32 s12, 0x7f800001
	s_xor_b64 s[6:7], exec, -1
; %bb.1593:
	s_or_b64 exec, exec, s[10:11]
	s_and_b64 s[6:7], s[6:7], exec
	s_or_saveexec_b64 s[8:9], s[8:9]
	v_mov_b32_e32 v1, s12
	s_xor_b64 exec, exec, s[8:9]
	s_cbranch_execnz .LBB212_1613
.LBB212_1594:
	s_or_b64 exec, exec, s[8:9]
	s_and_saveexec_b64 s[8:9], s[6:7]
	s_cbranch_execz .LBB212_1596
.LBB212_1595:
	v_lshlrev_b32_e32 v1, 24, v0
	v_and_b32_e32 v0, 0xffff, v0
	v_and_b32_e32 v4, 3, v0
	v_ffbh_u32_e32 v7, v4
	v_min_u32_e32 v7, 32, v7
	v_subrev_u32_e32 v8, 29, v7
	v_bfe_u32 v6, v0, 2, 5
	v_lshlrev_b32_e32 v0, v8, v0
	v_sub_u32_e32 v7, 30, v7
	v_and_b32_e32 v0, 3, v0
	v_cmp_eq_u32_e32 vcc, 0, v6
	v_cndmask_b32_e32 v6, v6, v7, vcc
	v_cndmask_b32_e32 v0, v4, v0, vcc
	v_mov_b32_e32 v4, 0x37800000
	v_lshlrev_b32_e32 v0, 21, v0
	v_and_b32_e32 v1, 0x80000000, v1
	v_lshl_add_u32 v4, v6, 23, v4
	v_or3_b32 v1, v1, v4, v0
.LBB212_1596:
	s_or_b64 exec, exec, s[8:9]
	v_bfe_u32 v0, v1, 16, 1
	s_movk_i32 s6, 0x7fff
	v_add3_u32 v0, v1, v0, s6
	v_lshrrev_b32_e32 v0, 16, v0
	v_mov_b32_e32 v4, 0x7fc0
	v_cmp_o_f32_e32 vcc, v1, v1
	v_cndmask_b32_e32 v0, v4, v0, vcc
	s_mov_b64 s[6:7], 0
	s_branch .LBB212_1602
.LBB212_1597:
                                        ; implicit-def: $vgpr0
	s_mov_b64 s[6:7], 0
	s_branch .LBB212_1608
.LBB212_1598:
	s_or_saveexec_b64 s[10:11], s[10:11]
	v_mov_b32_e32 v1, s14
	s_xor_b64 exec, exec, s[10:11]
	s_cbranch_execz .LBB212_1582
.LBB212_1599:
	v_cmp_ne_u16_e32 vcc, 0, v0
	s_andn2_b64 s[8:9], s[8:9], exec
	s_and_b64 s[12:13], vcc, exec
	v_mov_b32_e32 v1, 0
	s_or_b64 s[8:9], s[8:9], s[12:13]
	s_or_b64 exec, exec, s[10:11]
	s_and_saveexec_b64 s[10:11], s[8:9]
	s_cbranch_execnz .LBB212_1583
	s_branch .LBB212_1584
.LBB212_1600:
	s_mov_b64 s[6:7], -1
                                        ; implicit-def: $vgpr0
	s_branch .LBB212_1605
.LBB212_1601:
	s_mov_b64 s[6:7], -1
                                        ; implicit-def: $vgpr0
.LBB212_1602:
	s_and_b64 vcc, exec, s[6:7]
	s_cbranch_vccz .LBB212_1604
; %bb.1603:
	global_load_ubyte v0, v[2:3], off
	s_mov_b32 s6, 0x7f800000
	s_brev_b32 s7, 1
	s_movk_i32 s8, 0x7fff
	v_mov_b32_e32 v1, 0x7fc0
	s_waitcnt vmcnt(0)
	v_lshlrev_b32_e32 v0, 24, v0
	v_and_b32_e32 v4, 0x7f000000, v0
	v_ffbh_u32_e32 v6, v4
	v_min_u32_e32 v6, 32, v6
	v_sub_u32_e64 v6, v6, 4 clamp
	v_lshlrev_b32_e32 v8, v6, v4
	v_lshlrev_b32_e32 v6, 23, v6
	v_lshrrev_b32_e32 v8, 4, v8
	v_add_u32_e32 v7, 0x1000000, v4
	v_sub_u32_e32 v6, v8, v6
	v_ashrrev_i32_e32 v7, 8, v7
	v_add_u32_e32 v6, 0x3c000000, v6
	v_and_or_b32 v6, v7, s6, v6
	v_cmp_ne_u32_e32 vcc, 0, v4
	v_cndmask_b32_e32 v4, 0, v6, vcc
	v_and_or_b32 v0, v0, s7, v4
	v_bfe_u32 v4, v4, 16, 1
	v_add3_u32 v4, v0, v4, s8
	v_lshrrev_b32_e32 v4, 16, v4
	v_cmp_o_f32_e32 vcc, v0, v0
	v_cndmask_b32_e32 v0, v1, v4, vcc
.LBB212_1604:
	s_mov_b64 s[6:7], 0
.LBB212_1605:
	s_andn2_b64 vcc, exec, s[6:7]
	s_cbranch_vccnz .LBB212_1607
; %bb.1606:
	global_load_ubyte v0, v[2:3], off
	s_movk_i32 s6, 0x7f00
	s_brev_b32 s7, 16
	s_brev_b32 s8, 1
	s_movk_i32 s9, 0x7fff
	v_mov_b32_e32 v1, 0x7fc0
	s_waitcnt vmcnt(0)
	v_lshlrev_b16_e32 v4, 8, v0
	v_lshlrev_b32_e32 v0, 25, v0
	v_lshrrev_b32_e32 v6, 4, v0
	v_and_or_b32 v7, v4, s6, 0.5
	v_or_b32_e32 v6, 0x70000000, v6
	v_add_f32_e32 v7, -0.5, v7
	v_mul_f32_e32 v6, 0x7800000, v6
	v_cmp_gt_u32_e32 vcc, s7, v0
	v_bfe_i32 v4, v4, 0, 16
	v_cndmask_b32_e32 v0, v6, v7, vcc
	v_and_or_b32 v4, v4, s8, v0
	v_bfe_u32 v0, v0, 16, 1
	v_add3_u32 v0, v4, v0, s9
	v_lshrrev_b32_e32 v0, 16, v0
	v_cmp_o_f32_e32 vcc, v4, v4
	v_cndmask_b32_e32 v0, v1, v0, vcc
.LBB212_1607:
	s_mov_b64 s[8:9], -1
	s_mov_b64 s[6:7], 0
	s_cbranch_execnz .LBB212_1618
.LBB212_1608:
	v_mov_b32_e32 v0, 14
	v_cmp_gt_i16_sdwa s[6:7], v35, v0 src0_sel:BYTE_0 src1_sel:DWORD
	s_and_b64 vcc, exec, s[6:7]
	s_cbranch_vccz .LBB212_1611
; %bb.1609:
	v_mov_b32_e32 v0, 15
	v_cmp_eq_u16_sdwa s[4:5], v35, v0 src0_sel:BYTE_0 src1_sel:DWORD
	s_and_b64 vcc, exec, s[4:5]
	s_cbranch_vccz .LBB212_1614
; %bb.1610:
	global_load_ushort v0, v[2:3], off
	s_mov_b64 s[4:5], 0
	s_mov_b64 s[8:9], -1
	s_branch .LBB212_1615
.LBB212_1611:
	s_mov_b64 s[10:11], -1
                                        ; implicit-def: $vgpr0
	s_branch .LBB212_1616
.LBB212_1612:
	s_or_saveexec_b64 s[8:9], s[8:9]
	v_mov_b32_e32 v1, s12
	s_xor_b64 exec, exec, s[8:9]
	s_cbranch_execz .LBB212_1594
.LBB212_1613:
	v_cmp_ne_u16_e32 vcc, 0, v0
	s_andn2_b64 s[6:7], s[6:7], exec
	s_and_b64 s[10:11], vcc, exec
	v_mov_b32_e32 v1, 0
	s_or_b64 s[6:7], s[6:7], s[10:11]
	s_or_b64 exec, exec, s[8:9]
	s_and_saveexec_b64 s[8:9], s[6:7]
	s_cbranch_execnz .LBB212_1595
	s_branch .LBB212_1596
.LBB212_1614:
	s_mov_b64 s[4:5], -1
                                        ; implicit-def: $vgpr0
.LBB212_1615:
	s_mov_b64 s[10:11], 0
.LBB212_1616:
	s_mov_b64 s[6:7], 0
	s_and_b64 vcc, exec, s[10:11]
	s_cbranch_vccz .LBB212_1618
; %bb.1617:
	s_waitcnt vmcnt(0)
	v_mov_b32_e32 v0, 11
	v_cmp_ne_u16_sdwa s[4:5], v35, v0 src0_sel:BYTE_0 src1_sel:DWORD
	s_mov_b64 s[6:7], -1
                                        ; implicit-def: $vgpr0
.LBB212_1618:
	s_and_b64 vcc, exec, s[4:5]
	s_mov_b64 s[42:43], s[40:41]
	s_cbranch_vccnz .LBB212_1679
; %bb.1619:
	s_andn2_b64 vcc, exec, s[6:7]
	s_cbranch_vccnz .LBB212_1621
.LBB212_1620:
	global_load_ubyte v0, v[2:3], off
	s_mov_b64 s[8:9], -1
	s_waitcnt vmcnt(0)
	v_cmp_ne_u16_e32 vcc, 0, v0
	v_cndmask_b32_e64 v0, 0, 1.0, vcc
	v_lshrrev_b32_e32 v0, 16, v0
.LBB212_1621:
	s_branch .LBB212_1551
.LBB212_1622:
	s_waitcnt vmcnt(0)
	v_mov_b32_e32 v0, 5
	v_cmp_lt_i16_sdwa s[4:5], v35, v0 src0_sel:BYTE_0 src1_sel:DWORD
	s_and_b64 vcc, exec, s[4:5]
	s_cbranch_vccnz .LBB212_1627
; %bb.1623:
	v_mov_b32_e32 v0, 8
	v_cmp_lt_i16_sdwa s[4:5], v35, v0 src0_sel:BYTE_0 src1_sel:DWORD
	s_and_b64 vcc, exec, s[4:5]
	s_cbranch_vccnz .LBB212_1628
; %bb.1624:
	;; [unrolled: 5-line block ×3, first 2 shown]
	v_cmp_gt_i16_sdwa s[4:5], v35, v0 src0_sel:BYTE_0 src1_sel:DWORD
	s_and_b64 vcc, exec, s[4:5]
	s_cbranch_vccz .LBB212_1630
; %bb.1626:
	global_load_dwordx2 v[0:1], v[2:3], off
	s_movk_i32 s4, 0x7fff
	v_mov_b32_e32 v4, 0x7fc0
	s_waitcnt vmcnt(0)
	v_cvt_f32_f64_e32 v0, v[0:1]
	v_bfe_u32 v1, v0, 16, 1
	v_add3_u32 v1, v0, v1, s4
	v_lshrrev_b32_e32 v1, 16, v1
	v_cmp_o_f32_e32 vcc, v0, v0
	v_cndmask_b32_e32 v0, v4, v1, vcc
	s_mov_b64 s[4:5], 0
	s_branch .LBB212_1631
.LBB212_1627:
                                        ; implicit-def: $vgpr0
	s_branch .LBB212_1648
.LBB212_1628:
                                        ; implicit-def: $vgpr0
	s_branch .LBB212_1637
.LBB212_1629:
	s_mov_b64 s[4:5], -1
                                        ; implicit-def: $vgpr0
	s_branch .LBB212_1634
.LBB212_1630:
	s_mov_b64 s[4:5], -1
                                        ; implicit-def: $vgpr0
.LBB212_1631:
	s_andn2_b64 vcc, exec, s[4:5]
	s_cbranch_vccnz .LBB212_1633
; %bb.1632:
	global_load_dword v0, v[2:3], off
	s_movk_i32 s4, 0x7fff
	v_mov_b32_e32 v1, 0x7fc0
	s_waitcnt vmcnt(0)
	v_bfe_u32 v4, v0, 16, 1
	v_add3_u32 v4, v0, v4, s4
	v_lshrrev_b32_e32 v4, 16, v4
	v_cmp_o_f32_e32 vcc, v0, v0
	v_cndmask_b32_e32 v0, v1, v4, vcc
.LBB212_1633:
	s_mov_b64 s[4:5], 0
.LBB212_1634:
	s_andn2_b64 vcc, exec, s[4:5]
	s_cbranch_vccnz .LBB212_1636
; %bb.1635:
	global_load_dword v0, v[2:3], off
	s_movk_i32 s4, 0x7fff
	v_mov_b32_e32 v4, 0x7fc0
	s_waitcnt vmcnt(0)
	v_cvt_f32_f16_e32 v1, v0
	v_cmp_o_f16_e32 vcc, v0, v0
	v_bfe_u32 v6, v1, 16, 1
	v_add3_u32 v1, v1, v6, s4
	v_lshrrev_b32_e32 v1, 16, v1
	v_cndmask_b32_e32 v0, v4, v1, vcc
.LBB212_1636:
	s_cbranch_execnz .LBB212_1647
.LBB212_1637:
	v_mov_b32_e32 v0, 6
	v_cmp_lt_i16_sdwa s[4:5], v35, v0 src0_sel:BYTE_0 src1_sel:DWORD
	s_and_b64 vcc, exec, s[4:5]
	s_cbranch_vccnz .LBB212_1640
; %bb.1638:
	v_cmp_gt_i16_sdwa s[4:5], v35, v0 src0_sel:BYTE_0 src1_sel:DWORD
	s_and_b64 vcc, exec, s[4:5]
	s_cbranch_vccz .LBB212_1641
; %bb.1639:
	global_load_dwordx2 v[0:1], v[2:3], off
	s_movk_i32 s4, 0x7fff
	v_mov_b32_e32 v4, 0x7fc0
	s_waitcnt vmcnt(0)
	v_cvt_f32_f64_e32 v0, v[0:1]
	v_bfe_u32 v1, v0, 16, 1
	v_add3_u32 v1, v0, v1, s4
	v_lshrrev_b32_e32 v1, 16, v1
	v_cmp_o_f32_e32 vcc, v0, v0
	v_cndmask_b32_e32 v0, v4, v1, vcc
	s_mov_b64 s[4:5], 0
	s_branch .LBB212_1642
.LBB212_1640:
	s_mov_b64 s[4:5], -1
                                        ; implicit-def: $vgpr0
	s_branch .LBB212_1645
.LBB212_1641:
	s_mov_b64 s[4:5], -1
                                        ; implicit-def: $vgpr0
.LBB212_1642:
	s_andn2_b64 vcc, exec, s[4:5]
	s_cbranch_vccnz .LBB212_1644
; %bb.1643:
	global_load_dword v0, v[2:3], off
	s_movk_i32 s4, 0x7fff
	v_mov_b32_e32 v1, 0x7fc0
	s_waitcnt vmcnt(0)
	v_bfe_u32 v4, v0, 16, 1
	v_add3_u32 v4, v0, v4, s4
	v_lshrrev_b32_e32 v4, 16, v4
	v_cmp_o_f32_e32 vcc, v0, v0
	v_cndmask_b32_e32 v0, v1, v4, vcc
.LBB212_1644:
	s_mov_b64 s[4:5], 0
.LBB212_1645:
	s_andn2_b64 vcc, exec, s[4:5]
	s_cbranch_vccnz .LBB212_1647
; %bb.1646:
	global_load_ushort v0, v[2:3], off
	s_movk_i32 s4, 0x7fff
	v_mov_b32_e32 v4, 0x7fc0
	s_waitcnt vmcnt(0)
	v_cvt_f32_f16_e32 v1, v0
	v_cmp_o_f16_e32 vcc, v0, v0
	v_bfe_u32 v6, v1, 16, 1
	v_add3_u32 v1, v1, v6, s4
	v_lshrrev_b32_e32 v1, 16, v1
	v_cndmask_b32_e32 v0, v4, v1, vcc
.LBB212_1647:
	s_cbranch_execnz .LBB212_1666
.LBB212_1648:
	v_mov_b32_e32 v0, 2
	v_cmp_lt_i16_sdwa s[4:5], v35, v0 src0_sel:BYTE_0 src1_sel:DWORD
	s_and_b64 vcc, exec, s[4:5]
	s_cbranch_vccnz .LBB212_1652
; %bb.1649:
	v_mov_b32_e32 v0, 3
	v_cmp_lt_i16_sdwa s[4:5], v35, v0 src0_sel:BYTE_0 src1_sel:DWORD
	s_and_b64 vcc, exec, s[4:5]
	s_cbranch_vccnz .LBB212_1653
; %bb.1650:
	v_cmp_gt_i16_sdwa s[4:5], v35, v0 src0_sel:BYTE_0 src1_sel:DWORD
	s_and_b64 vcc, exec, s[4:5]
	s_cbranch_vccz .LBB212_1654
; %bb.1651:
	global_load_dwordx2 v[0:1], v[2:3], off
	s_movk_i32 s4, 0x7fff
	s_waitcnt vmcnt(0)
	v_xor_b32_e32 v6, v0, v1
	v_ffbh_i32_e32 v4, v1
	v_ashrrev_i32_e32 v6, 31, v6
	v_add_u32_e32 v4, -1, v4
	v_add_u32_e32 v6, 32, v6
	v_min_u32_e32 v4, v4, v6
	v_lshlrev_b64 v[0:1], v4, v[0:1]
	v_min_u32_e32 v0, 1, v0
	v_or_b32_e32 v0, v1, v0
	v_cvt_f32_i32_e32 v0, v0
	v_sub_u32_e32 v1, 32, v4
	v_ldexp_f32 v0, v0, v1
	v_bfe_u32 v1, v0, 16, 1
	v_add3_u32 v0, v0, v1, s4
	v_lshrrev_b32_e32 v0, 16, v0
	s_mov_b64 s[4:5], 0
	s_branch .LBB212_1655
.LBB212_1652:
                                        ; implicit-def: $vgpr0
	s_branch .LBB212_1661
.LBB212_1653:
	s_mov_b64 s[4:5], -1
                                        ; implicit-def: $vgpr0
	s_branch .LBB212_1658
.LBB212_1654:
	s_mov_b64 s[4:5], -1
                                        ; implicit-def: $vgpr0
.LBB212_1655:
	s_andn2_b64 vcc, exec, s[4:5]
	s_cbranch_vccnz .LBB212_1657
; %bb.1656:
	global_load_dword v0, v[2:3], off
	s_movk_i32 s4, 0x7fff
	s_waitcnt vmcnt(0)
	v_cvt_f32_i32_e32 v0, v0
	v_bfe_u32 v1, v0, 16, 1
	v_add3_u32 v0, v0, v1, s4
	v_lshrrev_b32_e32 v0, 16, v0
.LBB212_1657:
	s_mov_b64 s[4:5], 0
.LBB212_1658:
	s_andn2_b64 vcc, exec, s[4:5]
	s_cbranch_vccnz .LBB212_1660
; %bb.1659:
	global_load_sshort v0, v[2:3], off
	s_movk_i32 s4, 0x7fff
	s_waitcnt vmcnt(0)
	v_cvt_f32_i32_e32 v0, v0
	v_bfe_u32 v1, v0, 16, 1
	v_add3_u32 v0, v0, v1, s4
	v_lshrrev_b32_e32 v0, 16, v0
.LBB212_1660:
	s_cbranch_execnz .LBB212_1666
.LBB212_1661:
	v_mov_b32_e32 v0, 0
	v_cmp_gt_i16_sdwa s[4:5], v35, v0 src0_sel:BYTE_0 src1_sel:DWORD
	s_and_b64 vcc, exec, s[4:5]
	s_cbranch_vccz .LBB212_1663
; %bb.1662:
	global_load_sbyte v0, v[2:3], off
	s_movk_i32 s4, 0x7fff
	s_waitcnt vmcnt(0)
	v_cvt_f32_i32_e32 v0, v0
	v_bfe_u32 v1, v0, 16, 1
	v_add3_u32 v0, v0, v1, s4
	v_lshrrev_b32_e32 v0, 16, v0
	s_mov_b64 s[4:5], 0
	s_branch .LBB212_1664
.LBB212_1663:
	s_mov_b64 s[4:5], -1
                                        ; implicit-def: $vgpr0
.LBB212_1664:
	s_andn2_b64 vcc, exec, s[4:5]
	s_cbranch_vccnz .LBB212_1666
; %bb.1665:
	global_load_ubyte v0, v[2:3], off
	s_movk_i32 s4, 0x7fff
	s_waitcnt vmcnt(0)
	v_cvt_f32_ubyte0_e32 v0, v0
	v_bfe_u32 v1, v0, 16, 1
	v_add3_u32 v0, v0, v1, s4
	v_lshrrev_b32_e32 v0, 16, v0
.LBB212_1666:
.LBB212_1667:
	v_mul_lo_u32 v4, s38, v37
	v_ashrrev_i32_e32 v1, 31, v4
	v_mov_b32_e32 v3, s23
	v_add_co_u32_e32 v2, vcc, s22, v4
	v_addc_co_u32_e32 v3, vcc, v3, v1, vcc
	v_mov_b32_e32 v1, 11
	v_cmp_lt_i16_sdwa s[4:5], v38, v1 src0_sel:BYTE_0 src1_sel:DWORD
	s_and_b64 vcc, exec, s[4:5]
	s_cbranch_vccnz .LBB212_1674
; %bb.1668:
	v_mov_b32_e32 v1, 25
	v_cmp_gt_i16_sdwa s[4:5], v38, v1 src0_sel:BYTE_0 src1_sel:DWORD
	s_mov_b64 s[6:7], 0
	s_and_b64 vcc, exec, s[4:5]
	s_cbranch_vccz .LBB212_1676
; %bb.1669:
	v_mov_b32_e32 v1, 28
	v_cmp_gt_i16_sdwa s[4:5], v38, v1 src0_sel:BYTE_0 src1_sel:DWORD
	s_and_b64 vcc, exec, s[4:5]
	s_cbranch_vccz .LBB212_1677
; %bb.1670:
	v_mov_b32_e32 v1, 43
	v_cmp_gt_i16_sdwa s[4:5], v38, v1 src0_sel:BYTE_0 src1_sel:DWORD
	;; [unrolled: 5-line block ×3, first 2 shown]
	s_and_b64 vcc, exec, s[4:5]
	s_cbranch_vccz .LBB212_1680
; %bb.1672:
	v_mov_b32_e32 v1, 46
	v_cmp_eq_u16_sdwa s[4:5], v38, v1 src0_sel:BYTE_0 src1_sel:DWORD
	s_mov_b64 s[10:11], 0
	s_and_b64 vcc, exec, s[4:5]
	s_cbranch_vccz .LBB212_1683
; %bb.1673:
	global_load_dword v1, v[2:3], off
	s_mov_b64 s[4:5], 0
	s_mov_b64 s[8:9], -1
	s_branch .LBB212_1684
.LBB212_1674:
	s_mov_b64 s[8:9], 0
                                        ; implicit-def: $vgpr1
	s_cbranch_execnz .LBB212_1749
.LBB212_1675:
	s_andn2_b64 vcc, exec, s[8:9]
	s_cbranch_vccnz .LBB212_3030
	s_branch .LBB212_1796
.LBB212_1676:
	s_mov_b64 s[8:9], 0
	s_mov_b64 s[4:5], 0
                                        ; implicit-def: $vgpr1
	s_cbranch_execnz .LBB212_1713
	s_branch .LBB212_1745
.LBB212_1677:
	s_mov_b64 s[10:11], -1
	s_mov_b64 s[8:9], 0
	s_mov_b64 s[4:5], 0
                                        ; implicit-def: $vgpr1
	s_branch .LBB212_1694
.LBB212_1678:
	s_mov_b64 s[10:11], -1
	s_mov_b64 s[8:9], 0
	s_mov_b64 s[4:5], 0
                                        ; implicit-def: $vgpr1
	s_branch .LBB212_1689
.LBB212_1679:
	s_or_b64 s[42:43], s[40:41], exec
	s_trap 2
                                        ; implicit-def: $vgpr0
	s_cbranch_execz .LBB212_1620
	s_branch .LBB212_1621
.LBB212_1680:
	s_mov_b64 s[10:11], -1
	s_mov_b64 s[8:9], 0
	s_mov_b64 s[4:5], 0
                                        ; implicit-def: $vgpr1
	s_branch .LBB212_1684
.LBB212_1681:
	s_or_saveexec_b64 s[12:13], s[12:13]
                                        ; implicit-def: $sgpr14
	s_xor_b64 exec, exec, s[12:13]
	s_cbranch_execz .LBB212_1467
.LBB212_1682:
	s_mov_b32 s14, 0x42800000
	v_add_f32_e64 v1, |v6|, s14
	v_and_b32_e32 v1, 0xff, v1
	v_cmp_ne_u32_e32 vcc, 0, v1
	s_andn2_b64 s[10:11], s[10:11], exec
	s_and_b64 s[16:17], vcc, exec
	s_mov_b32 s14, 0
	s_or_b64 s[10:11], s[10:11], s[16:17]
	s_or_b64 exec, exec, s[12:13]
	v_mov_b32_e32 v7, s14
	s_and_saveexec_b64 s[12:13], s[10:11]
	s_cbranch_execnz .LBB212_1468
	s_branch .LBB212_1469
.LBB212_1683:
	s_mov_b64 s[4:5], -1
                                        ; implicit-def: $vgpr1
	s_mov_b64 s[8:9], 0
.LBB212_1684:
	s_and_b64 vcc, exec, s[10:11]
	s_cbranch_vccz .LBB212_1688
; %bb.1685:
	s_waitcnt vmcnt(0)
	v_mov_b32_e32 v1, 44
	v_cmp_eq_u16_sdwa s[4:5], v38, v1 src0_sel:BYTE_0 src1_sel:DWORD
	s_and_b64 vcc, exec, s[4:5]
	s_cbranch_vccz .LBB212_1687
; %bb.1686:
	global_load_ubyte v1, v[2:3], off
	s_movk_i32 s8, 0xff
	v_mov_b32_e32 v6, 0x7f800001
	v_mov_b32_e32 v7, 0x400000
	;; [unrolled: 1-line block ×3, first 2 shown]
	s_mov_b64 s[4:5], 0
	s_waitcnt vmcnt(0)
	v_lshlrev_b32_e32 v9, 23, v1
	v_cmp_ne_u32_e32 vcc, s8, v1
	v_cndmask_b32_e32 v6, v6, v9, vcc
	v_cmp_ne_u32_e32 vcc, 0, v1
	v_cndmask_b32_e32 v1, v7, v6, vcc
	v_add_u32_e32 v6, 0x7fff, v1
	v_lshrrev_b32_e32 v6, 16, v6
	v_cmp_o_f32_e32 vcc, v1, v1
	v_cndmask_b32_e32 v1, v8, v6, vcc
	s_mov_b64 s[8:9], -1
	s_branch .LBB212_1688
.LBB212_1687:
	s_mov_b64 s[4:5], -1
                                        ; implicit-def: $vgpr1
.LBB212_1688:
	s_mov_b64 s[10:11], 0
.LBB212_1689:
	s_and_b64 vcc, exec, s[10:11]
	s_cbranch_vccz .LBB212_1693
; %bb.1690:
	s_waitcnt vmcnt(0)
	v_mov_b32_e32 v1, 29
	v_cmp_eq_u16_sdwa s[4:5], v38, v1 src0_sel:BYTE_0 src1_sel:DWORD
	s_and_b64 vcc, exec, s[4:5]
	s_cbranch_vccz .LBB212_1692
; %bb.1691:
	global_load_dwordx2 v[6:7], v[2:3], off
	s_movk_i32 s8, 0x7fff
	s_mov_b64 s[4:5], 0
	s_mov_b64 s[10:11], 0
	s_waitcnt vmcnt(0)
	v_ffbh_u32_e32 v1, v7
	v_min_u32_e32 v1, 32, v1
	v_lshlrev_b64 v[6:7], v1, v[6:7]
	v_min_u32_e32 v6, 1, v6
	v_or_b32_e32 v6, v7, v6
	v_cvt_f32_u32_e32 v6, v6
	v_sub_u32_e32 v1, 32, v1
	v_ldexp_f32 v1, v6, v1
	v_bfe_u32 v6, v1, 16, 1
	v_add3_u32 v1, v1, v6, s8
	v_lshrrev_b32_e32 v1, 16, v1
	s_mov_b64 s[8:9], -1
	s_branch .LBB212_1694
.LBB212_1692:
	s_mov_b64 s[4:5], -1
                                        ; implicit-def: $vgpr1
.LBB212_1693:
	s_mov_b64 s[10:11], 0
.LBB212_1694:
	s_and_b64 vcc, exec, s[10:11]
	s_cbranch_vccz .LBB212_1712
; %bb.1695:
	s_waitcnt vmcnt(0)
	v_mov_b32_e32 v1, 27
	v_cmp_lt_i16_sdwa s[8:9], v38, v1 src0_sel:BYTE_0 src1_sel:DWORD
	s_and_b64 vcc, exec, s[8:9]
	s_cbranch_vccnz .LBB212_1698
; %bb.1696:
	v_cmp_gt_i16_sdwa s[8:9], v38, v1 src0_sel:BYTE_0 src1_sel:DWORD
	s_and_b64 vcc, exec, s[8:9]
	s_cbranch_vccz .LBB212_1699
; %bb.1697:
	global_load_dword v1, v[2:3], off
	s_movk_i32 s8, 0x7fff
	s_waitcnt vmcnt(0)
	v_cvt_f32_u32_e32 v1, v1
	v_bfe_u32 v6, v1, 16, 1
	v_add3_u32 v1, v1, v6, s8
	v_lshrrev_b32_e32 v1, 16, v1
	s_mov_b64 s[8:9], 0
	s_branch .LBB212_1700
.LBB212_1698:
	s_mov_b64 s[8:9], -1
                                        ; implicit-def: $vgpr1
	s_branch .LBB212_1703
.LBB212_1699:
	s_mov_b64 s[8:9], -1
                                        ; implicit-def: $vgpr1
.LBB212_1700:
	s_andn2_b64 vcc, exec, s[8:9]
	s_cbranch_vccnz .LBB212_1702
; %bb.1701:
	global_load_ushort v1, v[2:3], off
	s_movk_i32 s8, 0x7fff
	s_waitcnt vmcnt(0)
	v_cvt_f32_u32_e32 v1, v1
	v_bfe_u32 v6, v1, 16, 1
	v_add3_u32 v1, v1, v6, s8
	v_lshrrev_b32_e32 v1, 16, v1
.LBB212_1702:
	s_mov_b64 s[8:9], 0
.LBB212_1703:
	s_andn2_b64 vcc, exec, s[8:9]
	s_cbranch_vccnz .LBB212_1711
; %bb.1704:
	global_load_ubyte v1, v[2:3], off
	s_movk_i32 s8, 0x7f
                                        ; implicit-def: $sgpr14
	s_waitcnt vmcnt(0)
	v_cmp_lt_i16_e32 vcc, s8, v1
	s_mov_b64 s[8:9], 0
	s_and_saveexec_b64 s[10:11], vcc
	s_xor_b64 s[10:11], exec, s[10:11]
	s_cbranch_execz .LBB212_1724
; %bb.1705:
	s_movk_i32 s8, 0x80
	v_cmp_eq_u16_e32 vcc, s8, v1
	s_mov_b64 s[8:9], -1
                                        ; implicit-def: $sgpr14
	s_and_saveexec_b64 s[12:13], vcc
; %bb.1706:
	s_mov_b32 s14, 0x7f800001
	s_xor_b64 s[8:9], exec, -1
; %bb.1707:
	s_or_b64 exec, exec, s[12:13]
	s_and_b64 s[8:9], s[8:9], exec
	s_or_saveexec_b64 s[10:11], s[10:11]
	v_mov_b32_e32 v6, s14
	s_xor_b64 exec, exec, s[10:11]
	s_cbranch_execnz .LBB212_1725
.LBB212_1708:
	s_or_b64 exec, exec, s[10:11]
	s_and_saveexec_b64 s[10:11], s[8:9]
	s_cbranch_execz .LBB212_1710
.LBB212_1709:
	v_lshlrev_b32_e32 v6, 24, v1
	v_and_b32_e32 v1, 0xffff, v1
	v_and_b32_e32 v7, 7, v1
	v_ffbh_u32_e32 v9, v7
	v_min_u32_e32 v9, 32, v9
	v_subrev_u32_e32 v10, 28, v9
	v_bfe_u32 v8, v1, 3, 4
	v_lshlrev_b32_e32 v1, v10, v1
	v_sub_u32_e32 v9, 29, v9
	v_and_b32_e32 v1, 7, v1
	v_cmp_eq_u32_e32 vcc, 0, v8
	v_cndmask_b32_e32 v8, v8, v9, vcc
	v_cndmask_b32_e32 v1, v7, v1, vcc
	v_mov_b32_e32 v7, 0x3b800000
	v_lshlrev_b32_e32 v1, 20, v1
	v_and_b32_e32 v6, 0x80000000, v6
	v_lshl_add_u32 v7, v8, 23, v7
	v_or3_b32 v6, v6, v7, v1
.LBB212_1710:
	s_or_b64 exec, exec, s[10:11]
	v_bfe_u32 v1, v6, 16, 1
	s_movk_i32 s8, 0x7fff
	v_add3_u32 v1, v6, v1, s8
	v_lshrrev_b32_e32 v1, 16, v1
	v_mov_b32_e32 v7, 0x7fc0
	v_cmp_o_f32_e32 vcc, v6, v6
	v_cndmask_b32_e32 v1, v7, v1, vcc
.LBB212_1711:
	s_mov_b64 s[8:9], -1
.LBB212_1712:
	s_branch .LBB212_1745
.LBB212_1713:
	s_waitcnt vmcnt(0)
	v_mov_b32_e32 v1, 22
	v_cmp_gt_i16_sdwa s[6:7], v38, v1 src0_sel:BYTE_0 src1_sel:DWORD
	s_and_b64 vcc, exec, s[6:7]
	s_cbranch_vccz .LBB212_1723
; %bb.1714:
	v_mov_b32_e32 v1, 24
	v_cmp_lt_i16_sdwa s[6:7], v38, v1 src0_sel:BYTE_0 src1_sel:DWORD
	s_and_b64 vcc, exec, s[6:7]
	s_cbranch_vccnz .LBB212_1726
; %bb.1715:
	v_cmp_gt_i16_sdwa s[6:7], v38, v1 src0_sel:BYTE_0 src1_sel:DWORD
	s_and_b64 vcc, exec, s[6:7]
	s_cbranch_vccz .LBB212_1727
; %bb.1716:
	global_load_ubyte v1, v[2:3], off
	s_movk_i32 s6, 0x7f
                                        ; implicit-def: $sgpr12
	s_waitcnt vmcnt(0)
	v_cmp_lt_i16_e32 vcc, s6, v1
	s_mov_b64 s[6:7], 0
	s_and_saveexec_b64 s[8:9], vcc
	s_xor_b64 s[8:9], exec, s[8:9]
	s_cbranch_execz .LBB212_1739
; %bb.1717:
	s_movk_i32 s6, 0x80
	v_cmp_eq_u16_e32 vcc, s6, v1
	s_mov_b64 s[6:7], -1
                                        ; implicit-def: $sgpr12
	s_and_saveexec_b64 s[10:11], vcc
; %bb.1718:
	s_mov_b32 s12, 0x7f800001
	s_xor_b64 s[6:7], exec, -1
; %bb.1719:
	s_or_b64 exec, exec, s[10:11]
	s_and_b64 s[6:7], s[6:7], exec
	s_or_saveexec_b64 s[8:9], s[8:9]
	v_mov_b32_e32 v6, s12
	s_xor_b64 exec, exec, s[8:9]
	s_cbranch_execnz .LBB212_1740
.LBB212_1720:
	s_or_b64 exec, exec, s[8:9]
	s_and_saveexec_b64 s[8:9], s[6:7]
	s_cbranch_execz .LBB212_1722
.LBB212_1721:
	v_lshlrev_b32_e32 v6, 24, v1
	v_and_b32_e32 v1, 0xffff, v1
	v_and_b32_e32 v7, 3, v1
	v_ffbh_u32_e32 v9, v7
	v_min_u32_e32 v9, 32, v9
	v_subrev_u32_e32 v10, 29, v9
	v_bfe_u32 v8, v1, 2, 5
	v_lshlrev_b32_e32 v1, v10, v1
	v_sub_u32_e32 v9, 30, v9
	v_and_b32_e32 v1, 3, v1
	v_cmp_eq_u32_e32 vcc, 0, v8
	v_cndmask_b32_e32 v8, v8, v9, vcc
	v_cndmask_b32_e32 v1, v7, v1, vcc
	v_mov_b32_e32 v7, 0x37800000
	v_lshlrev_b32_e32 v1, 21, v1
	v_and_b32_e32 v6, 0x80000000, v6
	v_lshl_add_u32 v7, v8, 23, v7
	v_or3_b32 v6, v6, v7, v1
.LBB212_1722:
	s_or_b64 exec, exec, s[8:9]
	v_bfe_u32 v1, v6, 16, 1
	s_movk_i32 s6, 0x7fff
	v_add3_u32 v1, v6, v1, s6
	v_lshrrev_b32_e32 v1, 16, v1
	v_mov_b32_e32 v7, 0x7fc0
	v_cmp_o_f32_e32 vcc, v6, v6
	v_cndmask_b32_e32 v1, v7, v1, vcc
	s_mov_b64 s[6:7], 0
	s_branch .LBB212_1728
.LBB212_1723:
	s_mov_b64 s[6:7], -1
                                        ; implicit-def: $vgpr1
	s_branch .LBB212_1734
.LBB212_1724:
	s_or_saveexec_b64 s[10:11], s[10:11]
	v_mov_b32_e32 v6, s14
	s_xor_b64 exec, exec, s[10:11]
	s_cbranch_execz .LBB212_1708
.LBB212_1725:
	v_cmp_ne_u16_e32 vcc, 0, v1
	s_andn2_b64 s[8:9], s[8:9], exec
	s_and_b64 s[12:13], vcc, exec
	v_mov_b32_e32 v6, 0
	s_or_b64 s[8:9], s[8:9], s[12:13]
	s_or_b64 exec, exec, s[10:11]
	s_and_saveexec_b64 s[10:11], s[8:9]
	s_cbranch_execnz .LBB212_1709
	s_branch .LBB212_1710
.LBB212_1726:
	s_mov_b64 s[6:7], -1
                                        ; implicit-def: $vgpr1
	s_branch .LBB212_1731
.LBB212_1727:
	s_mov_b64 s[6:7], -1
                                        ; implicit-def: $vgpr1
.LBB212_1728:
	s_and_b64 vcc, exec, s[6:7]
	s_cbranch_vccz .LBB212_1730
; %bb.1729:
	global_load_ubyte v1, v[2:3], off
	s_mov_b32 s6, 0x7f800000
	s_brev_b32 s7, 1
	s_movk_i32 s8, 0x7fff
	v_mov_b32_e32 v6, 0x7fc0
	s_waitcnt vmcnt(0)
	v_lshlrev_b32_e32 v1, 24, v1
	v_and_b32_e32 v7, 0x7f000000, v1
	v_ffbh_u32_e32 v8, v7
	v_min_u32_e32 v8, 32, v8
	v_sub_u32_e64 v8, v8, 4 clamp
	v_lshlrev_b32_e32 v10, v8, v7
	v_lshlrev_b32_e32 v8, 23, v8
	v_lshrrev_b32_e32 v10, 4, v10
	v_add_u32_e32 v9, 0x1000000, v7
	v_sub_u32_e32 v8, v10, v8
	v_ashrrev_i32_e32 v9, 8, v9
	v_add_u32_e32 v8, 0x3c000000, v8
	v_and_or_b32 v8, v9, s6, v8
	v_cmp_ne_u32_e32 vcc, 0, v7
	v_cndmask_b32_e32 v7, 0, v8, vcc
	v_and_or_b32 v1, v1, s7, v7
	v_bfe_u32 v7, v7, 16, 1
	v_add3_u32 v7, v1, v7, s8
	v_lshrrev_b32_e32 v7, 16, v7
	v_cmp_o_f32_e32 vcc, v1, v1
	v_cndmask_b32_e32 v1, v6, v7, vcc
.LBB212_1730:
	s_mov_b64 s[6:7], 0
.LBB212_1731:
	s_andn2_b64 vcc, exec, s[6:7]
	s_cbranch_vccnz .LBB212_1733
; %bb.1732:
	global_load_ubyte v1, v[2:3], off
	s_movk_i32 s6, 0x7f00
	s_brev_b32 s7, 16
	s_brev_b32 s8, 1
	s_movk_i32 s9, 0x7fff
	v_mov_b32_e32 v6, 0x7fc0
	s_waitcnt vmcnt(0)
	v_lshlrev_b16_e32 v7, 8, v1
	v_lshlrev_b32_e32 v1, 25, v1
	v_lshrrev_b32_e32 v8, 4, v1
	v_and_or_b32 v9, v7, s6, 0.5
	v_or_b32_e32 v8, 0x70000000, v8
	v_add_f32_e32 v9, -0.5, v9
	v_mul_f32_e32 v8, 0x7800000, v8
	v_cmp_gt_u32_e32 vcc, s7, v1
	v_bfe_i32 v7, v7, 0, 16
	v_cndmask_b32_e32 v1, v8, v9, vcc
	v_and_or_b32 v7, v7, s8, v1
	v_bfe_u32 v1, v1, 16, 1
	v_add3_u32 v1, v7, v1, s9
	v_lshrrev_b32_e32 v1, 16, v1
	v_cmp_o_f32_e32 vcc, v7, v7
	v_cndmask_b32_e32 v1, v6, v1, vcc
.LBB212_1733:
	s_mov_b64 s[6:7], 0
	s_mov_b64 s[8:9], -1
.LBB212_1734:
	s_andn2_b64 vcc, exec, s[6:7]
	s_mov_b64 s[6:7], 0
	s_cbranch_vccnz .LBB212_1745
; %bb.1735:
	v_mov_b32_e32 v1, 14
	v_cmp_gt_i16_sdwa s[6:7], v38, v1 src0_sel:BYTE_0 src1_sel:DWORD
	s_and_b64 vcc, exec, s[6:7]
	s_cbranch_vccz .LBB212_1738
; %bb.1736:
	v_mov_b32_e32 v1, 15
	v_cmp_eq_u16_sdwa s[4:5], v38, v1 src0_sel:BYTE_0 src1_sel:DWORD
	s_and_b64 vcc, exec, s[4:5]
	s_cbranch_vccz .LBB212_1741
; %bb.1737:
	global_load_ushort v1, v[2:3], off
	s_mov_b64 s[4:5], 0
	s_mov_b64 s[8:9], -1
	s_branch .LBB212_1742
.LBB212_1738:
	s_mov_b64 s[10:11], -1
                                        ; implicit-def: $vgpr1
	s_branch .LBB212_1743
.LBB212_1739:
	s_or_saveexec_b64 s[8:9], s[8:9]
	v_mov_b32_e32 v6, s12
	s_xor_b64 exec, exec, s[8:9]
	s_cbranch_execz .LBB212_1720
.LBB212_1740:
	v_cmp_ne_u16_e32 vcc, 0, v1
	s_andn2_b64 s[6:7], s[6:7], exec
	s_and_b64 s[10:11], vcc, exec
	v_mov_b32_e32 v6, 0
	s_or_b64 s[6:7], s[6:7], s[10:11]
	s_or_b64 exec, exec, s[8:9]
	s_and_saveexec_b64 s[8:9], s[6:7]
	s_cbranch_execnz .LBB212_1721
	s_branch .LBB212_1722
.LBB212_1741:
	s_mov_b64 s[4:5], -1
                                        ; implicit-def: $vgpr1
.LBB212_1742:
	s_mov_b64 s[10:11], 0
.LBB212_1743:
	s_mov_b64 s[6:7], 0
	s_and_b64 vcc, exec, s[10:11]
	s_cbranch_vccz .LBB212_1745
; %bb.1744:
	s_waitcnt vmcnt(0)
	v_mov_b32_e32 v1, 11
	v_cmp_ne_u16_sdwa s[4:5], v38, v1 src0_sel:BYTE_0 src1_sel:DWORD
	s_mov_b64 s[6:7], -1
                                        ; implicit-def: $vgpr1
.LBB212_1745:
	s_and_b64 vcc, exec, s[4:5]
	s_cbranch_vccnz .LBB212_1808
; %bb.1746:
	s_andn2_b64 vcc, exec, s[6:7]
	s_cbranch_vccnz .LBB212_1748
.LBB212_1747:
	global_load_ubyte v1, v[2:3], off
	s_mov_b64 s[8:9], -1
	s_waitcnt vmcnt(0)
	v_cmp_ne_u16_e32 vcc, 0, v1
	v_cndmask_b32_e64 v1, 0, 1.0, vcc
	v_lshrrev_b32_e32 v1, 16, v1
.LBB212_1748:
	s_branch .LBB212_1675
.LBB212_1749:
	s_waitcnt vmcnt(0)
	v_mov_b32_e32 v1, 5
	v_cmp_lt_i16_sdwa s[4:5], v38, v1 src0_sel:BYTE_0 src1_sel:DWORD
	s_and_b64 vcc, exec, s[4:5]
	s_cbranch_vccnz .LBB212_1754
; %bb.1750:
	v_mov_b32_e32 v1, 8
	v_cmp_lt_i16_sdwa s[4:5], v38, v1 src0_sel:BYTE_0 src1_sel:DWORD
	s_and_b64 vcc, exec, s[4:5]
	s_cbranch_vccnz .LBB212_1755
; %bb.1751:
	;; [unrolled: 5-line block ×3, first 2 shown]
	v_cmp_gt_i16_sdwa s[4:5], v38, v1 src0_sel:BYTE_0 src1_sel:DWORD
	s_and_b64 vcc, exec, s[4:5]
	s_cbranch_vccz .LBB212_1757
; %bb.1753:
	global_load_dwordx2 v[6:7], v[2:3], off
	s_movk_i32 s4, 0x7fff
	v_mov_b32_e32 v1, 0x7fc0
	s_waitcnt vmcnt(0)
	v_cvt_f32_f64_e32 v6, v[6:7]
	v_bfe_u32 v7, v6, 16, 1
	v_add3_u32 v7, v6, v7, s4
	v_lshrrev_b32_e32 v7, 16, v7
	v_cmp_o_f32_e32 vcc, v6, v6
	v_cndmask_b32_e32 v1, v1, v7, vcc
	s_mov_b64 s[4:5], 0
	s_branch .LBB212_1758
.LBB212_1754:
                                        ; implicit-def: $vgpr1
	s_branch .LBB212_1776
.LBB212_1755:
	s_mov_b64 s[4:5], -1
                                        ; implicit-def: $vgpr1
	s_branch .LBB212_1764
.LBB212_1756:
	s_mov_b64 s[4:5], -1
                                        ; implicit-def: $vgpr1
	s_branch .LBB212_1761
.LBB212_1757:
	s_mov_b64 s[4:5], -1
                                        ; implicit-def: $vgpr1
.LBB212_1758:
	s_andn2_b64 vcc, exec, s[4:5]
	s_cbranch_vccnz .LBB212_1760
; %bb.1759:
	global_load_dword v1, v[2:3], off
	s_movk_i32 s4, 0x7fff
	v_mov_b32_e32 v6, 0x7fc0
	s_waitcnt vmcnt(0)
	v_bfe_u32 v7, v1, 16, 1
	v_add3_u32 v7, v1, v7, s4
	v_lshrrev_b32_e32 v7, 16, v7
	v_cmp_o_f32_e32 vcc, v1, v1
	v_cndmask_b32_e32 v1, v6, v7, vcc
.LBB212_1760:
	s_mov_b64 s[4:5], 0
.LBB212_1761:
	s_andn2_b64 vcc, exec, s[4:5]
	s_cbranch_vccnz .LBB212_1763
; %bb.1762:
	global_load_dword v1, v[2:3], off
	s_movk_i32 s4, 0x7fff
	v_mov_b32_e32 v7, 0x7fc0
	s_waitcnt vmcnt(0)
	v_cvt_f32_f16_e32 v6, v1
	v_cmp_o_f16_e32 vcc, v1, v1
	v_bfe_u32 v8, v6, 16, 1
	v_add3_u32 v6, v6, v8, s4
	v_lshrrev_b32_e32 v6, 16, v6
	v_cndmask_b32_e32 v1, v7, v6, vcc
.LBB212_1763:
	s_mov_b64 s[4:5], 0
.LBB212_1764:
	s_andn2_b64 vcc, exec, s[4:5]
	s_cbranch_vccnz .LBB212_1775
; %bb.1765:
	v_mov_b32_e32 v1, 6
	v_cmp_lt_i16_sdwa s[4:5], v38, v1 src0_sel:BYTE_0 src1_sel:DWORD
	s_and_b64 vcc, exec, s[4:5]
	s_cbranch_vccnz .LBB212_1768
; %bb.1766:
	v_cmp_gt_i16_sdwa s[4:5], v38, v1 src0_sel:BYTE_0 src1_sel:DWORD
	s_and_b64 vcc, exec, s[4:5]
	s_cbranch_vccz .LBB212_1769
; %bb.1767:
	global_load_dwordx2 v[6:7], v[2:3], off
	s_movk_i32 s4, 0x7fff
	v_mov_b32_e32 v1, 0x7fc0
	s_waitcnt vmcnt(0)
	v_cvt_f32_f64_e32 v6, v[6:7]
	v_bfe_u32 v7, v6, 16, 1
	v_add3_u32 v7, v6, v7, s4
	v_lshrrev_b32_e32 v7, 16, v7
	v_cmp_o_f32_e32 vcc, v6, v6
	v_cndmask_b32_e32 v1, v1, v7, vcc
	s_mov_b64 s[4:5], 0
	s_branch .LBB212_1770
.LBB212_1768:
	s_mov_b64 s[4:5], -1
                                        ; implicit-def: $vgpr1
	s_branch .LBB212_1773
.LBB212_1769:
	s_mov_b64 s[4:5], -1
                                        ; implicit-def: $vgpr1
.LBB212_1770:
	s_andn2_b64 vcc, exec, s[4:5]
	s_cbranch_vccnz .LBB212_1772
; %bb.1771:
	global_load_dword v1, v[2:3], off
	s_movk_i32 s4, 0x7fff
	v_mov_b32_e32 v6, 0x7fc0
	s_waitcnt vmcnt(0)
	v_bfe_u32 v7, v1, 16, 1
	v_add3_u32 v7, v1, v7, s4
	v_lshrrev_b32_e32 v7, 16, v7
	v_cmp_o_f32_e32 vcc, v1, v1
	v_cndmask_b32_e32 v1, v6, v7, vcc
.LBB212_1772:
	s_mov_b64 s[4:5], 0
.LBB212_1773:
	s_andn2_b64 vcc, exec, s[4:5]
	s_cbranch_vccnz .LBB212_1775
; %bb.1774:
	global_load_ushort v1, v[2:3], off
	s_movk_i32 s4, 0x7fff
	v_mov_b32_e32 v7, 0x7fc0
	s_waitcnt vmcnt(0)
	v_cvt_f32_f16_e32 v6, v1
	v_cmp_o_f16_e32 vcc, v1, v1
	v_bfe_u32 v8, v6, 16, 1
	v_add3_u32 v6, v6, v8, s4
	v_lshrrev_b32_e32 v6, 16, v6
	v_cndmask_b32_e32 v1, v7, v6, vcc
.LBB212_1775:
	s_cbranch_execnz .LBB212_1795
.LBB212_1776:
	v_mov_b32_e32 v1, 2
	v_cmp_lt_i16_sdwa s[4:5], v38, v1 src0_sel:BYTE_0 src1_sel:DWORD
	s_and_b64 vcc, exec, s[4:5]
	s_cbranch_vccnz .LBB212_1780
; %bb.1777:
	v_mov_b32_e32 v1, 3
	v_cmp_lt_i16_sdwa s[4:5], v38, v1 src0_sel:BYTE_0 src1_sel:DWORD
	s_and_b64 vcc, exec, s[4:5]
	s_cbranch_vccnz .LBB212_1781
; %bb.1778:
	v_cmp_gt_i16_sdwa s[4:5], v38, v1 src0_sel:BYTE_0 src1_sel:DWORD
	s_and_b64 vcc, exec, s[4:5]
	s_cbranch_vccz .LBB212_1782
; %bb.1779:
	global_load_dwordx2 v[6:7], v[2:3], off
	s_movk_i32 s4, 0x7fff
	s_waitcnt vmcnt(0)
	v_xor_b32_e32 v8, v6, v7
	v_ffbh_i32_e32 v1, v7
	v_ashrrev_i32_e32 v8, 31, v8
	v_add_u32_e32 v1, -1, v1
	v_add_u32_e32 v8, 32, v8
	v_min_u32_e32 v1, v1, v8
	v_lshlrev_b64 v[6:7], v1, v[6:7]
	v_min_u32_e32 v6, 1, v6
	v_or_b32_e32 v6, v7, v6
	v_cvt_f32_i32_e32 v6, v6
	v_sub_u32_e32 v1, 32, v1
	v_ldexp_f32 v1, v6, v1
	v_bfe_u32 v6, v1, 16, 1
	v_add3_u32 v1, v1, v6, s4
	v_lshrrev_b32_e32 v1, 16, v1
	s_mov_b64 s[4:5], 0
	s_branch .LBB212_1783
.LBB212_1780:
	s_mov_b64 s[4:5], -1
                                        ; implicit-def: $vgpr1
	s_branch .LBB212_1789
.LBB212_1781:
	s_mov_b64 s[4:5], -1
                                        ; implicit-def: $vgpr1
	s_branch .LBB212_1786
.LBB212_1782:
	s_mov_b64 s[4:5], -1
                                        ; implicit-def: $vgpr1
.LBB212_1783:
	s_andn2_b64 vcc, exec, s[4:5]
	s_cbranch_vccnz .LBB212_1785
; %bb.1784:
	global_load_dword v1, v[2:3], off
	s_movk_i32 s4, 0x7fff
	s_waitcnt vmcnt(0)
	v_cvt_f32_i32_e32 v1, v1
	v_bfe_u32 v6, v1, 16, 1
	v_add3_u32 v1, v1, v6, s4
	v_lshrrev_b32_e32 v1, 16, v1
.LBB212_1785:
	s_mov_b64 s[4:5], 0
.LBB212_1786:
	s_andn2_b64 vcc, exec, s[4:5]
	s_cbranch_vccnz .LBB212_1788
; %bb.1787:
	global_load_sshort v1, v[2:3], off
	s_movk_i32 s4, 0x7fff
	s_waitcnt vmcnt(0)
	v_cvt_f32_i32_e32 v1, v1
	v_bfe_u32 v6, v1, 16, 1
	v_add3_u32 v1, v1, v6, s4
	v_lshrrev_b32_e32 v1, 16, v1
.LBB212_1788:
	s_mov_b64 s[4:5], 0
.LBB212_1789:
	s_andn2_b64 vcc, exec, s[4:5]
	s_cbranch_vccnz .LBB212_1795
; %bb.1790:
	v_mov_b32_e32 v1, 0
	v_cmp_gt_i16_sdwa s[4:5], v38, v1 src0_sel:BYTE_0 src1_sel:DWORD
	s_and_b64 vcc, exec, s[4:5]
	s_cbranch_vccz .LBB212_1792
; %bb.1791:
	global_load_sbyte v1, v[2:3], off
	s_movk_i32 s4, 0x7fff
	s_waitcnt vmcnt(0)
	v_cvt_f32_i32_e32 v1, v1
	v_bfe_u32 v6, v1, 16, 1
	v_add3_u32 v1, v1, v6, s4
	v_lshrrev_b32_e32 v1, 16, v1
	s_mov_b64 s[4:5], 0
	s_branch .LBB212_1793
.LBB212_1792:
	s_mov_b64 s[4:5], -1
                                        ; implicit-def: $vgpr1
.LBB212_1793:
	s_andn2_b64 vcc, exec, s[4:5]
	s_cbranch_vccnz .LBB212_1795
; %bb.1794:
	global_load_ubyte v1, v[2:3], off
	s_movk_i32 s4, 0x7fff
	s_waitcnt vmcnt(0)
	v_cvt_f32_ubyte0_e32 v1, v1
	v_bfe_u32 v2, v1, 16, 1
	v_add3_u32 v1, v1, v2, s4
	v_lshrrev_b32_e32 v1, 16, v1
.LBB212_1795:
.LBB212_1796:
	s_lshl_b32 s14, s37, 7
	v_add_u32_e32 v5, s14, v5
	v_ashrrev_i32_e32 v3, 31, v5
	v_mov_b32_e32 v6, s27
	v_add_co_u32_e32 v2, vcc, s26, v5
	v_addc_co_u32_e32 v3, vcc, v6, v3, vcc
	v_mov_b32_e32 v6, 11
	v_cmp_lt_i16_sdwa s[4:5], v35, v6 src0_sel:BYTE_0 src1_sel:DWORD
	s_and_b64 vcc, exec, s[4:5]
	s_cbranch_vccnz .LBB212_1803
; %bb.1797:
	v_mov_b32_e32 v6, 25
	v_cmp_gt_i16_sdwa s[4:5], v35, v6 src0_sel:BYTE_0 src1_sel:DWORD
	s_mov_b64 s[6:7], 0
	s_and_b64 vcc, exec, s[4:5]
	s_cbranch_vccz .LBB212_1805
; %bb.1798:
	v_mov_b32_e32 v6, 28
	v_cmp_gt_i16_sdwa s[4:5], v35, v6 src0_sel:BYTE_0 src1_sel:DWORD
	s_and_b64 vcc, exec, s[4:5]
	s_cbranch_vccz .LBB212_1806
; %bb.1799:
	v_mov_b32_e32 v6, 43
	v_cmp_gt_i16_sdwa s[4:5], v35, v6 src0_sel:BYTE_0 src1_sel:DWORD
	;; [unrolled: 5-line block ×3, first 2 shown]
	s_and_b64 vcc, exec, s[4:5]
	s_cbranch_vccz .LBB212_1809
; %bb.1801:
	v_mov_b32_e32 v6, 46
	v_cmp_eq_u16_sdwa s[4:5], v35, v6 src0_sel:BYTE_0 src1_sel:DWORD
	s_mov_b64 s[10:11], 0
	s_and_b64 vcc, exec, s[4:5]
	s_cbranch_vccz .LBB212_1810
; %bb.1802:
	global_load_dword v30, v[2:3], off
	s_mov_b64 s[4:5], 0
	s_mov_b64 s[8:9], -1
	s_branch .LBB212_1811
.LBB212_1803:
	s_mov_b64 s[8:9], 0
                                        ; implicit-def: $vgpr30
	s_cbranch_execnz .LBB212_1877
.LBB212_1804:
	s_andn2_b64 vcc, exec, s[8:9]
	s_cbranch_vccnz .LBB212_3030
	s_branch .LBB212_1925
.LBB212_1805:
	s_mov_b64 s[10:11], -1
	s_mov_b64 s[8:9], 0
	s_mov_b64 s[4:5], 0
                                        ; implicit-def: $vgpr30
	s_branch .LBB212_1840
.LBB212_1806:
	s_mov_b64 s[10:11], -1
	s_mov_b64 s[8:9], 0
	s_mov_b64 s[4:5], 0
                                        ; implicit-def: $vgpr30
	s_branch .LBB212_1821
.LBB212_1807:
	s_mov_b64 s[10:11], -1
	s_mov_b64 s[8:9], 0
	s_mov_b64 s[4:5], 0
                                        ; implicit-def: $vgpr30
	s_branch .LBB212_1816
.LBB212_1808:
	s_trap 2
	s_or_b64 s[42:43], s[42:43], exec
                                        ; implicit-def: $vgpr1
	s_cbranch_execz .LBB212_1747
	s_branch .LBB212_1748
.LBB212_1809:
	s_mov_b64 s[10:11], -1
	s_mov_b64 s[8:9], 0
	s_mov_b64 s[4:5], 0
                                        ; implicit-def: $vgpr30
	s_branch .LBB212_1811
.LBB212_1810:
	s_mov_b64 s[4:5], -1
                                        ; implicit-def: $vgpr30
	s_mov_b64 s[8:9], 0
.LBB212_1811:
	s_and_b64 vcc, exec, s[10:11]
	s_cbranch_vccz .LBB212_1815
; %bb.1812:
	v_mov_b32_e32 v6, 44
	v_cmp_eq_u16_sdwa s[4:5], v35, v6 src0_sel:BYTE_0 src1_sel:DWORD
	s_and_b64 vcc, exec, s[4:5]
	s_cbranch_vccz .LBB212_1814
; %bb.1813:
	global_load_ubyte v6, v[2:3], off
	s_movk_i32 s8, 0xff
	v_mov_b32_e32 v7, 0x7f800001
	v_mov_b32_e32 v8, 0x400000
	;; [unrolled: 1-line block ×3, first 2 shown]
	s_mov_b64 s[4:5], 0
	s_waitcnt vmcnt(0)
	v_lshlrev_b32_e32 v10, 23, v6
	v_cmp_ne_u32_e32 vcc, s8, v6
	v_cndmask_b32_e32 v7, v7, v10, vcc
	v_cmp_ne_u32_e32 vcc, 0, v6
	v_cndmask_b32_e32 v6, v8, v7, vcc
	v_add_u32_e32 v7, 0x7fff, v6
	v_lshrrev_b32_e32 v7, 16, v7
	v_cmp_o_f32_e32 vcc, v6, v6
	v_cndmask_b32_e32 v30, v9, v7, vcc
	s_mov_b64 s[8:9], -1
	s_branch .LBB212_1815
.LBB212_1814:
	s_mov_b64 s[4:5], -1
                                        ; implicit-def: $vgpr30
.LBB212_1815:
	s_mov_b64 s[10:11], 0
.LBB212_1816:
	s_and_b64 vcc, exec, s[10:11]
	s_cbranch_vccz .LBB212_1820
; %bb.1817:
	v_mov_b32_e32 v6, 29
	v_cmp_eq_u16_sdwa s[4:5], v35, v6 src0_sel:BYTE_0 src1_sel:DWORD
	s_and_b64 vcc, exec, s[4:5]
	s_cbranch_vccz .LBB212_1819
; %bb.1818:
	global_load_dwordx2 v[6:7], v[2:3], off
	s_movk_i32 s8, 0x7fff
	s_mov_b64 s[4:5], 0
	s_mov_b64 s[10:11], 0
	s_waitcnt vmcnt(0)
	v_ffbh_u32_e32 v8, v7
	v_min_u32_e32 v8, 32, v8
	v_lshlrev_b64 v[6:7], v8, v[6:7]
	v_min_u32_e32 v6, 1, v6
	v_or_b32_e32 v6, v7, v6
	v_cvt_f32_u32_e32 v6, v6
	v_sub_u32_e32 v7, 32, v8
	v_ldexp_f32 v6, v6, v7
	v_bfe_u32 v7, v6, 16, 1
	v_add3_u32 v6, v6, v7, s8
	v_lshrrev_b32_e32 v30, 16, v6
	s_mov_b64 s[8:9], -1
	s_branch .LBB212_1821
.LBB212_1819:
	s_mov_b64 s[4:5], -1
                                        ; implicit-def: $vgpr30
.LBB212_1820:
	s_mov_b64 s[10:11], 0
.LBB212_1821:
	s_and_b64 vcc, exec, s[10:11]
	s_cbranch_vccz .LBB212_1839
; %bb.1822:
	v_mov_b32_e32 v6, 27
	v_cmp_lt_i16_sdwa s[8:9], v35, v6 src0_sel:BYTE_0 src1_sel:DWORD
	s_and_b64 vcc, exec, s[8:9]
	s_cbranch_vccnz .LBB212_1825
; %bb.1823:
	v_cmp_gt_i16_sdwa s[8:9], v35, v6 src0_sel:BYTE_0 src1_sel:DWORD
	s_and_b64 vcc, exec, s[8:9]
	s_cbranch_vccz .LBB212_1826
; %bb.1824:
	global_load_dword v6, v[2:3], off
	s_movk_i32 s8, 0x7fff
	s_waitcnt vmcnt(0)
	v_cvt_f32_u32_e32 v6, v6
	v_bfe_u32 v7, v6, 16, 1
	v_add3_u32 v6, v6, v7, s8
	v_lshrrev_b32_e32 v30, 16, v6
	s_mov_b64 s[8:9], 0
	s_branch .LBB212_1827
.LBB212_1825:
	s_mov_b64 s[8:9], -1
                                        ; implicit-def: $vgpr30
	s_branch .LBB212_1830
.LBB212_1826:
	s_mov_b64 s[8:9], -1
                                        ; implicit-def: $vgpr30
.LBB212_1827:
	s_andn2_b64 vcc, exec, s[8:9]
	s_cbranch_vccnz .LBB212_1829
; %bb.1828:
	global_load_ushort v6, v[2:3], off
	s_movk_i32 s8, 0x7fff
	s_waitcnt vmcnt(0)
	v_cvt_f32_u32_e32 v6, v6
	v_bfe_u32 v7, v6, 16, 1
	v_add3_u32 v6, v6, v7, s8
	v_lshrrev_b32_e32 v30, 16, v6
.LBB212_1829:
	s_mov_b64 s[8:9], 0
.LBB212_1830:
	s_andn2_b64 vcc, exec, s[8:9]
	s_cbranch_vccnz .LBB212_1838
; %bb.1831:
	global_load_ubyte v6, v[2:3], off
	s_movk_i32 s8, 0x7f
                                        ; implicit-def: $sgpr15
	s_waitcnt vmcnt(0)
	v_cmp_lt_i16_e32 vcc, s8, v6
	s_mov_b64 s[8:9], 0
	s_and_saveexec_b64 s[10:11], vcc
	s_xor_b64 s[10:11], exec, s[10:11]
	s_cbranch_execz .LBB212_1852
; %bb.1832:
	s_movk_i32 s8, 0x80
	v_cmp_eq_u16_e32 vcc, s8, v6
	s_mov_b64 s[8:9], -1
                                        ; implicit-def: $sgpr15
	s_and_saveexec_b64 s[12:13], vcc
; %bb.1833:
	s_mov_b32 s15, 0x7f800001
	s_xor_b64 s[8:9], exec, -1
; %bb.1834:
	s_or_b64 exec, exec, s[12:13]
	s_and_b64 s[8:9], s[8:9], exec
	s_or_saveexec_b64 s[10:11], s[10:11]
	v_mov_b32_e32 v7, s15
	s_xor_b64 exec, exec, s[10:11]
	s_cbranch_execnz .LBB212_1853
.LBB212_1835:
	s_or_b64 exec, exec, s[10:11]
	s_and_saveexec_b64 s[10:11], s[8:9]
	s_cbranch_execz .LBB212_1837
.LBB212_1836:
	v_lshlrev_b32_e32 v7, 24, v6
	v_and_b32_e32 v6, 0xffff, v6
	v_and_b32_e32 v8, 7, v6
	v_ffbh_u32_e32 v10, v8
	v_min_u32_e32 v10, 32, v10
	v_subrev_u32_e32 v11, 28, v10
	v_bfe_u32 v9, v6, 3, 4
	v_lshlrev_b32_e32 v6, v11, v6
	v_sub_u32_e32 v10, 29, v10
	v_and_b32_e32 v6, 7, v6
	v_cmp_eq_u32_e32 vcc, 0, v9
	v_cndmask_b32_e32 v9, v9, v10, vcc
	v_cndmask_b32_e32 v6, v8, v6, vcc
	v_mov_b32_e32 v8, 0x3b800000
	v_lshlrev_b32_e32 v6, 20, v6
	v_and_b32_e32 v7, 0x80000000, v7
	v_lshl_add_u32 v8, v9, 23, v8
	v_or3_b32 v7, v7, v8, v6
.LBB212_1837:
	s_or_b64 exec, exec, s[10:11]
	v_bfe_u32 v6, v7, 16, 1
	s_movk_i32 s8, 0x7fff
	v_add3_u32 v6, v7, v6, s8
	v_lshrrev_b32_e32 v6, 16, v6
	v_mov_b32_e32 v8, 0x7fc0
	v_cmp_o_f32_e32 vcc, v7, v7
	v_cndmask_b32_e32 v30, v8, v6, vcc
.LBB212_1838:
	s_mov_b64 s[8:9], -1
.LBB212_1839:
	s_mov_b64 s[10:11], 0
.LBB212_1840:
	s_and_b64 vcc, exec, s[10:11]
	s_cbranch_vccz .LBB212_1873
; %bb.1841:
	v_mov_b32_e32 v6, 22
	v_cmp_gt_i16_sdwa s[6:7], v35, v6 src0_sel:BYTE_0 src1_sel:DWORD
	s_and_b64 vcc, exec, s[6:7]
	s_cbranch_vccz .LBB212_1851
; %bb.1842:
	v_mov_b32_e32 v6, 24
	v_cmp_lt_i16_sdwa s[6:7], v35, v6 src0_sel:BYTE_0 src1_sel:DWORD
	s_and_b64 vcc, exec, s[6:7]
	s_cbranch_vccnz .LBB212_1854
; %bb.1843:
	v_cmp_gt_i16_sdwa s[6:7], v35, v6 src0_sel:BYTE_0 src1_sel:DWORD
	s_and_b64 vcc, exec, s[6:7]
	s_cbranch_vccz .LBB212_1855
; %bb.1844:
	global_load_ubyte v6, v[2:3], off
	s_movk_i32 s6, 0x7f
                                        ; implicit-def: $sgpr12
	s_waitcnt vmcnt(0)
	v_cmp_lt_i16_e32 vcc, s6, v6
	s_mov_b64 s[6:7], 0
	s_and_saveexec_b64 s[8:9], vcc
	s_xor_b64 s[8:9], exec, s[8:9]
	s_cbranch_execz .LBB212_1867
; %bb.1845:
	s_movk_i32 s6, 0x80
	v_cmp_eq_u16_e32 vcc, s6, v6
	s_mov_b64 s[6:7], -1
                                        ; implicit-def: $sgpr12
	s_and_saveexec_b64 s[10:11], vcc
; %bb.1846:
	s_mov_b32 s12, 0x7f800001
	s_xor_b64 s[6:7], exec, -1
; %bb.1847:
	s_or_b64 exec, exec, s[10:11]
	s_and_b64 s[6:7], s[6:7], exec
	s_or_saveexec_b64 s[8:9], s[8:9]
	v_mov_b32_e32 v7, s12
	s_xor_b64 exec, exec, s[8:9]
	s_cbranch_execnz .LBB212_1868
.LBB212_1848:
	s_or_b64 exec, exec, s[8:9]
	s_and_saveexec_b64 s[8:9], s[6:7]
	s_cbranch_execz .LBB212_1850
.LBB212_1849:
	v_lshlrev_b32_e32 v7, 24, v6
	v_and_b32_e32 v6, 0xffff, v6
	v_and_b32_e32 v8, 3, v6
	v_ffbh_u32_e32 v10, v8
	v_min_u32_e32 v10, 32, v10
	v_subrev_u32_e32 v11, 29, v10
	v_bfe_u32 v9, v6, 2, 5
	v_lshlrev_b32_e32 v6, v11, v6
	v_sub_u32_e32 v10, 30, v10
	v_and_b32_e32 v6, 3, v6
	v_cmp_eq_u32_e32 vcc, 0, v9
	v_cndmask_b32_e32 v9, v9, v10, vcc
	v_cndmask_b32_e32 v6, v8, v6, vcc
	v_mov_b32_e32 v8, 0x37800000
	v_lshlrev_b32_e32 v6, 21, v6
	v_and_b32_e32 v7, 0x80000000, v7
	v_lshl_add_u32 v8, v9, 23, v8
	v_or3_b32 v7, v7, v8, v6
.LBB212_1850:
	s_or_b64 exec, exec, s[8:9]
	v_bfe_u32 v6, v7, 16, 1
	s_movk_i32 s6, 0x7fff
	v_add3_u32 v6, v7, v6, s6
	v_lshrrev_b32_e32 v6, 16, v6
	v_mov_b32_e32 v8, 0x7fc0
	v_cmp_o_f32_e32 vcc, v7, v7
	v_cndmask_b32_e32 v30, v8, v6, vcc
	s_mov_b64 s[6:7], 0
	s_branch .LBB212_1856
.LBB212_1851:
	s_mov_b64 s[6:7], -1
                                        ; implicit-def: $vgpr30
	s_branch .LBB212_1862
.LBB212_1852:
	s_or_saveexec_b64 s[10:11], s[10:11]
	v_mov_b32_e32 v7, s15
	s_xor_b64 exec, exec, s[10:11]
	s_cbranch_execz .LBB212_1835
.LBB212_1853:
	v_cmp_ne_u16_e32 vcc, 0, v6
	s_andn2_b64 s[8:9], s[8:9], exec
	s_and_b64 s[12:13], vcc, exec
	v_mov_b32_e32 v7, 0
	s_or_b64 s[8:9], s[8:9], s[12:13]
	s_or_b64 exec, exec, s[10:11]
	s_and_saveexec_b64 s[10:11], s[8:9]
	s_cbranch_execnz .LBB212_1836
	s_branch .LBB212_1837
.LBB212_1854:
	s_mov_b64 s[6:7], -1
                                        ; implicit-def: $vgpr30
	s_branch .LBB212_1859
.LBB212_1855:
	s_mov_b64 s[6:7], -1
                                        ; implicit-def: $vgpr30
.LBB212_1856:
	s_and_b64 vcc, exec, s[6:7]
	s_cbranch_vccz .LBB212_1858
; %bb.1857:
	global_load_ubyte v6, v[2:3], off
	s_mov_b32 s6, 0x7f800000
	s_brev_b32 s7, 1
	s_movk_i32 s8, 0x7fff
	v_mov_b32_e32 v7, 0x7fc0
	s_waitcnt vmcnt(0)
	v_lshlrev_b32_e32 v6, 24, v6
	v_and_b32_e32 v8, 0x7f000000, v6
	v_ffbh_u32_e32 v9, v8
	v_min_u32_e32 v9, 32, v9
	v_sub_u32_e64 v9, v9, 4 clamp
	v_lshlrev_b32_e32 v11, v9, v8
	v_lshlrev_b32_e32 v9, 23, v9
	v_lshrrev_b32_e32 v11, 4, v11
	v_add_u32_e32 v10, 0x1000000, v8
	v_sub_u32_e32 v9, v11, v9
	v_ashrrev_i32_e32 v10, 8, v10
	v_add_u32_e32 v9, 0x3c000000, v9
	v_and_or_b32 v9, v10, s6, v9
	v_cmp_ne_u32_e32 vcc, 0, v8
	v_cndmask_b32_e32 v8, 0, v9, vcc
	v_and_or_b32 v6, v6, s7, v8
	v_bfe_u32 v8, v8, 16, 1
	v_add3_u32 v8, v6, v8, s8
	v_lshrrev_b32_e32 v8, 16, v8
	v_cmp_o_f32_e32 vcc, v6, v6
	v_cndmask_b32_e32 v30, v7, v8, vcc
.LBB212_1858:
	s_mov_b64 s[6:7], 0
.LBB212_1859:
	s_andn2_b64 vcc, exec, s[6:7]
	s_cbranch_vccnz .LBB212_1861
; %bb.1860:
	global_load_ubyte v6, v[2:3], off
	s_movk_i32 s6, 0x7f00
	s_brev_b32 s7, 16
	s_brev_b32 s8, 1
	s_movk_i32 s9, 0x7fff
	v_mov_b32_e32 v7, 0x7fc0
	s_waitcnt vmcnt(0)
	v_lshlrev_b16_e32 v8, 8, v6
	v_lshlrev_b32_e32 v6, 25, v6
	v_lshrrev_b32_e32 v9, 4, v6
	v_and_or_b32 v10, v8, s6, 0.5
	v_or_b32_e32 v9, 0x70000000, v9
	v_add_f32_e32 v10, -0.5, v10
	v_mul_f32_e32 v9, 0x7800000, v9
	v_cmp_gt_u32_e32 vcc, s7, v6
	v_bfe_i32 v8, v8, 0, 16
	v_cndmask_b32_e32 v6, v9, v10, vcc
	v_and_or_b32 v8, v8, s8, v6
	v_bfe_u32 v6, v6, 16, 1
	v_add3_u32 v6, v8, v6, s9
	v_lshrrev_b32_e32 v6, 16, v6
	v_cmp_o_f32_e32 vcc, v8, v8
	v_cndmask_b32_e32 v30, v7, v6, vcc
.LBB212_1861:
	s_mov_b64 s[6:7], 0
	s_mov_b64 s[8:9], -1
.LBB212_1862:
	s_andn2_b64 vcc, exec, s[6:7]
	s_mov_b64 s[6:7], 0
	s_cbranch_vccnz .LBB212_1873
; %bb.1863:
	v_mov_b32_e32 v6, 14
	v_cmp_gt_i16_sdwa s[6:7], v35, v6 src0_sel:BYTE_0 src1_sel:DWORD
	s_and_b64 vcc, exec, s[6:7]
	s_cbranch_vccz .LBB212_1866
; %bb.1864:
	v_mov_b32_e32 v6, 15
	v_cmp_eq_u16_sdwa s[4:5], v35, v6 src0_sel:BYTE_0 src1_sel:DWORD
	s_and_b64 vcc, exec, s[4:5]
	s_cbranch_vccz .LBB212_1869
; %bb.1865:
	global_load_ushort v30, v[2:3], off
	s_mov_b64 s[4:5], 0
	s_mov_b64 s[8:9], -1
	s_branch .LBB212_1870
.LBB212_1866:
	s_mov_b64 s[10:11], -1
                                        ; implicit-def: $vgpr30
	s_branch .LBB212_1871
.LBB212_1867:
	s_or_saveexec_b64 s[8:9], s[8:9]
	v_mov_b32_e32 v7, s12
	s_xor_b64 exec, exec, s[8:9]
	s_cbranch_execz .LBB212_1848
.LBB212_1868:
	v_cmp_ne_u16_e32 vcc, 0, v6
	s_andn2_b64 s[6:7], s[6:7], exec
	s_and_b64 s[10:11], vcc, exec
	v_mov_b32_e32 v7, 0
	s_or_b64 s[6:7], s[6:7], s[10:11]
	s_or_b64 exec, exec, s[8:9]
	s_and_saveexec_b64 s[8:9], s[6:7]
	s_cbranch_execnz .LBB212_1849
	s_branch .LBB212_1850
.LBB212_1869:
	s_mov_b64 s[4:5], -1
                                        ; implicit-def: $vgpr30
.LBB212_1870:
	s_mov_b64 s[10:11], 0
.LBB212_1871:
	s_mov_b64 s[6:7], 0
	s_and_b64 vcc, exec, s[10:11]
	s_cbranch_vccz .LBB212_1873
; %bb.1872:
	v_mov_b32_e32 v6, 11
	v_cmp_ne_u16_sdwa s[4:5], v35, v6 src0_sel:BYTE_0 src1_sel:DWORD
	s_mov_b64 s[6:7], -1
                                        ; implicit-def: $vgpr30
.LBB212_1873:
	s_and_b64 vcc, exec, s[4:5]
	s_cbranch_vccnz .LBB212_1936
; %bb.1874:
	s_andn2_b64 vcc, exec, s[6:7]
	s_cbranch_vccnz .LBB212_1876
.LBB212_1875:
	global_load_ubyte v6, v[2:3], off
	s_mov_b64 s[8:9], -1
	s_waitcnt vmcnt(0)
	v_cmp_ne_u16_e32 vcc, 0, v6
	v_cndmask_b32_e64 v6, 0, 1.0, vcc
	v_lshrrev_b32_e32 v30, 16, v6
.LBB212_1876:
	s_branch .LBB212_1804
.LBB212_1877:
	v_mov_b32_e32 v6, 5
	v_cmp_lt_i16_sdwa s[4:5], v35, v6 src0_sel:BYTE_0 src1_sel:DWORD
	s_and_b64 vcc, exec, s[4:5]
	s_cbranch_vccnz .LBB212_1882
; %bb.1878:
	v_mov_b32_e32 v6, 8
	v_cmp_lt_i16_sdwa s[4:5], v35, v6 src0_sel:BYTE_0 src1_sel:DWORD
	s_and_b64 vcc, exec, s[4:5]
	s_cbranch_vccnz .LBB212_1883
; %bb.1879:
	;; [unrolled: 5-line block ×3, first 2 shown]
	v_cmp_gt_i16_sdwa s[4:5], v35, v6 src0_sel:BYTE_0 src1_sel:DWORD
	s_and_b64 vcc, exec, s[4:5]
	s_cbranch_vccz .LBB212_1885
; %bb.1881:
	global_load_dwordx2 v[6:7], v[2:3], off
	s_movk_i32 s4, 0x7fff
	v_mov_b32_e32 v8, 0x7fc0
	s_waitcnt vmcnt(0)
	v_cvt_f32_f64_e32 v6, v[6:7]
	v_bfe_u32 v7, v6, 16, 1
	v_add3_u32 v7, v6, v7, s4
	v_lshrrev_b32_e32 v7, 16, v7
	v_cmp_o_f32_e32 vcc, v6, v6
	v_cndmask_b32_e32 v30, v8, v7, vcc
	s_mov_b64 s[4:5], 0
	s_branch .LBB212_1886
.LBB212_1882:
	s_mov_b64 s[4:5], -1
                                        ; implicit-def: $vgpr30
	s_branch .LBB212_1904
.LBB212_1883:
	s_mov_b64 s[4:5], -1
                                        ; implicit-def: $vgpr30
	s_branch .LBB212_1892
.LBB212_1884:
	s_mov_b64 s[4:5], -1
                                        ; implicit-def: $vgpr30
	s_branch .LBB212_1889
.LBB212_1885:
	s_mov_b64 s[4:5], -1
                                        ; implicit-def: $vgpr30
.LBB212_1886:
	s_andn2_b64 vcc, exec, s[4:5]
	s_cbranch_vccnz .LBB212_1888
; %bb.1887:
	global_load_dword v6, v[2:3], off
	s_movk_i32 s4, 0x7fff
	v_mov_b32_e32 v7, 0x7fc0
	s_waitcnt vmcnt(0)
	v_bfe_u32 v8, v6, 16, 1
	v_add3_u32 v8, v6, v8, s4
	v_lshrrev_b32_e32 v8, 16, v8
	v_cmp_o_f32_e32 vcc, v6, v6
	v_cndmask_b32_e32 v30, v7, v8, vcc
.LBB212_1888:
	s_mov_b64 s[4:5], 0
.LBB212_1889:
	s_andn2_b64 vcc, exec, s[4:5]
	s_cbranch_vccnz .LBB212_1891
; %bb.1890:
	global_load_dword v6, v[2:3], off
	s_movk_i32 s4, 0x7fff
	v_mov_b32_e32 v8, 0x7fc0
	s_waitcnt vmcnt(0)
	v_cvt_f32_f16_e32 v7, v6
	v_cmp_o_f16_e32 vcc, v6, v6
	v_bfe_u32 v9, v7, 16, 1
	v_add3_u32 v7, v7, v9, s4
	v_lshrrev_b32_e32 v7, 16, v7
	v_cndmask_b32_e32 v30, v8, v7, vcc
.LBB212_1891:
	s_mov_b64 s[4:5], 0
.LBB212_1892:
	s_andn2_b64 vcc, exec, s[4:5]
	s_cbranch_vccnz .LBB212_1903
; %bb.1893:
	v_mov_b32_e32 v6, 6
	v_cmp_lt_i16_sdwa s[4:5], v35, v6 src0_sel:BYTE_0 src1_sel:DWORD
	s_and_b64 vcc, exec, s[4:5]
	s_cbranch_vccnz .LBB212_1896
; %bb.1894:
	v_cmp_gt_i16_sdwa s[4:5], v35, v6 src0_sel:BYTE_0 src1_sel:DWORD
	s_and_b64 vcc, exec, s[4:5]
	s_cbranch_vccz .LBB212_1897
; %bb.1895:
	global_load_dwordx2 v[6:7], v[2:3], off
	s_movk_i32 s4, 0x7fff
	v_mov_b32_e32 v8, 0x7fc0
	s_waitcnt vmcnt(0)
	v_cvt_f32_f64_e32 v6, v[6:7]
	v_bfe_u32 v7, v6, 16, 1
	v_add3_u32 v7, v6, v7, s4
	v_lshrrev_b32_e32 v7, 16, v7
	v_cmp_o_f32_e32 vcc, v6, v6
	v_cndmask_b32_e32 v30, v8, v7, vcc
	s_mov_b64 s[4:5], 0
	s_branch .LBB212_1898
.LBB212_1896:
	s_mov_b64 s[4:5], -1
                                        ; implicit-def: $vgpr30
	s_branch .LBB212_1901
.LBB212_1897:
	s_mov_b64 s[4:5], -1
                                        ; implicit-def: $vgpr30
.LBB212_1898:
	s_andn2_b64 vcc, exec, s[4:5]
	s_cbranch_vccnz .LBB212_1900
; %bb.1899:
	global_load_dword v6, v[2:3], off
	s_movk_i32 s4, 0x7fff
	v_mov_b32_e32 v7, 0x7fc0
	s_waitcnt vmcnt(0)
	v_bfe_u32 v8, v6, 16, 1
	v_add3_u32 v8, v6, v8, s4
	v_lshrrev_b32_e32 v8, 16, v8
	v_cmp_o_f32_e32 vcc, v6, v6
	v_cndmask_b32_e32 v30, v7, v8, vcc
.LBB212_1900:
	s_mov_b64 s[4:5], 0
.LBB212_1901:
	s_andn2_b64 vcc, exec, s[4:5]
	s_cbranch_vccnz .LBB212_1903
; %bb.1902:
	global_load_ushort v6, v[2:3], off
	s_movk_i32 s4, 0x7fff
	v_mov_b32_e32 v8, 0x7fc0
	s_waitcnt vmcnt(0)
	v_cvt_f32_f16_e32 v7, v6
	v_cmp_o_f16_e32 vcc, v6, v6
	v_bfe_u32 v9, v7, 16, 1
	v_add3_u32 v7, v7, v9, s4
	v_lshrrev_b32_e32 v7, 16, v7
	v_cndmask_b32_e32 v30, v8, v7, vcc
.LBB212_1903:
	s_mov_b64 s[4:5], 0
.LBB212_1904:
	s_andn2_b64 vcc, exec, s[4:5]
	s_cbranch_vccnz .LBB212_1924
; %bb.1905:
	v_mov_b32_e32 v6, 2
	v_cmp_lt_i16_sdwa s[4:5], v35, v6 src0_sel:BYTE_0 src1_sel:DWORD
	s_and_b64 vcc, exec, s[4:5]
	s_cbranch_vccnz .LBB212_1909
; %bb.1906:
	v_mov_b32_e32 v6, 3
	v_cmp_lt_i16_sdwa s[4:5], v35, v6 src0_sel:BYTE_0 src1_sel:DWORD
	s_and_b64 vcc, exec, s[4:5]
	s_cbranch_vccnz .LBB212_1910
; %bb.1907:
	v_cmp_gt_i16_sdwa s[4:5], v35, v6 src0_sel:BYTE_0 src1_sel:DWORD
	s_and_b64 vcc, exec, s[4:5]
	s_cbranch_vccz .LBB212_1911
; %bb.1908:
	global_load_dwordx2 v[6:7], v[2:3], off
	s_movk_i32 s4, 0x7fff
	s_waitcnt vmcnt(0)
	v_xor_b32_e32 v9, v6, v7
	v_ffbh_i32_e32 v8, v7
	v_ashrrev_i32_e32 v9, 31, v9
	v_add_u32_e32 v8, -1, v8
	v_add_u32_e32 v9, 32, v9
	v_min_u32_e32 v8, v8, v9
	v_lshlrev_b64 v[6:7], v8, v[6:7]
	v_min_u32_e32 v6, 1, v6
	v_or_b32_e32 v6, v7, v6
	v_cvt_f32_i32_e32 v6, v6
	v_sub_u32_e32 v7, 32, v8
	v_ldexp_f32 v6, v6, v7
	v_bfe_u32 v7, v6, 16, 1
	v_add3_u32 v6, v6, v7, s4
	v_lshrrev_b32_e32 v30, 16, v6
	s_mov_b64 s[4:5], 0
	s_branch .LBB212_1912
.LBB212_1909:
	s_mov_b64 s[4:5], -1
                                        ; implicit-def: $vgpr30
	s_branch .LBB212_1918
.LBB212_1910:
	s_mov_b64 s[4:5], -1
                                        ; implicit-def: $vgpr30
	s_branch .LBB212_1915
.LBB212_1911:
	s_mov_b64 s[4:5], -1
                                        ; implicit-def: $vgpr30
.LBB212_1912:
	s_andn2_b64 vcc, exec, s[4:5]
	s_cbranch_vccnz .LBB212_1914
; %bb.1913:
	global_load_dword v6, v[2:3], off
	s_movk_i32 s4, 0x7fff
	s_waitcnt vmcnt(0)
	v_cvt_f32_i32_e32 v6, v6
	v_bfe_u32 v7, v6, 16, 1
	v_add3_u32 v6, v6, v7, s4
	v_lshrrev_b32_e32 v30, 16, v6
.LBB212_1914:
	s_mov_b64 s[4:5], 0
.LBB212_1915:
	s_andn2_b64 vcc, exec, s[4:5]
	s_cbranch_vccnz .LBB212_1917
; %bb.1916:
	global_load_sshort v6, v[2:3], off
	s_movk_i32 s4, 0x7fff
	s_waitcnt vmcnt(0)
	v_cvt_f32_i32_e32 v6, v6
	v_bfe_u32 v7, v6, 16, 1
	v_add3_u32 v6, v6, v7, s4
	v_lshrrev_b32_e32 v30, 16, v6
.LBB212_1917:
	s_mov_b64 s[4:5], 0
.LBB212_1918:
	s_andn2_b64 vcc, exec, s[4:5]
	s_cbranch_vccnz .LBB212_1924
; %bb.1919:
	v_mov_b32_e32 v6, 0
	v_cmp_gt_i16_sdwa s[4:5], v35, v6 src0_sel:BYTE_0 src1_sel:DWORD
	s_and_b64 vcc, exec, s[4:5]
	s_cbranch_vccz .LBB212_1921
; %bb.1920:
	global_load_sbyte v6, v[2:3], off
	s_movk_i32 s4, 0x7fff
	s_waitcnt vmcnt(0)
	v_cvt_f32_i32_e32 v6, v6
	v_bfe_u32 v7, v6, 16, 1
	v_add3_u32 v6, v6, v7, s4
	v_lshrrev_b32_e32 v30, 16, v6
	s_mov_b64 s[4:5], 0
	s_branch .LBB212_1922
.LBB212_1921:
	s_mov_b64 s[4:5], -1
                                        ; implicit-def: $vgpr30
.LBB212_1922:
	s_andn2_b64 vcc, exec, s[4:5]
	s_cbranch_vccnz .LBB212_1924
; %bb.1923:
	global_load_ubyte v2, v[2:3], off
	s_movk_i32 s4, 0x7fff
	s_waitcnt vmcnt(0)
	v_cvt_f32_ubyte0_e32 v2, v2
	v_bfe_u32 v3, v2, 16, 1
	v_add3_u32 v2, v2, v3, s4
	v_lshrrev_b32_e32 v30, 16, v2
.LBB212_1924:
.LBB212_1925:
	s_lshl_b32 s15, s38, 7
	v_add_u32_e32 v4, s15, v4
	v_ashrrev_i32_e32 v3, 31, v4
	v_mov_b32_e32 v6, s23
	v_add_co_u32_e32 v2, vcc, s22, v4
	v_addc_co_u32_e32 v3, vcc, v6, v3, vcc
	v_mov_b32_e32 v6, 11
	v_cmp_lt_i16_sdwa s[4:5], v38, v6 src0_sel:BYTE_0 src1_sel:DWORD
	s_and_b64 vcc, exec, s[4:5]
	s_cbranch_vccnz .LBB212_1932
; %bb.1926:
	v_mov_b32_e32 v6, 25
	v_cmp_gt_i16_sdwa s[4:5], v38, v6 src0_sel:BYTE_0 src1_sel:DWORD
	s_mov_b64 s[6:7], 0
	s_and_b64 vcc, exec, s[4:5]
	s_cbranch_vccz .LBB212_1933
; %bb.1927:
	v_mov_b32_e32 v6, 28
	v_cmp_gt_i16_sdwa s[4:5], v38, v6 src0_sel:BYTE_0 src1_sel:DWORD
	s_and_b64 vcc, exec, s[4:5]
	s_cbranch_vccz .LBB212_1934
; %bb.1928:
	v_mov_b32_e32 v6, 43
	v_cmp_gt_i16_sdwa s[4:5], v38, v6 src0_sel:BYTE_0 src1_sel:DWORD
	;; [unrolled: 5-line block ×3, first 2 shown]
	s_and_b64 vcc, exec, s[4:5]
	s_cbranch_vccz .LBB212_1937
; %bb.1930:
	v_mov_b32_e32 v6, 46
	v_cmp_eq_u16_sdwa s[4:5], v38, v6 src0_sel:BYTE_0 src1_sel:DWORD
	s_mov_b64 s[10:11], 0
	s_and_b64 vcc, exec, s[4:5]
	s_cbranch_vccz .LBB212_1938
; %bb.1931:
	global_load_dword v31, v[2:3], off
	s_mov_b64 s[4:5], 0
	s_mov_b64 s[8:9], -1
	s_branch .LBB212_1939
.LBB212_1932:
	s_mov_b64 s[4:5], -1
	s_mov_b64 s[8:9], 0
                                        ; implicit-def: $vgpr31
	s_branch .LBB212_2005
.LBB212_1933:
	s_mov_b64 s[10:11], -1
	s_mov_b64 s[8:9], 0
	s_mov_b64 s[4:5], 0
                                        ; implicit-def: $vgpr31
	s_branch .LBB212_1968
.LBB212_1934:
	s_mov_b64 s[10:11], -1
	s_mov_b64 s[8:9], 0
	s_mov_b64 s[4:5], 0
                                        ; implicit-def: $vgpr31
	s_branch .LBB212_1949
.LBB212_1935:
	s_mov_b64 s[10:11], -1
	s_mov_b64 s[8:9], 0
	s_mov_b64 s[4:5], 0
                                        ; implicit-def: $vgpr31
	s_branch .LBB212_1944
.LBB212_1936:
	s_trap 2
	s_or_b64 s[42:43], s[42:43], exec
                                        ; implicit-def: $vgpr30
	s_cbranch_execz .LBB212_1875
	s_branch .LBB212_1876
.LBB212_1937:
	s_mov_b64 s[10:11], -1
	s_mov_b64 s[8:9], 0
	s_mov_b64 s[4:5], 0
                                        ; implicit-def: $vgpr31
	s_branch .LBB212_1939
.LBB212_1938:
	s_mov_b64 s[4:5], -1
                                        ; implicit-def: $vgpr31
	s_mov_b64 s[8:9], 0
.LBB212_1939:
	s_and_b64 vcc, exec, s[10:11]
	s_cbranch_vccz .LBB212_1943
; %bb.1940:
	v_mov_b32_e32 v6, 44
	v_cmp_eq_u16_sdwa s[4:5], v38, v6 src0_sel:BYTE_0 src1_sel:DWORD
	s_and_b64 vcc, exec, s[4:5]
	s_cbranch_vccz .LBB212_1942
; %bb.1941:
	global_load_ubyte v6, v[2:3], off
	s_movk_i32 s8, 0xff
	v_mov_b32_e32 v7, 0x7f800001
	v_mov_b32_e32 v8, 0x400000
	v_mov_b32_e32 v9, 0x7fc0
	s_mov_b64 s[4:5], 0
	s_waitcnt vmcnt(0)
	v_lshlrev_b32_e32 v10, 23, v6
	v_cmp_ne_u32_e32 vcc, s8, v6
	v_cndmask_b32_e32 v7, v7, v10, vcc
	v_cmp_ne_u32_e32 vcc, 0, v6
	v_cndmask_b32_e32 v6, v8, v7, vcc
	v_add_u32_e32 v7, 0x7fff, v6
	v_lshrrev_b32_e32 v7, 16, v7
	v_cmp_o_f32_e32 vcc, v6, v6
	v_cndmask_b32_e32 v31, v9, v7, vcc
	s_mov_b64 s[8:9], -1
	s_branch .LBB212_1943
.LBB212_1942:
	s_mov_b64 s[4:5], -1
                                        ; implicit-def: $vgpr31
.LBB212_1943:
	s_mov_b64 s[10:11], 0
.LBB212_1944:
	s_and_b64 vcc, exec, s[10:11]
	s_cbranch_vccz .LBB212_1948
; %bb.1945:
	v_mov_b32_e32 v6, 29
	v_cmp_eq_u16_sdwa s[4:5], v38, v6 src0_sel:BYTE_0 src1_sel:DWORD
	s_and_b64 vcc, exec, s[4:5]
	s_cbranch_vccz .LBB212_1947
; %bb.1946:
	global_load_dwordx2 v[6:7], v[2:3], off
	s_movk_i32 s8, 0x7fff
	s_mov_b64 s[4:5], 0
	s_mov_b64 s[10:11], 0
	s_waitcnt vmcnt(0)
	v_ffbh_u32_e32 v8, v7
	v_min_u32_e32 v8, 32, v8
	v_lshlrev_b64 v[6:7], v8, v[6:7]
	v_min_u32_e32 v6, 1, v6
	v_or_b32_e32 v6, v7, v6
	v_cvt_f32_u32_e32 v6, v6
	v_sub_u32_e32 v7, 32, v8
	v_ldexp_f32 v6, v6, v7
	v_bfe_u32 v7, v6, 16, 1
	v_add3_u32 v6, v6, v7, s8
	v_lshrrev_b32_e32 v31, 16, v6
	s_mov_b64 s[8:9], -1
	s_branch .LBB212_1949
.LBB212_1947:
	s_mov_b64 s[4:5], -1
                                        ; implicit-def: $vgpr31
.LBB212_1948:
	s_mov_b64 s[10:11], 0
.LBB212_1949:
	s_and_b64 vcc, exec, s[10:11]
	s_cbranch_vccz .LBB212_1967
; %bb.1950:
	v_mov_b32_e32 v6, 27
	v_cmp_lt_i16_sdwa s[8:9], v38, v6 src0_sel:BYTE_0 src1_sel:DWORD
	s_and_b64 vcc, exec, s[8:9]
	s_cbranch_vccnz .LBB212_1953
; %bb.1951:
	v_cmp_gt_i16_sdwa s[8:9], v38, v6 src0_sel:BYTE_0 src1_sel:DWORD
	s_and_b64 vcc, exec, s[8:9]
	s_cbranch_vccz .LBB212_1954
; %bb.1952:
	global_load_dword v6, v[2:3], off
	s_movk_i32 s8, 0x7fff
	s_waitcnt vmcnt(0)
	v_cvt_f32_u32_e32 v6, v6
	v_bfe_u32 v7, v6, 16, 1
	v_add3_u32 v6, v6, v7, s8
	v_lshrrev_b32_e32 v31, 16, v6
	s_mov_b64 s[8:9], 0
	s_branch .LBB212_1955
.LBB212_1953:
	s_mov_b64 s[8:9], -1
                                        ; implicit-def: $vgpr31
	s_branch .LBB212_1958
.LBB212_1954:
	s_mov_b64 s[8:9], -1
                                        ; implicit-def: $vgpr31
.LBB212_1955:
	s_andn2_b64 vcc, exec, s[8:9]
	s_cbranch_vccnz .LBB212_1957
; %bb.1956:
	global_load_ushort v6, v[2:3], off
	s_movk_i32 s8, 0x7fff
	s_waitcnt vmcnt(0)
	v_cvt_f32_u32_e32 v6, v6
	v_bfe_u32 v7, v6, 16, 1
	v_add3_u32 v6, v6, v7, s8
	v_lshrrev_b32_e32 v31, 16, v6
.LBB212_1957:
	s_mov_b64 s[8:9], 0
.LBB212_1958:
	s_andn2_b64 vcc, exec, s[8:9]
	s_cbranch_vccnz .LBB212_1966
; %bb.1959:
	global_load_ubyte v6, v[2:3], off
	s_movk_i32 s8, 0x7f
                                        ; implicit-def: $sgpr16
	s_waitcnt vmcnt(0)
	v_cmp_lt_i16_e32 vcc, s8, v6
	s_mov_b64 s[8:9], 0
	s_and_saveexec_b64 s[10:11], vcc
	s_xor_b64 s[10:11], exec, s[10:11]
	s_cbranch_execz .LBB212_1980
; %bb.1960:
	s_movk_i32 s8, 0x80
	v_cmp_eq_u16_e32 vcc, s8, v6
	s_mov_b64 s[8:9], -1
                                        ; implicit-def: $sgpr16
	s_and_saveexec_b64 s[12:13], vcc
; %bb.1961:
	s_mov_b32 s16, 0x7f800001
	s_xor_b64 s[8:9], exec, -1
; %bb.1962:
	s_or_b64 exec, exec, s[12:13]
	s_and_b64 s[8:9], s[8:9], exec
	s_or_saveexec_b64 s[10:11], s[10:11]
	v_mov_b32_e32 v7, s16
	s_xor_b64 exec, exec, s[10:11]
	s_cbranch_execnz .LBB212_1981
.LBB212_1963:
	s_or_b64 exec, exec, s[10:11]
	s_and_saveexec_b64 s[10:11], s[8:9]
	s_cbranch_execz .LBB212_1965
.LBB212_1964:
	v_lshlrev_b32_e32 v7, 24, v6
	v_and_b32_e32 v6, 0xffff, v6
	v_and_b32_e32 v8, 7, v6
	v_ffbh_u32_e32 v10, v8
	v_min_u32_e32 v10, 32, v10
	v_subrev_u32_e32 v11, 28, v10
	v_bfe_u32 v9, v6, 3, 4
	v_lshlrev_b32_e32 v6, v11, v6
	v_sub_u32_e32 v10, 29, v10
	v_and_b32_e32 v6, 7, v6
	v_cmp_eq_u32_e32 vcc, 0, v9
	v_cndmask_b32_e32 v9, v9, v10, vcc
	v_cndmask_b32_e32 v6, v8, v6, vcc
	v_mov_b32_e32 v8, 0x3b800000
	v_lshlrev_b32_e32 v6, 20, v6
	v_and_b32_e32 v7, 0x80000000, v7
	v_lshl_add_u32 v8, v9, 23, v8
	v_or3_b32 v7, v7, v8, v6
.LBB212_1965:
	s_or_b64 exec, exec, s[10:11]
	v_bfe_u32 v6, v7, 16, 1
	s_movk_i32 s8, 0x7fff
	v_add3_u32 v6, v7, v6, s8
	v_lshrrev_b32_e32 v6, 16, v6
	v_mov_b32_e32 v8, 0x7fc0
	v_cmp_o_f32_e32 vcc, v7, v7
	v_cndmask_b32_e32 v31, v8, v6, vcc
.LBB212_1966:
	s_mov_b64 s[8:9], -1
.LBB212_1967:
	s_mov_b64 s[10:11], 0
.LBB212_1968:
	s_and_b64 vcc, exec, s[10:11]
	s_cbranch_vccz .LBB212_2001
; %bb.1969:
	v_mov_b32_e32 v6, 22
	v_cmp_gt_i16_sdwa s[6:7], v38, v6 src0_sel:BYTE_0 src1_sel:DWORD
	s_and_b64 vcc, exec, s[6:7]
	s_cbranch_vccz .LBB212_1979
; %bb.1970:
	v_mov_b32_e32 v6, 24
	v_cmp_lt_i16_sdwa s[6:7], v38, v6 src0_sel:BYTE_0 src1_sel:DWORD
	s_and_b64 vcc, exec, s[6:7]
	s_cbranch_vccnz .LBB212_1982
; %bb.1971:
	v_cmp_gt_i16_sdwa s[6:7], v38, v6 src0_sel:BYTE_0 src1_sel:DWORD
	s_and_b64 vcc, exec, s[6:7]
	s_cbranch_vccz .LBB212_1983
; %bb.1972:
	global_load_ubyte v6, v[2:3], off
	s_movk_i32 s6, 0x7f
                                        ; implicit-def: $sgpr12
	s_waitcnt vmcnt(0)
	v_cmp_lt_i16_e32 vcc, s6, v6
	s_mov_b64 s[6:7], 0
	s_and_saveexec_b64 s[8:9], vcc
	s_xor_b64 s[8:9], exec, s[8:9]
	s_cbranch_execz .LBB212_1995
; %bb.1973:
	s_movk_i32 s6, 0x80
	v_cmp_eq_u16_e32 vcc, s6, v6
	s_mov_b64 s[6:7], -1
                                        ; implicit-def: $sgpr12
	s_and_saveexec_b64 s[10:11], vcc
; %bb.1974:
	s_mov_b32 s12, 0x7f800001
	s_xor_b64 s[6:7], exec, -1
; %bb.1975:
	s_or_b64 exec, exec, s[10:11]
	s_and_b64 s[6:7], s[6:7], exec
	s_or_saveexec_b64 s[8:9], s[8:9]
	v_mov_b32_e32 v7, s12
	s_xor_b64 exec, exec, s[8:9]
	s_cbranch_execnz .LBB212_1996
.LBB212_1976:
	s_or_b64 exec, exec, s[8:9]
	s_and_saveexec_b64 s[8:9], s[6:7]
	s_cbranch_execz .LBB212_1978
.LBB212_1977:
	v_lshlrev_b32_e32 v7, 24, v6
	v_and_b32_e32 v6, 0xffff, v6
	v_and_b32_e32 v8, 3, v6
	v_ffbh_u32_e32 v10, v8
	v_min_u32_e32 v10, 32, v10
	v_subrev_u32_e32 v11, 29, v10
	v_bfe_u32 v9, v6, 2, 5
	v_lshlrev_b32_e32 v6, v11, v6
	v_sub_u32_e32 v10, 30, v10
	v_and_b32_e32 v6, 3, v6
	v_cmp_eq_u32_e32 vcc, 0, v9
	v_cndmask_b32_e32 v9, v9, v10, vcc
	v_cndmask_b32_e32 v6, v8, v6, vcc
	v_mov_b32_e32 v8, 0x37800000
	v_lshlrev_b32_e32 v6, 21, v6
	v_and_b32_e32 v7, 0x80000000, v7
	v_lshl_add_u32 v8, v9, 23, v8
	v_or3_b32 v7, v7, v8, v6
.LBB212_1978:
	s_or_b64 exec, exec, s[8:9]
	v_bfe_u32 v6, v7, 16, 1
	s_movk_i32 s6, 0x7fff
	v_add3_u32 v6, v7, v6, s6
	v_lshrrev_b32_e32 v6, 16, v6
	v_mov_b32_e32 v8, 0x7fc0
	v_cmp_o_f32_e32 vcc, v7, v7
	v_cndmask_b32_e32 v31, v8, v6, vcc
	s_mov_b64 s[6:7], 0
	s_branch .LBB212_1984
.LBB212_1979:
	s_mov_b64 s[6:7], -1
                                        ; implicit-def: $vgpr31
	s_branch .LBB212_1990
.LBB212_1980:
	s_or_saveexec_b64 s[10:11], s[10:11]
	v_mov_b32_e32 v7, s16
	s_xor_b64 exec, exec, s[10:11]
	s_cbranch_execz .LBB212_1963
.LBB212_1981:
	v_cmp_ne_u16_e32 vcc, 0, v6
	s_andn2_b64 s[8:9], s[8:9], exec
	s_and_b64 s[12:13], vcc, exec
	v_mov_b32_e32 v7, 0
	s_or_b64 s[8:9], s[8:9], s[12:13]
	s_or_b64 exec, exec, s[10:11]
	s_and_saveexec_b64 s[10:11], s[8:9]
	s_cbranch_execnz .LBB212_1964
	s_branch .LBB212_1965
.LBB212_1982:
	s_mov_b64 s[6:7], -1
                                        ; implicit-def: $vgpr31
	s_branch .LBB212_1987
.LBB212_1983:
	s_mov_b64 s[6:7], -1
                                        ; implicit-def: $vgpr31
.LBB212_1984:
	s_and_b64 vcc, exec, s[6:7]
	s_cbranch_vccz .LBB212_1986
; %bb.1985:
	global_load_ubyte v6, v[2:3], off
	s_mov_b32 s6, 0x7f800000
	s_brev_b32 s7, 1
	s_movk_i32 s8, 0x7fff
	v_mov_b32_e32 v7, 0x7fc0
	s_waitcnt vmcnt(0)
	v_lshlrev_b32_e32 v6, 24, v6
	v_and_b32_e32 v8, 0x7f000000, v6
	v_ffbh_u32_e32 v9, v8
	v_min_u32_e32 v9, 32, v9
	v_sub_u32_e64 v9, v9, 4 clamp
	v_lshlrev_b32_e32 v11, v9, v8
	v_lshlrev_b32_e32 v9, 23, v9
	v_lshrrev_b32_e32 v11, 4, v11
	v_add_u32_e32 v10, 0x1000000, v8
	v_sub_u32_e32 v9, v11, v9
	v_ashrrev_i32_e32 v10, 8, v10
	v_add_u32_e32 v9, 0x3c000000, v9
	v_and_or_b32 v9, v10, s6, v9
	v_cmp_ne_u32_e32 vcc, 0, v8
	v_cndmask_b32_e32 v8, 0, v9, vcc
	v_and_or_b32 v6, v6, s7, v8
	v_bfe_u32 v8, v8, 16, 1
	v_add3_u32 v8, v6, v8, s8
	v_lshrrev_b32_e32 v8, 16, v8
	v_cmp_o_f32_e32 vcc, v6, v6
	v_cndmask_b32_e32 v31, v7, v8, vcc
.LBB212_1986:
	s_mov_b64 s[6:7], 0
.LBB212_1987:
	s_andn2_b64 vcc, exec, s[6:7]
	s_cbranch_vccnz .LBB212_1989
; %bb.1988:
	global_load_ubyte v6, v[2:3], off
	s_movk_i32 s6, 0x7f00
	s_brev_b32 s7, 16
	s_brev_b32 s8, 1
	s_movk_i32 s9, 0x7fff
	v_mov_b32_e32 v7, 0x7fc0
	s_waitcnt vmcnt(0)
	v_lshlrev_b16_e32 v8, 8, v6
	v_lshlrev_b32_e32 v6, 25, v6
	v_lshrrev_b32_e32 v9, 4, v6
	v_and_or_b32 v10, v8, s6, 0.5
	v_or_b32_e32 v9, 0x70000000, v9
	v_add_f32_e32 v10, -0.5, v10
	v_mul_f32_e32 v9, 0x7800000, v9
	v_cmp_gt_u32_e32 vcc, s7, v6
	v_bfe_i32 v8, v8, 0, 16
	v_cndmask_b32_e32 v6, v9, v10, vcc
	v_and_or_b32 v8, v8, s8, v6
	v_bfe_u32 v6, v6, 16, 1
	v_add3_u32 v6, v8, v6, s9
	v_lshrrev_b32_e32 v6, 16, v6
	v_cmp_o_f32_e32 vcc, v8, v8
	v_cndmask_b32_e32 v31, v7, v6, vcc
.LBB212_1989:
	s_mov_b64 s[6:7], 0
	s_mov_b64 s[8:9], -1
.LBB212_1990:
	s_andn2_b64 vcc, exec, s[6:7]
	s_mov_b64 s[6:7], 0
	s_cbranch_vccnz .LBB212_2001
; %bb.1991:
	v_mov_b32_e32 v6, 14
	v_cmp_gt_i16_sdwa s[6:7], v38, v6 src0_sel:BYTE_0 src1_sel:DWORD
	s_and_b64 vcc, exec, s[6:7]
	s_cbranch_vccz .LBB212_1994
; %bb.1992:
	v_mov_b32_e32 v6, 15
	v_cmp_eq_u16_sdwa s[4:5], v38, v6 src0_sel:BYTE_0 src1_sel:DWORD
	s_and_b64 vcc, exec, s[4:5]
	s_cbranch_vccz .LBB212_1997
; %bb.1993:
	global_load_ushort v31, v[2:3], off
	s_mov_b64 s[4:5], 0
	s_mov_b64 s[8:9], -1
	s_branch .LBB212_1998
.LBB212_1994:
	s_mov_b64 s[10:11], -1
                                        ; implicit-def: $vgpr31
	s_branch .LBB212_1999
.LBB212_1995:
	s_or_saveexec_b64 s[8:9], s[8:9]
	v_mov_b32_e32 v7, s12
	s_xor_b64 exec, exec, s[8:9]
	s_cbranch_execz .LBB212_1976
.LBB212_1996:
	v_cmp_ne_u16_e32 vcc, 0, v6
	s_andn2_b64 s[6:7], s[6:7], exec
	s_and_b64 s[10:11], vcc, exec
	v_mov_b32_e32 v7, 0
	s_or_b64 s[6:7], s[6:7], s[10:11]
	s_or_b64 exec, exec, s[8:9]
	s_and_saveexec_b64 s[8:9], s[6:7]
	s_cbranch_execnz .LBB212_1977
	s_branch .LBB212_1978
.LBB212_1997:
	s_mov_b64 s[4:5], -1
                                        ; implicit-def: $vgpr31
.LBB212_1998:
	s_mov_b64 s[10:11], 0
.LBB212_1999:
	s_mov_b64 s[6:7], 0
	s_and_b64 vcc, exec, s[10:11]
	s_cbranch_vccz .LBB212_2001
; %bb.2000:
	v_mov_b32_e32 v6, 11
	v_cmp_ne_u16_sdwa s[4:5], v38, v6 src0_sel:BYTE_0 src1_sel:DWORD
	s_mov_b64 s[6:7], -1
                                        ; implicit-def: $vgpr31
.LBB212_2001:
	s_and_b64 vcc, exec, s[4:5]
	s_cbranch_vccnz .LBB212_2066
; %bb.2002:
	s_andn2_b64 vcc, exec, s[6:7]
	s_cbranch_vccnz .LBB212_2004
.LBB212_2003:
	global_load_ubyte v6, v[2:3], off
	s_mov_b64 s[8:9], -1
	s_waitcnt vmcnt(0)
	v_cmp_ne_u16_e32 vcc, 0, v6
	v_cndmask_b32_e64 v6, 0, 1.0, vcc
	v_lshrrev_b32_e32 v31, 16, v6
.LBB212_2004:
	s_mov_b64 s[4:5], 0
.LBB212_2005:
	s_and_b64 vcc, exec, s[4:5]
	s_cbranch_vccz .LBB212_2054
; %bb.2006:
	v_mov_b32_e32 v6, 5
	v_cmp_lt_i16_sdwa s[4:5], v38, v6 src0_sel:BYTE_0 src1_sel:DWORD
	s_and_b64 vcc, exec, s[4:5]
	s_cbranch_vccnz .LBB212_2011
; %bb.2007:
	v_mov_b32_e32 v6, 8
	v_cmp_lt_i16_sdwa s[4:5], v38, v6 src0_sel:BYTE_0 src1_sel:DWORD
	s_and_b64 vcc, exec, s[4:5]
	s_cbranch_vccnz .LBB212_2012
	;; [unrolled: 5-line block ×3, first 2 shown]
; %bb.2009:
	v_cmp_gt_i16_sdwa s[4:5], v38, v6 src0_sel:BYTE_0 src1_sel:DWORD
	s_and_b64 vcc, exec, s[4:5]
	s_cbranch_vccz .LBB212_2014
; %bb.2010:
	global_load_dwordx2 v[6:7], v[2:3], off
	s_movk_i32 s4, 0x7fff
	v_mov_b32_e32 v8, 0x7fc0
	s_waitcnt vmcnt(0)
	v_cvt_f32_f64_e32 v6, v[6:7]
	v_bfe_u32 v7, v6, 16, 1
	v_add3_u32 v7, v6, v7, s4
	v_lshrrev_b32_e32 v7, 16, v7
	v_cmp_o_f32_e32 vcc, v6, v6
	v_cndmask_b32_e32 v31, v8, v7, vcc
	s_mov_b64 s[4:5], 0
	s_branch .LBB212_2015
.LBB212_2011:
	s_mov_b64 s[4:5], -1
                                        ; implicit-def: $vgpr31
	s_branch .LBB212_2033
.LBB212_2012:
	s_mov_b64 s[4:5], -1
                                        ; implicit-def: $vgpr31
	s_branch .LBB212_2021
.LBB212_2013:
	s_mov_b64 s[4:5], -1
                                        ; implicit-def: $vgpr31
	s_branch .LBB212_2018
.LBB212_2014:
	s_mov_b64 s[4:5], -1
                                        ; implicit-def: $vgpr31
.LBB212_2015:
	s_andn2_b64 vcc, exec, s[4:5]
	s_cbranch_vccnz .LBB212_2017
; %bb.2016:
	global_load_dword v6, v[2:3], off
	s_movk_i32 s4, 0x7fff
	v_mov_b32_e32 v7, 0x7fc0
	s_waitcnt vmcnt(0)
	v_bfe_u32 v8, v6, 16, 1
	v_add3_u32 v8, v6, v8, s4
	v_lshrrev_b32_e32 v8, 16, v8
	v_cmp_o_f32_e32 vcc, v6, v6
	v_cndmask_b32_e32 v31, v7, v8, vcc
.LBB212_2017:
	s_mov_b64 s[4:5], 0
.LBB212_2018:
	s_andn2_b64 vcc, exec, s[4:5]
	s_cbranch_vccnz .LBB212_2020
; %bb.2019:
	global_load_dword v6, v[2:3], off
	s_movk_i32 s4, 0x7fff
	v_mov_b32_e32 v8, 0x7fc0
	s_waitcnt vmcnt(0)
	v_cvt_f32_f16_e32 v7, v6
	v_cmp_o_f16_e32 vcc, v6, v6
	v_bfe_u32 v9, v7, 16, 1
	v_add3_u32 v7, v7, v9, s4
	v_lshrrev_b32_e32 v7, 16, v7
	v_cndmask_b32_e32 v31, v8, v7, vcc
.LBB212_2020:
	s_mov_b64 s[4:5], 0
.LBB212_2021:
	s_andn2_b64 vcc, exec, s[4:5]
	s_cbranch_vccnz .LBB212_2032
; %bb.2022:
	v_mov_b32_e32 v6, 6
	v_cmp_lt_i16_sdwa s[4:5], v38, v6 src0_sel:BYTE_0 src1_sel:DWORD
	s_and_b64 vcc, exec, s[4:5]
	s_cbranch_vccnz .LBB212_2025
; %bb.2023:
	v_cmp_gt_i16_sdwa s[4:5], v38, v6 src0_sel:BYTE_0 src1_sel:DWORD
	s_and_b64 vcc, exec, s[4:5]
	s_cbranch_vccz .LBB212_2026
; %bb.2024:
	global_load_dwordx2 v[6:7], v[2:3], off
	s_movk_i32 s4, 0x7fff
	v_mov_b32_e32 v8, 0x7fc0
	s_waitcnt vmcnt(0)
	v_cvt_f32_f64_e32 v6, v[6:7]
	v_bfe_u32 v7, v6, 16, 1
	v_add3_u32 v7, v6, v7, s4
	v_lshrrev_b32_e32 v7, 16, v7
	v_cmp_o_f32_e32 vcc, v6, v6
	v_cndmask_b32_e32 v31, v8, v7, vcc
	s_mov_b64 s[4:5], 0
	s_branch .LBB212_2027
.LBB212_2025:
	s_mov_b64 s[4:5], -1
                                        ; implicit-def: $vgpr31
	s_branch .LBB212_2030
.LBB212_2026:
	s_mov_b64 s[4:5], -1
                                        ; implicit-def: $vgpr31
.LBB212_2027:
	s_andn2_b64 vcc, exec, s[4:5]
	s_cbranch_vccnz .LBB212_2029
; %bb.2028:
	global_load_dword v6, v[2:3], off
	s_movk_i32 s4, 0x7fff
	v_mov_b32_e32 v7, 0x7fc0
	s_waitcnt vmcnt(0)
	v_bfe_u32 v8, v6, 16, 1
	v_add3_u32 v8, v6, v8, s4
	v_lshrrev_b32_e32 v8, 16, v8
	v_cmp_o_f32_e32 vcc, v6, v6
	v_cndmask_b32_e32 v31, v7, v8, vcc
.LBB212_2029:
	s_mov_b64 s[4:5], 0
.LBB212_2030:
	s_andn2_b64 vcc, exec, s[4:5]
	s_cbranch_vccnz .LBB212_2032
; %bb.2031:
	global_load_ushort v6, v[2:3], off
	s_movk_i32 s4, 0x7fff
	v_mov_b32_e32 v8, 0x7fc0
	s_waitcnt vmcnt(0)
	v_cvt_f32_f16_e32 v7, v6
	v_cmp_o_f16_e32 vcc, v6, v6
	v_bfe_u32 v9, v7, 16, 1
	v_add3_u32 v7, v7, v9, s4
	v_lshrrev_b32_e32 v7, 16, v7
	v_cndmask_b32_e32 v31, v8, v7, vcc
.LBB212_2032:
	s_mov_b64 s[4:5], 0
.LBB212_2033:
	s_andn2_b64 vcc, exec, s[4:5]
	s_cbranch_vccnz .LBB212_2053
; %bb.2034:
	v_mov_b32_e32 v6, 2
	v_cmp_lt_i16_sdwa s[4:5], v38, v6 src0_sel:BYTE_0 src1_sel:DWORD
	s_and_b64 vcc, exec, s[4:5]
	s_cbranch_vccnz .LBB212_2038
; %bb.2035:
	v_mov_b32_e32 v6, 3
	v_cmp_lt_i16_sdwa s[4:5], v38, v6 src0_sel:BYTE_0 src1_sel:DWORD
	s_and_b64 vcc, exec, s[4:5]
	s_cbranch_vccnz .LBB212_2039
; %bb.2036:
	v_cmp_gt_i16_sdwa s[4:5], v38, v6 src0_sel:BYTE_0 src1_sel:DWORD
	s_and_b64 vcc, exec, s[4:5]
	s_cbranch_vccz .LBB212_2040
; %bb.2037:
	global_load_dwordx2 v[6:7], v[2:3], off
	s_movk_i32 s4, 0x7fff
	s_waitcnt vmcnt(0)
	v_xor_b32_e32 v9, v6, v7
	v_ffbh_i32_e32 v8, v7
	v_ashrrev_i32_e32 v9, 31, v9
	v_add_u32_e32 v8, -1, v8
	v_add_u32_e32 v9, 32, v9
	v_min_u32_e32 v8, v8, v9
	v_lshlrev_b64 v[6:7], v8, v[6:7]
	v_min_u32_e32 v6, 1, v6
	v_or_b32_e32 v6, v7, v6
	v_cvt_f32_i32_e32 v6, v6
	v_sub_u32_e32 v7, 32, v8
	v_ldexp_f32 v6, v6, v7
	v_bfe_u32 v7, v6, 16, 1
	v_add3_u32 v6, v6, v7, s4
	v_lshrrev_b32_e32 v31, 16, v6
	s_mov_b64 s[4:5], 0
	s_branch .LBB212_2041
.LBB212_2038:
	s_mov_b64 s[4:5], -1
                                        ; implicit-def: $vgpr31
	s_branch .LBB212_2047
.LBB212_2039:
	s_mov_b64 s[4:5], -1
                                        ; implicit-def: $vgpr31
	s_branch .LBB212_2044
.LBB212_2040:
	s_mov_b64 s[4:5], -1
                                        ; implicit-def: $vgpr31
.LBB212_2041:
	s_andn2_b64 vcc, exec, s[4:5]
	s_cbranch_vccnz .LBB212_2043
; %bb.2042:
	global_load_dword v6, v[2:3], off
	s_movk_i32 s4, 0x7fff
	s_waitcnt vmcnt(0)
	v_cvt_f32_i32_e32 v6, v6
	v_bfe_u32 v7, v6, 16, 1
	v_add3_u32 v6, v6, v7, s4
	v_lshrrev_b32_e32 v31, 16, v6
.LBB212_2043:
	s_mov_b64 s[4:5], 0
.LBB212_2044:
	s_andn2_b64 vcc, exec, s[4:5]
	s_cbranch_vccnz .LBB212_2046
; %bb.2045:
	global_load_sshort v6, v[2:3], off
	s_movk_i32 s4, 0x7fff
	s_waitcnt vmcnt(0)
	v_cvt_f32_i32_e32 v6, v6
	v_bfe_u32 v7, v6, 16, 1
	v_add3_u32 v6, v6, v7, s4
	v_lshrrev_b32_e32 v31, 16, v6
.LBB212_2046:
	s_mov_b64 s[4:5], 0
.LBB212_2047:
	s_andn2_b64 vcc, exec, s[4:5]
	s_cbranch_vccnz .LBB212_2053
; %bb.2048:
	v_mov_b32_e32 v6, 0
	v_cmp_gt_i16_sdwa s[4:5], v38, v6 src0_sel:BYTE_0 src1_sel:DWORD
	s_and_b64 vcc, exec, s[4:5]
	s_cbranch_vccz .LBB212_2050
; %bb.2049:
	global_load_sbyte v6, v[2:3], off
	s_movk_i32 s4, 0x7fff
	s_waitcnt vmcnt(0)
	v_cvt_f32_i32_e32 v6, v6
	v_bfe_u32 v7, v6, 16, 1
	v_add3_u32 v6, v6, v7, s4
	v_lshrrev_b32_e32 v31, 16, v6
	s_mov_b64 s[4:5], 0
	s_branch .LBB212_2051
.LBB212_2050:
	s_mov_b64 s[4:5], -1
                                        ; implicit-def: $vgpr31
.LBB212_2051:
	s_andn2_b64 vcc, exec, s[4:5]
	s_cbranch_vccnz .LBB212_2053
; %bb.2052:
	global_load_ubyte v2, v[2:3], off
	s_movk_i32 s4, 0x7fff
	s_waitcnt vmcnt(0)
	v_cvt_f32_ubyte0_e32 v2, v2
	v_bfe_u32 v3, v2, 16, 1
	v_add3_u32 v2, v2, v3, s4
	v_lshrrev_b32_e32 v31, 16, v2
.LBB212_2053:
	s_mov_b64 s[8:9], -1
.LBB212_2054:
	s_andn2_b64 vcc, exec, s[8:9]
	s_cbranch_vccnz .LBB212_3030
; %bb.2055:
	v_add_u32_e32 v5, s14, v5
	v_ashrrev_i32_e32 v3, 31, v5
	v_mov_b32_e32 v6, s27
	v_add_co_u32_e32 v2, vcc, s26, v5
	v_addc_co_u32_e32 v3, vcc, v6, v3, vcc
	v_mov_b32_e32 v6, 11
	v_cmp_lt_i16_sdwa s[4:5], v35, v6 src0_sel:BYTE_0 src1_sel:DWORD
	s_and_b64 vcc, exec, s[4:5]
	s_cbranch_vccnz .LBB212_2062
; %bb.2056:
	v_mov_b32_e32 v6, 25
	v_cmp_gt_i16_sdwa s[4:5], v35, v6 src0_sel:BYTE_0 src1_sel:DWORD
	s_mov_b64 s[6:7], 0
	s_and_b64 vcc, exec, s[4:5]
	s_cbranch_vccz .LBB212_2063
; %bb.2057:
	v_mov_b32_e32 v6, 28
	v_cmp_gt_i16_sdwa s[4:5], v35, v6 src0_sel:BYTE_0 src1_sel:DWORD
	s_and_b64 vcc, exec, s[4:5]
	s_cbranch_vccz .LBB212_2064
; %bb.2058:
	v_mov_b32_e32 v6, 43
	v_cmp_gt_i16_sdwa s[4:5], v35, v6 src0_sel:BYTE_0 src1_sel:DWORD
	;; [unrolled: 5-line block ×3, first 2 shown]
	s_and_b64 vcc, exec, s[4:5]
	s_cbranch_vccz .LBB212_2067
; %bb.2060:
	v_mov_b32_e32 v6, 46
	v_cmp_eq_u16_sdwa s[4:5], v35, v6 src0_sel:BYTE_0 src1_sel:DWORD
	s_mov_b64 s[10:11], 0
	s_and_b64 vcc, exec, s[4:5]
	s_cbranch_vccz .LBB212_2068
; %bb.2061:
	global_load_dword v32, v[2:3], off
	s_mov_b64 s[4:5], 0
	s_mov_b64 s[8:9], -1
	s_branch .LBB212_2069
.LBB212_2062:
	s_mov_b64 s[4:5], -1
	s_mov_b64 s[8:9], 0
                                        ; implicit-def: $vgpr32
	s_branch .LBB212_2135
.LBB212_2063:
	s_mov_b64 s[10:11], -1
	s_mov_b64 s[8:9], 0
	s_mov_b64 s[4:5], 0
                                        ; implicit-def: $vgpr32
	s_branch .LBB212_2098
.LBB212_2064:
	s_mov_b64 s[10:11], -1
	s_mov_b64 s[8:9], 0
	s_mov_b64 s[4:5], 0
                                        ; implicit-def: $vgpr32
	s_branch .LBB212_2079
.LBB212_2065:
	s_mov_b64 s[10:11], -1
	s_mov_b64 s[8:9], 0
	s_mov_b64 s[4:5], 0
                                        ; implicit-def: $vgpr32
	s_branch .LBB212_2074
.LBB212_2066:
	s_trap 2
	s_or_b64 s[42:43], s[42:43], exec
                                        ; implicit-def: $vgpr31
	s_cbranch_execz .LBB212_2003
	s_branch .LBB212_2004
.LBB212_2067:
	s_mov_b64 s[10:11], -1
	s_mov_b64 s[8:9], 0
	s_mov_b64 s[4:5], 0
                                        ; implicit-def: $vgpr32
	s_branch .LBB212_2069
.LBB212_2068:
	s_mov_b64 s[4:5], -1
                                        ; implicit-def: $vgpr32
	s_mov_b64 s[8:9], 0
.LBB212_2069:
	s_and_b64 vcc, exec, s[10:11]
	s_cbranch_vccz .LBB212_2073
; %bb.2070:
	v_mov_b32_e32 v6, 44
	v_cmp_eq_u16_sdwa s[4:5], v35, v6 src0_sel:BYTE_0 src1_sel:DWORD
	s_and_b64 vcc, exec, s[4:5]
	s_cbranch_vccz .LBB212_2072
; %bb.2071:
	global_load_ubyte v6, v[2:3], off
	s_movk_i32 s8, 0xff
	v_mov_b32_e32 v7, 0x7f800001
	v_mov_b32_e32 v8, 0x400000
	;; [unrolled: 1-line block ×3, first 2 shown]
	s_mov_b64 s[4:5], 0
	s_waitcnt vmcnt(0)
	v_lshlrev_b32_e32 v10, 23, v6
	v_cmp_ne_u32_e32 vcc, s8, v6
	v_cndmask_b32_e32 v7, v7, v10, vcc
	v_cmp_ne_u32_e32 vcc, 0, v6
	v_cndmask_b32_e32 v6, v8, v7, vcc
	v_add_u32_e32 v7, 0x7fff, v6
	v_lshrrev_b32_e32 v7, 16, v7
	v_cmp_o_f32_e32 vcc, v6, v6
	v_cndmask_b32_e32 v32, v9, v7, vcc
	s_mov_b64 s[8:9], -1
	s_branch .LBB212_2073
.LBB212_2072:
	s_mov_b64 s[4:5], -1
                                        ; implicit-def: $vgpr32
.LBB212_2073:
	s_mov_b64 s[10:11], 0
.LBB212_2074:
	s_and_b64 vcc, exec, s[10:11]
	s_cbranch_vccz .LBB212_2078
; %bb.2075:
	v_mov_b32_e32 v6, 29
	v_cmp_eq_u16_sdwa s[4:5], v35, v6 src0_sel:BYTE_0 src1_sel:DWORD
	s_and_b64 vcc, exec, s[4:5]
	s_cbranch_vccz .LBB212_2077
; %bb.2076:
	global_load_dwordx2 v[6:7], v[2:3], off
	s_movk_i32 s8, 0x7fff
	s_mov_b64 s[4:5], 0
	s_mov_b64 s[10:11], 0
	s_waitcnt vmcnt(0)
	v_ffbh_u32_e32 v8, v7
	v_min_u32_e32 v8, 32, v8
	v_lshlrev_b64 v[6:7], v8, v[6:7]
	v_min_u32_e32 v6, 1, v6
	v_or_b32_e32 v6, v7, v6
	v_cvt_f32_u32_e32 v6, v6
	v_sub_u32_e32 v7, 32, v8
	v_ldexp_f32 v6, v6, v7
	v_bfe_u32 v7, v6, 16, 1
	v_add3_u32 v6, v6, v7, s8
	v_lshrrev_b32_e32 v32, 16, v6
	s_mov_b64 s[8:9], -1
	s_branch .LBB212_2079
.LBB212_2077:
	s_mov_b64 s[4:5], -1
                                        ; implicit-def: $vgpr32
.LBB212_2078:
	s_mov_b64 s[10:11], 0
.LBB212_2079:
	s_and_b64 vcc, exec, s[10:11]
	s_cbranch_vccz .LBB212_2097
; %bb.2080:
	v_mov_b32_e32 v6, 27
	v_cmp_lt_i16_sdwa s[8:9], v35, v6 src0_sel:BYTE_0 src1_sel:DWORD
	s_and_b64 vcc, exec, s[8:9]
	s_cbranch_vccnz .LBB212_2083
; %bb.2081:
	v_cmp_gt_i16_sdwa s[8:9], v35, v6 src0_sel:BYTE_0 src1_sel:DWORD
	s_and_b64 vcc, exec, s[8:9]
	s_cbranch_vccz .LBB212_2084
; %bb.2082:
	global_load_dword v6, v[2:3], off
	s_movk_i32 s8, 0x7fff
	s_waitcnt vmcnt(0)
	v_cvt_f32_u32_e32 v6, v6
	v_bfe_u32 v7, v6, 16, 1
	v_add3_u32 v6, v6, v7, s8
	v_lshrrev_b32_e32 v32, 16, v6
	s_mov_b64 s[8:9], 0
	s_branch .LBB212_2085
.LBB212_2083:
	s_mov_b64 s[8:9], -1
                                        ; implicit-def: $vgpr32
	s_branch .LBB212_2088
.LBB212_2084:
	s_mov_b64 s[8:9], -1
                                        ; implicit-def: $vgpr32
.LBB212_2085:
	s_andn2_b64 vcc, exec, s[8:9]
	s_cbranch_vccnz .LBB212_2087
; %bb.2086:
	global_load_ushort v6, v[2:3], off
	s_movk_i32 s8, 0x7fff
	s_waitcnt vmcnt(0)
	v_cvt_f32_u32_e32 v6, v6
	v_bfe_u32 v7, v6, 16, 1
	v_add3_u32 v6, v6, v7, s8
	v_lshrrev_b32_e32 v32, 16, v6
.LBB212_2087:
	s_mov_b64 s[8:9], 0
.LBB212_2088:
	s_andn2_b64 vcc, exec, s[8:9]
	s_cbranch_vccnz .LBB212_2096
; %bb.2089:
	global_load_ubyte v6, v[2:3], off
	s_movk_i32 s8, 0x7f
                                        ; implicit-def: $sgpr16
	s_waitcnt vmcnt(0)
	v_cmp_lt_i16_e32 vcc, s8, v6
	s_mov_b64 s[8:9], 0
	s_and_saveexec_b64 s[10:11], vcc
	s_xor_b64 s[10:11], exec, s[10:11]
	s_cbranch_execz .LBB212_2110
; %bb.2090:
	s_movk_i32 s8, 0x80
	v_cmp_eq_u16_e32 vcc, s8, v6
	s_mov_b64 s[8:9], -1
                                        ; implicit-def: $sgpr16
	s_and_saveexec_b64 s[12:13], vcc
; %bb.2091:
	s_mov_b32 s16, 0x7f800001
	s_xor_b64 s[8:9], exec, -1
; %bb.2092:
	s_or_b64 exec, exec, s[12:13]
	s_and_b64 s[8:9], s[8:9], exec
	s_or_saveexec_b64 s[10:11], s[10:11]
	v_mov_b32_e32 v7, s16
	s_xor_b64 exec, exec, s[10:11]
	s_cbranch_execnz .LBB212_2111
.LBB212_2093:
	s_or_b64 exec, exec, s[10:11]
	s_and_saveexec_b64 s[10:11], s[8:9]
	s_cbranch_execz .LBB212_2095
.LBB212_2094:
	v_lshlrev_b32_e32 v7, 24, v6
	v_and_b32_e32 v6, 0xffff, v6
	v_and_b32_e32 v8, 7, v6
	v_ffbh_u32_e32 v10, v8
	v_min_u32_e32 v10, 32, v10
	v_subrev_u32_e32 v11, 28, v10
	v_bfe_u32 v9, v6, 3, 4
	v_lshlrev_b32_e32 v6, v11, v6
	v_sub_u32_e32 v10, 29, v10
	v_and_b32_e32 v6, 7, v6
	v_cmp_eq_u32_e32 vcc, 0, v9
	v_cndmask_b32_e32 v9, v9, v10, vcc
	v_cndmask_b32_e32 v6, v8, v6, vcc
	v_mov_b32_e32 v8, 0x3b800000
	v_lshlrev_b32_e32 v6, 20, v6
	v_and_b32_e32 v7, 0x80000000, v7
	v_lshl_add_u32 v8, v9, 23, v8
	v_or3_b32 v7, v7, v8, v6
.LBB212_2095:
	s_or_b64 exec, exec, s[10:11]
	v_bfe_u32 v6, v7, 16, 1
	s_movk_i32 s8, 0x7fff
	v_add3_u32 v6, v7, v6, s8
	v_lshrrev_b32_e32 v6, 16, v6
	v_mov_b32_e32 v8, 0x7fc0
	v_cmp_o_f32_e32 vcc, v7, v7
	v_cndmask_b32_e32 v32, v8, v6, vcc
.LBB212_2096:
	s_mov_b64 s[8:9], -1
.LBB212_2097:
	s_mov_b64 s[10:11], 0
.LBB212_2098:
	s_and_b64 vcc, exec, s[10:11]
	s_cbranch_vccz .LBB212_2131
; %bb.2099:
	v_mov_b32_e32 v6, 22
	v_cmp_gt_i16_sdwa s[6:7], v35, v6 src0_sel:BYTE_0 src1_sel:DWORD
	s_and_b64 vcc, exec, s[6:7]
	s_cbranch_vccz .LBB212_2109
; %bb.2100:
	v_mov_b32_e32 v6, 24
	v_cmp_lt_i16_sdwa s[6:7], v35, v6 src0_sel:BYTE_0 src1_sel:DWORD
	s_and_b64 vcc, exec, s[6:7]
	s_cbranch_vccnz .LBB212_2112
; %bb.2101:
	v_cmp_gt_i16_sdwa s[6:7], v35, v6 src0_sel:BYTE_0 src1_sel:DWORD
	s_and_b64 vcc, exec, s[6:7]
	s_cbranch_vccz .LBB212_2113
; %bb.2102:
	global_load_ubyte v6, v[2:3], off
	s_movk_i32 s6, 0x7f
                                        ; implicit-def: $sgpr12
	s_waitcnt vmcnt(0)
	v_cmp_lt_i16_e32 vcc, s6, v6
	s_mov_b64 s[6:7], 0
	s_and_saveexec_b64 s[8:9], vcc
	s_xor_b64 s[8:9], exec, s[8:9]
	s_cbranch_execz .LBB212_2125
; %bb.2103:
	s_movk_i32 s6, 0x80
	v_cmp_eq_u16_e32 vcc, s6, v6
	s_mov_b64 s[6:7], -1
                                        ; implicit-def: $sgpr12
	s_and_saveexec_b64 s[10:11], vcc
; %bb.2104:
	s_mov_b32 s12, 0x7f800001
	s_xor_b64 s[6:7], exec, -1
; %bb.2105:
	s_or_b64 exec, exec, s[10:11]
	s_and_b64 s[6:7], s[6:7], exec
	s_or_saveexec_b64 s[8:9], s[8:9]
	v_mov_b32_e32 v7, s12
	s_xor_b64 exec, exec, s[8:9]
	s_cbranch_execnz .LBB212_2126
.LBB212_2106:
	s_or_b64 exec, exec, s[8:9]
	s_and_saveexec_b64 s[8:9], s[6:7]
	s_cbranch_execz .LBB212_2108
.LBB212_2107:
	v_lshlrev_b32_e32 v7, 24, v6
	v_and_b32_e32 v6, 0xffff, v6
	v_and_b32_e32 v8, 3, v6
	v_ffbh_u32_e32 v10, v8
	v_min_u32_e32 v10, 32, v10
	v_subrev_u32_e32 v11, 29, v10
	v_bfe_u32 v9, v6, 2, 5
	v_lshlrev_b32_e32 v6, v11, v6
	v_sub_u32_e32 v10, 30, v10
	v_and_b32_e32 v6, 3, v6
	v_cmp_eq_u32_e32 vcc, 0, v9
	v_cndmask_b32_e32 v9, v9, v10, vcc
	v_cndmask_b32_e32 v6, v8, v6, vcc
	v_mov_b32_e32 v8, 0x37800000
	v_lshlrev_b32_e32 v6, 21, v6
	v_and_b32_e32 v7, 0x80000000, v7
	v_lshl_add_u32 v8, v9, 23, v8
	v_or3_b32 v7, v7, v8, v6
.LBB212_2108:
	s_or_b64 exec, exec, s[8:9]
	v_bfe_u32 v6, v7, 16, 1
	s_movk_i32 s6, 0x7fff
	v_add3_u32 v6, v7, v6, s6
	v_lshrrev_b32_e32 v6, 16, v6
	v_mov_b32_e32 v8, 0x7fc0
	v_cmp_o_f32_e32 vcc, v7, v7
	v_cndmask_b32_e32 v32, v8, v6, vcc
	s_mov_b64 s[6:7], 0
	s_branch .LBB212_2114
.LBB212_2109:
	s_mov_b64 s[6:7], -1
                                        ; implicit-def: $vgpr32
	s_branch .LBB212_2120
.LBB212_2110:
	s_or_saveexec_b64 s[10:11], s[10:11]
	v_mov_b32_e32 v7, s16
	s_xor_b64 exec, exec, s[10:11]
	s_cbranch_execz .LBB212_2093
.LBB212_2111:
	v_cmp_ne_u16_e32 vcc, 0, v6
	s_andn2_b64 s[8:9], s[8:9], exec
	s_and_b64 s[12:13], vcc, exec
	v_mov_b32_e32 v7, 0
	s_or_b64 s[8:9], s[8:9], s[12:13]
	s_or_b64 exec, exec, s[10:11]
	s_and_saveexec_b64 s[10:11], s[8:9]
	s_cbranch_execnz .LBB212_2094
	s_branch .LBB212_2095
.LBB212_2112:
	s_mov_b64 s[6:7], -1
                                        ; implicit-def: $vgpr32
	s_branch .LBB212_2117
.LBB212_2113:
	s_mov_b64 s[6:7], -1
                                        ; implicit-def: $vgpr32
.LBB212_2114:
	s_and_b64 vcc, exec, s[6:7]
	s_cbranch_vccz .LBB212_2116
; %bb.2115:
	global_load_ubyte v6, v[2:3], off
	s_mov_b32 s6, 0x7f800000
	s_brev_b32 s7, 1
	s_movk_i32 s8, 0x7fff
	v_mov_b32_e32 v7, 0x7fc0
	s_waitcnt vmcnt(0)
	v_lshlrev_b32_e32 v6, 24, v6
	v_and_b32_e32 v8, 0x7f000000, v6
	v_ffbh_u32_e32 v9, v8
	v_min_u32_e32 v9, 32, v9
	v_sub_u32_e64 v9, v9, 4 clamp
	v_lshlrev_b32_e32 v11, v9, v8
	v_lshlrev_b32_e32 v9, 23, v9
	v_lshrrev_b32_e32 v11, 4, v11
	v_add_u32_e32 v10, 0x1000000, v8
	v_sub_u32_e32 v9, v11, v9
	v_ashrrev_i32_e32 v10, 8, v10
	v_add_u32_e32 v9, 0x3c000000, v9
	v_and_or_b32 v9, v10, s6, v9
	v_cmp_ne_u32_e32 vcc, 0, v8
	v_cndmask_b32_e32 v8, 0, v9, vcc
	v_and_or_b32 v6, v6, s7, v8
	v_bfe_u32 v8, v8, 16, 1
	v_add3_u32 v8, v6, v8, s8
	v_lshrrev_b32_e32 v8, 16, v8
	v_cmp_o_f32_e32 vcc, v6, v6
	v_cndmask_b32_e32 v32, v7, v8, vcc
.LBB212_2116:
	s_mov_b64 s[6:7], 0
.LBB212_2117:
	s_andn2_b64 vcc, exec, s[6:7]
	s_cbranch_vccnz .LBB212_2119
; %bb.2118:
	global_load_ubyte v6, v[2:3], off
	s_movk_i32 s6, 0x7f00
	s_brev_b32 s7, 16
	s_brev_b32 s8, 1
	s_movk_i32 s9, 0x7fff
	v_mov_b32_e32 v7, 0x7fc0
	s_waitcnt vmcnt(0)
	v_lshlrev_b16_e32 v8, 8, v6
	v_lshlrev_b32_e32 v6, 25, v6
	v_lshrrev_b32_e32 v9, 4, v6
	v_and_or_b32 v10, v8, s6, 0.5
	v_or_b32_e32 v9, 0x70000000, v9
	v_add_f32_e32 v10, -0.5, v10
	v_mul_f32_e32 v9, 0x7800000, v9
	v_cmp_gt_u32_e32 vcc, s7, v6
	v_bfe_i32 v8, v8, 0, 16
	v_cndmask_b32_e32 v6, v9, v10, vcc
	v_and_or_b32 v8, v8, s8, v6
	v_bfe_u32 v6, v6, 16, 1
	v_add3_u32 v6, v8, v6, s9
	v_lshrrev_b32_e32 v6, 16, v6
	v_cmp_o_f32_e32 vcc, v8, v8
	v_cndmask_b32_e32 v32, v7, v6, vcc
.LBB212_2119:
	s_mov_b64 s[6:7], 0
	s_mov_b64 s[8:9], -1
.LBB212_2120:
	s_andn2_b64 vcc, exec, s[6:7]
	s_mov_b64 s[6:7], 0
	s_cbranch_vccnz .LBB212_2131
; %bb.2121:
	v_mov_b32_e32 v6, 14
	v_cmp_gt_i16_sdwa s[6:7], v35, v6 src0_sel:BYTE_0 src1_sel:DWORD
	s_and_b64 vcc, exec, s[6:7]
	s_cbranch_vccz .LBB212_2124
; %bb.2122:
	v_mov_b32_e32 v6, 15
	v_cmp_eq_u16_sdwa s[4:5], v35, v6 src0_sel:BYTE_0 src1_sel:DWORD
	s_and_b64 vcc, exec, s[4:5]
	s_cbranch_vccz .LBB212_2127
; %bb.2123:
	global_load_ushort v32, v[2:3], off
	s_mov_b64 s[4:5], 0
	s_mov_b64 s[8:9], -1
	s_branch .LBB212_2128
.LBB212_2124:
	s_mov_b64 s[10:11], -1
                                        ; implicit-def: $vgpr32
	s_branch .LBB212_2129
.LBB212_2125:
	s_or_saveexec_b64 s[8:9], s[8:9]
	v_mov_b32_e32 v7, s12
	s_xor_b64 exec, exec, s[8:9]
	s_cbranch_execz .LBB212_2106
.LBB212_2126:
	v_cmp_ne_u16_e32 vcc, 0, v6
	s_andn2_b64 s[6:7], s[6:7], exec
	s_and_b64 s[10:11], vcc, exec
	v_mov_b32_e32 v7, 0
	s_or_b64 s[6:7], s[6:7], s[10:11]
	s_or_b64 exec, exec, s[8:9]
	s_and_saveexec_b64 s[8:9], s[6:7]
	s_cbranch_execnz .LBB212_2107
	s_branch .LBB212_2108
.LBB212_2127:
	s_mov_b64 s[4:5], -1
                                        ; implicit-def: $vgpr32
.LBB212_2128:
	s_mov_b64 s[10:11], 0
.LBB212_2129:
	s_mov_b64 s[6:7], 0
	s_and_b64 vcc, exec, s[10:11]
	s_cbranch_vccz .LBB212_2131
; %bb.2130:
	v_mov_b32_e32 v6, 11
	v_cmp_ne_u16_sdwa s[4:5], v35, v6 src0_sel:BYTE_0 src1_sel:DWORD
	s_mov_b64 s[6:7], -1
                                        ; implicit-def: $vgpr32
.LBB212_2131:
	s_and_b64 vcc, exec, s[4:5]
	s_cbranch_vccnz .LBB212_2196
; %bb.2132:
	s_andn2_b64 vcc, exec, s[6:7]
	s_cbranch_vccnz .LBB212_2134
.LBB212_2133:
	global_load_ubyte v6, v[2:3], off
	s_mov_b64 s[8:9], -1
	s_waitcnt vmcnt(0)
	v_cmp_ne_u16_e32 vcc, 0, v6
	v_cndmask_b32_e64 v6, 0, 1.0, vcc
	v_lshrrev_b32_e32 v32, 16, v6
.LBB212_2134:
	s_mov_b64 s[4:5], 0
.LBB212_2135:
	s_and_b64 vcc, exec, s[4:5]
	s_cbranch_vccz .LBB212_2184
; %bb.2136:
	v_mov_b32_e32 v6, 5
	v_cmp_lt_i16_sdwa s[4:5], v35, v6 src0_sel:BYTE_0 src1_sel:DWORD
	s_and_b64 vcc, exec, s[4:5]
	s_cbranch_vccnz .LBB212_2141
; %bb.2137:
	v_mov_b32_e32 v6, 8
	v_cmp_lt_i16_sdwa s[4:5], v35, v6 src0_sel:BYTE_0 src1_sel:DWORD
	s_and_b64 vcc, exec, s[4:5]
	s_cbranch_vccnz .LBB212_2142
	;; [unrolled: 5-line block ×3, first 2 shown]
; %bb.2139:
	v_cmp_gt_i16_sdwa s[4:5], v35, v6 src0_sel:BYTE_0 src1_sel:DWORD
	s_and_b64 vcc, exec, s[4:5]
	s_cbranch_vccz .LBB212_2144
; %bb.2140:
	global_load_dwordx2 v[6:7], v[2:3], off
	s_movk_i32 s4, 0x7fff
	v_mov_b32_e32 v8, 0x7fc0
	s_waitcnt vmcnt(0)
	v_cvt_f32_f64_e32 v6, v[6:7]
	v_bfe_u32 v7, v6, 16, 1
	v_add3_u32 v7, v6, v7, s4
	v_lshrrev_b32_e32 v7, 16, v7
	v_cmp_o_f32_e32 vcc, v6, v6
	v_cndmask_b32_e32 v32, v8, v7, vcc
	s_mov_b64 s[4:5], 0
	s_branch .LBB212_2145
.LBB212_2141:
	s_mov_b64 s[4:5], -1
                                        ; implicit-def: $vgpr32
	s_branch .LBB212_2163
.LBB212_2142:
	s_mov_b64 s[4:5], -1
                                        ; implicit-def: $vgpr32
	s_branch .LBB212_2151
.LBB212_2143:
	s_mov_b64 s[4:5], -1
                                        ; implicit-def: $vgpr32
	s_branch .LBB212_2148
.LBB212_2144:
	s_mov_b64 s[4:5], -1
                                        ; implicit-def: $vgpr32
.LBB212_2145:
	s_andn2_b64 vcc, exec, s[4:5]
	s_cbranch_vccnz .LBB212_2147
; %bb.2146:
	global_load_dword v6, v[2:3], off
	s_movk_i32 s4, 0x7fff
	v_mov_b32_e32 v7, 0x7fc0
	s_waitcnt vmcnt(0)
	v_bfe_u32 v8, v6, 16, 1
	v_add3_u32 v8, v6, v8, s4
	v_lshrrev_b32_e32 v8, 16, v8
	v_cmp_o_f32_e32 vcc, v6, v6
	v_cndmask_b32_e32 v32, v7, v8, vcc
.LBB212_2147:
	s_mov_b64 s[4:5], 0
.LBB212_2148:
	s_andn2_b64 vcc, exec, s[4:5]
	s_cbranch_vccnz .LBB212_2150
; %bb.2149:
	global_load_dword v6, v[2:3], off
	s_movk_i32 s4, 0x7fff
	v_mov_b32_e32 v8, 0x7fc0
	s_waitcnt vmcnt(0)
	v_cvt_f32_f16_e32 v7, v6
	v_cmp_o_f16_e32 vcc, v6, v6
	v_bfe_u32 v9, v7, 16, 1
	v_add3_u32 v7, v7, v9, s4
	v_lshrrev_b32_e32 v7, 16, v7
	v_cndmask_b32_e32 v32, v8, v7, vcc
.LBB212_2150:
	s_mov_b64 s[4:5], 0
.LBB212_2151:
	s_andn2_b64 vcc, exec, s[4:5]
	s_cbranch_vccnz .LBB212_2162
; %bb.2152:
	v_mov_b32_e32 v6, 6
	v_cmp_lt_i16_sdwa s[4:5], v35, v6 src0_sel:BYTE_0 src1_sel:DWORD
	s_and_b64 vcc, exec, s[4:5]
	s_cbranch_vccnz .LBB212_2155
; %bb.2153:
	v_cmp_gt_i16_sdwa s[4:5], v35, v6 src0_sel:BYTE_0 src1_sel:DWORD
	s_and_b64 vcc, exec, s[4:5]
	s_cbranch_vccz .LBB212_2156
; %bb.2154:
	global_load_dwordx2 v[6:7], v[2:3], off
	s_movk_i32 s4, 0x7fff
	v_mov_b32_e32 v8, 0x7fc0
	s_waitcnt vmcnt(0)
	v_cvt_f32_f64_e32 v6, v[6:7]
	v_bfe_u32 v7, v6, 16, 1
	v_add3_u32 v7, v6, v7, s4
	v_lshrrev_b32_e32 v7, 16, v7
	v_cmp_o_f32_e32 vcc, v6, v6
	v_cndmask_b32_e32 v32, v8, v7, vcc
	s_mov_b64 s[4:5], 0
	s_branch .LBB212_2157
.LBB212_2155:
	s_mov_b64 s[4:5], -1
                                        ; implicit-def: $vgpr32
	s_branch .LBB212_2160
.LBB212_2156:
	s_mov_b64 s[4:5], -1
                                        ; implicit-def: $vgpr32
.LBB212_2157:
	s_andn2_b64 vcc, exec, s[4:5]
	s_cbranch_vccnz .LBB212_2159
; %bb.2158:
	global_load_dword v6, v[2:3], off
	s_movk_i32 s4, 0x7fff
	v_mov_b32_e32 v7, 0x7fc0
	s_waitcnt vmcnt(0)
	v_bfe_u32 v8, v6, 16, 1
	v_add3_u32 v8, v6, v8, s4
	v_lshrrev_b32_e32 v8, 16, v8
	v_cmp_o_f32_e32 vcc, v6, v6
	v_cndmask_b32_e32 v32, v7, v8, vcc
.LBB212_2159:
	s_mov_b64 s[4:5], 0
.LBB212_2160:
	s_andn2_b64 vcc, exec, s[4:5]
	s_cbranch_vccnz .LBB212_2162
; %bb.2161:
	global_load_ushort v6, v[2:3], off
	s_movk_i32 s4, 0x7fff
	v_mov_b32_e32 v8, 0x7fc0
	s_waitcnt vmcnt(0)
	v_cvt_f32_f16_e32 v7, v6
	v_cmp_o_f16_e32 vcc, v6, v6
	v_bfe_u32 v9, v7, 16, 1
	v_add3_u32 v7, v7, v9, s4
	v_lshrrev_b32_e32 v7, 16, v7
	v_cndmask_b32_e32 v32, v8, v7, vcc
.LBB212_2162:
	s_mov_b64 s[4:5], 0
.LBB212_2163:
	s_andn2_b64 vcc, exec, s[4:5]
	s_cbranch_vccnz .LBB212_2183
; %bb.2164:
	v_mov_b32_e32 v6, 2
	v_cmp_lt_i16_sdwa s[4:5], v35, v6 src0_sel:BYTE_0 src1_sel:DWORD
	s_and_b64 vcc, exec, s[4:5]
	s_cbranch_vccnz .LBB212_2168
; %bb.2165:
	v_mov_b32_e32 v6, 3
	v_cmp_lt_i16_sdwa s[4:5], v35, v6 src0_sel:BYTE_0 src1_sel:DWORD
	s_and_b64 vcc, exec, s[4:5]
	s_cbranch_vccnz .LBB212_2169
; %bb.2166:
	v_cmp_gt_i16_sdwa s[4:5], v35, v6 src0_sel:BYTE_0 src1_sel:DWORD
	s_and_b64 vcc, exec, s[4:5]
	s_cbranch_vccz .LBB212_2170
; %bb.2167:
	global_load_dwordx2 v[6:7], v[2:3], off
	s_movk_i32 s4, 0x7fff
	s_waitcnt vmcnt(0)
	v_xor_b32_e32 v9, v6, v7
	v_ffbh_i32_e32 v8, v7
	v_ashrrev_i32_e32 v9, 31, v9
	v_add_u32_e32 v8, -1, v8
	v_add_u32_e32 v9, 32, v9
	v_min_u32_e32 v8, v8, v9
	v_lshlrev_b64 v[6:7], v8, v[6:7]
	v_min_u32_e32 v6, 1, v6
	v_or_b32_e32 v6, v7, v6
	v_cvt_f32_i32_e32 v6, v6
	v_sub_u32_e32 v7, 32, v8
	v_ldexp_f32 v6, v6, v7
	v_bfe_u32 v7, v6, 16, 1
	v_add3_u32 v6, v6, v7, s4
	v_lshrrev_b32_e32 v32, 16, v6
	s_mov_b64 s[4:5], 0
	s_branch .LBB212_2171
.LBB212_2168:
	s_mov_b64 s[4:5], -1
                                        ; implicit-def: $vgpr32
	s_branch .LBB212_2177
.LBB212_2169:
	s_mov_b64 s[4:5], -1
                                        ; implicit-def: $vgpr32
	s_branch .LBB212_2174
.LBB212_2170:
	s_mov_b64 s[4:5], -1
                                        ; implicit-def: $vgpr32
.LBB212_2171:
	s_andn2_b64 vcc, exec, s[4:5]
	s_cbranch_vccnz .LBB212_2173
; %bb.2172:
	global_load_dword v6, v[2:3], off
	s_movk_i32 s4, 0x7fff
	s_waitcnt vmcnt(0)
	v_cvt_f32_i32_e32 v6, v6
	v_bfe_u32 v7, v6, 16, 1
	v_add3_u32 v6, v6, v7, s4
	v_lshrrev_b32_e32 v32, 16, v6
.LBB212_2173:
	s_mov_b64 s[4:5], 0
.LBB212_2174:
	s_andn2_b64 vcc, exec, s[4:5]
	s_cbranch_vccnz .LBB212_2176
; %bb.2175:
	global_load_sshort v6, v[2:3], off
	s_movk_i32 s4, 0x7fff
	s_waitcnt vmcnt(0)
	v_cvt_f32_i32_e32 v6, v6
	v_bfe_u32 v7, v6, 16, 1
	v_add3_u32 v6, v6, v7, s4
	v_lshrrev_b32_e32 v32, 16, v6
.LBB212_2176:
	s_mov_b64 s[4:5], 0
.LBB212_2177:
	s_andn2_b64 vcc, exec, s[4:5]
	s_cbranch_vccnz .LBB212_2183
; %bb.2178:
	v_mov_b32_e32 v6, 0
	v_cmp_gt_i16_sdwa s[4:5], v35, v6 src0_sel:BYTE_0 src1_sel:DWORD
	s_and_b64 vcc, exec, s[4:5]
	s_cbranch_vccz .LBB212_2180
; %bb.2179:
	global_load_sbyte v6, v[2:3], off
	s_movk_i32 s4, 0x7fff
	s_waitcnt vmcnt(0)
	v_cvt_f32_i32_e32 v6, v6
	v_bfe_u32 v7, v6, 16, 1
	v_add3_u32 v6, v6, v7, s4
	v_lshrrev_b32_e32 v32, 16, v6
	s_mov_b64 s[4:5], 0
	s_branch .LBB212_2181
.LBB212_2180:
	s_mov_b64 s[4:5], -1
                                        ; implicit-def: $vgpr32
.LBB212_2181:
	s_andn2_b64 vcc, exec, s[4:5]
	s_cbranch_vccnz .LBB212_2183
; %bb.2182:
	global_load_ubyte v2, v[2:3], off
	s_movk_i32 s4, 0x7fff
	s_waitcnt vmcnt(0)
	v_cvt_f32_ubyte0_e32 v2, v2
	v_bfe_u32 v3, v2, 16, 1
	v_add3_u32 v2, v2, v3, s4
	v_lshrrev_b32_e32 v32, 16, v2
.LBB212_2183:
	s_mov_b64 s[8:9], -1
.LBB212_2184:
	s_andn2_b64 vcc, exec, s[8:9]
	s_cbranch_vccnz .LBB212_3030
; %bb.2185:
	v_add_u32_e32 v4, s15, v4
	v_ashrrev_i32_e32 v3, 31, v4
	v_mov_b32_e32 v6, s23
	v_add_co_u32_e32 v2, vcc, s22, v4
	v_addc_co_u32_e32 v3, vcc, v6, v3, vcc
	v_mov_b32_e32 v6, 11
	v_cmp_lt_i16_sdwa s[4:5], v38, v6 src0_sel:BYTE_0 src1_sel:DWORD
	s_and_b64 vcc, exec, s[4:5]
	s_cbranch_vccnz .LBB212_2192
; %bb.2186:
	v_mov_b32_e32 v6, 25
	v_cmp_gt_i16_sdwa s[4:5], v38, v6 src0_sel:BYTE_0 src1_sel:DWORD
	s_mov_b64 s[6:7], 0
	s_and_b64 vcc, exec, s[4:5]
	s_cbranch_vccz .LBB212_2193
; %bb.2187:
	v_mov_b32_e32 v6, 28
	v_cmp_gt_i16_sdwa s[4:5], v38, v6 src0_sel:BYTE_0 src1_sel:DWORD
	s_and_b64 vcc, exec, s[4:5]
	s_cbranch_vccz .LBB212_2194
; %bb.2188:
	v_mov_b32_e32 v6, 43
	v_cmp_gt_i16_sdwa s[4:5], v38, v6 src0_sel:BYTE_0 src1_sel:DWORD
	;; [unrolled: 5-line block ×3, first 2 shown]
	s_and_b64 vcc, exec, s[4:5]
	s_cbranch_vccz .LBB212_2197
; %bb.2190:
	v_mov_b32_e32 v6, 46
	v_cmp_eq_u16_sdwa s[4:5], v38, v6 src0_sel:BYTE_0 src1_sel:DWORD
	s_mov_b64 s[10:11], 0
	s_and_b64 vcc, exec, s[4:5]
	s_cbranch_vccz .LBB212_2200
; %bb.2191:
	global_load_dword v33, v[2:3], off
	s_mov_b64 s[4:5], 0
	s_mov_b64 s[8:9], -1
	s_branch .LBB212_2201
.LBB212_2192:
	s_mov_b64 s[4:5], -1
	s_mov_b64 s[8:9], 0
                                        ; implicit-def: $vgpr33
	s_branch .LBB212_2267
.LBB212_2193:
	s_mov_b64 s[10:11], -1
	s_mov_b64 s[8:9], 0
	s_mov_b64 s[4:5], 0
                                        ; implicit-def: $vgpr33
	s_branch .LBB212_2230
.LBB212_2194:
	s_mov_b64 s[10:11], -1
	s_mov_b64 s[8:9], 0
	s_mov_b64 s[4:5], 0
                                        ; implicit-def: $vgpr33
	s_branch .LBB212_2211
.LBB212_2195:
	s_mov_b64 s[10:11], -1
	s_mov_b64 s[8:9], 0
	s_mov_b64 s[4:5], 0
                                        ; implicit-def: $vgpr33
	s_branch .LBB212_2206
.LBB212_2196:
	s_trap 2
	s_or_b64 s[42:43], s[42:43], exec
                                        ; implicit-def: $vgpr32
	s_cbranch_execz .LBB212_2133
	s_branch .LBB212_2134
.LBB212_2197:
	s_mov_b64 s[10:11], -1
	s_mov_b64 s[8:9], 0
	s_mov_b64 s[4:5], 0
                                        ; implicit-def: $vgpr33
	s_branch .LBB212_2201
.LBB212_2198:
	s_or_saveexec_b64 s[10:11], s[10:11]
                                        ; implicit-def: $sgpr12
	s_xor_b64 exec, exec, s[10:11]
	s_cbranch_execz .LBB212_1083
.LBB212_2199:
	s_mov_b32 s12, 0x42800000
	v_add_f32_e64 v4, |v5|, s12
	v_and_b32_e32 v4, 0xff, v4
	v_cmp_ne_u32_e32 vcc, 0, v4
	s_andn2_b64 s[8:9], s[8:9], exec
	s_and_b64 s[14:15], vcc, exec
	s_mov_b32 s12, 0
	s_or_b64 s[8:9], s[8:9], s[14:15]
	s_or_b64 exec, exec, s[10:11]
	v_mov_b32_e32 v6, s12
	s_and_saveexec_b64 s[10:11], s[8:9]
	s_cbranch_execnz .LBB212_1084
	s_branch .LBB212_1085
.LBB212_2200:
	s_mov_b64 s[4:5], -1
                                        ; implicit-def: $vgpr33
	s_mov_b64 s[8:9], 0
.LBB212_2201:
	s_and_b64 vcc, exec, s[10:11]
	s_cbranch_vccz .LBB212_2205
; %bb.2202:
	v_mov_b32_e32 v6, 44
	v_cmp_eq_u16_sdwa s[4:5], v38, v6 src0_sel:BYTE_0 src1_sel:DWORD
	s_and_b64 vcc, exec, s[4:5]
	s_cbranch_vccz .LBB212_2204
; %bb.2203:
	global_load_ubyte v6, v[2:3], off
	s_movk_i32 s8, 0xff
	v_mov_b32_e32 v7, 0x7f800001
	v_mov_b32_e32 v8, 0x400000
	;; [unrolled: 1-line block ×3, first 2 shown]
	s_mov_b64 s[4:5], 0
	s_waitcnt vmcnt(0)
	v_lshlrev_b32_e32 v10, 23, v6
	v_cmp_ne_u32_e32 vcc, s8, v6
	v_cndmask_b32_e32 v7, v7, v10, vcc
	v_cmp_ne_u32_e32 vcc, 0, v6
	v_cndmask_b32_e32 v6, v8, v7, vcc
	v_add_u32_e32 v7, 0x7fff, v6
	v_lshrrev_b32_e32 v7, 16, v7
	v_cmp_o_f32_e32 vcc, v6, v6
	v_cndmask_b32_e32 v33, v9, v7, vcc
	s_mov_b64 s[8:9], -1
	s_branch .LBB212_2205
.LBB212_2204:
	s_mov_b64 s[4:5], -1
                                        ; implicit-def: $vgpr33
.LBB212_2205:
	s_mov_b64 s[10:11], 0
.LBB212_2206:
	s_and_b64 vcc, exec, s[10:11]
	s_cbranch_vccz .LBB212_2210
; %bb.2207:
	v_mov_b32_e32 v6, 29
	v_cmp_eq_u16_sdwa s[4:5], v38, v6 src0_sel:BYTE_0 src1_sel:DWORD
	s_and_b64 vcc, exec, s[4:5]
	s_cbranch_vccz .LBB212_2209
; %bb.2208:
	global_load_dwordx2 v[6:7], v[2:3], off
	s_movk_i32 s8, 0x7fff
	s_mov_b64 s[4:5], 0
	s_mov_b64 s[10:11], 0
	s_waitcnt vmcnt(0)
	v_ffbh_u32_e32 v8, v7
	v_min_u32_e32 v8, 32, v8
	v_lshlrev_b64 v[6:7], v8, v[6:7]
	v_min_u32_e32 v6, 1, v6
	v_or_b32_e32 v6, v7, v6
	v_cvt_f32_u32_e32 v6, v6
	v_sub_u32_e32 v7, 32, v8
	v_ldexp_f32 v6, v6, v7
	v_bfe_u32 v7, v6, 16, 1
	v_add3_u32 v6, v6, v7, s8
	v_lshrrev_b32_e32 v33, 16, v6
	s_mov_b64 s[8:9], -1
	s_branch .LBB212_2211
.LBB212_2209:
	s_mov_b64 s[4:5], -1
                                        ; implicit-def: $vgpr33
.LBB212_2210:
	s_mov_b64 s[10:11], 0
.LBB212_2211:
	s_and_b64 vcc, exec, s[10:11]
	s_cbranch_vccz .LBB212_2229
; %bb.2212:
	v_mov_b32_e32 v6, 27
	v_cmp_lt_i16_sdwa s[8:9], v38, v6 src0_sel:BYTE_0 src1_sel:DWORD
	s_and_b64 vcc, exec, s[8:9]
	s_cbranch_vccnz .LBB212_2215
; %bb.2213:
	v_cmp_gt_i16_sdwa s[8:9], v38, v6 src0_sel:BYTE_0 src1_sel:DWORD
	s_and_b64 vcc, exec, s[8:9]
	s_cbranch_vccz .LBB212_2216
; %bb.2214:
	global_load_dword v6, v[2:3], off
	s_movk_i32 s8, 0x7fff
	s_waitcnt vmcnt(0)
	v_cvt_f32_u32_e32 v6, v6
	v_bfe_u32 v7, v6, 16, 1
	v_add3_u32 v6, v6, v7, s8
	v_lshrrev_b32_e32 v33, 16, v6
	s_mov_b64 s[8:9], 0
	s_branch .LBB212_2217
.LBB212_2215:
	s_mov_b64 s[8:9], -1
                                        ; implicit-def: $vgpr33
	s_branch .LBB212_2220
.LBB212_2216:
	s_mov_b64 s[8:9], -1
                                        ; implicit-def: $vgpr33
.LBB212_2217:
	s_andn2_b64 vcc, exec, s[8:9]
	s_cbranch_vccnz .LBB212_2219
; %bb.2218:
	global_load_ushort v6, v[2:3], off
	s_movk_i32 s8, 0x7fff
	s_waitcnt vmcnt(0)
	v_cvt_f32_u32_e32 v6, v6
	v_bfe_u32 v7, v6, 16, 1
	v_add3_u32 v6, v6, v7, s8
	v_lshrrev_b32_e32 v33, 16, v6
.LBB212_2219:
	s_mov_b64 s[8:9], 0
.LBB212_2220:
	s_andn2_b64 vcc, exec, s[8:9]
	s_cbranch_vccnz .LBB212_2228
; %bb.2221:
	global_load_ubyte v6, v[2:3], off
	s_movk_i32 s8, 0x7f
                                        ; implicit-def: $sgpr16
	s_waitcnt vmcnt(0)
	v_cmp_lt_i16_e32 vcc, s8, v6
	s_mov_b64 s[8:9], 0
	s_and_saveexec_b64 s[10:11], vcc
	s_xor_b64 s[10:11], exec, s[10:11]
	s_cbranch_execz .LBB212_2242
; %bb.2222:
	s_movk_i32 s8, 0x80
	v_cmp_eq_u16_e32 vcc, s8, v6
	s_mov_b64 s[8:9], -1
                                        ; implicit-def: $sgpr16
	s_and_saveexec_b64 s[12:13], vcc
; %bb.2223:
	s_mov_b32 s16, 0x7f800001
	s_xor_b64 s[8:9], exec, -1
; %bb.2224:
	s_or_b64 exec, exec, s[12:13]
	s_and_b64 s[8:9], s[8:9], exec
	s_or_saveexec_b64 s[10:11], s[10:11]
	v_mov_b32_e32 v7, s16
	s_xor_b64 exec, exec, s[10:11]
	s_cbranch_execnz .LBB212_2243
.LBB212_2225:
	s_or_b64 exec, exec, s[10:11]
	s_and_saveexec_b64 s[10:11], s[8:9]
	s_cbranch_execz .LBB212_2227
.LBB212_2226:
	v_lshlrev_b32_e32 v7, 24, v6
	v_and_b32_e32 v6, 0xffff, v6
	v_and_b32_e32 v8, 7, v6
	v_ffbh_u32_e32 v10, v8
	v_min_u32_e32 v10, 32, v10
	v_subrev_u32_e32 v11, 28, v10
	v_bfe_u32 v9, v6, 3, 4
	v_lshlrev_b32_e32 v6, v11, v6
	v_sub_u32_e32 v10, 29, v10
	v_and_b32_e32 v6, 7, v6
	v_cmp_eq_u32_e32 vcc, 0, v9
	v_cndmask_b32_e32 v9, v9, v10, vcc
	v_cndmask_b32_e32 v6, v8, v6, vcc
	v_mov_b32_e32 v8, 0x3b800000
	v_lshlrev_b32_e32 v6, 20, v6
	v_and_b32_e32 v7, 0x80000000, v7
	v_lshl_add_u32 v8, v9, 23, v8
	v_or3_b32 v7, v7, v8, v6
.LBB212_2227:
	s_or_b64 exec, exec, s[10:11]
	v_bfe_u32 v6, v7, 16, 1
	s_movk_i32 s8, 0x7fff
	v_add3_u32 v6, v7, v6, s8
	v_lshrrev_b32_e32 v6, 16, v6
	v_mov_b32_e32 v8, 0x7fc0
	v_cmp_o_f32_e32 vcc, v7, v7
	v_cndmask_b32_e32 v33, v8, v6, vcc
.LBB212_2228:
	s_mov_b64 s[8:9], -1
.LBB212_2229:
	s_mov_b64 s[10:11], 0
.LBB212_2230:
	s_and_b64 vcc, exec, s[10:11]
	s_cbranch_vccz .LBB212_2263
; %bb.2231:
	v_mov_b32_e32 v6, 22
	v_cmp_gt_i16_sdwa s[6:7], v38, v6 src0_sel:BYTE_0 src1_sel:DWORD
	s_and_b64 vcc, exec, s[6:7]
	s_cbranch_vccz .LBB212_2241
; %bb.2232:
	v_mov_b32_e32 v6, 24
	v_cmp_lt_i16_sdwa s[6:7], v38, v6 src0_sel:BYTE_0 src1_sel:DWORD
	s_and_b64 vcc, exec, s[6:7]
	s_cbranch_vccnz .LBB212_2244
; %bb.2233:
	v_cmp_gt_i16_sdwa s[6:7], v38, v6 src0_sel:BYTE_0 src1_sel:DWORD
	s_and_b64 vcc, exec, s[6:7]
	s_cbranch_vccz .LBB212_2245
; %bb.2234:
	global_load_ubyte v6, v[2:3], off
	s_movk_i32 s6, 0x7f
                                        ; implicit-def: $sgpr12
	s_waitcnt vmcnt(0)
	v_cmp_lt_i16_e32 vcc, s6, v6
	s_mov_b64 s[6:7], 0
	s_and_saveexec_b64 s[8:9], vcc
	s_xor_b64 s[8:9], exec, s[8:9]
	s_cbranch_execz .LBB212_2257
; %bb.2235:
	s_movk_i32 s6, 0x80
	v_cmp_eq_u16_e32 vcc, s6, v6
	s_mov_b64 s[6:7], -1
                                        ; implicit-def: $sgpr12
	s_and_saveexec_b64 s[10:11], vcc
; %bb.2236:
	s_mov_b32 s12, 0x7f800001
	s_xor_b64 s[6:7], exec, -1
; %bb.2237:
	s_or_b64 exec, exec, s[10:11]
	s_and_b64 s[6:7], s[6:7], exec
	s_or_saveexec_b64 s[8:9], s[8:9]
	v_mov_b32_e32 v7, s12
	s_xor_b64 exec, exec, s[8:9]
	s_cbranch_execnz .LBB212_2258
.LBB212_2238:
	s_or_b64 exec, exec, s[8:9]
	s_and_saveexec_b64 s[8:9], s[6:7]
	s_cbranch_execz .LBB212_2240
.LBB212_2239:
	v_lshlrev_b32_e32 v7, 24, v6
	v_and_b32_e32 v6, 0xffff, v6
	v_and_b32_e32 v8, 3, v6
	v_ffbh_u32_e32 v10, v8
	v_min_u32_e32 v10, 32, v10
	v_subrev_u32_e32 v11, 29, v10
	v_bfe_u32 v9, v6, 2, 5
	v_lshlrev_b32_e32 v6, v11, v6
	v_sub_u32_e32 v10, 30, v10
	v_and_b32_e32 v6, 3, v6
	v_cmp_eq_u32_e32 vcc, 0, v9
	v_cndmask_b32_e32 v9, v9, v10, vcc
	v_cndmask_b32_e32 v6, v8, v6, vcc
	v_mov_b32_e32 v8, 0x37800000
	v_lshlrev_b32_e32 v6, 21, v6
	v_and_b32_e32 v7, 0x80000000, v7
	v_lshl_add_u32 v8, v9, 23, v8
	v_or3_b32 v7, v7, v8, v6
.LBB212_2240:
	s_or_b64 exec, exec, s[8:9]
	v_bfe_u32 v6, v7, 16, 1
	s_movk_i32 s6, 0x7fff
	v_add3_u32 v6, v7, v6, s6
	v_lshrrev_b32_e32 v6, 16, v6
	v_mov_b32_e32 v8, 0x7fc0
	v_cmp_o_f32_e32 vcc, v7, v7
	v_cndmask_b32_e32 v33, v8, v6, vcc
	s_mov_b64 s[6:7], 0
	s_branch .LBB212_2246
.LBB212_2241:
	s_mov_b64 s[6:7], -1
                                        ; implicit-def: $vgpr33
	s_branch .LBB212_2252
.LBB212_2242:
	s_or_saveexec_b64 s[10:11], s[10:11]
	v_mov_b32_e32 v7, s16
	s_xor_b64 exec, exec, s[10:11]
	s_cbranch_execz .LBB212_2225
.LBB212_2243:
	v_cmp_ne_u16_e32 vcc, 0, v6
	s_andn2_b64 s[8:9], s[8:9], exec
	s_and_b64 s[12:13], vcc, exec
	v_mov_b32_e32 v7, 0
	s_or_b64 s[8:9], s[8:9], s[12:13]
	s_or_b64 exec, exec, s[10:11]
	s_and_saveexec_b64 s[10:11], s[8:9]
	s_cbranch_execnz .LBB212_2226
	s_branch .LBB212_2227
.LBB212_2244:
	s_mov_b64 s[6:7], -1
                                        ; implicit-def: $vgpr33
	s_branch .LBB212_2249
.LBB212_2245:
	s_mov_b64 s[6:7], -1
                                        ; implicit-def: $vgpr33
.LBB212_2246:
	s_and_b64 vcc, exec, s[6:7]
	s_cbranch_vccz .LBB212_2248
; %bb.2247:
	global_load_ubyte v6, v[2:3], off
	s_mov_b32 s6, 0x7f800000
	s_brev_b32 s7, 1
	s_movk_i32 s8, 0x7fff
	v_mov_b32_e32 v7, 0x7fc0
	s_waitcnt vmcnt(0)
	v_lshlrev_b32_e32 v6, 24, v6
	v_and_b32_e32 v8, 0x7f000000, v6
	v_ffbh_u32_e32 v9, v8
	v_min_u32_e32 v9, 32, v9
	v_sub_u32_e64 v9, v9, 4 clamp
	v_lshlrev_b32_e32 v11, v9, v8
	v_lshlrev_b32_e32 v9, 23, v9
	v_lshrrev_b32_e32 v11, 4, v11
	v_add_u32_e32 v10, 0x1000000, v8
	v_sub_u32_e32 v9, v11, v9
	v_ashrrev_i32_e32 v10, 8, v10
	v_add_u32_e32 v9, 0x3c000000, v9
	v_and_or_b32 v9, v10, s6, v9
	v_cmp_ne_u32_e32 vcc, 0, v8
	v_cndmask_b32_e32 v8, 0, v9, vcc
	v_and_or_b32 v6, v6, s7, v8
	v_bfe_u32 v8, v8, 16, 1
	v_add3_u32 v8, v6, v8, s8
	v_lshrrev_b32_e32 v8, 16, v8
	v_cmp_o_f32_e32 vcc, v6, v6
	v_cndmask_b32_e32 v33, v7, v8, vcc
.LBB212_2248:
	s_mov_b64 s[6:7], 0
.LBB212_2249:
	s_andn2_b64 vcc, exec, s[6:7]
	s_cbranch_vccnz .LBB212_2251
; %bb.2250:
	global_load_ubyte v6, v[2:3], off
	s_movk_i32 s6, 0x7f00
	s_brev_b32 s7, 16
	s_brev_b32 s8, 1
	s_movk_i32 s9, 0x7fff
	v_mov_b32_e32 v7, 0x7fc0
	s_waitcnt vmcnt(0)
	v_lshlrev_b16_e32 v8, 8, v6
	v_lshlrev_b32_e32 v6, 25, v6
	v_lshrrev_b32_e32 v9, 4, v6
	v_and_or_b32 v10, v8, s6, 0.5
	v_or_b32_e32 v9, 0x70000000, v9
	v_add_f32_e32 v10, -0.5, v10
	v_mul_f32_e32 v9, 0x7800000, v9
	v_cmp_gt_u32_e32 vcc, s7, v6
	v_bfe_i32 v8, v8, 0, 16
	v_cndmask_b32_e32 v6, v9, v10, vcc
	v_and_or_b32 v8, v8, s8, v6
	v_bfe_u32 v6, v6, 16, 1
	v_add3_u32 v6, v8, v6, s9
	v_lshrrev_b32_e32 v6, 16, v6
	v_cmp_o_f32_e32 vcc, v8, v8
	v_cndmask_b32_e32 v33, v7, v6, vcc
.LBB212_2251:
	s_mov_b64 s[6:7], 0
	s_mov_b64 s[8:9], -1
.LBB212_2252:
	s_andn2_b64 vcc, exec, s[6:7]
	s_mov_b64 s[6:7], 0
	s_cbranch_vccnz .LBB212_2263
; %bb.2253:
	v_mov_b32_e32 v6, 14
	v_cmp_gt_i16_sdwa s[6:7], v38, v6 src0_sel:BYTE_0 src1_sel:DWORD
	s_and_b64 vcc, exec, s[6:7]
	s_cbranch_vccz .LBB212_2256
; %bb.2254:
	v_mov_b32_e32 v6, 15
	v_cmp_eq_u16_sdwa s[4:5], v38, v6 src0_sel:BYTE_0 src1_sel:DWORD
	s_and_b64 vcc, exec, s[4:5]
	s_cbranch_vccz .LBB212_2259
; %bb.2255:
	global_load_ushort v33, v[2:3], off
	s_mov_b64 s[4:5], 0
	s_mov_b64 s[8:9], -1
	s_branch .LBB212_2260
.LBB212_2256:
	s_mov_b64 s[10:11], -1
                                        ; implicit-def: $vgpr33
	s_branch .LBB212_2261
.LBB212_2257:
	s_or_saveexec_b64 s[8:9], s[8:9]
	v_mov_b32_e32 v7, s12
	s_xor_b64 exec, exec, s[8:9]
	s_cbranch_execz .LBB212_2238
.LBB212_2258:
	v_cmp_ne_u16_e32 vcc, 0, v6
	s_andn2_b64 s[6:7], s[6:7], exec
	s_and_b64 s[10:11], vcc, exec
	v_mov_b32_e32 v7, 0
	s_or_b64 s[6:7], s[6:7], s[10:11]
	s_or_b64 exec, exec, s[8:9]
	s_and_saveexec_b64 s[8:9], s[6:7]
	s_cbranch_execnz .LBB212_2239
	s_branch .LBB212_2240
.LBB212_2259:
	s_mov_b64 s[4:5], -1
                                        ; implicit-def: $vgpr33
.LBB212_2260:
	s_mov_b64 s[10:11], 0
.LBB212_2261:
	s_mov_b64 s[6:7], 0
	s_and_b64 vcc, exec, s[10:11]
	s_cbranch_vccz .LBB212_2263
; %bb.2262:
	v_mov_b32_e32 v6, 11
	v_cmp_ne_u16_sdwa s[4:5], v38, v6 src0_sel:BYTE_0 src1_sel:DWORD
	s_mov_b64 s[6:7], -1
                                        ; implicit-def: $vgpr33
.LBB212_2263:
	s_and_b64 vcc, exec, s[4:5]
	s_cbranch_vccnz .LBB212_2328
; %bb.2264:
	s_andn2_b64 vcc, exec, s[6:7]
	s_cbranch_vccnz .LBB212_2266
.LBB212_2265:
	global_load_ubyte v6, v[2:3], off
	s_mov_b64 s[8:9], -1
	s_waitcnt vmcnt(0)
	v_cmp_ne_u16_e32 vcc, 0, v6
	v_cndmask_b32_e64 v6, 0, 1.0, vcc
	v_lshrrev_b32_e32 v33, 16, v6
.LBB212_2266:
	s_mov_b64 s[4:5], 0
.LBB212_2267:
	s_and_b64 vcc, exec, s[4:5]
	s_cbranch_vccz .LBB212_2316
; %bb.2268:
	v_mov_b32_e32 v6, 5
	v_cmp_lt_i16_sdwa s[4:5], v38, v6 src0_sel:BYTE_0 src1_sel:DWORD
	s_and_b64 vcc, exec, s[4:5]
	s_cbranch_vccnz .LBB212_2273
; %bb.2269:
	v_mov_b32_e32 v6, 8
	v_cmp_lt_i16_sdwa s[4:5], v38, v6 src0_sel:BYTE_0 src1_sel:DWORD
	s_and_b64 vcc, exec, s[4:5]
	s_cbranch_vccnz .LBB212_2274
	;; [unrolled: 5-line block ×3, first 2 shown]
; %bb.2271:
	v_cmp_gt_i16_sdwa s[4:5], v38, v6 src0_sel:BYTE_0 src1_sel:DWORD
	s_and_b64 vcc, exec, s[4:5]
	s_cbranch_vccz .LBB212_2276
; %bb.2272:
	global_load_dwordx2 v[6:7], v[2:3], off
	s_movk_i32 s4, 0x7fff
	v_mov_b32_e32 v8, 0x7fc0
	s_waitcnt vmcnt(0)
	v_cvt_f32_f64_e32 v6, v[6:7]
	v_bfe_u32 v7, v6, 16, 1
	v_add3_u32 v7, v6, v7, s4
	v_lshrrev_b32_e32 v7, 16, v7
	v_cmp_o_f32_e32 vcc, v6, v6
	v_cndmask_b32_e32 v33, v8, v7, vcc
	s_mov_b64 s[4:5], 0
	s_branch .LBB212_2277
.LBB212_2273:
	s_mov_b64 s[4:5], -1
                                        ; implicit-def: $vgpr33
	s_branch .LBB212_2295
.LBB212_2274:
	s_mov_b64 s[4:5], -1
                                        ; implicit-def: $vgpr33
	s_branch .LBB212_2283
.LBB212_2275:
	s_mov_b64 s[4:5], -1
                                        ; implicit-def: $vgpr33
	s_branch .LBB212_2280
.LBB212_2276:
	s_mov_b64 s[4:5], -1
                                        ; implicit-def: $vgpr33
.LBB212_2277:
	s_andn2_b64 vcc, exec, s[4:5]
	s_cbranch_vccnz .LBB212_2279
; %bb.2278:
	global_load_dword v6, v[2:3], off
	s_movk_i32 s4, 0x7fff
	v_mov_b32_e32 v7, 0x7fc0
	s_waitcnt vmcnt(0)
	v_bfe_u32 v8, v6, 16, 1
	v_add3_u32 v8, v6, v8, s4
	v_lshrrev_b32_e32 v8, 16, v8
	v_cmp_o_f32_e32 vcc, v6, v6
	v_cndmask_b32_e32 v33, v7, v8, vcc
.LBB212_2279:
	s_mov_b64 s[4:5], 0
.LBB212_2280:
	s_andn2_b64 vcc, exec, s[4:5]
	s_cbranch_vccnz .LBB212_2282
; %bb.2281:
	global_load_dword v6, v[2:3], off
	s_movk_i32 s4, 0x7fff
	v_mov_b32_e32 v8, 0x7fc0
	s_waitcnt vmcnt(0)
	v_cvt_f32_f16_e32 v7, v6
	v_cmp_o_f16_e32 vcc, v6, v6
	v_bfe_u32 v9, v7, 16, 1
	v_add3_u32 v7, v7, v9, s4
	v_lshrrev_b32_e32 v7, 16, v7
	v_cndmask_b32_e32 v33, v8, v7, vcc
.LBB212_2282:
	s_mov_b64 s[4:5], 0
.LBB212_2283:
	s_andn2_b64 vcc, exec, s[4:5]
	s_cbranch_vccnz .LBB212_2294
; %bb.2284:
	v_mov_b32_e32 v6, 6
	v_cmp_lt_i16_sdwa s[4:5], v38, v6 src0_sel:BYTE_0 src1_sel:DWORD
	s_and_b64 vcc, exec, s[4:5]
	s_cbranch_vccnz .LBB212_2287
; %bb.2285:
	v_cmp_gt_i16_sdwa s[4:5], v38, v6 src0_sel:BYTE_0 src1_sel:DWORD
	s_and_b64 vcc, exec, s[4:5]
	s_cbranch_vccz .LBB212_2288
; %bb.2286:
	global_load_dwordx2 v[6:7], v[2:3], off
	s_movk_i32 s4, 0x7fff
	v_mov_b32_e32 v8, 0x7fc0
	s_waitcnt vmcnt(0)
	v_cvt_f32_f64_e32 v6, v[6:7]
	v_bfe_u32 v7, v6, 16, 1
	v_add3_u32 v7, v6, v7, s4
	v_lshrrev_b32_e32 v7, 16, v7
	v_cmp_o_f32_e32 vcc, v6, v6
	v_cndmask_b32_e32 v33, v8, v7, vcc
	s_mov_b64 s[4:5], 0
	s_branch .LBB212_2289
.LBB212_2287:
	s_mov_b64 s[4:5], -1
                                        ; implicit-def: $vgpr33
	s_branch .LBB212_2292
.LBB212_2288:
	s_mov_b64 s[4:5], -1
                                        ; implicit-def: $vgpr33
.LBB212_2289:
	s_andn2_b64 vcc, exec, s[4:5]
	s_cbranch_vccnz .LBB212_2291
; %bb.2290:
	global_load_dword v6, v[2:3], off
	s_movk_i32 s4, 0x7fff
	v_mov_b32_e32 v7, 0x7fc0
	s_waitcnt vmcnt(0)
	v_bfe_u32 v8, v6, 16, 1
	v_add3_u32 v8, v6, v8, s4
	v_lshrrev_b32_e32 v8, 16, v8
	v_cmp_o_f32_e32 vcc, v6, v6
	v_cndmask_b32_e32 v33, v7, v8, vcc
.LBB212_2291:
	s_mov_b64 s[4:5], 0
.LBB212_2292:
	s_andn2_b64 vcc, exec, s[4:5]
	s_cbranch_vccnz .LBB212_2294
; %bb.2293:
	global_load_ushort v6, v[2:3], off
	s_movk_i32 s4, 0x7fff
	v_mov_b32_e32 v8, 0x7fc0
	s_waitcnt vmcnt(0)
	v_cvt_f32_f16_e32 v7, v6
	v_cmp_o_f16_e32 vcc, v6, v6
	v_bfe_u32 v9, v7, 16, 1
	v_add3_u32 v7, v7, v9, s4
	v_lshrrev_b32_e32 v7, 16, v7
	v_cndmask_b32_e32 v33, v8, v7, vcc
.LBB212_2294:
	s_mov_b64 s[4:5], 0
.LBB212_2295:
	s_andn2_b64 vcc, exec, s[4:5]
	s_cbranch_vccnz .LBB212_2315
; %bb.2296:
	v_mov_b32_e32 v6, 2
	v_cmp_lt_i16_sdwa s[4:5], v38, v6 src0_sel:BYTE_0 src1_sel:DWORD
	s_and_b64 vcc, exec, s[4:5]
	s_cbranch_vccnz .LBB212_2300
; %bb.2297:
	v_mov_b32_e32 v6, 3
	v_cmp_lt_i16_sdwa s[4:5], v38, v6 src0_sel:BYTE_0 src1_sel:DWORD
	s_and_b64 vcc, exec, s[4:5]
	s_cbranch_vccnz .LBB212_2301
; %bb.2298:
	v_cmp_gt_i16_sdwa s[4:5], v38, v6 src0_sel:BYTE_0 src1_sel:DWORD
	s_and_b64 vcc, exec, s[4:5]
	s_cbranch_vccz .LBB212_2302
; %bb.2299:
	global_load_dwordx2 v[6:7], v[2:3], off
	s_movk_i32 s4, 0x7fff
	s_waitcnt vmcnt(0)
	v_xor_b32_e32 v9, v6, v7
	v_ffbh_i32_e32 v8, v7
	v_ashrrev_i32_e32 v9, 31, v9
	v_add_u32_e32 v8, -1, v8
	v_add_u32_e32 v9, 32, v9
	v_min_u32_e32 v8, v8, v9
	v_lshlrev_b64 v[6:7], v8, v[6:7]
	v_min_u32_e32 v6, 1, v6
	v_or_b32_e32 v6, v7, v6
	v_cvt_f32_i32_e32 v6, v6
	v_sub_u32_e32 v7, 32, v8
	v_ldexp_f32 v6, v6, v7
	v_bfe_u32 v7, v6, 16, 1
	v_add3_u32 v6, v6, v7, s4
	v_lshrrev_b32_e32 v33, 16, v6
	s_mov_b64 s[4:5], 0
	s_branch .LBB212_2303
.LBB212_2300:
	s_mov_b64 s[4:5], -1
                                        ; implicit-def: $vgpr33
	s_branch .LBB212_2309
.LBB212_2301:
	s_mov_b64 s[4:5], -1
                                        ; implicit-def: $vgpr33
	s_branch .LBB212_2306
.LBB212_2302:
	s_mov_b64 s[4:5], -1
                                        ; implicit-def: $vgpr33
.LBB212_2303:
	s_andn2_b64 vcc, exec, s[4:5]
	s_cbranch_vccnz .LBB212_2305
; %bb.2304:
	global_load_dword v6, v[2:3], off
	s_movk_i32 s4, 0x7fff
	s_waitcnt vmcnt(0)
	v_cvt_f32_i32_e32 v6, v6
	v_bfe_u32 v7, v6, 16, 1
	v_add3_u32 v6, v6, v7, s4
	v_lshrrev_b32_e32 v33, 16, v6
.LBB212_2305:
	s_mov_b64 s[4:5], 0
.LBB212_2306:
	s_andn2_b64 vcc, exec, s[4:5]
	s_cbranch_vccnz .LBB212_2308
; %bb.2307:
	global_load_sshort v6, v[2:3], off
	s_movk_i32 s4, 0x7fff
	s_waitcnt vmcnt(0)
	v_cvt_f32_i32_e32 v6, v6
	v_bfe_u32 v7, v6, 16, 1
	v_add3_u32 v6, v6, v7, s4
	v_lshrrev_b32_e32 v33, 16, v6
.LBB212_2308:
	s_mov_b64 s[4:5], 0
.LBB212_2309:
	s_andn2_b64 vcc, exec, s[4:5]
	s_cbranch_vccnz .LBB212_2315
; %bb.2310:
	v_mov_b32_e32 v6, 0
	v_cmp_gt_i16_sdwa s[4:5], v38, v6 src0_sel:BYTE_0 src1_sel:DWORD
	s_and_b64 vcc, exec, s[4:5]
	s_cbranch_vccz .LBB212_2312
; %bb.2311:
	global_load_sbyte v6, v[2:3], off
	s_movk_i32 s4, 0x7fff
	s_waitcnt vmcnt(0)
	v_cvt_f32_i32_e32 v6, v6
	v_bfe_u32 v7, v6, 16, 1
	v_add3_u32 v6, v6, v7, s4
	v_lshrrev_b32_e32 v33, 16, v6
	s_mov_b64 s[4:5], 0
	s_branch .LBB212_2313
.LBB212_2312:
	s_mov_b64 s[4:5], -1
                                        ; implicit-def: $vgpr33
.LBB212_2313:
	s_andn2_b64 vcc, exec, s[4:5]
	s_cbranch_vccnz .LBB212_2315
; %bb.2314:
	global_load_ubyte v2, v[2:3], off
	s_movk_i32 s4, 0x7fff
	s_waitcnt vmcnt(0)
	v_cvt_f32_ubyte0_e32 v2, v2
	v_bfe_u32 v3, v2, 16, 1
	v_add3_u32 v2, v2, v3, s4
	v_lshrrev_b32_e32 v33, 16, v2
.LBB212_2315:
	s_mov_b64 s[8:9], -1
.LBB212_2316:
	s_andn2_b64 vcc, exec, s[8:9]
	s_cbranch_vccnz .LBB212_3030
; %bb.2317:
	v_add_u32_e32 v2, s14, v5
	v_ashrrev_i32_e32 v3, 31, v2
	v_mov_b32_e32 v5, s27
	v_add_co_u32_e32 v2, vcc, s26, v2
	v_addc_co_u32_e32 v3, vcc, v5, v3, vcc
	v_mov_b32_e32 v5, 11
	v_cmp_lt_i16_sdwa s[4:5], v35, v5 src0_sel:BYTE_0 src1_sel:DWORD
	s_and_b64 vcc, exec, s[4:5]
	s_cbranch_vccnz .LBB212_2324
; %bb.2318:
	v_mov_b32_e32 v5, 25
	v_cmp_gt_i16_sdwa s[4:5], v35, v5 src0_sel:BYTE_0 src1_sel:DWORD
	s_mov_b64 s[6:7], 0
	s_and_b64 vcc, exec, s[4:5]
	s_cbranch_vccz .LBB212_2325
; %bb.2319:
	v_mov_b32_e32 v5, 28
	v_cmp_gt_i16_sdwa s[4:5], v35, v5 src0_sel:BYTE_0 src1_sel:DWORD
	s_and_b64 vcc, exec, s[4:5]
	s_cbranch_vccz .LBB212_2326
; %bb.2320:
	v_mov_b32_e32 v5, 43
	v_cmp_gt_i16_sdwa s[4:5], v35, v5 src0_sel:BYTE_0 src1_sel:DWORD
	;; [unrolled: 5-line block ×3, first 2 shown]
	s_and_b64 vcc, exec, s[4:5]
	s_cbranch_vccz .LBB212_2329
; %bb.2322:
	v_mov_b32_e32 v5, 46
	v_cmp_eq_u16_sdwa s[4:5], v35, v5 src0_sel:BYTE_0 src1_sel:DWORD
	s_mov_b64 s[10:11], 0
	s_and_b64 vcc, exec, s[4:5]
	s_cbranch_vccz .LBB212_2330
; %bb.2323:
	global_load_dword v34, v[2:3], off
	s_mov_b64 s[4:5], 0
	s_mov_b64 s[8:9], -1
	s_branch .LBB212_2331
.LBB212_2324:
	s_mov_b64 s[4:5], -1
	s_mov_b64 s[8:9], 0
                                        ; implicit-def: $vgpr34
	s_branch .LBB212_2397
.LBB212_2325:
	s_mov_b64 s[10:11], -1
	s_mov_b64 s[8:9], 0
	s_mov_b64 s[4:5], 0
                                        ; implicit-def: $vgpr34
	s_branch .LBB212_2360
.LBB212_2326:
	s_mov_b64 s[10:11], -1
	s_mov_b64 s[8:9], 0
	s_mov_b64 s[4:5], 0
                                        ; implicit-def: $vgpr34
	s_branch .LBB212_2341
.LBB212_2327:
	s_mov_b64 s[10:11], -1
	s_mov_b64 s[8:9], 0
	s_mov_b64 s[4:5], 0
                                        ; implicit-def: $vgpr34
	s_branch .LBB212_2336
.LBB212_2328:
	s_trap 2
	s_or_b64 s[42:43], s[42:43], exec
                                        ; implicit-def: $vgpr33
	s_cbranch_execz .LBB212_2265
	s_branch .LBB212_2266
.LBB212_2329:
	s_mov_b64 s[10:11], -1
	s_mov_b64 s[8:9], 0
	s_mov_b64 s[4:5], 0
                                        ; implicit-def: $vgpr34
	s_branch .LBB212_2331
.LBB212_2330:
	s_mov_b64 s[4:5], -1
                                        ; implicit-def: $vgpr34
	s_mov_b64 s[8:9], 0
.LBB212_2331:
	s_and_b64 vcc, exec, s[10:11]
	s_cbranch_vccz .LBB212_2335
; %bb.2332:
	v_mov_b32_e32 v5, 44
	v_cmp_eq_u16_sdwa s[4:5], v35, v5 src0_sel:BYTE_0 src1_sel:DWORD
	s_and_b64 vcc, exec, s[4:5]
	s_cbranch_vccz .LBB212_2334
; %bb.2333:
	global_load_ubyte v5, v[2:3], off
	s_movk_i32 s8, 0xff
	v_mov_b32_e32 v6, 0x7f800001
	v_mov_b32_e32 v7, 0x400000
	;; [unrolled: 1-line block ×3, first 2 shown]
	s_mov_b64 s[4:5], 0
	s_waitcnt vmcnt(0)
	v_lshlrev_b32_e32 v9, 23, v5
	v_cmp_ne_u32_e32 vcc, s8, v5
	v_cndmask_b32_e32 v6, v6, v9, vcc
	v_cmp_ne_u32_e32 vcc, 0, v5
	v_cndmask_b32_e32 v5, v7, v6, vcc
	v_add_u32_e32 v6, 0x7fff, v5
	v_lshrrev_b32_e32 v6, 16, v6
	v_cmp_o_f32_e32 vcc, v5, v5
	v_cndmask_b32_e32 v34, v8, v6, vcc
	s_mov_b64 s[8:9], -1
	s_branch .LBB212_2335
.LBB212_2334:
	s_mov_b64 s[4:5], -1
                                        ; implicit-def: $vgpr34
.LBB212_2335:
	s_mov_b64 s[10:11], 0
.LBB212_2336:
	s_and_b64 vcc, exec, s[10:11]
	s_cbranch_vccz .LBB212_2340
; %bb.2337:
	v_mov_b32_e32 v5, 29
	v_cmp_eq_u16_sdwa s[4:5], v35, v5 src0_sel:BYTE_0 src1_sel:DWORD
	s_and_b64 vcc, exec, s[4:5]
	s_cbranch_vccz .LBB212_2339
; %bb.2338:
	global_load_dwordx2 v[6:7], v[2:3], off
	s_movk_i32 s8, 0x7fff
	s_mov_b64 s[4:5], 0
	s_mov_b64 s[10:11], 0
	s_waitcnt vmcnt(0)
	v_ffbh_u32_e32 v5, v7
	v_min_u32_e32 v5, 32, v5
	v_lshlrev_b64 v[6:7], v5, v[6:7]
	v_min_u32_e32 v6, 1, v6
	v_or_b32_e32 v6, v7, v6
	v_cvt_f32_u32_e32 v6, v6
	v_sub_u32_e32 v5, 32, v5
	v_ldexp_f32 v5, v6, v5
	v_bfe_u32 v6, v5, 16, 1
	v_add3_u32 v5, v5, v6, s8
	v_lshrrev_b32_e32 v34, 16, v5
	s_mov_b64 s[8:9], -1
	s_branch .LBB212_2341
.LBB212_2339:
	s_mov_b64 s[4:5], -1
                                        ; implicit-def: $vgpr34
.LBB212_2340:
	s_mov_b64 s[10:11], 0
.LBB212_2341:
	s_and_b64 vcc, exec, s[10:11]
	s_cbranch_vccz .LBB212_2359
; %bb.2342:
	v_mov_b32_e32 v5, 27
	v_cmp_lt_i16_sdwa s[8:9], v35, v5 src0_sel:BYTE_0 src1_sel:DWORD
	s_and_b64 vcc, exec, s[8:9]
	s_cbranch_vccnz .LBB212_2345
; %bb.2343:
	v_cmp_gt_i16_sdwa s[8:9], v35, v5 src0_sel:BYTE_0 src1_sel:DWORD
	s_and_b64 vcc, exec, s[8:9]
	s_cbranch_vccz .LBB212_2346
; %bb.2344:
	global_load_dword v5, v[2:3], off
	s_movk_i32 s8, 0x7fff
	s_waitcnt vmcnt(0)
	v_cvt_f32_u32_e32 v5, v5
	v_bfe_u32 v6, v5, 16, 1
	v_add3_u32 v5, v5, v6, s8
	v_lshrrev_b32_e32 v34, 16, v5
	s_mov_b64 s[8:9], 0
	s_branch .LBB212_2347
.LBB212_2345:
	s_mov_b64 s[8:9], -1
                                        ; implicit-def: $vgpr34
	s_branch .LBB212_2350
.LBB212_2346:
	s_mov_b64 s[8:9], -1
                                        ; implicit-def: $vgpr34
.LBB212_2347:
	s_andn2_b64 vcc, exec, s[8:9]
	s_cbranch_vccnz .LBB212_2349
; %bb.2348:
	global_load_ushort v5, v[2:3], off
	s_movk_i32 s8, 0x7fff
	s_waitcnt vmcnt(0)
	v_cvt_f32_u32_e32 v5, v5
	v_bfe_u32 v6, v5, 16, 1
	v_add3_u32 v5, v5, v6, s8
	v_lshrrev_b32_e32 v34, 16, v5
.LBB212_2349:
	s_mov_b64 s[8:9], 0
.LBB212_2350:
	s_andn2_b64 vcc, exec, s[8:9]
	s_cbranch_vccnz .LBB212_2358
; %bb.2351:
	global_load_ubyte v5, v[2:3], off
	s_movk_i32 s8, 0x7f
                                        ; implicit-def: $sgpr14
	s_waitcnt vmcnt(0)
	v_cmp_lt_i16_e32 vcc, s8, v5
	s_mov_b64 s[8:9], 0
	s_and_saveexec_b64 s[10:11], vcc
	s_xor_b64 s[10:11], exec, s[10:11]
	s_cbranch_execz .LBB212_2372
; %bb.2352:
	s_movk_i32 s8, 0x80
	v_cmp_eq_u16_e32 vcc, s8, v5
	s_mov_b64 s[8:9], -1
                                        ; implicit-def: $sgpr14
	s_and_saveexec_b64 s[12:13], vcc
; %bb.2353:
	s_mov_b32 s14, 0x7f800001
	s_xor_b64 s[8:9], exec, -1
; %bb.2354:
	s_or_b64 exec, exec, s[12:13]
	s_and_b64 s[8:9], s[8:9], exec
	s_or_saveexec_b64 s[10:11], s[10:11]
	v_mov_b32_e32 v6, s14
	s_xor_b64 exec, exec, s[10:11]
	s_cbranch_execnz .LBB212_2373
.LBB212_2355:
	s_or_b64 exec, exec, s[10:11]
	s_and_saveexec_b64 s[10:11], s[8:9]
	s_cbranch_execz .LBB212_2357
.LBB212_2356:
	v_lshlrev_b32_e32 v6, 24, v5
	v_and_b32_e32 v5, 0xffff, v5
	v_and_b32_e32 v7, 7, v5
	v_ffbh_u32_e32 v9, v7
	v_min_u32_e32 v9, 32, v9
	v_subrev_u32_e32 v10, 28, v9
	v_bfe_u32 v8, v5, 3, 4
	v_lshlrev_b32_e32 v5, v10, v5
	v_sub_u32_e32 v9, 29, v9
	v_and_b32_e32 v5, 7, v5
	v_cmp_eq_u32_e32 vcc, 0, v8
	v_cndmask_b32_e32 v8, v8, v9, vcc
	v_cndmask_b32_e32 v5, v7, v5, vcc
	v_mov_b32_e32 v7, 0x3b800000
	v_lshlrev_b32_e32 v5, 20, v5
	v_and_b32_e32 v6, 0x80000000, v6
	v_lshl_add_u32 v7, v8, 23, v7
	v_or3_b32 v6, v6, v7, v5
.LBB212_2357:
	s_or_b64 exec, exec, s[10:11]
	v_bfe_u32 v5, v6, 16, 1
	s_movk_i32 s8, 0x7fff
	v_add3_u32 v5, v6, v5, s8
	v_lshrrev_b32_e32 v5, 16, v5
	v_mov_b32_e32 v7, 0x7fc0
	v_cmp_o_f32_e32 vcc, v6, v6
	v_cndmask_b32_e32 v34, v7, v5, vcc
.LBB212_2358:
	s_mov_b64 s[8:9], -1
.LBB212_2359:
	s_mov_b64 s[10:11], 0
.LBB212_2360:
	s_and_b64 vcc, exec, s[10:11]
	s_cbranch_vccz .LBB212_2393
; %bb.2361:
	v_mov_b32_e32 v5, 22
	v_cmp_gt_i16_sdwa s[6:7], v35, v5 src0_sel:BYTE_0 src1_sel:DWORD
	s_and_b64 vcc, exec, s[6:7]
	s_cbranch_vccz .LBB212_2371
; %bb.2362:
	v_mov_b32_e32 v5, 24
	v_cmp_lt_i16_sdwa s[6:7], v35, v5 src0_sel:BYTE_0 src1_sel:DWORD
	s_and_b64 vcc, exec, s[6:7]
	s_cbranch_vccnz .LBB212_2374
; %bb.2363:
	v_cmp_gt_i16_sdwa s[6:7], v35, v5 src0_sel:BYTE_0 src1_sel:DWORD
	s_and_b64 vcc, exec, s[6:7]
	s_cbranch_vccz .LBB212_2375
; %bb.2364:
	global_load_ubyte v5, v[2:3], off
	s_movk_i32 s6, 0x7f
                                        ; implicit-def: $sgpr12
	s_waitcnt vmcnt(0)
	v_cmp_lt_i16_e32 vcc, s6, v5
	s_mov_b64 s[6:7], 0
	s_and_saveexec_b64 s[8:9], vcc
	s_xor_b64 s[8:9], exec, s[8:9]
	s_cbranch_execz .LBB212_2387
; %bb.2365:
	s_movk_i32 s6, 0x80
	v_cmp_eq_u16_e32 vcc, s6, v5
	s_mov_b64 s[6:7], -1
                                        ; implicit-def: $sgpr12
	s_and_saveexec_b64 s[10:11], vcc
; %bb.2366:
	s_mov_b32 s12, 0x7f800001
	s_xor_b64 s[6:7], exec, -1
; %bb.2367:
	s_or_b64 exec, exec, s[10:11]
	s_and_b64 s[6:7], s[6:7], exec
	s_or_saveexec_b64 s[8:9], s[8:9]
	v_mov_b32_e32 v6, s12
	s_xor_b64 exec, exec, s[8:9]
	s_cbranch_execnz .LBB212_2388
.LBB212_2368:
	s_or_b64 exec, exec, s[8:9]
	s_and_saveexec_b64 s[8:9], s[6:7]
	s_cbranch_execz .LBB212_2370
.LBB212_2369:
	v_lshlrev_b32_e32 v6, 24, v5
	v_and_b32_e32 v5, 0xffff, v5
	v_and_b32_e32 v7, 3, v5
	v_ffbh_u32_e32 v9, v7
	v_min_u32_e32 v9, 32, v9
	v_subrev_u32_e32 v10, 29, v9
	v_bfe_u32 v8, v5, 2, 5
	v_lshlrev_b32_e32 v5, v10, v5
	v_sub_u32_e32 v9, 30, v9
	v_and_b32_e32 v5, 3, v5
	v_cmp_eq_u32_e32 vcc, 0, v8
	v_cndmask_b32_e32 v8, v8, v9, vcc
	v_cndmask_b32_e32 v5, v7, v5, vcc
	v_mov_b32_e32 v7, 0x37800000
	v_lshlrev_b32_e32 v5, 21, v5
	v_and_b32_e32 v6, 0x80000000, v6
	v_lshl_add_u32 v7, v8, 23, v7
	v_or3_b32 v6, v6, v7, v5
.LBB212_2370:
	s_or_b64 exec, exec, s[8:9]
	v_bfe_u32 v5, v6, 16, 1
	s_movk_i32 s6, 0x7fff
	v_add3_u32 v5, v6, v5, s6
	v_lshrrev_b32_e32 v5, 16, v5
	v_mov_b32_e32 v7, 0x7fc0
	v_cmp_o_f32_e32 vcc, v6, v6
	v_cndmask_b32_e32 v34, v7, v5, vcc
	s_mov_b64 s[6:7], 0
	s_branch .LBB212_2376
.LBB212_2371:
	s_mov_b64 s[6:7], -1
                                        ; implicit-def: $vgpr34
	s_branch .LBB212_2382
.LBB212_2372:
	s_or_saveexec_b64 s[10:11], s[10:11]
	v_mov_b32_e32 v6, s14
	s_xor_b64 exec, exec, s[10:11]
	s_cbranch_execz .LBB212_2355
.LBB212_2373:
	v_cmp_ne_u16_e32 vcc, 0, v5
	s_andn2_b64 s[8:9], s[8:9], exec
	s_and_b64 s[12:13], vcc, exec
	v_mov_b32_e32 v6, 0
	s_or_b64 s[8:9], s[8:9], s[12:13]
	s_or_b64 exec, exec, s[10:11]
	s_and_saveexec_b64 s[10:11], s[8:9]
	s_cbranch_execnz .LBB212_2356
	s_branch .LBB212_2357
.LBB212_2374:
	s_mov_b64 s[6:7], -1
                                        ; implicit-def: $vgpr34
	s_branch .LBB212_2379
.LBB212_2375:
	s_mov_b64 s[6:7], -1
                                        ; implicit-def: $vgpr34
.LBB212_2376:
	s_and_b64 vcc, exec, s[6:7]
	s_cbranch_vccz .LBB212_2378
; %bb.2377:
	global_load_ubyte v5, v[2:3], off
	s_mov_b32 s6, 0x7f800000
	s_brev_b32 s7, 1
	s_movk_i32 s8, 0x7fff
	v_mov_b32_e32 v6, 0x7fc0
	s_waitcnt vmcnt(0)
	v_lshlrev_b32_e32 v5, 24, v5
	v_and_b32_e32 v7, 0x7f000000, v5
	v_ffbh_u32_e32 v8, v7
	v_min_u32_e32 v8, 32, v8
	v_sub_u32_e64 v8, v8, 4 clamp
	v_lshlrev_b32_e32 v10, v8, v7
	v_lshlrev_b32_e32 v8, 23, v8
	v_lshrrev_b32_e32 v10, 4, v10
	v_add_u32_e32 v9, 0x1000000, v7
	v_sub_u32_e32 v8, v10, v8
	v_ashrrev_i32_e32 v9, 8, v9
	v_add_u32_e32 v8, 0x3c000000, v8
	v_and_or_b32 v8, v9, s6, v8
	v_cmp_ne_u32_e32 vcc, 0, v7
	v_cndmask_b32_e32 v7, 0, v8, vcc
	v_and_or_b32 v5, v5, s7, v7
	v_bfe_u32 v7, v7, 16, 1
	v_add3_u32 v7, v5, v7, s8
	v_lshrrev_b32_e32 v7, 16, v7
	v_cmp_o_f32_e32 vcc, v5, v5
	v_cndmask_b32_e32 v34, v6, v7, vcc
.LBB212_2378:
	s_mov_b64 s[6:7], 0
.LBB212_2379:
	s_andn2_b64 vcc, exec, s[6:7]
	s_cbranch_vccnz .LBB212_2381
; %bb.2380:
	global_load_ubyte v5, v[2:3], off
	s_movk_i32 s6, 0x7f00
	s_brev_b32 s7, 16
	s_brev_b32 s8, 1
	s_movk_i32 s9, 0x7fff
	v_mov_b32_e32 v6, 0x7fc0
	s_waitcnt vmcnt(0)
	v_lshlrev_b16_e32 v7, 8, v5
	v_lshlrev_b32_e32 v5, 25, v5
	v_lshrrev_b32_e32 v8, 4, v5
	v_and_or_b32 v9, v7, s6, 0.5
	v_or_b32_e32 v8, 0x70000000, v8
	v_add_f32_e32 v9, -0.5, v9
	v_mul_f32_e32 v8, 0x7800000, v8
	v_cmp_gt_u32_e32 vcc, s7, v5
	v_bfe_i32 v7, v7, 0, 16
	v_cndmask_b32_e32 v5, v8, v9, vcc
	v_and_or_b32 v7, v7, s8, v5
	v_bfe_u32 v5, v5, 16, 1
	v_add3_u32 v5, v7, v5, s9
	v_lshrrev_b32_e32 v5, 16, v5
	v_cmp_o_f32_e32 vcc, v7, v7
	v_cndmask_b32_e32 v34, v6, v5, vcc
.LBB212_2381:
	s_mov_b64 s[6:7], 0
	s_mov_b64 s[8:9], -1
.LBB212_2382:
	s_andn2_b64 vcc, exec, s[6:7]
	s_mov_b64 s[6:7], 0
	s_cbranch_vccnz .LBB212_2393
; %bb.2383:
	v_mov_b32_e32 v5, 14
	v_cmp_gt_i16_sdwa s[6:7], v35, v5 src0_sel:BYTE_0 src1_sel:DWORD
	s_and_b64 vcc, exec, s[6:7]
	s_cbranch_vccz .LBB212_2386
; %bb.2384:
	v_mov_b32_e32 v5, 15
	v_cmp_eq_u16_sdwa s[4:5], v35, v5 src0_sel:BYTE_0 src1_sel:DWORD
	s_and_b64 vcc, exec, s[4:5]
	s_cbranch_vccz .LBB212_2389
; %bb.2385:
	global_load_ushort v34, v[2:3], off
	s_mov_b64 s[4:5], 0
	s_mov_b64 s[8:9], -1
	s_branch .LBB212_2390
.LBB212_2386:
	s_mov_b64 s[10:11], -1
                                        ; implicit-def: $vgpr34
	s_branch .LBB212_2391
.LBB212_2387:
	s_or_saveexec_b64 s[8:9], s[8:9]
	v_mov_b32_e32 v6, s12
	s_xor_b64 exec, exec, s[8:9]
	s_cbranch_execz .LBB212_2368
.LBB212_2388:
	v_cmp_ne_u16_e32 vcc, 0, v5
	s_andn2_b64 s[6:7], s[6:7], exec
	s_and_b64 s[10:11], vcc, exec
	v_mov_b32_e32 v6, 0
	s_or_b64 s[6:7], s[6:7], s[10:11]
	s_or_b64 exec, exec, s[8:9]
	s_and_saveexec_b64 s[8:9], s[6:7]
	s_cbranch_execnz .LBB212_2369
	s_branch .LBB212_2370
.LBB212_2389:
	s_mov_b64 s[4:5], -1
                                        ; implicit-def: $vgpr34
.LBB212_2390:
	s_mov_b64 s[10:11], 0
.LBB212_2391:
	s_mov_b64 s[6:7], 0
	s_and_b64 vcc, exec, s[10:11]
	s_cbranch_vccz .LBB212_2393
; %bb.2392:
	v_mov_b32_e32 v5, 11
	v_cmp_ne_u16_sdwa s[4:5], v35, v5 src0_sel:BYTE_0 src1_sel:DWORD
	s_mov_b64 s[6:7], -1
                                        ; implicit-def: $vgpr34
.LBB212_2393:
	s_and_b64 vcc, exec, s[4:5]
	s_cbranch_vccnz .LBB212_2458
; %bb.2394:
	s_andn2_b64 vcc, exec, s[6:7]
	s_cbranch_vccnz .LBB212_2396
.LBB212_2395:
	global_load_ubyte v5, v[2:3], off
	s_mov_b64 s[8:9], -1
	s_waitcnt vmcnt(0)
	v_cmp_ne_u16_e32 vcc, 0, v5
	v_cndmask_b32_e64 v5, 0, 1.0, vcc
	v_lshrrev_b32_e32 v34, 16, v5
.LBB212_2396:
	s_mov_b64 s[4:5], 0
.LBB212_2397:
	s_and_b64 vcc, exec, s[4:5]
	s_cbranch_vccz .LBB212_2446
; %bb.2398:
	v_mov_b32_e32 v5, 5
	v_cmp_lt_i16_sdwa s[4:5], v35, v5 src0_sel:BYTE_0 src1_sel:DWORD
	s_and_b64 vcc, exec, s[4:5]
	s_cbranch_vccnz .LBB212_2403
; %bb.2399:
	v_mov_b32_e32 v5, 8
	v_cmp_lt_i16_sdwa s[4:5], v35, v5 src0_sel:BYTE_0 src1_sel:DWORD
	s_and_b64 vcc, exec, s[4:5]
	s_cbranch_vccnz .LBB212_2404
	;; [unrolled: 5-line block ×3, first 2 shown]
; %bb.2401:
	v_cmp_gt_i16_sdwa s[4:5], v35, v5 src0_sel:BYTE_0 src1_sel:DWORD
	s_and_b64 vcc, exec, s[4:5]
	s_cbranch_vccz .LBB212_2406
; %bb.2402:
	global_load_dwordx2 v[6:7], v[2:3], off
	s_movk_i32 s4, 0x7fff
	v_mov_b32_e32 v5, 0x7fc0
	s_waitcnt vmcnt(0)
	v_cvt_f32_f64_e32 v6, v[6:7]
	v_bfe_u32 v7, v6, 16, 1
	v_add3_u32 v7, v6, v7, s4
	v_lshrrev_b32_e32 v7, 16, v7
	v_cmp_o_f32_e32 vcc, v6, v6
	v_cndmask_b32_e32 v34, v5, v7, vcc
	s_mov_b64 s[4:5], 0
	s_branch .LBB212_2407
.LBB212_2403:
	s_mov_b64 s[4:5], -1
                                        ; implicit-def: $vgpr34
	s_branch .LBB212_2425
.LBB212_2404:
	s_mov_b64 s[4:5], -1
                                        ; implicit-def: $vgpr34
	s_branch .LBB212_2413
.LBB212_2405:
	s_mov_b64 s[4:5], -1
                                        ; implicit-def: $vgpr34
	s_branch .LBB212_2410
.LBB212_2406:
	s_mov_b64 s[4:5], -1
                                        ; implicit-def: $vgpr34
.LBB212_2407:
	s_andn2_b64 vcc, exec, s[4:5]
	s_cbranch_vccnz .LBB212_2409
; %bb.2408:
	global_load_dword v5, v[2:3], off
	s_movk_i32 s4, 0x7fff
	v_mov_b32_e32 v6, 0x7fc0
	s_waitcnt vmcnt(0)
	v_bfe_u32 v7, v5, 16, 1
	v_add3_u32 v7, v5, v7, s4
	v_lshrrev_b32_e32 v7, 16, v7
	v_cmp_o_f32_e32 vcc, v5, v5
	v_cndmask_b32_e32 v34, v6, v7, vcc
.LBB212_2409:
	s_mov_b64 s[4:5], 0
.LBB212_2410:
	s_andn2_b64 vcc, exec, s[4:5]
	s_cbranch_vccnz .LBB212_2412
; %bb.2411:
	global_load_dword v5, v[2:3], off
	s_movk_i32 s4, 0x7fff
	v_mov_b32_e32 v7, 0x7fc0
	s_waitcnt vmcnt(0)
	v_cvt_f32_f16_e32 v6, v5
	v_cmp_o_f16_e32 vcc, v5, v5
	v_bfe_u32 v8, v6, 16, 1
	v_add3_u32 v6, v6, v8, s4
	v_lshrrev_b32_e32 v6, 16, v6
	v_cndmask_b32_e32 v34, v7, v6, vcc
.LBB212_2412:
	s_mov_b64 s[4:5], 0
.LBB212_2413:
	s_andn2_b64 vcc, exec, s[4:5]
	s_cbranch_vccnz .LBB212_2424
; %bb.2414:
	v_mov_b32_e32 v5, 6
	v_cmp_lt_i16_sdwa s[4:5], v35, v5 src0_sel:BYTE_0 src1_sel:DWORD
	s_and_b64 vcc, exec, s[4:5]
	s_cbranch_vccnz .LBB212_2417
; %bb.2415:
	v_cmp_gt_i16_sdwa s[4:5], v35, v5 src0_sel:BYTE_0 src1_sel:DWORD
	s_and_b64 vcc, exec, s[4:5]
	s_cbranch_vccz .LBB212_2418
; %bb.2416:
	global_load_dwordx2 v[6:7], v[2:3], off
	s_movk_i32 s4, 0x7fff
	v_mov_b32_e32 v5, 0x7fc0
	s_waitcnt vmcnt(0)
	v_cvt_f32_f64_e32 v6, v[6:7]
	v_bfe_u32 v7, v6, 16, 1
	v_add3_u32 v7, v6, v7, s4
	v_lshrrev_b32_e32 v7, 16, v7
	v_cmp_o_f32_e32 vcc, v6, v6
	v_cndmask_b32_e32 v34, v5, v7, vcc
	s_mov_b64 s[4:5], 0
	s_branch .LBB212_2419
.LBB212_2417:
	s_mov_b64 s[4:5], -1
                                        ; implicit-def: $vgpr34
	s_branch .LBB212_2422
.LBB212_2418:
	s_mov_b64 s[4:5], -1
                                        ; implicit-def: $vgpr34
.LBB212_2419:
	s_andn2_b64 vcc, exec, s[4:5]
	s_cbranch_vccnz .LBB212_2421
; %bb.2420:
	global_load_dword v5, v[2:3], off
	s_movk_i32 s4, 0x7fff
	v_mov_b32_e32 v6, 0x7fc0
	s_waitcnt vmcnt(0)
	v_bfe_u32 v7, v5, 16, 1
	v_add3_u32 v7, v5, v7, s4
	v_lshrrev_b32_e32 v7, 16, v7
	v_cmp_o_f32_e32 vcc, v5, v5
	v_cndmask_b32_e32 v34, v6, v7, vcc
.LBB212_2421:
	s_mov_b64 s[4:5], 0
.LBB212_2422:
	s_andn2_b64 vcc, exec, s[4:5]
	s_cbranch_vccnz .LBB212_2424
; %bb.2423:
	global_load_ushort v5, v[2:3], off
	s_movk_i32 s4, 0x7fff
	v_mov_b32_e32 v7, 0x7fc0
	s_waitcnt vmcnt(0)
	v_cvt_f32_f16_e32 v6, v5
	v_cmp_o_f16_e32 vcc, v5, v5
	v_bfe_u32 v8, v6, 16, 1
	v_add3_u32 v6, v6, v8, s4
	v_lshrrev_b32_e32 v6, 16, v6
	v_cndmask_b32_e32 v34, v7, v6, vcc
.LBB212_2424:
	s_mov_b64 s[4:5], 0
.LBB212_2425:
	s_andn2_b64 vcc, exec, s[4:5]
	s_cbranch_vccnz .LBB212_2445
; %bb.2426:
	v_mov_b32_e32 v5, 2
	v_cmp_lt_i16_sdwa s[4:5], v35, v5 src0_sel:BYTE_0 src1_sel:DWORD
	s_and_b64 vcc, exec, s[4:5]
	s_cbranch_vccnz .LBB212_2430
; %bb.2427:
	v_mov_b32_e32 v5, 3
	v_cmp_lt_i16_sdwa s[4:5], v35, v5 src0_sel:BYTE_0 src1_sel:DWORD
	s_and_b64 vcc, exec, s[4:5]
	s_cbranch_vccnz .LBB212_2431
; %bb.2428:
	v_cmp_gt_i16_sdwa s[4:5], v35, v5 src0_sel:BYTE_0 src1_sel:DWORD
	s_and_b64 vcc, exec, s[4:5]
	s_cbranch_vccz .LBB212_2432
; %bb.2429:
	global_load_dwordx2 v[6:7], v[2:3], off
	s_movk_i32 s4, 0x7fff
	s_waitcnt vmcnt(0)
	v_xor_b32_e32 v8, v6, v7
	v_ffbh_i32_e32 v5, v7
	v_ashrrev_i32_e32 v8, 31, v8
	v_add_u32_e32 v5, -1, v5
	v_add_u32_e32 v8, 32, v8
	v_min_u32_e32 v5, v5, v8
	v_lshlrev_b64 v[6:7], v5, v[6:7]
	v_min_u32_e32 v6, 1, v6
	v_or_b32_e32 v6, v7, v6
	v_cvt_f32_i32_e32 v6, v6
	v_sub_u32_e32 v5, 32, v5
	v_ldexp_f32 v5, v6, v5
	v_bfe_u32 v6, v5, 16, 1
	v_add3_u32 v5, v5, v6, s4
	v_lshrrev_b32_e32 v34, 16, v5
	s_mov_b64 s[4:5], 0
	s_branch .LBB212_2433
.LBB212_2430:
	s_mov_b64 s[4:5], -1
                                        ; implicit-def: $vgpr34
	s_branch .LBB212_2439
.LBB212_2431:
	s_mov_b64 s[4:5], -1
                                        ; implicit-def: $vgpr34
	s_branch .LBB212_2436
.LBB212_2432:
	s_mov_b64 s[4:5], -1
                                        ; implicit-def: $vgpr34
.LBB212_2433:
	s_andn2_b64 vcc, exec, s[4:5]
	s_cbranch_vccnz .LBB212_2435
; %bb.2434:
	global_load_dword v5, v[2:3], off
	s_movk_i32 s4, 0x7fff
	s_waitcnt vmcnt(0)
	v_cvt_f32_i32_e32 v5, v5
	v_bfe_u32 v6, v5, 16, 1
	v_add3_u32 v5, v5, v6, s4
	v_lshrrev_b32_e32 v34, 16, v5
.LBB212_2435:
	s_mov_b64 s[4:5], 0
.LBB212_2436:
	s_andn2_b64 vcc, exec, s[4:5]
	s_cbranch_vccnz .LBB212_2438
; %bb.2437:
	global_load_sshort v5, v[2:3], off
	s_movk_i32 s4, 0x7fff
	s_waitcnt vmcnt(0)
	v_cvt_f32_i32_e32 v5, v5
	v_bfe_u32 v6, v5, 16, 1
	v_add3_u32 v5, v5, v6, s4
	v_lshrrev_b32_e32 v34, 16, v5
.LBB212_2438:
	s_mov_b64 s[4:5], 0
.LBB212_2439:
	s_andn2_b64 vcc, exec, s[4:5]
	s_cbranch_vccnz .LBB212_2445
; %bb.2440:
	v_mov_b32_e32 v5, 0
	v_cmp_gt_i16_sdwa s[4:5], v35, v5 src0_sel:BYTE_0 src1_sel:DWORD
	s_and_b64 vcc, exec, s[4:5]
	s_cbranch_vccz .LBB212_2442
; %bb.2441:
	global_load_sbyte v5, v[2:3], off
	s_movk_i32 s4, 0x7fff
	s_waitcnt vmcnt(0)
	v_cvt_f32_i32_e32 v5, v5
	v_bfe_u32 v6, v5, 16, 1
	v_add3_u32 v5, v5, v6, s4
	v_lshrrev_b32_e32 v34, 16, v5
	s_mov_b64 s[4:5], 0
	s_branch .LBB212_2443
.LBB212_2442:
	s_mov_b64 s[4:5], -1
                                        ; implicit-def: $vgpr34
.LBB212_2443:
	s_andn2_b64 vcc, exec, s[4:5]
	s_cbranch_vccnz .LBB212_2445
; %bb.2444:
	global_load_ubyte v2, v[2:3], off
	s_movk_i32 s4, 0x7fff
	s_waitcnt vmcnt(0)
	v_cvt_f32_ubyte0_e32 v2, v2
	v_bfe_u32 v3, v2, 16, 1
	v_add3_u32 v2, v2, v3, s4
	v_lshrrev_b32_e32 v34, 16, v2
.LBB212_2445:
	s_mov_b64 s[8:9], -1
.LBB212_2446:
	s_andn2_b64 vcc, exec, s[8:9]
	s_cbranch_vccnz .LBB212_3030
; %bb.2447:
	v_add_u32_e32 v2, s15, v4
	v_ashrrev_i32_e32 v3, 31, v2
	v_mov_b32_e32 v4, s23
	v_add_co_u32_e32 v2, vcc, s22, v2
	v_addc_co_u32_e32 v3, vcc, v4, v3, vcc
	v_mov_b32_e32 v4, 11
	v_cmp_lt_i16_sdwa s[4:5], v38, v4 src0_sel:BYTE_0 src1_sel:DWORD
	s_and_b64 vcc, exec, s[4:5]
	s_cbranch_vccnz .LBB212_2454
; %bb.2448:
	v_mov_b32_e32 v4, 25
	v_cmp_gt_i16_sdwa s[4:5], v38, v4 src0_sel:BYTE_0 src1_sel:DWORD
	s_mov_b64 s[6:7], 0
	s_and_b64 vcc, exec, s[4:5]
	s_cbranch_vccz .LBB212_2455
; %bb.2449:
	v_mov_b32_e32 v4, 28
	v_cmp_gt_i16_sdwa s[4:5], v38, v4 src0_sel:BYTE_0 src1_sel:DWORD
	s_and_b64 vcc, exec, s[4:5]
	s_cbranch_vccz .LBB212_2456
; %bb.2450:
	v_mov_b32_e32 v4, 43
	v_cmp_gt_i16_sdwa s[4:5], v38, v4 src0_sel:BYTE_0 src1_sel:DWORD
	;; [unrolled: 5-line block ×3, first 2 shown]
	s_and_b64 vcc, exec, s[4:5]
	s_cbranch_vccz .LBB212_2459
; %bb.2452:
	v_mov_b32_e32 v4, 46
	v_cmp_eq_u16_sdwa s[4:5], v38, v4 src0_sel:BYTE_0 src1_sel:DWORD
	s_mov_b64 s[10:11], 0
	s_and_b64 vcc, exec, s[4:5]
	s_cbranch_vccz .LBB212_2460
; %bb.2453:
	global_load_dword v35, v[2:3], off
	s_mov_b64 s[4:5], 0
	s_mov_b64 s[8:9], -1
	s_branch .LBB212_2461
.LBB212_2454:
	s_mov_b64 s[4:5], -1
	s_mov_b64 s[8:9], 0
                                        ; implicit-def: $vgpr35
	s_branch .LBB212_2527
.LBB212_2455:
	s_mov_b64 s[10:11], -1
	s_mov_b64 s[8:9], 0
	s_mov_b64 s[4:5], 0
                                        ; implicit-def: $vgpr35
	s_branch .LBB212_2490
.LBB212_2456:
	s_mov_b64 s[10:11], -1
	s_mov_b64 s[8:9], 0
	s_mov_b64 s[4:5], 0
                                        ; implicit-def: $vgpr35
	s_branch .LBB212_2471
.LBB212_2457:
	s_mov_b64 s[10:11], -1
	s_mov_b64 s[8:9], 0
	s_mov_b64 s[4:5], 0
                                        ; implicit-def: $vgpr35
	s_branch .LBB212_2466
.LBB212_2458:
	s_trap 2
	s_or_b64 s[42:43], s[42:43], exec
                                        ; implicit-def: $vgpr34
	s_cbranch_execz .LBB212_2395
	s_branch .LBB212_2396
.LBB212_2459:
	s_mov_b64 s[10:11], -1
	s_mov_b64 s[8:9], 0
	s_mov_b64 s[4:5], 0
                                        ; implicit-def: $vgpr35
	s_branch .LBB212_2461
.LBB212_2460:
	s_mov_b64 s[4:5], -1
                                        ; implicit-def: $vgpr35
	s_mov_b64 s[8:9], 0
.LBB212_2461:
	s_and_b64 vcc, exec, s[10:11]
	s_cbranch_vccz .LBB212_2465
; %bb.2462:
	v_mov_b32_e32 v4, 44
	v_cmp_eq_u16_sdwa s[4:5], v38, v4 src0_sel:BYTE_0 src1_sel:DWORD
	s_and_b64 vcc, exec, s[4:5]
	s_cbranch_vccz .LBB212_2464
; %bb.2463:
	global_load_ubyte v4, v[2:3], off
	s_movk_i32 s8, 0xff
	v_mov_b32_e32 v5, 0x7f800001
	v_mov_b32_e32 v6, 0x400000
	v_mov_b32_e32 v7, 0x7fc0
	s_mov_b64 s[4:5], 0
	s_waitcnt vmcnt(0)
	v_lshlrev_b32_e32 v8, 23, v4
	v_cmp_ne_u32_e32 vcc, s8, v4
	v_cndmask_b32_e32 v5, v5, v8, vcc
	v_cmp_ne_u32_e32 vcc, 0, v4
	v_cndmask_b32_e32 v4, v6, v5, vcc
	v_add_u32_e32 v5, 0x7fff, v4
	v_lshrrev_b32_e32 v5, 16, v5
	v_cmp_o_f32_e32 vcc, v4, v4
	v_cndmask_b32_e32 v35, v7, v5, vcc
	s_mov_b64 s[8:9], -1
	s_branch .LBB212_2465
.LBB212_2464:
	s_mov_b64 s[4:5], -1
                                        ; implicit-def: $vgpr35
.LBB212_2465:
	s_mov_b64 s[10:11], 0
.LBB212_2466:
	s_and_b64 vcc, exec, s[10:11]
	s_cbranch_vccz .LBB212_2470
; %bb.2467:
	v_mov_b32_e32 v4, 29
	v_cmp_eq_u16_sdwa s[4:5], v38, v4 src0_sel:BYTE_0 src1_sel:DWORD
	s_and_b64 vcc, exec, s[4:5]
	s_cbranch_vccz .LBB212_2469
; %bb.2468:
	global_load_dwordx2 v[4:5], v[2:3], off
	s_movk_i32 s8, 0x7fff
	s_mov_b64 s[4:5], 0
	s_mov_b64 s[10:11], 0
	s_waitcnt vmcnt(0)
	v_ffbh_u32_e32 v6, v5
	v_min_u32_e32 v6, 32, v6
	v_lshlrev_b64 v[4:5], v6, v[4:5]
	v_min_u32_e32 v4, 1, v4
	v_or_b32_e32 v4, v5, v4
	v_cvt_f32_u32_e32 v4, v4
	v_sub_u32_e32 v5, 32, v6
	v_ldexp_f32 v4, v4, v5
	v_bfe_u32 v5, v4, 16, 1
	v_add3_u32 v4, v4, v5, s8
	v_lshrrev_b32_e32 v35, 16, v4
	s_mov_b64 s[8:9], -1
	s_branch .LBB212_2471
.LBB212_2469:
	s_mov_b64 s[4:5], -1
                                        ; implicit-def: $vgpr35
.LBB212_2470:
	s_mov_b64 s[10:11], 0
.LBB212_2471:
	s_and_b64 vcc, exec, s[10:11]
	s_cbranch_vccz .LBB212_2489
; %bb.2472:
	v_mov_b32_e32 v4, 27
	v_cmp_lt_i16_sdwa s[8:9], v38, v4 src0_sel:BYTE_0 src1_sel:DWORD
	s_and_b64 vcc, exec, s[8:9]
	s_cbranch_vccnz .LBB212_2475
; %bb.2473:
	v_cmp_gt_i16_sdwa s[8:9], v38, v4 src0_sel:BYTE_0 src1_sel:DWORD
	s_and_b64 vcc, exec, s[8:9]
	s_cbranch_vccz .LBB212_2476
; %bb.2474:
	global_load_dword v4, v[2:3], off
	s_movk_i32 s8, 0x7fff
	s_waitcnt vmcnt(0)
	v_cvt_f32_u32_e32 v4, v4
	v_bfe_u32 v5, v4, 16, 1
	v_add3_u32 v4, v4, v5, s8
	v_lshrrev_b32_e32 v35, 16, v4
	s_mov_b64 s[8:9], 0
	s_branch .LBB212_2477
.LBB212_2475:
	s_mov_b64 s[8:9], -1
                                        ; implicit-def: $vgpr35
	s_branch .LBB212_2480
.LBB212_2476:
	s_mov_b64 s[8:9], -1
                                        ; implicit-def: $vgpr35
.LBB212_2477:
	s_andn2_b64 vcc, exec, s[8:9]
	s_cbranch_vccnz .LBB212_2479
; %bb.2478:
	global_load_ushort v4, v[2:3], off
	s_movk_i32 s8, 0x7fff
	s_waitcnt vmcnt(0)
	v_cvt_f32_u32_e32 v4, v4
	v_bfe_u32 v5, v4, 16, 1
	v_add3_u32 v4, v4, v5, s8
	v_lshrrev_b32_e32 v35, 16, v4
.LBB212_2479:
	s_mov_b64 s[8:9], 0
.LBB212_2480:
	s_andn2_b64 vcc, exec, s[8:9]
	s_cbranch_vccnz .LBB212_2488
; %bb.2481:
	global_load_ubyte v4, v[2:3], off
	s_movk_i32 s8, 0x7f
                                        ; implicit-def: $sgpr14
	s_waitcnt vmcnt(0)
	v_cmp_lt_i16_e32 vcc, s8, v4
	s_mov_b64 s[8:9], 0
	s_and_saveexec_b64 s[10:11], vcc
	s_xor_b64 s[10:11], exec, s[10:11]
	s_cbranch_execz .LBB212_2502
; %bb.2482:
	s_movk_i32 s8, 0x80
	v_cmp_eq_u16_e32 vcc, s8, v4
	s_mov_b64 s[8:9], -1
                                        ; implicit-def: $sgpr14
	s_and_saveexec_b64 s[12:13], vcc
; %bb.2483:
	s_mov_b32 s14, 0x7f800001
	s_xor_b64 s[8:9], exec, -1
; %bb.2484:
	s_or_b64 exec, exec, s[12:13]
	s_and_b64 s[8:9], s[8:9], exec
	s_or_saveexec_b64 s[10:11], s[10:11]
	v_mov_b32_e32 v5, s14
	s_xor_b64 exec, exec, s[10:11]
	s_cbranch_execnz .LBB212_2503
.LBB212_2485:
	s_or_b64 exec, exec, s[10:11]
	s_and_saveexec_b64 s[10:11], s[8:9]
	s_cbranch_execz .LBB212_2487
.LBB212_2486:
	v_lshlrev_b32_e32 v5, 24, v4
	v_and_b32_e32 v4, 0xffff, v4
	v_and_b32_e32 v6, 7, v4
	v_ffbh_u32_e32 v8, v6
	v_min_u32_e32 v8, 32, v8
	v_subrev_u32_e32 v9, 28, v8
	v_bfe_u32 v7, v4, 3, 4
	v_lshlrev_b32_e32 v4, v9, v4
	v_sub_u32_e32 v8, 29, v8
	v_and_b32_e32 v4, 7, v4
	v_cmp_eq_u32_e32 vcc, 0, v7
	v_cndmask_b32_e32 v7, v7, v8, vcc
	v_cndmask_b32_e32 v4, v6, v4, vcc
	v_mov_b32_e32 v6, 0x3b800000
	v_lshlrev_b32_e32 v4, 20, v4
	v_and_b32_e32 v5, 0x80000000, v5
	v_lshl_add_u32 v6, v7, 23, v6
	v_or3_b32 v5, v5, v6, v4
.LBB212_2487:
	s_or_b64 exec, exec, s[10:11]
	v_bfe_u32 v4, v5, 16, 1
	s_movk_i32 s8, 0x7fff
	v_add3_u32 v4, v5, v4, s8
	v_lshrrev_b32_e32 v4, 16, v4
	v_mov_b32_e32 v6, 0x7fc0
	v_cmp_o_f32_e32 vcc, v5, v5
	v_cndmask_b32_e32 v35, v6, v4, vcc
.LBB212_2488:
	s_mov_b64 s[8:9], -1
.LBB212_2489:
	s_mov_b64 s[10:11], 0
.LBB212_2490:
	s_and_b64 vcc, exec, s[10:11]
	s_cbranch_vccz .LBB212_2523
; %bb.2491:
	v_mov_b32_e32 v4, 22
	v_cmp_gt_i16_sdwa s[6:7], v38, v4 src0_sel:BYTE_0 src1_sel:DWORD
	s_and_b64 vcc, exec, s[6:7]
	s_cbranch_vccz .LBB212_2501
; %bb.2492:
	v_mov_b32_e32 v4, 24
	v_cmp_lt_i16_sdwa s[6:7], v38, v4 src0_sel:BYTE_0 src1_sel:DWORD
	s_and_b64 vcc, exec, s[6:7]
	s_cbranch_vccnz .LBB212_2504
; %bb.2493:
	v_cmp_gt_i16_sdwa s[6:7], v38, v4 src0_sel:BYTE_0 src1_sel:DWORD
	s_and_b64 vcc, exec, s[6:7]
	s_cbranch_vccz .LBB212_2505
; %bb.2494:
	global_load_ubyte v4, v[2:3], off
	s_movk_i32 s6, 0x7f
                                        ; implicit-def: $sgpr12
	s_waitcnt vmcnt(0)
	v_cmp_lt_i16_e32 vcc, s6, v4
	s_mov_b64 s[6:7], 0
	s_and_saveexec_b64 s[8:9], vcc
	s_xor_b64 s[8:9], exec, s[8:9]
	s_cbranch_execz .LBB212_2517
; %bb.2495:
	s_movk_i32 s6, 0x80
	v_cmp_eq_u16_e32 vcc, s6, v4
	s_mov_b64 s[6:7], -1
                                        ; implicit-def: $sgpr12
	s_and_saveexec_b64 s[10:11], vcc
; %bb.2496:
	s_mov_b32 s12, 0x7f800001
	s_xor_b64 s[6:7], exec, -1
; %bb.2497:
	s_or_b64 exec, exec, s[10:11]
	s_and_b64 s[6:7], s[6:7], exec
	s_or_saveexec_b64 s[8:9], s[8:9]
	v_mov_b32_e32 v5, s12
	s_xor_b64 exec, exec, s[8:9]
	s_cbranch_execnz .LBB212_2518
.LBB212_2498:
	s_or_b64 exec, exec, s[8:9]
	s_and_saveexec_b64 s[8:9], s[6:7]
	s_cbranch_execz .LBB212_2500
.LBB212_2499:
	v_lshlrev_b32_e32 v5, 24, v4
	v_and_b32_e32 v4, 0xffff, v4
	v_and_b32_e32 v6, 3, v4
	v_ffbh_u32_e32 v8, v6
	v_min_u32_e32 v8, 32, v8
	v_subrev_u32_e32 v9, 29, v8
	v_bfe_u32 v7, v4, 2, 5
	v_lshlrev_b32_e32 v4, v9, v4
	v_sub_u32_e32 v8, 30, v8
	v_and_b32_e32 v4, 3, v4
	v_cmp_eq_u32_e32 vcc, 0, v7
	v_cndmask_b32_e32 v7, v7, v8, vcc
	v_cndmask_b32_e32 v4, v6, v4, vcc
	v_mov_b32_e32 v6, 0x37800000
	v_lshlrev_b32_e32 v4, 21, v4
	v_and_b32_e32 v5, 0x80000000, v5
	v_lshl_add_u32 v6, v7, 23, v6
	v_or3_b32 v5, v5, v6, v4
.LBB212_2500:
	s_or_b64 exec, exec, s[8:9]
	v_bfe_u32 v4, v5, 16, 1
	s_movk_i32 s6, 0x7fff
	v_add3_u32 v4, v5, v4, s6
	v_lshrrev_b32_e32 v4, 16, v4
	v_mov_b32_e32 v6, 0x7fc0
	v_cmp_o_f32_e32 vcc, v5, v5
	v_cndmask_b32_e32 v35, v6, v4, vcc
	s_mov_b64 s[6:7], 0
	s_branch .LBB212_2506
.LBB212_2501:
	s_mov_b64 s[6:7], -1
                                        ; implicit-def: $vgpr35
	s_branch .LBB212_2512
.LBB212_2502:
	s_or_saveexec_b64 s[10:11], s[10:11]
	v_mov_b32_e32 v5, s14
	s_xor_b64 exec, exec, s[10:11]
	s_cbranch_execz .LBB212_2485
.LBB212_2503:
	v_cmp_ne_u16_e32 vcc, 0, v4
	s_andn2_b64 s[8:9], s[8:9], exec
	s_and_b64 s[12:13], vcc, exec
	v_mov_b32_e32 v5, 0
	s_or_b64 s[8:9], s[8:9], s[12:13]
	s_or_b64 exec, exec, s[10:11]
	s_and_saveexec_b64 s[10:11], s[8:9]
	s_cbranch_execnz .LBB212_2486
	s_branch .LBB212_2487
.LBB212_2504:
	s_mov_b64 s[6:7], -1
                                        ; implicit-def: $vgpr35
	s_branch .LBB212_2509
.LBB212_2505:
	s_mov_b64 s[6:7], -1
                                        ; implicit-def: $vgpr35
.LBB212_2506:
	s_and_b64 vcc, exec, s[6:7]
	s_cbranch_vccz .LBB212_2508
; %bb.2507:
	global_load_ubyte v4, v[2:3], off
	s_mov_b32 s6, 0x7f800000
	s_brev_b32 s7, 1
	s_movk_i32 s8, 0x7fff
	v_mov_b32_e32 v5, 0x7fc0
	s_waitcnt vmcnt(0)
	v_lshlrev_b32_e32 v4, 24, v4
	v_and_b32_e32 v6, 0x7f000000, v4
	v_ffbh_u32_e32 v7, v6
	v_min_u32_e32 v7, 32, v7
	v_sub_u32_e64 v7, v7, 4 clamp
	v_lshlrev_b32_e32 v9, v7, v6
	v_lshlrev_b32_e32 v7, 23, v7
	v_lshrrev_b32_e32 v9, 4, v9
	v_add_u32_e32 v8, 0x1000000, v6
	v_sub_u32_e32 v7, v9, v7
	v_ashrrev_i32_e32 v8, 8, v8
	v_add_u32_e32 v7, 0x3c000000, v7
	v_and_or_b32 v7, v8, s6, v7
	v_cmp_ne_u32_e32 vcc, 0, v6
	v_cndmask_b32_e32 v6, 0, v7, vcc
	v_and_or_b32 v4, v4, s7, v6
	v_bfe_u32 v6, v6, 16, 1
	v_add3_u32 v6, v4, v6, s8
	v_lshrrev_b32_e32 v6, 16, v6
	v_cmp_o_f32_e32 vcc, v4, v4
	v_cndmask_b32_e32 v35, v5, v6, vcc
.LBB212_2508:
	s_mov_b64 s[6:7], 0
.LBB212_2509:
	s_andn2_b64 vcc, exec, s[6:7]
	s_cbranch_vccnz .LBB212_2511
; %bb.2510:
	global_load_ubyte v4, v[2:3], off
	s_movk_i32 s6, 0x7f00
	s_brev_b32 s7, 16
	s_brev_b32 s8, 1
	s_movk_i32 s9, 0x7fff
	v_mov_b32_e32 v5, 0x7fc0
	s_waitcnt vmcnt(0)
	v_lshlrev_b16_e32 v6, 8, v4
	v_lshlrev_b32_e32 v4, 25, v4
	v_lshrrev_b32_e32 v7, 4, v4
	v_and_or_b32 v8, v6, s6, 0.5
	v_or_b32_e32 v7, 0x70000000, v7
	v_add_f32_e32 v8, -0.5, v8
	v_mul_f32_e32 v7, 0x7800000, v7
	v_cmp_gt_u32_e32 vcc, s7, v4
	v_bfe_i32 v6, v6, 0, 16
	v_cndmask_b32_e32 v4, v7, v8, vcc
	v_and_or_b32 v6, v6, s8, v4
	v_bfe_u32 v4, v4, 16, 1
	v_add3_u32 v4, v6, v4, s9
	v_lshrrev_b32_e32 v4, 16, v4
	v_cmp_o_f32_e32 vcc, v6, v6
	v_cndmask_b32_e32 v35, v5, v4, vcc
.LBB212_2511:
	s_mov_b64 s[6:7], 0
	s_mov_b64 s[8:9], -1
.LBB212_2512:
	s_andn2_b64 vcc, exec, s[6:7]
	s_mov_b64 s[6:7], 0
	s_cbranch_vccnz .LBB212_2523
; %bb.2513:
	v_mov_b32_e32 v4, 14
	v_cmp_gt_i16_sdwa s[6:7], v38, v4 src0_sel:BYTE_0 src1_sel:DWORD
	s_and_b64 vcc, exec, s[6:7]
	s_cbranch_vccz .LBB212_2516
; %bb.2514:
	v_mov_b32_e32 v4, 15
	v_cmp_eq_u16_sdwa s[4:5], v38, v4 src0_sel:BYTE_0 src1_sel:DWORD
	s_and_b64 vcc, exec, s[4:5]
	s_cbranch_vccz .LBB212_2519
; %bb.2515:
	global_load_ushort v35, v[2:3], off
	s_mov_b64 s[4:5], 0
	s_mov_b64 s[8:9], -1
	s_branch .LBB212_2520
.LBB212_2516:
	s_mov_b64 s[10:11], -1
                                        ; implicit-def: $vgpr35
	s_branch .LBB212_2521
.LBB212_2517:
	s_or_saveexec_b64 s[8:9], s[8:9]
	v_mov_b32_e32 v5, s12
	s_xor_b64 exec, exec, s[8:9]
	s_cbranch_execz .LBB212_2498
.LBB212_2518:
	v_cmp_ne_u16_e32 vcc, 0, v4
	s_andn2_b64 s[6:7], s[6:7], exec
	s_and_b64 s[10:11], vcc, exec
	v_mov_b32_e32 v5, 0
	s_or_b64 s[6:7], s[6:7], s[10:11]
	s_or_b64 exec, exec, s[8:9]
	s_and_saveexec_b64 s[8:9], s[6:7]
	s_cbranch_execnz .LBB212_2499
	s_branch .LBB212_2500
.LBB212_2519:
	s_mov_b64 s[4:5], -1
                                        ; implicit-def: $vgpr35
.LBB212_2520:
	s_mov_b64 s[10:11], 0
.LBB212_2521:
	s_mov_b64 s[6:7], 0
	s_and_b64 vcc, exec, s[10:11]
	s_cbranch_vccz .LBB212_2523
; %bb.2522:
	v_mov_b32_e32 v4, 11
	v_cmp_ne_u16_sdwa s[4:5], v38, v4 src0_sel:BYTE_0 src1_sel:DWORD
	s_mov_b64 s[6:7], -1
                                        ; implicit-def: $vgpr35
.LBB212_2523:
	s_and_b64 vcc, exec, s[4:5]
	s_cbranch_vccnz .LBB212_2587
; %bb.2524:
	s_andn2_b64 vcc, exec, s[6:7]
	s_cbranch_vccnz .LBB212_2526
.LBB212_2525:
	global_load_ubyte v4, v[2:3], off
	s_mov_b64 s[8:9], -1
	s_waitcnt vmcnt(0)
	v_cmp_ne_u16_e32 vcc, 0, v4
	v_cndmask_b32_e64 v4, 0, 1.0, vcc
	v_lshrrev_b32_e32 v35, 16, v4
.LBB212_2526:
	s_mov_b64 s[4:5], 0
.LBB212_2527:
	s_and_b64 vcc, exec, s[4:5]
	s_cbranch_vccz .LBB212_2576
; %bb.2528:
	v_mov_b32_e32 v4, 5
	v_cmp_lt_i16_sdwa s[4:5], v38, v4 src0_sel:BYTE_0 src1_sel:DWORD
	s_and_b64 vcc, exec, s[4:5]
	s_cbranch_vccnz .LBB212_2533
; %bb.2529:
	v_mov_b32_e32 v4, 8
	v_cmp_lt_i16_sdwa s[4:5], v38, v4 src0_sel:BYTE_0 src1_sel:DWORD
	s_and_b64 vcc, exec, s[4:5]
	s_cbranch_vccnz .LBB212_2534
	;; [unrolled: 5-line block ×3, first 2 shown]
; %bb.2531:
	v_cmp_gt_i16_sdwa s[4:5], v38, v4 src0_sel:BYTE_0 src1_sel:DWORD
	s_and_b64 vcc, exec, s[4:5]
	s_cbranch_vccz .LBB212_2536
; %bb.2532:
	global_load_dwordx2 v[4:5], v[2:3], off
	s_movk_i32 s4, 0x7fff
	v_mov_b32_e32 v6, 0x7fc0
	s_waitcnt vmcnt(0)
	v_cvt_f32_f64_e32 v4, v[4:5]
	v_bfe_u32 v5, v4, 16, 1
	v_add3_u32 v5, v4, v5, s4
	v_lshrrev_b32_e32 v5, 16, v5
	v_cmp_o_f32_e32 vcc, v4, v4
	v_cndmask_b32_e32 v35, v6, v5, vcc
	s_mov_b64 s[4:5], 0
	s_branch .LBB212_2537
.LBB212_2533:
	s_mov_b64 s[4:5], -1
                                        ; implicit-def: $vgpr35
	s_branch .LBB212_2555
.LBB212_2534:
	s_mov_b64 s[4:5], -1
                                        ; implicit-def: $vgpr35
	s_branch .LBB212_2543
.LBB212_2535:
	s_mov_b64 s[4:5], -1
                                        ; implicit-def: $vgpr35
	s_branch .LBB212_2540
.LBB212_2536:
	s_mov_b64 s[4:5], -1
                                        ; implicit-def: $vgpr35
.LBB212_2537:
	s_andn2_b64 vcc, exec, s[4:5]
	s_cbranch_vccnz .LBB212_2539
; %bb.2538:
	global_load_dword v4, v[2:3], off
	s_movk_i32 s4, 0x7fff
	v_mov_b32_e32 v5, 0x7fc0
	s_waitcnt vmcnt(0)
	v_bfe_u32 v6, v4, 16, 1
	v_add3_u32 v6, v4, v6, s4
	v_lshrrev_b32_e32 v6, 16, v6
	v_cmp_o_f32_e32 vcc, v4, v4
	v_cndmask_b32_e32 v35, v5, v6, vcc
.LBB212_2539:
	s_mov_b64 s[4:5], 0
.LBB212_2540:
	s_andn2_b64 vcc, exec, s[4:5]
	s_cbranch_vccnz .LBB212_2542
; %bb.2541:
	global_load_dword v4, v[2:3], off
	s_movk_i32 s4, 0x7fff
	v_mov_b32_e32 v6, 0x7fc0
	s_waitcnt vmcnt(0)
	v_cvt_f32_f16_e32 v5, v4
	v_cmp_o_f16_e32 vcc, v4, v4
	v_bfe_u32 v7, v5, 16, 1
	v_add3_u32 v5, v5, v7, s4
	v_lshrrev_b32_e32 v5, 16, v5
	v_cndmask_b32_e32 v35, v6, v5, vcc
.LBB212_2542:
	s_mov_b64 s[4:5], 0
.LBB212_2543:
	s_andn2_b64 vcc, exec, s[4:5]
	s_cbranch_vccnz .LBB212_2554
; %bb.2544:
	v_mov_b32_e32 v4, 6
	v_cmp_lt_i16_sdwa s[4:5], v38, v4 src0_sel:BYTE_0 src1_sel:DWORD
	s_and_b64 vcc, exec, s[4:5]
	s_cbranch_vccnz .LBB212_2547
; %bb.2545:
	v_cmp_gt_i16_sdwa s[4:5], v38, v4 src0_sel:BYTE_0 src1_sel:DWORD
	s_and_b64 vcc, exec, s[4:5]
	s_cbranch_vccz .LBB212_2548
; %bb.2546:
	global_load_dwordx2 v[4:5], v[2:3], off
	s_movk_i32 s4, 0x7fff
	v_mov_b32_e32 v6, 0x7fc0
	s_waitcnt vmcnt(0)
	v_cvt_f32_f64_e32 v4, v[4:5]
	v_bfe_u32 v5, v4, 16, 1
	v_add3_u32 v5, v4, v5, s4
	v_lshrrev_b32_e32 v5, 16, v5
	v_cmp_o_f32_e32 vcc, v4, v4
	v_cndmask_b32_e32 v35, v6, v5, vcc
	s_mov_b64 s[4:5], 0
	s_branch .LBB212_2549
.LBB212_2547:
	s_mov_b64 s[4:5], -1
                                        ; implicit-def: $vgpr35
	s_branch .LBB212_2552
.LBB212_2548:
	s_mov_b64 s[4:5], -1
                                        ; implicit-def: $vgpr35
.LBB212_2549:
	s_andn2_b64 vcc, exec, s[4:5]
	s_cbranch_vccnz .LBB212_2551
; %bb.2550:
	global_load_dword v4, v[2:3], off
	s_movk_i32 s4, 0x7fff
	v_mov_b32_e32 v5, 0x7fc0
	s_waitcnt vmcnt(0)
	v_bfe_u32 v6, v4, 16, 1
	v_add3_u32 v6, v4, v6, s4
	v_lshrrev_b32_e32 v6, 16, v6
	v_cmp_o_f32_e32 vcc, v4, v4
	v_cndmask_b32_e32 v35, v5, v6, vcc
.LBB212_2551:
	s_mov_b64 s[4:5], 0
.LBB212_2552:
	s_andn2_b64 vcc, exec, s[4:5]
	s_cbranch_vccnz .LBB212_2554
; %bb.2553:
	global_load_ushort v4, v[2:3], off
	s_movk_i32 s4, 0x7fff
	v_mov_b32_e32 v6, 0x7fc0
	s_waitcnt vmcnt(0)
	v_cvt_f32_f16_e32 v5, v4
	v_cmp_o_f16_e32 vcc, v4, v4
	v_bfe_u32 v7, v5, 16, 1
	v_add3_u32 v5, v5, v7, s4
	v_lshrrev_b32_e32 v5, 16, v5
	v_cndmask_b32_e32 v35, v6, v5, vcc
.LBB212_2554:
	s_mov_b64 s[4:5], 0
.LBB212_2555:
	s_andn2_b64 vcc, exec, s[4:5]
	s_cbranch_vccnz .LBB212_2575
; %bb.2556:
	v_mov_b32_e32 v4, 2
	v_cmp_lt_i16_sdwa s[4:5], v38, v4 src0_sel:BYTE_0 src1_sel:DWORD
	s_and_b64 vcc, exec, s[4:5]
	s_cbranch_vccnz .LBB212_2560
; %bb.2557:
	v_mov_b32_e32 v4, 3
	v_cmp_lt_i16_sdwa s[4:5], v38, v4 src0_sel:BYTE_0 src1_sel:DWORD
	s_and_b64 vcc, exec, s[4:5]
	s_cbranch_vccnz .LBB212_2561
; %bb.2558:
	v_cmp_gt_i16_sdwa s[4:5], v38, v4 src0_sel:BYTE_0 src1_sel:DWORD
	s_and_b64 vcc, exec, s[4:5]
	s_cbranch_vccz .LBB212_2562
; %bb.2559:
	global_load_dwordx2 v[4:5], v[2:3], off
	s_movk_i32 s4, 0x7fff
	s_waitcnt vmcnt(0)
	v_xor_b32_e32 v7, v4, v5
	v_ffbh_i32_e32 v6, v5
	v_ashrrev_i32_e32 v7, 31, v7
	v_add_u32_e32 v6, -1, v6
	v_add_u32_e32 v7, 32, v7
	v_min_u32_e32 v6, v6, v7
	v_lshlrev_b64 v[4:5], v6, v[4:5]
	v_min_u32_e32 v4, 1, v4
	v_or_b32_e32 v4, v5, v4
	v_cvt_f32_i32_e32 v4, v4
	v_sub_u32_e32 v5, 32, v6
	v_ldexp_f32 v4, v4, v5
	v_bfe_u32 v5, v4, 16, 1
	v_add3_u32 v4, v4, v5, s4
	v_lshrrev_b32_e32 v35, 16, v4
	s_mov_b64 s[4:5], 0
	s_branch .LBB212_2563
.LBB212_2560:
	s_mov_b64 s[4:5], -1
                                        ; implicit-def: $vgpr35
	s_branch .LBB212_2569
.LBB212_2561:
	s_mov_b64 s[4:5], -1
                                        ; implicit-def: $vgpr35
	s_branch .LBB212_2566
.LBB212_2562:
	s_mov_b64 s[4:5], -1
                                        ; implicit-def: $vgpr35
.LBB212_2563:
	s_andn2_b64 vcc, exec, s[4:5]
	s_cbranch_vccnz .LBB212_2565
; %bb.2564:
	global_load_dword v4, v[2:3], off
	s_movk_i32 s4, 0x7fff
	s_waitcnt vmcnt(0)
	v_cvt_f32_i32_e32 v4, v4
	v_bfe_u32 v5, v4, 16, 1
	v_add3_u32 v4, v4, v5, s4
	v_lshrrev_b32_e32 v35, 16, v4
.LBB212_2565:
	s_mov_b64 s[4:5], 0
.LBB212_2566:
	s_andn2_b64 vcc, exec, s[4:5]
	s_cbranch_vccnz .LBB212_2568
; %bb.2567:
	global_load_sshort v4, v[2:3], off
	s_movk_i32 s4, 0x7fff
	s_waitcnt vmcnt(0)
	v_cvt_f32_i32_e32 v4, v4
	v_bfe_u32 v5, v4, 16, 1
	v_add3_u32 v4, v4, v5, s4
	v_lshrrev_b32_e32 v35, 16, v4
.LBB212_2568:
	s_mov_b64 s[4:5], 0
.LBB212_2569:
	s_andn2_b64 vcc, exec, s[4:5]
	s_cbranch_vccnz .LBB212_2575
; %bb.2570:
	v_mov_b32_e32 v4, 0
	v_cmp_gt_i16_sdwa s[4:5], v38, v4 src0_sel:BYTE_0 src1_sel:DWORD
	s_and_b64 vcc, exec, s[4:5]
	s_cbranch_vccz .LBB212_2572
; %bb.2571:
	global_load_sbyte v4, v[2:3], off
	s_movk_i32 s4, 0x7fff
	s_waitcnt vmcnt(0)
	v_cvt_f32_i32_e32 v4, v4
	v_bfe_u32 v5, v4, 16, 1
	v_add3_u32 v4, v4, v5, s4
	v_lshrrev_b32_e32 v35, 16, v4
	s_mov_b64 s[4:5], 0
	s_branch .LBB212_2573
.LBB212_2572:
	s_mov_b64 s[4:5], -1
                                        ; implicit-def: $vgpr35
.LBB212_2573:
	s_andn2_b64 vcc, exec, s[4:5]
	s_cbranch_vccnz .LBB212_2575
; %bb.2574:
	global_load_ubyte v2, v[2:3], off
	s_movk_i32 s4, 0x7fff
	s_waitcnt vmcnt(0)
	v_cvt_f32_ubyte0_e32 v2, v2
	v_bfe_u32 v3, v2, 16, 1
	v_add3_u32 v2, v2, v3, s4
	v_lshrrev_b32_e32 v35, 16, v2
.LBB212_2575:
	s_mov_b64 s[8:9], -1
.LBB212_2576:
	s_andn2_b64 vcc, exec, s[8:9]
	s_cbranch_vccnz .LBB212_3030
; %bb.2577:
	s_getpc_b64 s[4:5]
	s_add_u32 s4, s4, _ZZZZN2at6native33launch_standard_gamma_grad_kernelERNS_18TensorIteratorBaseEENKUlvE_clEvENKUlvE2_clEvENKUlN3c108BFloat16ES6_E_clES6_S6_@rel32@lo+4
	s_addc_u32 s5, s5, _ZZZZN2at6native33launch_standard_gamma_grad_kernelERNS_18TensorIteratorBaseEENKUlvE_clEvENKUlvE2_clEvENKUlN3c108BFloat16ES6_E_clES6_S6_@rel32@hi+12
	s_swappc_b64 s[30:31], s[4:5]
	v_mul_lo_u32 v37, s36, v37
	v_ashrrev_i32_e32 v1, 31, v37
	v_mov_b32_e32 v3, s25
	v_add_co_u32_e32 v2, vcc, s24, v37
	v_addc_co_u32_e32 v3, vcc, v3, v1, vcc
	v_mov_b32_e32 v1, 11
	v_cmp_lt_i16_sdwa s[4:5], v36, v1 src0_sel:BYTE_0 src1_sel:DWORD
	s_and_b64 vcc, exec, s[4:5]
	s_cbranch_vccnz .LBB212_2584
; %bb.2578:
	v_mov_b32_e32 v1, 25
	v_cmp_gt_i16_sdwa s[4:5], v36, v1 src0_sel:BYTE_0 src1_sel:DWORD
	s_mov_b64 s[10:11], -1
	s_mov_b64 s[6:7], 0
	s_and_b64 vcc, exec, s[4:5]
	s_mov_b64 s[8:9], 0
	s_mov_b64 s[4:5], 0
	s_cbranch_vccz .LBB212_2616
; %bb.2579:
	v_mov_b32_e32 v1, 28
	v_cmp_gt_i16_sdwa s[4:5], v36, v1 src0_sel:BYTE_0 src1_sel:DWORD
	s_and_b64 vcc, exec, s[4:5]
	s_cbranch_vccz .LBB212_2585
; %bb.2580:
	v_mov_b32_e32 v1, 43
	v_cmp_gt_i16_sdwa s[4:5], v36, v1 src0_sel:BYTE_0 src1_sel:DWORD
	s_and_b64 vcc, exec, s[4:5]
	;; [unrolled: 5-line block ×3, first 2 shown]
	s_cbranch_vccz .LBB212_2588
; %bb.2582:
	v_mov_b32_e32 v1, 46
	v_cmp_eq_u16_sdwa s[8:9], v36, v1 src0_sel:BYTE_0 src1_sel:DWORD
	s_mov_b64 s[4:5], -1
	s_mov_b64 s[10:11], 0
	s_and_b64 vcc, exec, s[8:9]
	s_mov_b64 s[8:9], 0
	s_cbranch_vccz .LBB212_2589
; %bb.2583:
	v_and_b32_e32 v1, 0xffff, v0
	global_store_dword v[2:3], v1, off
	s_mov_b64 s[4:5], 0
	s_mov_b64 s[8:9], -1
	s_branch .LBB212_2589
.LBB212_2584:
	s_mov_b64 s[4:5], -1
	s_mov_b64 s[8:9], 0
	s_branch .LBB212_2660
.LBB212_2585:
	s_mov_b64 s[4:5], 0
	s_branch .LBB212_2599
.LBB212_2586:
	s_mov_b64 s[4:5], 0
	s_branch .LBB212_2595
.LBB212_2587:
	s_trap 2
	s_or_b64 s[42:43], s[42:43], exec
                                        ; implicit-def: $vgpr35
	s_cbranch_execz .LBB212_2525
	s_branch .LBB212_2526
.LBB212_2588:
	s_mov_b64 s[4:5], 0
.LBB212_2589:
	s_and_b64 vcc, exec, s[10:11]
	s_cbranch_vccz .LBB212_2594
; %bb.2590:
	v_mov_b32_e32 v1, 44
	v_cmp_eq_u16_sdwa s[10:11], v36, v1 src0_sel:BYTE_0 src1_sel:DWORD
	s_mov_b64 s[4:5], -1
	s_and_b64 vcc, exec, s[10:11]
	s_cbranch_vccz .LBB212_2594
; %bb.2591:
	v_and_b32_e32 v4, 0xffff, v0
	v_bfe_u32 v1, v4, 7, 8
	s_movk_i32 s4, 0xff
	v_cmp_ne_u32_e32 vcc, s4, v1
	v_mov_b32_e32 v5, 0xff
	s_and_saveexec_b64 s[8:9], vcc
; %bb.2592:
	v_lshlrev_b32_e32 v6, 16, v4
	s_mov_b32 s4, 0x3f0000
	v_lshrrev_b32_e32 v5, 7, v4
	v_and_b32_e32 v4, 64, v4
	v_and_or_b32 v1, v6, s4, v1
	v_cmp_ne_u32_e32 vcc, 0, v4
	v_cmp_ne_u32_e64 s[4:5], 0, v1
	s_and_b64 s[4:5], vcc, s[4:5]
	v_cndmask_b32_e64 v1, 0, 1, s[4:5]
	v_add_u32_e32 v5, v5, v1
; %bb.2593:
	s_or_b64 exec, exec, s[8:9]
	s_mov_b64 s[4:5], 0
	s_mov_b64 s[8:9], -1
	global_store_byte v[2:3], v5, off
.LBB212_2594:
	s_mov_b64 s[10:11], 0
.LBB212_2595:
	s_and_b64 vcc, exec, s[10:11]
	s_cbranch_vccz .LBB212_2598
; %bb.2596:
	v_mov_b32_e32 v1, 29
	v_cmp_eq_u16_sdwa s[10:11], v36, v1 src0_sel:BYTE_0 src1_sel:DWORD
	s_mov_b64 s[4:5], -1
	s_and_b64 vcc, exec, s[10:11]
	s_cbranch_vccz .LBB212_2598
; %bb.2597:
	v_lshlrev_b32_e32 v1, 16, v0
	v_trunc_f32_e32 v1, v1
	v_mul_f32_e32 v4, 0x2f800000, v1
	v_floor_f32_e32 v4, v4
	v_fmac_f32_e32 v1, 0xcf800000, v4
	v_cvt_u32_f32_e32 v5, v4
	v_cvt_u32_f32_e32 v4, v1
	s_mov_b64 s[4:5], 0
	s_mov_b64 s[8:9], -1
	s_mov_b64 s[10:11], 0
	global_store_dwordx2 v[2:3], v[4:5], off
	s_branch .LBB212_2599
.LBB212_2598:
	s_mov_b64 s[10:11], 0
.LBB212_2599:
	s_and_b64 vcc, exec, s[10:11]
	s_cbranch_vccz .LBB212_2615
; %bb.2600:
	v_mov_b32_e32 v1, 27
	v_cmp_lt_i16_sdwa s[10:11], v36, v1 src0_sel:BYTE_0 src1_sel:DWORD
	s_mov_b64 s[8:9], -1
	s_and_b64 vcc, exec, s[10:11]
	s_cbranch_vccnz .LBB212_2606
; %bb.2601:
	v_cmp_gt_i16_sdwa s[10:11], v36, v1 src0_sel:BYTE_0 src1_sel:DWORD
	s_and_b64 vcc, exec, s[10:11]
	s_cbranch_vccz .LBB212_2603
; %bb.2602:
	v_lshlrev_b32_e32 v1, 16, v0
	v_cvt_u32_f32_e32 v1, v1
	s_mov_b64 s[8:9], 0
	global_store_dword v[2:3], v1, off
.LBB212_2603:
	s_andn2_b64 vcc, exec, s[8:9]
	s_cbranch_vccnz .LBB212_2605
; %bb.2604:
	v_lshlrev_b32_e32 v1, 16, v0
	v_cvt_u32_f32_e32 v1, v1
	global_store_short v[2:3], v1, off
.LBB212_2605:
	s_mov_b64 s[8:9], 0
.LBB212_2606:
	s_andn2_b64 vcc, exec, s[8:9]
	s_cbranch_vccnz .LBB212_2614
; %bb.2607:
	v_lshlrev_b32_e32 v5, 16, v0
	v_and_b32_e32 v4, 0x7fffffff, v5
	s_mov_b32 s8, 0x43800000
	v_cmp_gt_u32_e32 vcc, s8, v4
	v_mov_b32_e32 v6, 0x80
	s_and_saveexec_b64 s[8:9], vcc
	s_cbranch_execz .LBB212_2613
; %bb.2608:
	s_mov_b32 s10, 0x3bffffff
	v_and_b32_e32 v1, 0xffff, v0
	v_cmp_lt_u32_e32 vcc, s10, v4
	s_mov_b64 s[10:11], 0
                                        ; implicit-def: $vgpr4
	s_and_saveexec_b64 s[12:13], vcc
	s_xor_b64 s[12:13], exec, s[12:13]
	s_cbranch_execz .LBB212_2709
; %bb.2609:
	v_bfe_u32 v4, v1, 4, 1
	s_mov_b32 s14, 0x487ffff
	v_add3_u32 v4, v5, v4, s14
	s_mov_b64 s[10:11], exec
	v_lshrrev_b32_e32 v4, 20, v4
                                        ; implicit-def: $vgpr5
	s_or_saveexec_b64 s[12:13], s[12:13]
                                        ; implicit-def: $sgpr14
	s_xor_b64 exec, exec, s[12:13]
	s_cbranch_execnz .LBB212_2710
.LBB212_2610:
	s_or_b64 exec, exec, s[12:13]
	v_mov_b32_e32 v6, s14
	s_and_saveexec_b64 s[12:13], s[10:11]
.LBB212_2611:
	v_lshrrev_b32_e32 v1, 8, v1
	s_movk_i32 s10, 0x80
	v_and_or_b32 v6, v1, s10, v4
.LBB212_2612:
	s_or_b64 exec, exec, s[12:13]
.LBB212_2613:
	s_or_b64 exec, exec, s[8:9]
	global_store_byte v[2:3], v6, off
.LBB212_2614:
	s_mov_b64 s[8:9], -1
.LBB212_2615:
	s_mov_b64 s[10:11], 0
.LBB212_2616:
	s_and_b64 vcc, exec, s[10:11]
	s_cbranch_vccz .LBB212_2656
; %bb.2617:
	v_mov_b32_e32 v1, 22
	v_cmp_gt_i16_sdwa s[10:11], v36, v1 src0_sel:BYTE_0 src1_sel:DWORD
	s_mov_b64 s[6:7], -1
	s_and_b64 vcc, exec, s[10:11]
	s_cbranch_vccz .LBB212_2649
; %bb.2618:
	v_mov_b32_e32 v1, 24
	v_cmp_lt_i16_sdwa s[8:9], v36, v1 src0_sel:BYTE_0 src1_sel:DWORD
	s_and_b64 vcc, exec, s[8:9]
	s_cbranch_vccnz .LBB212_2638
; %bb.2619:
	v_cmp_gt_i16_sdwa s[8:9], v36, v1 src0_sel:BYTE_0 src1_sel:DWORD
	s_and_b64 vcc, exec, s[8:9]
	s_cbranch_vccz .LBB212_2627
; %bb.2620:
	v_lshlrev_b32_e32 v5, 16, v0
	v_and_b32_e32 v4, 0x7fffffff, v5
	s_mov_b32 s6, 0x47800000
	v_cmp_gt_u32_e32 vcc, s6, v4
	v_mov_b32_e32 v6, 0x80
	s_and_saveexec_b64 s[6:7], vcc
	s_cbranch_execz .LBB212_2626
; %bb.2621:
	s_mov_b32 s8, 0x37ffffff
	v_and_b32_e32 v1, 0xffff, v0
	v_cmp_lt_u32_e32 vcc, s8, v4
	s_mov_b64 s[8:9], 0
                                        ; implicit-def: $vgpr4
	s_and_saveexec_b64 s[10:11], vcc
	s_xor_b64 s[10:11], exec, s[10:11]
	s_cbranch_execz .LBB212_2713
; %bb.2622:
	v_bfe_u32 v4, v1, 5, 1
	s_mov_b32 s12, 0x88fffff
	v_add3_u32 v4, v5, v4, s12
	s_mov_b64 s[8:9], exec
	v_lshrrev_b32_e32 v4, 21, v4
                                        ; implicit-def: $vgpr5
	s_or_saveexec_b64 s[10:11], s[10:11]
                                        ; implicit-def: $sgpr12
	s_xor_b64 exec, exec, s[10:11]
	s_cbranch_execnz .LBB212_2714
.LBB212_2623:
	s_or_b64 exec, exec, s[10:11]
	v_mov_b32_e32 v6, s12
	s_and_saveexec_b64 s[10:11], s[8:9]
.LBB212_2624:
	v_lshrrev_b32_e32 v1, 8, v1
	s_movk_i32 s8, 0x80
	v_and_or_b32 v6, v1, s8, v4
.LBB212_2625:
	s_or_b64 exec, exec, s[10:11]
.LBB212_2626:
	s_or_b64 exec, exec, s[6:7]
	s_mov_b64 s[6:7], 0
	global_store_byte v[2:3], v6, off
.LBB212_2627:
	s_and_b64 vcc, exec, s[6:7]
	s_cbranch_vccz .LBB212_2637
; %bb.2628:
	v_lshlrev_b32_e32 v5, 16, v0
	v_and_b32_e32 v6, 0x7fffffff, v5
	s_mov_b32 s6, 0x43f00000
	v_and_b32_e32 v1, 0xffff, v0
	v_cmp_gt_u32_e32 vcc, s6, v6
                                        ; implicit-def: $vgpr4
	s_and_saveexec_b64 s[6:7], vcc
	s_xor_b64 s[6:7], exec, s[6:7]
	s_cbranch_execz .LBB212_2634
; %bb.2629:
	s_mov_b32 s8, 0x3c7fffff
	v_cmp_lt_u32_e32 vcc, s8, v6
                                        ; implicit-def: $vgpr4
	s_and_saveexec_b64 s[8:9], vcc
	s_xor_b64 s[8:9], exec, s[8:9]
; %bb.2630:
	v_bfe_u32 v4, v1, 4, 1
	s_mov_b32 s10, 0x407ffff
	v_add3_u32 v4, v5, v4, s10
	v_lshrrev_b32_e32 v5, 20, v4
	v_and_b32_e32 v4, 0xff00000, v4
	s_mov_b32 s10, 0x7f00000
	v_mov_b32_e32 v6, 0x7e
	v_cmp_ne_u32_e32 vcc, s10, v4
	v_cndmask_b32_e32 v4, v6, v5, vcc
                                        ; implicit-def: $vgpr5
; %bb.2631:
	s_andn2_saveexec_b64 s[8:9], s[8:9]
; %bb.2632:
	s_mov_b32 s10, 0x46800000
	v_add_f32_e64 v4, |v5|, s10
; %bb.2633:
	s_or_b64 exec, exec, s[8:9]
                                        ; implicit-def: $vgpr6
.LBB212_2634:
	s_andn2_saveexec_b64 s[6:7], s[6:7]
; %bb.2635:
	s_mov_b32 s8, 0x7f800000
	v_mov_b32_e32 v4, 0x7e
	v_mov_b32_e32 v5, 0x7f
	v_cmp_lt_u32_e32 vcc, s8, v6
	v_cndmask_b32_e32 v4, v4, v5, vcc
; %bb.2636:
	s_or_b64 exec, exec, s[6:7]
	v_lshrrev_b32_e32 v1, 8, v1
	s_movk_i32 s6, 0x80
	v_and_or_b32 v1, v1, s6, v4
	global_store_byte v[2:3], v1, off
.LBB212_2637:
	s_mov_b64 s[6:7], 0
.LBB212_2638:
	s_andn2_b64 vcc, exec, s[6:7]
	s_cbranch_vccnz .LBB212_2648
; %bb.2639:
	v_lshlrev_b32_e32 v5, 16, v0
	v_and_b32_e32 v6, 0x7fffffff, v5
	s_mov_b32 s6, 0x47800000
	v_and_b32_e32 v1, 0xffff, v0
	v_cmp_gt_u32_e32 vcc, s6, v6
                                        ; implicit-def: $vgpr4
	s_and_saveexec_b64 s[6:7], vcc
	s_xor_b64 s[6:7], exec, s[6:7]
	s_cbranch_execz .LBB212_2645
; %bb.2640:
	s_mov_b32 s8, 0x387fffff
	v_cmp_lt_u32_e32 vcc, s8, v6
                                        ; implicit-def: $vgpr4
	s_and_saveexec_b64 s[8:9], vcc
	s_xor_b64 s[8:9], exec, s[8:9]
; %bb.2641:
	v_bfe_u32 v4, v1, 5, 1
	s_mov_b32 s10, 0x80fffff
	v_add3_u32 v4, v5, v4, s10
	v_lshrrev_b32_e32 v4, 21, v4
                                        ; implicit-def: $vgpr5
; %bb.2642:
	s_andn2_saveexec_b64 s[8:9], s[8:9]
; %bb.2643:
	s_mov_b32 s10, 0x43000000
	v_add_f32_e64 v4, |v5|, s10
; %bb.2644:
	s_or_b64 exec, exec, s[8:9]
                                        ; implicit-def: $vgpr6
.LBB212_2645:
	s_andn2_saveexec_b64 s[6:7], s[6:7]
; %bb.2646:
	s_mov_b32 s8, 0x7f800000
	v_mov_b32_e32 v4, 0x7c
	v_mov_b32_e32 v5, 0x7f
	v_cmp_lt_u32_e32 vcc, s8, v6
	v_cndmask_b32_e32 v4, v4, v5, vcc
; %bb.2647:
	s_or_b64 exec, exec, s[6:7]
	v_lshrrev_b32_e32 v1, 8, v1
	s_movk_i32 s6, 0x80
	v_and_or_b32 v1, v1, s6, v4
	global_store_byte v[2:3], v1, off
.LBB212_2648:
	s_mov_b64 s[6:7], 0
	s_mov_b64 s[8:9], -1
.LBB212_2649:
	s_andn2_b64 vcc, exec, s[6:7]
	s_mov_b64 s[6:7], 0
	s_cbranch_vccnz .LBB212_2656
; %bb.2650:
	v_mov_b32_e32 v1, 14
	v_cmp_gt_i16_sdwa s[6:7], v36, v1 src0_sel:BYTE_0 src1_sel:DWORD
	s_mov_b64 s[10:11], -1
	s_and_b64 vcc, exec, s[6:7]
	s_cbranch_vccz .LBB212_2654
; %bb.2651:
	v_mov_b32_e32 v1, 15
	v_cmp_eq_u16_sdwa s[6:7], v36, v1 src0_sel:BYTE_0 src1_sel:DWORD
	s_mov_b64 s[4:5], -1
	s_and_b64 vcc, exec, s[6:7]
	s_cbranch_vccz .LBB212_2653
; %bb.2652:
	global_store_short v[2:3], v0, off
	s_mov_b64 s[4:5], 0
	s_mov_b64 s[8:9], -1
.LBB212_2653:
	s_mov_b64 s[10:11], 0
.LBB212_2654:
	s_mov_b64 s[6:7], 0
	s_and_b64 vcc, exec, s[10:11]
	s_cbranch_vccz .LBB212_2656
; %bb.2655:
	v_mov_b32_e32 v1, 11
	v_cmp_ne_u16_sdwa s[4:5], v36, v1 src0_sel:BYTE_0 src1_sel:DWORD
	s_mov_b64 s[6:7], -1
.LBB212_2656:
	s_and_b64 vcc, exec, s[4:5]
	s_cbranch_vccnz .LBB212_2712
; %bb.2657:
	s_andn2_b64 vcc, exec, s[6:7]
	s_cbranch_vccnz .LBB212_2659
.LBB212_2658:
	v_and_b32_e32 v1, 0x7fff, v0
	v_cmp_ne_u16_e32 vcc, 0, v1
	v_cndmask_b32_e64 v1, 0, 1, vcc
	s_mov_b64 s[8:9], -1
	global_store_byte v[2:3], v1, off
.LBB212_2659:
	s_mov_b64 s[4:5], 0
.LBB212_2660:
	s_and_b64 vcc, exec, s[4:5]
	s_cbranch_vccz .LBB212_2699
; %bb.2661:
	v_mov_b32_e32 v1, 5
	v_cmp_lt_i16_sdwa s[6:7], v36, v1 src0_sel:BYTE_0 src1_sel:DWORD
	s_mov_b64 s[4:5], -1
	s_and_b64 vcc, exec, s[6:7]
	s_cbranch_vccnz .LBB212_2682
; %bb.2662:
	v_mov_b32_e32 v1, 8
	v_cmp_lt_i16_sdwa s[6:7], v36, v1 src0_sel:BYTE_0 src1_sel:DWORD
	s_and_b64 vcc, exec, s[6:7]
	s_cbranch_vccnz .LBB212_2672
; %bb.2663:
	v_mov_b32_e32 v1, 9
	v_cmp_lt_i16_sdwa s[6:7], v36, v1 src0_sel:BYTE_0 src1_sel:DWORD
	s_and_b64 vcc, exec, s[6:7]
	s_cbranch_vccnz .LBB212_2669
; %bb.2664:
	v_cmp_gt_i16_sdwa s[6:7], v36, v1 src0_sel:BYTE_0 src1_sel:DWORD
	s_and_b64 vcc, exec, s[6:7]
	s_cbranch_vccz .LBB212_2666
; %bb.2665:
	v_lshlrev_b32_e32 v1, 16, v0
	v_mov_b32_e32 v6, 0
	v_cvt_f64_f32_e32 v[4:5], v1
	v_mov_b32_e32 v7, v6
	global_store_dwordx4 v[2:3], v[4:7], off
	s_mov_b64 s[4:5], 0
.LBB212_2666:
	s_andn2_b64 vcc, exec, s[4:5]
	s_cbranch_vccnz .LBB212_2668
; %bb.2667:
	v_lshlrev_b32_e32 v4, 16, v0
	v_mov_b32_e32 v5, 0
	global_store_dwordx2 v[2:3], v[4:5], off
.LBB212_2668:
	s_mov_b64 s[4:5], 0
.LBB212_2669:
	s_andn2_b64 vcc, exec, s[4:5]
	s_cbranch_vccnz .LBB212_2671
; %bb.2670:
	v_lshlrev_b32_e32 v1, 16, v0
	v_cvt_f16_f32_e32 v1, v1
	global_store_dword v[2:3], v1, off
.LBB212_2671:
	s_mov_b64 s[4:5], 0
.LBB212_2672:
	s_andn2_b64 vcc, exec, s[4:5]
	s_cbranch_vccnz .LBB212_2681
; %bb.2673:
	v_mov_b32_e32 v1, 6
	v_cmp_lt_i16_sdwa s[6:7], v36, v1 src0_sel:BYTE_0 src1_sel:DWORD
	s_mov_b64 s[4:5], -1
	s_and_b64 vcc, exec, s[6:7]
	s_cbranch_vccnz .LBB212_2679
; %bb.2674:
	v_cmp_gt_i16_sdwa s[6:7], v36, v1 src0_sel:BYTE_0 src1_sel:DWORD
	s_and_b64 vcc, exec, s[6:7]
	s_cbranch_vccz .LBB212_2676
; %bb.2675:
	v_lshlrev_b32_e32 v1, 16, v0
	v_cvt_f64_f32_e32 v[4:5], v1
	global_store_dwordx2 v[2:3], v[4:5], off
	s_mov_b64 s[4:5], 0
.LBB212_2676:
	s_andn2_b64 vcc, exec, s[4:5]
	s_cbranch_vccnz .LBB212_2678
; %bb.2677:
	v_lshlrev_b32_e32 v1, 16, v0
	global_store_dword v[2:3], v1, off
.LBB212_2678:
	s_mov_b64 s[4:5], 0
.LBB212_2679:
	s_andn2_b64 vcc, exec, s[4:5]
	s_cbranch_vccnz .LBB212_2681
; %bb.2680:
	v_lshlrev_b32_e32 v1, 16, v0
	v_cvt_f16_f32_e32 v1, v1
	global_store_short v[2:3], v1, off
.LBB212_2681:
	s_mov_b64 s[4:5], 0
.LBB212_2682:
	s_andn2_b64 vcc, exec, s[4:5]
	s_cbranch_vccnz .LBB212_2698
; %bb.2683:
	v_mov_b32_e32 v1, 2
	v_cmp_lt_i16_sdwa s[6:7], v36, v1 src0_sel:BYTE_0 src1_sel:DWORD
	s_mov_b64 s[4:5], -1
	s_and_b64 vcc, exec, s[6:7]
	s_cbranch_vccnz .LBB212_2693
; %bb.2684:
	v_mov_b32_e32 v1, 3
	v_cmp_lt_i16_sdwa s[6:7], v36, v1 src0_sel:BYTE_0 src1_sel:DWORD
	s_and_b64 vcc, exec, s[6:7]
	s_cbranch_vccnz .LBB212_2690
; %bb.2685:
	v_cmp_gt_i16_sdwa s[6:7], v36, v1 src0_sel:BYTE_0 src1_sel:DWORD
	s_and_b64 vcc, exec, s[6:7]
	s_cbranch_vccz .LBB212_2687
; %bb.2686:
	v_lshlrev_b32_e32 v1, 16, v0
	v_trunc_f32_e32 v1, v1
	s_mov_b32 s4, 0x2f800000
	v_mul_f32_e64 v4, |v1|, s4
	v_floor_f32_e32 v4, v4
	s_mov_b32 s4, 0xcf800000
	v_cvt_u32_f32_e32 v5, v4
	v_fma_f32 v4, v4, s4, |v1|
	v_cvt_u32_f32_e32 v4, v4
	v_ashrrev_i32_e32 v1, 31, v1
	v_xor_b32_e32 v5, v5, v1
	s_mov_b64 s[4:5], 0
	v_xor_b32_e32 v4, v4, v1
	v_sub_co_u32_e32 v4, vcc, v4, v1
	v_subb_co_u32_e32 v5, vcc, v5, v1, vcc
	global_store_dwordx2 v[2:3], v[4:5], off
.LBB212_2687:
	s_andn2_b64 vcc, exec, s[4:5]
	s_cbranch_vccnz .LBB212_2689
; %bb.2688:
	v_lshlrev_b32_e32 v1, 16, v0
	v_cvt_i32_f32_e32 v1, v1
	global_store_dword v[2:3], v1, off
.LBB212_2689:
	s_mov_b64 s[4:5], 0
.LBB212_2690:
	s_andn2_b64 vcc, exec, s[4:5]
	s_cbranch_vccnz .LBB212_2692
; %bb.2691:
	v_lshlrev_b32_e32 v1, 16, v0
	v_cvt_i32_f32_e32 v1, v1
	global_store_short v[2:3], v1, off
.LBB212_2692:
	s_mov_b64 s[4:5], 0
.LBB212_2693:
	s_andn2_b64 vcc, exec, s[4:5]
	s_cbranch_vccnz .LBB212_2698
; %bb.2694:
	v_mov_b32_e32 v1, 0
	v_cmp_gt_i16_sdwa s[6:7], v36, v1 src0_sel:BYTE_0 src1_sel:DWORD
	s_mov_b64 s[4:5], -1
	s_and_b64 vcc, exec, s[6:7]
	v_lshlrev_b32_e32 v0, 16, v0
	s_cbranch_vccz .LBB212_2696
; %bb.2695:
	v_cvt_i32_f32_e32 v1, v0
	s_mov_b64 s[4:5], 0
	global_store_byte v[2:3], v1, off
.LBB212_2696:
	s_andn2_b64 vcc, exec, s[4:5]
	s_cbranch_vccnz .LBB212_2698
; %bb.2697:
	v_trunc_f32_e32 v0, v0
	s_mov_b32 s4, 0x2f800000
	v_mul_f32_e64 v1, |v0|, s4
	v_floor_f32_e32 v1, v1
	s_mov_b32 s4, 0xcf800000
	v_fma_f32 v1, v1, s4, |v0|
	v_cvt_u32_f32_e32 v1, v1
	v_ashrrev_i32_e32 v0, 31, v0
	v_xor_b32_e32 v1, v1, v0
	v_sub_u32_e32 v0, v1, v0
	global_store_byte v[2:3], v0, off
.LBB212_2698:
	s_mov_b64 s[8:9], -1
.LBB212_2699:
	s_andn2_b64 vcc, exec, s[8:9]
	s_cbranch_vccnz .LBB212_3030
; %bb.2700:
	v_mov_b32_e32 v0, v30
	v_mov_b32_e32 v1, v31
	s_getpc_b64 s[4:5]
	s_add_u32 s4, s4, _ZZZZN2at6native33launch_standard_gamma_grad_kernelERNS_18TensorIteratorBaseEENKUlvE_clEvENKUlvE2_clEvENKUlN3c108BFloat16ES6_E_clES6_S6_@rel32@lo+4
	s_addc_u32 s5, s5, _ZZZZN2at6native33launch_standard_gamma_grad_kernelERNS_18TensorIteratorBaseEENKUlvE_clEvENKUlvE2_clEvENKUlN3c108BFloat16ES6_E_clES6_S6_@rel32@hi+12
	s_swappc_b64 s[30:31], s[4:5]
	s_lshl_b32 s22, s36, 7
	v_add_u32_e32 v30, s22, v37
	v_ashrrev_i32_e32 v1, 31, v30
	v_mov_b32_e32 v3, s25
	v_add_co_u32_e32 v2, vcc, s24, v30
	v_addc_co_u32_e32 v3, vcc, v3, v1, vcc
	v_mov_b32_e32 v1, 11
	v_cmp_lt_i16_sdwa s[4:5], v36, v1 src0_sel:BYTE_0 src1_sel:DWORD
	s_and_b64 vcc, exec, s[4:5]
	s_cbranch_vccnz .LBB212_2707
; %bb.2701:
	v_mov_b32_e32 v1, 25
	v_cmp_gt_i16_sdwa s[4:5], v36, v1 src0_sel:BYTE_0 src1_sel:DWORD
	s_mov_b64 s[10:11], -1
	s_mov_b64 s[6:7], 0
	s_and_b64 vcc, exec, s[4:5]
	s_mov_b64 s[8:9], 0
	s_mov_b64 s[4:5], 0
	s_cbranch_vccz .LBB212_2743
; %bb.2702:
	v_mov_b32_e32 v1, 28
	v_cmp_gt_i16_sdwa s[4:5], v36, v1 src0_sel:BYTE_0 src1_sel:DWORD
	s_and_b64 vcc, exec, s[4:5]
	s_cbranch_vccz .LBB212_2708
; %bb.2703:
	v_mov_b32_e32 v1, 43
	v_cmp_gt_i16_sdwa s[4:5], v36, v1 src0_sel:BYTE_0 src1_sel:DWORD
	s_and_b64 vcc, exec, s[4:5]
	;; [unrolled: 5-line block ×3, first 2 shown]
	s_cbranch_vccz .LBB212_2715
; %bb.2705:
	v_mov_b32_e32 v1, 46
	v_cmp_eq_u16_sdwa s[8:9], v36, v1 src0_sel:BYTE_0 src1_sel:DWORD
	s_mov_b64 s[4:5], -1
	s_mov_b64 s[10:11], 0
	s_and_b64 vcc, exec, s[8:9]
	s_mov_b64 s[8:9], 0
	s_cbranch_vccz .LBB212_2716
; %bb.2706:
	v_and_b32_e32 v1, 0xffff, v0
	global_store_dword v[2:3], v1, off
	s_mov_b64 s[4:5], 0
	s_mov_b64 s[8:9], -1
	s_branch .LBB212_2716
.LBB212_2707:
	s_mov_b64 s[4:5], -1
	s_mov_b64 s[8:9], 0
	s_branch .LBB212_2787
.LBB212_2708:
	s_mov_b64 s[4:5], 0
	s_branch .LBB212_2726
.LBB212_2709:
	s_or_saveexec_b64 s[12:13], s[12:13]
                                        ; implicit-def: $sgpr14
	s_xor_b64 exec, exec, s[12:13]
	s_cbranch_execz .LBB212_2610
.LBB212_2710:
	s_mov_b32 s14, 0x46000000
	v_add_f32_e64 v4, |v5|, s14
	v_and_b32_e32 v4, 0xff, v4
	v_cmp_ne_u32_e32 vcc, 0, v4
	s_andn2_b64 s[10:11], s[10:11], exec
	s_and_b64 s[16:17], vcc, exec
	s_mov_b32 s14, 0
	s_or_b64 s[10:11], s[10:11], s[16:17]
	s_or_b64 exec, exec, s[12:13]
	v_mov_b32_e32 v6, s14
	s_and_saveexec_b64 s[12:13], s[10:11]
	s_cbranch_execnz .LBB212_2611
	s_branch .LBB212_2612
.LBB212_2711:
	s_mov_b64 s[4:5], 0
	s_branch .LBB212_2722
.LBB212_2712:
	s_trap 2
	s_or_b64 s[42:43], s[42:43], exec
	s_cbranch_execz .LBB212_2658
	s_branch .LBB212_2659
.LBB212_2713:
	s_or_saveexec_b64 s[10:11], s[10:11]
                                        ; implicit-def: $sgpr12
	s_xor_b64 exec, exec, s[10:11]
	s_cbranch_execz .LBB212_2623
.LBB212_2714:
	s_mov_b32 s12, 0x42800000
	v_add_f32_e64 v4, |v5|, s12
	v_and_b32_e32 v4, 0xff, v4
	v_cmp_ne_u32_e32 vcc, 0, v4
	s_andn2_b64 s[8:9], s[8:9], exec
	s_and_b64 s[14:15], vcc, exec
	s_mov_b32 s12, 0
	s_or_b64 s[8:9], s[8:9], s[14:15]
	s_or_b64 exec, exec, s[10:11]
	v_mov_b32_e32 v6, s12
	s_and_saveexec_b64 s[10:11], s[8:9]
	s_cbranch_execnz .LBB212_2624
	s_branch .LBB212_2625
.LBB212_2715:
	s_mov_b64 s[4:5], 0
.LBB212_2716:
	s_and_b64 vcc, exec, s[10:11]
	s_cbranch_vccz .LBB212_2721
; %bb.2717:
	v_mov_b32_e32 v1, 44
	v_cmp_eq_u16_sdwa s[10:11], v36, v1 src0_sel:BYTE_0 src1_sel:DWORD
	s_mov_b64 s[4:5], -1
	s_and_b64 vcc, exec, s[10:11]
	s_cbranch_vccz .LBB212_2721
; %bb.2718:
	v_and_b32_e32 v4, 0xffff, v0
	v_bfe_u32 v1, v4, 7, 8
	s_movk_i32 s4, 0xff
	v_cmp_ne_u32_e32 vcc, s4, v1
	v_mov_b32_e32 v5, 0xff
	s_and_saveexec_b64 s[8:9], vcc
; %bb.2719:
	v_lshlrev_b32_e32 v6, 16, v4
	s_mov_b32 s4, 0x3f0000
	v_lshrrev_b32_e32 v5, 7, v4
	v_and_b32_e32 v4, 64, v4
	v_and_or_b32 v1, v6, s4, v1
	v_cmp_ne_u32_e32 vcc, 0, v4
	v_cmp_ne_u32_e64 s[4:5], 0, v1
	s_and_b64 s[4:5], vcc, s[4:5]
	v_cndmask_b32_e64 v1, 0, 1, s[4:5]
	v_add_u32_e32 v5, v5, v1
; %bb.2720:
	s_or_b64 exec, exec, s[8:9]
	s_mov_b64 s[4:5], 0
	s_mov_b64 s[8:9], -1
	global_store_byte v[2:3], v5, off
.LBB212_2721:
	s_mov_b64 s[10:11], 0
.LBB212_2722:
	s_and_b64 vcc, exec, s[10:11]
	s_cbranch_vccz .LBB212_2725
; %bb.2723:
	v_mov_b32_e32 v1, 29
	v_cmp_eq_u16_sdwa s[10:11], v36, v1 src0_sel:BYTE_0 src1_sel:DWORD
	s_mov_b64 s[4:5], -1
	s_and_b64 vcc, exec, s[10:11]
	s_cbranch_vccz .LBB212_2725
; %bb.2724:
	v_lshlrev_b32_e32 v1, 16, v0
	v_trunc_f32_e32 v1, v1
	v_mul_f32_e32 v4, 0x2f800000, v1
	v_floor_f32_e32 v4, v4
	v_fmac_f32_e32 v1, 0xcf800000, v4
	v_cvt_u32_f32_e32 v5, v4
	v_cvt_u32_f32_e32 v4, v1
	s_mov_b64 s[4:5], 0
	s_mov_b64 s[8:9], -1
	s_mov_b64 s[10:11], 0
	global_store_dwordx2 v[2:3], v[4:5], off
	s_branch .LBB212_2726
.LBB212_2725:
	s_mov_b64 s[10:11], 0
.LBB212_2726:
	s_and_b64 vcc, exec, s[10:11]
	s_cbranch_vccz .LBB212_2742
; %bb.2727:
	v_mov_b32_e32 v1, 27
	v_cmp_lt_i16_sdwa s[10:11], v36, v1 src0_sel:BYTE_0 src1_sel:DWORD
	s_mov_b64 s[8:9], -1
	s_and_b64 vcc, exec, s[10:11]
	s_cbranch_vccnz .LBB212_2733
; %bb.2728:
	v_cmp_gt_i16_sdwa s[10:11], v36, v1 src0_sel:BYTE_0 src1_sel:DWORD
	s_and_b64 vcc, exec, s[10:11]
	s_cbranch_vccz .LBB212_2730
; %bb.2729:
	v_lshlrev_b32_e32 v1, 16, v0
	v_cvt_u32_f32_e32 v1, v1
	s_mov_b64 s[8:9], 0
	global_store_dword v[2:3], v1, off
.LBB212_2730:
	s_andn2_b64 vcc, exec, s[8:9]
	s_cbranch_vccnz .LBB212_2732
; %bb.2731:
	v_lshlrev_b32_e32 v1, 16, v0
	v_cvt_u32_f32_e32 v1, v1
	global_store_short v[2:3], v1, off
.LBB212_2732:
	s_mov_b64 s[8:9], 0
.LBB212_2733:
	s_andn2_b64 vcc, exec, s[8:9]
	s_cbranch_vccnz .LBB212_2741
; %bb.2734:
	v_lshlrev_b32_e32 v5, 16, v0
	v_and_b32_e32 v4, 0x7fffffff, v5
	s_mov_b32 s8, 0x43800000
	v_cmp_gt_u32_e32 vcc, s8, v4
	v_mov_b32_e32 v6, 0x80
	s_and_saveexec_b64 s[8:9], vcc
	s_cbranch_execz .LBB212_2740
; %bb.2735:
	s_mov_b32 s10, 0x3bffffff
	v_and_b32_e32 v1, 0xffff, v0
	v_cmp_lt_u32_e32 vcc, s10, v4
	s_mov_b64 s[10:11], 0
                                        ; implicit-def: $vgpr4
	s_and_saveexec_b64 s[12:13], vcc
	s_xor_b64 s[12:13], exec, s[12:13]
	s_cbranch_execz .LBB212_2836
; %bb.2736:
	v_bfe_u32 v4, v1, 4, 1
	s_mov_b32 s14, 0x487ffff
	v_add3_u32 v4, v5, v4, s14
	s_mov_b64 s[10:11], exec
	v_lshrrev_b32_e32 v4, 20, v4
                                        ; implicit-def: $vgpr5
	s_or_saveexec_b64 s[12:13], s[12:13]
                                        ; implicit-def: $sgpr14
	s_xor_b64 exec, exec, s[12:13]
	s_cbranch_execnz .LBB212_2837
.LBB212_2737:
	s_or_b64 exec, exec, s[12:13]
	v_mov_b32_e32 v6, s14
	s_and_saveexec_b64 s[12:13], s[10:11]
.LBB212_2738:
	v_lshrrev_b32_e32 v1, 8, v1
	s_movk_i32 s10, 0x80
	v_and_or_b32 v6, v1, s10, v4
.LBB212_2739:
	s_or_b64 exec, exec, s[12:13]
.LBB212_2740:
	s_or_b64 exec, exec, s[8:9]
	global_store_byte v[2:3], v6, off
.LBB212_2741:
	s_mov_b64 s[8:9], -1
.LBB212_2742:
	s_mov_b64 s[10:11], 0
.LBB212_2743:
	s_and_b64 vcc, exec, s[10:11]
	s_cbranch_vccz .LBB212_2783
; %bb.2744:
	v_mov_b32_e32 v1, 22
	v_cmp_gt_i16_sdwa s[10:11], v36, v1 src0_sel:BYTE_0 src1_sel:DWORD
	s_mov_b64 s[6:7], -1
	s_and_b64 vcc, exec, s[10:11]
	s_cbranch_vccz .LBB212_2776
; %bb.2745:
	v_mov_b32_e32 v1, 24
	v_cmp_lt_i16_sdwa s[8:9], v36, v1 src0_sel:BYTE_0 src1_sel:DWORD
	s_and_b64 vcc, exec, s[8:9]
	s_cbranch_vccnz .LBB212_2765
; %bb.2746:
	v_cmp_gt_i16_sdwa s[8:9], v36, v1 src0_sel:BYTE_0 src1_sel:DWORD
	s_and_b64 vcc, exec, s[8:9]
	s_cbranch_vccz .LBB212_2754
; %bb.2747:
	v_lshlrev_b32_e32 v5, 16, v0
	v_and_b32_e32 v4, 0x7fffffff, v5
	s_mov_b32 s6, 0x47800000
	v_cmp_gt_u32_e32 vcc, s6, v4
	v_mov_b32_e32 v6, 0x80
	s_and_saveexec_b64 s[6:7], vcc
	s_cbranch_execz .LBB212_2753
; %bb.2748:
	s_mov_b32 s8, 0x37ffffff
	v_and_b32_e32 v1, 0xffff, v0
	v_cmp_lt_u32_e32 vcc, s8, v4
	s_mov_b64 s[8:9], 0
                                        ; implicit-def: $vgpr4
	s_and_saveexec_b64 s[10:11], vcc
	s_xor_b64 s[10:11], exec, s[10:11]
	s_cbranch_execz .LBB212_2840
; %bb.2749:
	v_bfe_u32 v4, v1, 5, 1
	s_mov_b32 s12, 0x88fffff
	v_add3_u32 v4, v5, v4, s12
	s_mov_b64 s[8:9], exec
	v_lshrrev_b32_e32 v4, 21, v4
                                        ; implicit-def: $vgpr5
	s_or_saveexec_b64 s[10:11], s[10:11]
                                        ; implicit-def: $sgpr12
	s_xor_b64 exec, exec, s[10:11]
	s_cbranch_execnz .LBB212_2841
.LBB212_2750:
	s_or_b64 exec, exec, s[10:11]
	v_mov_b32_e32 v6, s12
	s_and_saveexec_b64 s[10:11], s[8:9]
.LBB212_2751:
	v_lshrrev_b32_e32 v1, 8, v1
	s_movk_i32 s8, 0x80
	v_and_or_b32 v6, v1, s8, v4
.LBB212_2752:
	s_or_b64 exec, exec, s[10:11]
.LBB212_2753:
	s_or_b64 exec, exec, s[6:7]
	s_mov_b64 s[6:7], 0
	global_store_byte v[2:3], v6, off
.LBB212_2754:
	s_and_b64 vcc, exec, s[6:7]
	s_cbranch_vccz .LBB212_2764
; %bb.2755:
	v_lshlrev_b32_e32 v5, 16, v0
	v_and_b32_e32 v6, 0x7fffffff, v5
	s_mov_b32 s6, 0x43f00000
	v_and_b32_e32 v1, 0xffff, v0
	v_cmp_gt_u32_e32 vcc, s6, v6
                                        ; implicit-def: $vgpr4
	s_and_saveexec_b64 s[6:7], vcc
	s_xor_b64 s[6:7], exec, s[6:7]
	s_cbranch_execz .LBB212_2761
; %bb.2756:
	s_mov_b32 s8, 0x3c7fffff
	v_cmp_lt_u32_e32 vcc, s8, v6
                                        ; implicit-def: $vgpr4
	s_and_saveexec_b64 s[8:9], vcc
	s_xor_b64 s[8:9], exec, s[8:9]
; %bb.2757:
	v_bfe_u32 v4, v1, 4, 1
	s_mov_b32 s10, 0x407ffff
	v_add3_u32 v4, v5, v4, s10
	v_lshrrev_b32_e32 v5, 20, v4
	v_and_b32_e32 v4, 0xff00000, v4
	s_mov_b32 s10, 0x7f00000
	v_mov_b32_e32 v6, 0x7e
	v_cmp_ne_u32_e32 vcc, s10, v4
	v_cndmask_b32_e32 v4, v6, v5, vcc
                                        ; implicit-def: $vgpr5
; %bb.2758:
	s_andn2_saveexec_b64 s[8:9], s[8:9]
; %bb.2759:
	s_mov_b32 s10, 0x46800000
	v_add_f32_e64 v4, |v5|, s10
; %bb.2760:
	s_or_b64 exec, exec, s[8:9]
                                        ; implicit-def: $vgpr6
.LBB212_2761:
	s_andn2_saveexec_b64 s[6:7], s[6:7]
; %bb.2762:
	s_mov_b32 s8, 0x7f800000
	v_mov_b32_e32 v4, 0x7e
	v_mov_b32_e32 v5, 0x7f
	v_cmp_lt_u32_e32 vcc, s8, v6
	v_cndmask_b32_e32 v4, v4, v5, vcc
; %bb.2763:
	s_or_b64 exec, exec, s[6:7]
	v_lshrrev_b32_e32 v1, 8, v1
	s_movk_i32 s6, 0x80
	v_and_or_b32 v1, v1, s6, v4
	global_store_byte v[2:3], v1, off
.LBB212_2764:
	s_mov_b64 s[6:7], 0
.LBB212_2765:
	s_andn2_b64 vcc, exec, s[6:7]
	s_cbranch_vccnz .LBB212_2775
; %bb.2766:
	v_lshlrev_b32_e32 v5, 16, v0
	v_and_b32_e32 v6, 0x7fffffff, v5
	s_mov_b32 s6, 0x47800000
	v_and_b32_e32 v1, 0xffff, v0
	v_cmp_gt_u32_e32 vcc, s6, v6
                                        ; implicit-def: $vgpr4
	s_and_saveexec_b64 s[6:7], vcc
	s_xor_b64 s[6:7], exec, s[6:7]
	s_cbranch_execz .LBB212_2772
; %bb.2767:
	s_mov_b32 s8, 0x387fffff
	v_cmp_lt_u32_e32 vcc, s8, v6
                                        ; implicit-def: $vgpr4
	s_and_saveexec_b64 s[8:9], vcc
	s_xor_b64 s[8:9], exec, s[8:9]
; %bb.2768:
	v_bfe_u32 v4, v1, 5, 1
	s_mov_b32 s10, 0x80fffff
	v_add3_u32 v4, v5, v4, s10
	v_lshrrev_b32_e32 v4, 21, v4
                                        ; implicit-def: $vgpr5
; %bb.2769:
	s_andn2_saveexec_b64 s[8:9], s[8:9]
; %bb.2770:
	s_mov_b32 s10, 0x43000000
	v_add_f32_e64 v4, |v5|, s10
; %bb.2771:
	s_or_b64 exec, exec, s[8:9]
                                        ; implicit-def: $vgpr6
.LBB212_2772:
	s_andn2_saveexec_b64 s[6:7], s[6:7]
; %bb.2773:
	s_mov_b32 s8, 0x7f800000
	v_mov_b32_e32 v4, 0x7c
	v_mov_b32_e32 v5, 0x7f
	v_cmp_lt_u32_e32 vcc, s8, v6
	v_cndmask_b32_e32 v4, v4, v5, vcc
; %bb.2774:
	s_or_b64 exec, exec, s[6:7]
	v_lshrrev_b32_e32 v1, 8, v1
	s_movk_i32 s6, 0x80
	v_and_or_b32 v1, v1, s6, v4
	global_store_byte v[2:3], v1, off
.LBB212_2775:
	s_mov_b64 s[6:7], 0
	s_mov_b64 s[8:9], -1
.LBB212_2776:
	s_andn2_b64 vcc, exec, s[6:7]
	s_mov_b64 s[6:7], 0
	s_cbranch_vccnz .LBB212_2783
; %bb.2777:
	v_mov_b32_e32 v1, 14
	v_cmp_gt_i16_sdwa s[6:7], v36, v1 src0_sel:BYTE_0 src1_sel:DWORD
	s_mov_b64 s[10:11], -1
	s_and_b64 vcc, exec, s[6:7]
	s_cbranch_vccz .LBB212_2781
; %bb.2778:
	v_mov_b32_e32 v1, 15
	v_cmp_eq_u16_sdwa s[6:7], v36, v1 src0_sel:BYTE_0 src1_sel:DWORD
	s_mov_b64 s[4:5], -1
	s_and_b64 vcc, exec, s[6:7]
	s_cbranch_vccz .LBB212_2780
; %bb.2779:
	global_store_short v[2:3], v0, off
	s_mov_b64 s[4:5], 0
	s_mov_b64 s[8:9], -1
.LBB212_2780:
	s_mov_b64 s[10:11], 0
.LBB212_2781:
	s_mov_b64 s[6:7], 0
	s_and_b64 vcc, exec, s[10:11]
	s_cbranch_vccz .LBB212_2783
; %bb.2782:
	v_mov_b32_e32 v1, 11
	v_cmp_ne_u16_sdwa s[4:5], v36, v1 src0_sel:BYTE_0 src1_sel:DWORD
	s_mov_b64 s[6:7], -1
.LBB212_2783:
	s_and_b64 vcc, exec, s[4:5]
	s_cbranch_vccnz .LBB212_2839
; %bb.2784:
	s_andn2_b64 vcc, exec, s[6:7]
	s_cbranch_vccnz .LBB212_2786
.LBB212_2785:
	v_and_b32_e32 v1, 0x7fff, v0
	v_cmp_ne_u16_e32 vcc, 0, v1
	v_cndmask_b32_e64 v1, 0, 1, vcc
	s_mov_b64 s[8:9], -1
	global_store_byte v[2:3], v1, off
.LBB212_2786:
	s_mov_b64 s[4:5], 0
.LBB212_2787:
	s_and_b64 vcc, exec, s[4:5]
	s_cbranch_vccz .LBB212_2826
; %bb.2788:
	v_mov_b32_e32 v1, 5
	v_cmp_lt_i16_sdwa s[6:7], v36, v1 src0_sel:BYTE_0 src1_sel:DWORD
	s_mov_b64 s[4:5], -1
	s_and_b64 vcc, exec, s[6:7]
	s_cbranch_vccnz .LBB212_2809
; %bb.2789:
	v_mov_b32_e32 v1, 8
	v_cmp_lt_i16_sdwa s[6:7], v36, v1 src0_sel:BYTE_0 src1_sel:DWORD
	s_and_b64 vcc, exec, s[6:7]
	s_cbranch_vccnz .LBB212_2799
; %bb.2790:
	v_mov_b32_e32 v1, 9
	v_cmp_lt_i16_sdwa s[6:7], v36, v1 src0_sel:BYTE_0 src1_sel:DWORD
	s_and_b64 vcc, exec, s[6:7]
	s_cbranch_vccnz .LBB212_2796
; %bb.2791:
	v_cmp_gt_i16_sdwa s[6:7], v36, v1 src0_sel:BYTE_0 src1_sel:DWORD
	s_and_b64 vcc, exec, s[6:7]
	s_cbranch_vccz .LBB212_2793
; %bb.2792:
	v_lshlrev_b32_e32 v1, 16, v0
	v_mov_b32_e32 v6, 0
	v_cvt_f64_f32_e32 v[4:5], v1
	v_mov_b32_e32 v7, v6
	global_store_dwordx4 v[2:3], v[4:7], off
	s_mov_b64 s[4:5], 0
.LBB212_2793:
	s_andn2_b64 vcc, exec, s[4:5]
	s_cbranch_vccnz .LBB212_2795
; %bb.2794:
	v_lshlrev_b32_e32 v4, 16, v0
	v_mov_b32_e32 v5, 0
	global_store_dwordx2 v[2:3], v[4:5], off
.LBB212_2795:
	s_mov_b64 s[4:5], 0
.LBB212_2796:
	s_andn2_b64 vcc, exec, s[4:5]
	s_cbranch_vccnz .LBB212_2798
; %bb.2797:
	v_lshlrev_b32_e32 v1, 16, v0
	v_cvt_f16_f32_e32 v1, v1
	global_store_dword v[2:3], v1, off
.LBB212_2798:
	s_mov_b64 s[4:5], 0
.LBB212_2799:
	s_andn2_b64 vcc, exec, s[4:5]
	s_cbranch_vccnz .LBB212_2808
; %bb.2800:
	v_mov_b32_e32 v1, 6
	v_cmp_lt_i16_sdwa s[6:7], v36, v1 src0_sel:BYTE_0 src1_sel:DWORD
	s_mov_b64 s[4:5], -1
	s_and_b64 vcc, exec, s[6:7]
	s_cbranch_vccnz .LBB212_2806
; %bb.2801:
	v_cmp_gt_i16_sdwa s[6:7], v36, v1 src0_sel:BYTE_0 src1_sel:DWORD
	s_and_b64 vcc, exec, s[6:7]
	s_cbranch_vccz .LBB212_2803
; %bb.2802:
	v_lshlrev_b32_e32 v1, 16, v0
	v_cvt_f64_f32_e32 v[4:5], v1
	global_store_dwordx2 v[2:3], v[4:5], off
	s_mov_b64 s[4:5], 0
.LBB212_2803:
	s_andn2_b64 vcc, exec, s[4:5]
	s_cbranch_vccnz .LBB212_2805
; %bb.2804:
	v_lshlrev_b32_e32 v1, 16, v0
	global_store_dword v[2:3], v1, off
.LBB212_2805:
	s_mov_b64 s[4:5], 0
.LBB212_2806:
	s_andn2_b64 vcc, exec, s[4:5]
	s_cbranch_vccnz .LBB212_2808
; %bb.2807:
	v_lshlrev_b32_e32 v1, 16, v0
	v_cvt_f16_f32_e32 v1, v1
	global_store_short v[2:3], v1, off
.LBB212_2808:
	s_mov_b64 s[4:5], 0
.LBB212_2809:
	s_andn2_b64 vcc, exec, s[4:5]
	s_cbranch_vccnz .LBB212_2825
; %bb.2810:
	v_mov_b32_e32 v1, 2
	v_cmp_lt_i16_sdwa s[6:7], v36, v1 src0_sel:BYTE_0 src1_sel:DWORD
	s_mov_b64 s[4:5], -1
	s_and_b64 vcc, exec, s[6:7]
	s_cbranch_vccnz .LBB212_2820
; %bb.2811:
	v_mov_b32_e32 v1, 3
	v_cmp_lt_i16_sdwa s[6:7], v36, v1 src0_sel:BYTE_0 src1_sel:DWORD
	s_and_b64 vcc, exec, s[6:7]
	s_cbranch_vccnz .LBB212_2817
; %bb.2812:
	v_cmp_gt_i16_sdwa s[6:7], v36, v1 src0_sel:BYTE_0 src1_sel:DWORD
	s_and_b64 vcc, exec, s[6:7]
	s_cbranch_vccz .LBB212_2814
; %bb.2813:
	v_lshlrev_b32_e32 v1, 16, v0
	v_trunc_f32_e32 v1, v1
	s_mov_b32 s4, 0x2f800000
	v_mul_f32_e64 v4, |v1|, s4
	v_floor_f32_e32 v4, v4
	s_mov_b32 s4, 0xcf800000
	v_cvt_u32_f32_e32 v5, v4
	v_fma_f32 v4, v4, s4, |v1|
	v_cvt_u32_f32_e32 v4, v4
	v_ashrrev_i32_e32 v1, 31, v1
	v_xor_b32_e32 v5, v5, v1
	s_mov_b64 s[4:5], 0
	v_xor_b32_e32 v4, v4, v1
	v_sub_co_u32_e32 v4, vcc, v4, v1
	v_subb_co_u32_e32 v5, vcc, v5, v1, vcc
	global_store_dwordx2 v[2:3], v[4:5], off
.LBB212_2814:
	s_andn2_b64 vcc, exec, s[4:5]
	s_cbranch_vccnz .LBB212_2816
; %bb.2815:
	v_lshlrev_b32_e32 v1, 16, v0
	v_cvt_i32_f32_e32 v1, v1
	global_store_dword v[2:3], v1, off
.LBB212_2816:
	s_mov_b64 s[4:5], 0
.LBB212_2817:
	s_andn2_b64 vcc, exec, s[4:5]
	s_cbranch_vccnz .LBB212_2819
; %bb.2818:
	v_lshlrev_b32_e32 v1, 16, v0
	v_cvt_i32_f32_e32 v1, v1
	global_store_short v[2:3], v1, off
.LBB212_2819:
	s_mov_b64 s[4:5], 0
.LBB212_2820:
	s_andn2_b64 vcc, exec, s[4:5]
	s_cbranch_vccnz .LBB212_2825
; %bb.2821:
	v_mov_b32_e32 v1, 0
	v_cmp_gt_i16_sdwa s[6:7], v36, v1 src0_sel:BYTE_0 src1_sel:DWORD
	s_mov_b64 s[4:5], -1
	s_and_b64 vcc, exec, s[6:7]
	v_lshlrev_b32_e32 v0, 16, v0
	s_cbranch_vccz .LBB212_2823
; %bb.2822:
	v_cvt_i32_f32_e32 v1, v0
	s_mov_b64 s[4:5], 0
	global_store_byte v[2:3], v1, off
.LBB212_2823:
	s_andn2_b64 vcc, exec, s[4:5]
	s_cbranch_vccnz .LBB212_2825
; %bb.2824:
	v_trunc_f32_e32 v0, v0
	s_mov_b32 s4, 0x2f800000
	v_mul_f32_e64 v1, |v0|, s4
	v_floor_f32_e32 v1, v1
	s_mov_b32 s4, 0xcf800000
	v_fma_f32 v1, v1, s4, |v0|
	v_cvt_u32_f32_e32 v1, v1
	v_ashrrev_i32_e32 v0, 31, v0
	v_xor_b32_e32 v1, v1, v0
	v_sub_u32_e32 v0, v1, v0
	global_store_byte v[2:3], v0, off
.LBB212_2825:
	s_mov_b64 s[8:9], -1
.LBB212_2826:
	s_andn2_b64 vcc, exec, s[8:9]
	s_cbranch_vccnz .LBB212_3030
; %bb.2827:
	v_mov_b32_e32 v0, v32
	v_mov_b32_e32 v1, v33
	s_getpc_b64 s[4:5]
	s_add_u32 s4, s4, _ZZZZN2at6native33launch_standard_gamma_grad_kernelERNS_18TensorIteratorBaseEENKUlvE_clEvENKUlvE2_clEvENKUlN3c108BFloat16ES6_E_clES6_S6_@rel32@lo+4
	s_addc_u32 s5, s5, _ZZZZN2at6native33launch_standard_gamma_grad_kernelERNS_18TensorIteratorBaseEENKUlvE_clEvENKUlvE2_clEvENKUlN3c108BFloat16ES6_E_clES6_S6_@rel32@hi+12
	s_swappc_b64 s[30:31], s[4:5]
	v_add_u32_e32 v30, s22, v30
	v_ashrrev_i32_e32 v1, 31, v30
	v_mov_b32_e32 v3, s25
	v_add_co_u32_e32 v2, vcc, s24, v30
	v_addc_co_u32_e32 v3, vcc, v3, v1, vcc
	v_mov_b32_e32 v1, 11
	v_cmp_lt_i16_sdwa s[4:5], v36, v1 src0_sel:BYTE_0 src1_sel:DWORD
	s_and_b64 vcc, exec, s[4:5]
	s_cbranch_vccnz .LBB212_2834
; %bb.2828:
	v_mov_b32_e32 v1, 25
	v_cmp_gt_i16_sdwa s[4:5], v36, v1 src0_sel:BYTE_0 src1_sel:DWORD
	s_mov_b64 s[10:11], -1
	s_mov_b64 s[6:7], 0
	s_and_b64 vcc, exec, s[4:5]
	s_mov_b64 s[8:9], 0
	s_mov_b64 s[4:5], 0
	s_cbranch_vccz .LBB212_2870
; %bb.2829:
	v_mov_b32_e32 v1, 28
	v_cmp_gt_i16_sdwa s[4:5], v36, v1 src0_sel:BYTE_0 src1_sel:DWORD
	s_and_b64 vcc, exec, s[4:5]
	s_cbranch_vccz .LBB212_2835
; %bb.2830:
	v_mov_b32_e32 v1, 43
	v_cmp_gt_i16_sdwa s[4:5], v36, v1 src0_sel:BYTE_0 src1_sel:DWORD
	s_and_b64 vcc, exec, s[4:5]
	;; [unrolled: 5-line block ×3, first 2 shown]
	s_cbranch_vccz .LBB212_2842
; %bb.2832:
	v_mov_b32_e32 v1, 46
	v_cmp_eq_u16_sdwa s[8:9], v36, v1 src0_sel:BYTE_0 src1_sel:DWORD
	s_mov_b64 s[4:5], -1
	s_mov_b64 s[10:11], 0
	s_and_b64 vcc, exec, s[8:9]
	s_mov_b64 s[8:9], 0
	s_cbranch_vccz .LBB212_2843
; %bb.2833:
	v_and_b32_e32 v1, 0xffff, v0
	global_store_dword v[2:3], v1, off
	s_mov_b64 s[4:5], 0
	s_mov_b64 s[8:9], -1
	s_branch .LBB212_2843
.LBB212_2834:
	s_mov_b64 s[4:5], -1
	s_mov_b64 s[8:9], 0
	s_branch .LBB212_2914
.LBB212_2835:
	s_mov_b64 s[4:5], 0
	s_branch .LBB212_2853
.LBB212_2836:
	s_or_saveexec_b64 s[12:13], s[12:13]
                                        ; implicit-def: $sgpr14
	s_xor_b64 exec, exec, s[12:13]
	s_cbranch_execz .LBB212_2737
.LBB212_2837:
	s_mov_b32 s14, 0x46000000
	v_add_f32_e64 v4, |v5|, s14
	v_and_b32_e32 v4, 0xff, v4
	v_cmp_ne_u32_e32 vcc, 0, v4
	s_andn2_b64 s[10:11], s[10:11], exec
	s_and_b64 s[16:17], vcc, exec
	s_mov_b32 s14, 0
	s_or_b64 s[10:11], s[10:11], s[16:17]
	s_or_b64 exec, exec, s[12:13]
	v_mov_b32_e32 v6, s14
	s_and_saveexec_b64 s[12:13], s[10:11]
	s_cbranch_execnz .LBB212_2738
	s_branch .LBB212_2739
.LBB212_2838:
	s_mov_b64 s[4:5], 0
	s_branch .LBB212_2849
.LBB212_2839:
	s_trap 2
	s_or_b64 s[42:43], s[42:43], exec
	s_cbranch_execz .LBB212_2785
	s_branch .LBB212_2786
.LBB212_2840:
	s_or_saveexec_b64 s[10:11], s[10:11]
                                        ; implicit-def: $sgpr12
	s_xor_b64 exec, exec, s[10:11]
	s_cbranch_execz .LBB212_2750
.LBB212_2841:
	s_mov_b32 s12, 0x42800000
	v_add_f32_e64 v4, |v5|, s12
	v_and_b32_e32 v4, 0xff, v4
	v_cmp_ne_u32_e32 vcc, 0, v4
	s_andn2_b64 s[8:9], s[8:9], exec
	s_and_b64 s[14:15], vcc, exec
	s_mov_b32 s12, 0
	s_or_b64 s[8:9], s[8:9], s[14:15]
	s_or_b64 exec, exec, s[10:11]
	v_mov_b32_e32 v6, s12
	s_and_saveexec_b64 s[10:11], s[8:9]
	s_cbranch_execnz .LBB212_2751
	s_branch .LBB212_2752
.LBB212_2842:
	s_mov_b64 s[4:5], 0
.LBB212_2843:
	s_and_b64 vcc, exec, s[10:11]
	s_cbranch_vccz .LBB212_2848
; %bb.2844:
	v_mov_b32_e32 v1, 44
	v_cmp_eq_u16_sdwa s[10:11], v36, v1 src0_sel:BYTE_0 src1_sel:DWORD
	s_mov_b64 s[4:5], -1
	s_and_b64 vcc, exec, s[10:11]
	s_cbranch_vccz .LBB212_2848
; %bb.2845:
	v_and_b32_e32 v4, 0xffff, v0
	v_bfe_u32 v1, v4, 7, 8
	s_movk_i32 s4, 0xff
	v_cmp_ne_u32_e32 vcc, s4, v1
	v_mov_b32_e32 v5, 0xff
	s_and_saveexec_b64 s[8:9], vcc
; %bb.2846:
	v_lshlrev_b32_e32 v6, 16, v4
	s_mov_b32 s4, 0x3f0000
	v_lshrrev_b32_e32 v5, 7, v4
	v_and_b32_e32 v4, 64, v4
	v_and_or_b32 v1, v6, s4, v1
	v_cmp_ne_u32_e32 vcc, 0, v4
	v_cmp_ne_u32_e64 s[4:5], 0, v1
	s_and_b64 s[4:5], vcc, s[4:5]
	v_cndmask_b32_e64 v1, 0, 1, s[4:5]
	v_add_u32_e32 v5, v5, v1
; %bb.2847:
	s_or_b64 exec, exec, s[8:9]
	s_mov_b64 s[4:5], 0
	s_mov_b64 s[8:9], -1
	global_store_byte v[2:3], v5, off
.LBB212_2848:
	s_mov_b64 s[10:11], 0
.LBB212_2849:
	s_and_b64 vcc, exec, s[10:11]
	s_cbranch_vccz .LBB212_2852
; %bb.2850:
	v_mov_b32_e32 v1, 29
	v_cmp_eq_u16_sdwa s[10:11], v36, v1 src0_sel:BYTE_0 src1_sel:DWORD
	s_mov_b64 s[4:5], -1
	s_and_b64 vcc, exec, s[10:11]
	s_cbranch_vccz .LBB212_2852
; %bb.2851:
	v_lshlrev_b32_e32 v1, 16, v0
	v_trunc_f32_e32 v1, v1
	v_mul_f32_e32 v4, 0x2f800000, v1
	v_floor_f32_e32 v4, v4
	v_fmac_f32_e32 v1, 0xcf800000, v4
	v_cvt_u32_f32_e32 v5, v4
	v_cvt_u32_f32_e32 v4, v1
	s_mov_b64 s[4:5], 0
	s_mov_b64 s[8:9], -1
	s_mov_b64 s[10:11], 0
	global_store_dwordx2 v[2:3], v[4:5], off
	s_branch .LBB212_2853
.LBB212_2852:
	s_mov_b64 s[10:11], 0
.LBB212_2853:
	s_and_b64 vcc, exec, s[10:11]
	s_cbranch_vccz .LBB212_2869
; %bb.2854:
	v_mov_b32_e32 v1, 27
	v_cmp_lt_i16_sdwa s[10:11], v36, v1 src0_sel:BYTE_0 src1_sel:DWORD
	s_mov_b64 s[8:9], -1
	s_and_b64 vcc, exec, s[10:11]
	s_cbranch_vccnz .LBB212_2860
; %bb.2855:
	v_cmp_gt_i16_sdwa s[10:11], v36, v1 src0_sel:BYTE_0 src1_sel:DWORD
	s_and_b64 vcc, exec, s[10:11]
	s_cbranch_vccz .LBB212_2857
; %bb.2856:
	v_lshlrev_b32_e32 v1, 16, v0
	v_cvt_u32_f32_e32 v1, v1
	s_mov_b64 s[8:9], 0
	global_store_dword v[2:3], v1, off
.LBB212_2857:
	s_andn2_b64 vcc, exec, s[8:9]
	s_cbranch_vccnz .LBB212_2859
; %bb.2858:
	v_lshlrev_b32_e32 v1, 16, v0
	v_cvt_u32_f32_e32 v1, v1
	global_store_short v[2:3], v1, off
.LBB212_2859:
	s_mov_b64 s[8:9], 0
.LBB212_2860:
	s_andn2_b64 vcc, exec, s[8:9]
	s_cbranch_vccnz .LBB212_2868
; %bb.2861:
	v_lshlrev_b32_e32 v5, 16, v0
	v_and_b32_e32 v4, 0x7fffffff, v5
	s_mov_b32 s8, 0x43800000
	v_cmp_gt_u32_e32 vcc, s8, v4
	v_mov_b32_e32 v6, 0x80
	s_and_saveexec_b64 s[8:9], vcc
	s_cbranch_execz .LBB212_2867
; %bb.2862:
	s_mov_b32 s10, 0x3bffffff
	v_and_b32_e32 v1, 0xffff, v0
	v_cmp_lt_u32_e32 vcc, s10, v4
	s_mov_b64 s[10:11], 0
                                        ; implicit-def: $vgpr4
	s_and_saveexec_b64 s[12:13], vcc
	s_xor_b64 s[12:13], exec, s[12:13]
	s_cbranch_execz .LBB212_3076
; %bb.2863:
	v_bfe_u32 v4, v1, 4, 1
	s_mov_b32 s14, 0x487ffff
	v_add3_u32 v4, v5, v4, s14
	s_mov_b64 s[10:11], exec
	v_lshrrev_b32_e32 v4, 20, v4
                                        ; implicit-def: $vgpr5
	s_or_saveexec_b64 s[12:13], s[12:13]
                                        ; implicit-def: $sgpr14
	s_xor_b64 exec, exec, s[12:13]
	s_cbranch_execnz .LBB212_3077
.LBB212_2864:
	s_or_b64 exec, exec, s[12:13]
	v_mov_b32_e32 v6, s14
	s_and_saveexec_b64 s[12:13], s[10:11]
.LBB212_2865:
	v_lshrrev_b32_e32 v1, 8, v1
	s_movk_i32 s10, 0x80
	v_and_or_b32 v6, v1, s10, v4
.LBB212_2866:
	s_or_b64 exec, exec, s[12:13]
.LBB212_2867:
	s_or_b64 exec, exec, s[8:9]
	global_store_byte v[2:3], v6, off
.LBB212_2868:
	s_mov_b64 s[8:9], -1
.LBB212_2869:
	s_mov_b64 s[10:11], 0
.LBB212_2870:
	s_and_b64 vcc, exec, s[10:11]
	s_cbranch_vccz .LBB212_2910
; %bb.2871:
	v_mov_b32_e32 v1, 22
	v_cmp_gt_i16_sdwa s[10:11], v36, v1 src0_sel:BYTE_0 src1_sel:DWORD
	s_mov_b64 s[6:7], -1
	s_and_b64 vcc, exec, s[10:11]
	s_cbranch_vccz .LBB212_2903
; %bb.2872:
	v_mov_b32_e32 v1, 24
	v_cmp_lt_i16_sdwa s[8:9], v36, v1 src0_sel:BYTE_0 src1_sel:DWORD
	s_and_b64 vcc, exec, s[8:9]
	s_cbranch_vccnz .LBB212_2892
; %bb.2873:
	v_cmp_gt_i16_sdwa s[8:9], v36, v1 src0_sel:BYTE_0 src1_sel:DWORD
	s_and_b64 vcc, exec, s[8:9]
	s_cbranch_vccz .LBB212_2881
; %bb.2874:
	v_lshlrev_b32_e32 v5, 16, v0
	v_and_b32_e32 v4, 0x7fffffff, v5
	s_mov_b32 s6, 0x47800000
	v_cmp_gt_u32_e32 vcc, s6, v4
	v_mov_b32_e32 v6, 0x80
	s_and_saveexec_b64 s[6:7], vcc
	s_cbranch_execz .LBB212_2880
; %bb.2875:
	s_mov_b32 s8, 0x37ffffff
	v_and_b32_e32 v1, 0xffff, v0
	v_cmp_lt_u32_e32 vcc, s8, v4
	s_mov_b64 s[8:9], 0
                                        ; implicit-def: $vgpr4
	s_and_saveexec_b64 s[10:11], vcc
	s_xor_b64 s[10:11], exec, s[10:11]
	s_cbranch_execz .LBB212_3079
; %bb.2876:
	v_bfe_u32 v4, v1, 5, 1
	s_mov_b32 s12, 0x88fffff
	v_add3_u32 v4, v5, v4, s12
	s_mov_b64 s[8:9], exec
	v_lshrrev_b32_e32 v4, 21, v4
                                        ; implicit-def: $vgpr5
	s_or_saveexec_b64 s[10:11], s[10:11]
                                        ; implicit-def: $sgpr12
	s_xor_b64 exec, exec, s[10:11]
	s_cbranch_execnz .LBB212_3080
.LBB212_2877:
	s_or_b64 exec, exec, s[10:11]
	v_mov_b32_e32 v6, s12
	s_and_saveexec_b64 s[10:11], s[8:9]
.LBB212_2878:
	v_lshrrev_b32_e32 v1, 8, v1
	s_movk_i32 s8, 0x80
	v_and_or_b32 v6, v1, s8, v4
.LBB212_2879:
	s_or_b64 exec, exec, s[10:11]
.LBB212_2880:
	s_or_b64 exec, exec, s[6:7]
	s_mov_b64 s[6:7], 0
	global_store_byte v[2:3], v6, off
.LBB212_2881:
	s_and_b64 vcc, exec, s[6:7]
	s_cbranch_vccz .LBB212_2891
; %bb.2882:
	v_lshlrev_b32_e32 v5, 16, v0
	v_and_b32_e32 v6, 0x7fffffff, v5
	s_mov_b32 s6, 0x43f00000
	v_and_b32_e32 v1, 0xffff, v0
	v_cmp_gt_u32_e32 vcc, s6, v6
                                        ; implicit-def: $vgpr4
	s_and_saveexec_b64 s[6:7], vcc
	s_xor_b64 s[6:7], exec, s[6:7]
	s_cbranch_execz .LBB212_2888
; %bb.2883:
	s_mov_b32 s8, 0x3c7fffff
	v_cmp_lt_u32_e32 vcc, s8, v6
                                        ; implicit-def: $vgpr4
	s_and_saveexec_b64 s[8:9], vcc
	s_xor_b64 s[8:9], exec, s[8:9]
; %bb.2884:
	v_bfe_u32 v4, v1, 4, 1
	s_mov_b32 s10, 0x407ffff
	v_add3_u32 v4, v5, v4, s10
	v_lshrrev_b32_e32 v5, 20, v4
	v_and_b32_e32 v4, 0xff00000, v4
	s_mov_b32 s10, 0x7f00000
	v_mov_b32_e32 v6, 0x7e
	v_cmp_ne_u32_e32 vcc, s10, v4
	v_cndmask_b32_e32 v4, v6, v5, vcc
                                        ; implicit-def: $vgpr5
; %bb.2885:
	s_andn2_saveexec_b64 s[8:9], s[8:9]
; %bb.2886:
	s_mov_b32 s10, 0x46800000
	v_add_f32_e64 v4, |v5|, s10
; %bb.2887:
	s_or_b64 exec, exec, s[8:9]
                                        ; implicit-def: $vgpr6
.LBB212_2888:
	s_andn2_saveexec_b64 s[6:7], s[6:7]
; %bb.2889:
	s_mov_b32 s8, 0x7f800000
	v_mov_b32_e32 v4, 0x7e
	v_mov_b32_e32 v5, 0x7f
	v_cmp_lt_u32_e32 vcc, s8, v6
	v_cndmask_b32_e32 v4, v4, v5, vcc
; %bb.2890:
	s_or_b64 exec, exec, s[6:7]
	v_lshrrev_b32_e32 v1, 8, v1
	s_movk_i32 s6, 0x80
	v_and_or_b32 v1, v1, s6, v4
	global_store_byte v[2:3], v1, off
.LBB212_2891:
	s_mov_b64 s[6:7], 0
.LBB212_2892:
	s_andn2_b64 vcc, exec, s[6:7]
	s_cbranch_vccnz .LBB212_2902
; %bb.2893:
	v_lshlrev_b32_e32 v5, 16, v0
	v_and_b32_e32 v6, 0x7fffffff, v5
	s_mov_b32 s6, 0x47800000
	v_and_b32_e32 v1, 0xffff, v0
	v_cmp_gt_u32_e32 vcc, s6, v6
                                        ; implicit-def: $vgpr4
	s_and_saveexec_b64 s[6:7], vcc
	s_xor_b64 s[6:7], exec, s[6:7]
	s_cbranch_execz .LBB212_2899
; %bb.2894:
	s_mov_b32 s8, 0x387fffff
	v_cmp_lt_u32_e32 vcc, s8, v6
                                        ; implicit-def: $vgpr4
	s_and_saveexec_b64 s[8:9], vcc
	s_xor_b64 s[8:9], exec, s[8:9]
; %bb.2895:
	v_bfe_u32 v4, v1, 5, 1
	s_mov_b32 s10, 0x80fffff
	v_add3_u32 v4, v5, v4, s10
	v_lshrrev_b32_e32 v4, 21, v4
                                        ; implicit-def: $vgpr5
; %bb.2896:
	s_andn2_saveexec_b64 s[8:9], s[8:9]
; %bb.2897:
	s_mov_b32 s10, 0x43000000
	v_add_f32_e64 v4, |v5|, s10
; %bb.2898:
	s_or_b64 exec, exec, s[8:9]
                                        ; implicit-def: $vgpr6
.LBB212_2899:
	s_andn2_saveexec_b64 s[6:7], s[6:7]
; %bb.2900:
	s_mov_b32 s8, 0x7f800000
	v_mov_b32_e32 v4, 0x7c
	v_mov_b32_e32 v5, 0x7f
	v_cmp_lt_u32_e32 vcc, s8, v6
	v_cndmask_b32_e32 v4, v4, v5, vcc
; %bb.2901:
	s_or_b64 exec, exec, s[6:7]
	v_lshrrev_b32_e32 v1, 8, v1
	s_movk_i32 s6, 0x80
	v_and_or_b32 v1, v1, s6, v4
	global_store_byte v[2:3], v1, off
.LBB212_2902:
	s_mov_b64 s[6:7], 0
	s_mov_b64 s[8:9], -1
.LBB212_2903:
	s_andn2_b64 vcc, exec, s[6:7]
	s_mov_b64 s[6:7], 0
	s_cbranch_vccnz .LBB212_2910
; %bb.2904:
	v_mov_b32_e32 v1, 14
	v_cmp_gt_i16_sdwa s[6:7], v36, v1 src0_sel:BYTE_0 src1_sel:DWORD
	s_mov_b64 s[10:11], -1
	s_and_b64 vcc, exec, s[6:7]
	s_cbranch_vccz .LBB212_2908
; %bb.2905:
	v_mov_b32_e32 v1, 15
	v_cmp_eq_u16_sdwa s[6:7], v36, v1 src0_sel:BYTE_0 src1_sel:DWORD
	s_mov_b64 s[4:5], -1
	s_and_b64 vcc, exec, s[6:7]
	s_cbranch_vccz .LBB212_2907
; %bb.2906:
	global_store_short v[2:3], v0, off
	s_mov_b64 s[4:5], 0
	s_mov_b64 s[8:9], -1
.LBB212_2907:
	s_mov_b64 s[10:11], 0
.LBB212_2908:
	s_mov_b64 s[6:7], 0
	s_and_b64 vcc, exec, s[10:11]
	s_cbranch_vccz .LBB212_2910
; %bb.2909:
	v_mov_b32_e32 v1, 11
	v_cmp_ne_u16_sdwa s[4:5], v36, v1 src0_sel:BYTE_0 src1_sel:DWORD
	s_mov_b64 s[6:7], -1
.LBB212_2910:
	s_and_b64 vcc, exec, s[4:5]
	s_cbranch_vccnz .LBB212_3078
; %bb.2911:
	s_andn2_b64 vcc, exec, s[6:7]
	s_cbranch_vccnz .LBB212_2913
.LBB212_2912:
	v_and_b32_e32 v1, 0x7fff, v0
	v_cmp_ne_u16_e32 vcc, 0, v1
	v_cndmask_b32_e64 v1, 0, 1, vcc
	s_mov_b64 s[8:9], -1
	global_store_byte v[2:3], v1, off
.LBB212_2913:
	s_mov_b64 s[4:5], 0
.LBB212_2914:
	s_and_b64 vcc, exec, s[4:5]
	s_cbranch_vccz .LBB212_2953
; %bb.2915:
	v_mov_b32_e32 v1, 5
	v_cmp_lt_i16_sdwa s[6:7], v36, v1 src0_sel:BYTE_0 src1_sel:DWORD
	s_mov_b64 s[4:5], -1
	s_and_b64 vcc, exec, s[6:7]
	s_cbranch_vccnz .LBB212_2936
; %bb.2916:
	v_mov_b32_e32 v1, 8
	v_cmp_lt_i16_sdwa s[6:7], v36, v1 src0_sel:BYTE_0 src1_sel:DWORD
	s_and_b64 vcc, exec, s[6:7]
	s_cbranch_vccnz .LBB212_2926
; %bb.2917:
	v_mov_b32_e32 v1, 9
	v_cmp_lt_i16_sdwa s[6:7], v36, v1 src0_sel:BYTE_0 src1_sel:DWORD
	s_and_b64 vcc, exec, s[6:7]
	s_cbranch_vccnz .LBB212_2923
; %bb.2918:
	v_cmp_gt_i16_sdwa s[6:7], v36, v1 src0_sel:BYTE_0 src1_sel:DWORD
	s_and_b64 vcc, exec, s[6:7]
	s_cbranch_vccz .LBB212_2920
; %bb.2919:
	v_lshlrev_b32_e32 v1, 16, v0
	v_mov_b32_e32 v6, 0
	v_cvt_f64_f32_e32 v[4:5], v1
	v_mov_b32_e32 v7, v6
	global_store_dwordx4 v[2:3], v[4:7], off
	s_mov_b64 s[4:5], 0
.LBB212_2920:
	s_andn2_b64 vcc, exec, s[4:5]
	s_cbranch_vccnz .LBB212_2922
; %bb.2921:
	v_lshlrev_b32_e32 v4, 16, v0
	v_mov_b32_e32 v5, 0
	global_store_dwordx2 v[2:3], v[4:5], off
.LBB212_2922:
	s_mov_b64 s[4:5], 0
.LBB212_2923:
	s_andn2_b64 vcc, exec, s[4:5]
	s_cbranch_vccnz .LBB212_2925
; %bb.2924:
	v_lshlrev_b32_e32 v1, 16, v0
	v_cvt_f16_f32_e32 v1, v1
	global_store_dword v[2:3], v1, off
.LBB212_2925:
	s_mov_b64 s[4:5], 0
.LBB212_2926:
	s_andn2_b64 vcc, exec, s[4:5]
	s_cbranch_vccnz .LBB212_2935
; %bb.2927:
	v_mov_b32_e32 v1, 6
	v_cmp_lt_i16_sdwa s[6:7], v36, v1 src0_sel:BYTE_0 src1_sel:DWORD
	s_mov_b64 s[4:5], -1
	s_and_b64 vcc, exec, s[6:7]
	s_cbranch_vccnz .LBB212_2933
; %bb.2928:
	v_cmp_gt_i16_sdwa s[6:7], v36, v1 src0_sel:BYTE_0 src1_sel:DWORD
	s_and_b64 vcc, exec, s[6:7]
	s_cbranch_vccz .LBB212_2930
; %bb.2929:
	v_lshlrev_b32_e32 v1, 16, v0
	v_cvt_f64_f32_e32 v[4:5], v1
	global_store_dwordx2 v[2:3], v[4:5], off
	s_mov_b64 s[4:5], 0
.LBB212_2930:
	s_andn2_b64 vcc, exec, s[4:5]
	s_cbranch_vccnz .LBB212_2932
; %bb.2931:
	v_lshlrev_b32_e32 v1, 16, v0
	global_store_dword v[2:3], v1, off
.LBB212_2932:
	s_mov_b64 s[4:5], 0
.LBB212_2933:
	s_andn2_b64 vcc, exec, s[4:5]
	s_cbranch_vccnz .LBB212_2935
; %bb.2934:
	v_lshlrev_b32_e32 v1, 16, v0
	v_cvt_f16_f32_e32 v1, v1
	global_store_short v[2:3], v1, off
.LBB212_2935:
	s_mov_b64 s[4:5], 0
.LBB212_2936:
	s_andn2_b64 vcc, exec, s[4:5]
	s_cbranch_vccnz .LBB212_2952
; %bb.2937:
	v_mov_b32_e32 v1, 2
	v_cmp_lt_i16_sdwa s[6:7], v36, v1 src0_sel:BYTE_0 src1_sel:DWORD
	s_mov_b64 s[4:5], -1
	s_and_b64 vcc, exec, s[6:7]
	s_cbranch_vccnz .LBB212_2947
; %bb.2938:
	v_mov_b32_e32 v1, 3
	v_cmp_lt_i16_sdwa s[6:7], v36, v1 src0_sel:BYTE_0 src1_sel:DWORD
	s_and_b64 vcc, exec, s[6:7]
	s_cbranch_vccnz .LBB212_2944
; %bb.2939:
	v_cmp_gt_i16_sdwa s[6:7], v36, v1 src0_sel:BYTE_0 src1_sel:DWORD
	s_and_b64 vcc, exec, s[6:7]
	s_cbranch_vccz .LBB212_2941
; %bb.2940:
	v_lshlrev_b32_e32 v1, 16, v0
	v_trunc_f32_e32 v1, v1
	s_mov_b32 s4, 0x2f800000
	v_mul_f32_e64 v4, |v1|, s4
	v_floor_f32_e32 v4, v4
	s_mov_b32 s4, 0xcf800000
	v_cvt_u32_f32_e32 v5, v4
	v_fma_f32 v4, v4, s4, |v1|
	v_cvt_u32_f32_e32 v4, v4
	v_ashrrev_i32_e32 v1, 31, v1
	v_xor_b32_e32 v5, v5, v1
	s_mov_b64 s[4:5], 0
	v_xor_b32_e32 v4, v4, v1
	v_sub_co_u32_e32 v4, vcc, v4, v1
	v_subb_co_u32_e32 v5, vcc, v5, v1, vcc
	global_store_dwordx2 v[2:3], v[4:5], off
.LBB212_2941:
	s_andn2_b64 vcc, exec, s[4:5]
	s_cbranch_vccnz .LBB212_2943
; %bb.2942:
	v_lshlrev_b32_e32 v1, 16, v0
	v_cvt_i32_f32_e32 v1, v1
	global_store_dword v[2:3], v1, off
.LBB212_2943:
	s_mov_b64 s[4:5], 0
.LBB212_2944:
	s_andn2_b64 vcc, exec, s[4:5]
	s_cbranch_vccnz .LBB212_2946
; %bb.2945:
	v_lshlrev_b32_e32 v1, 16, v0
	v_cvt_i32_f32_e32 v1, v1
	global_store_short v[2:3], v1, off
.LBB212_2946:
	s_mov_b64 s[4:5], 0
.LBB212_2947:
	s_andn2_b64 vcc, exec, s[4:5]
	s_cbranch_vccnz .LBB212_2952
; %bb.2948:
	v_mov_b32_e32 v1, 0
	v_cmp_gt_i16_sdwa s[6:7], v36, v1 src0_sel:BYTE_0 src1_sel:DWORD
	s_mov_b64 s[4:5], -1
	s_and_b64 vcc, exec, s[6:7]
	v_lshlrev_b32_e32 v0, 16, v0
	s_cbranch_vccz .LBB212_2950
; %bb.2949:
	v_cvt_i32_f32_e32 v1, v0
	s_mov_b64 s[4:5], 0
	global_store_byte v[2:3], v1, off
.LBB212_2950:
	s_andn2_b64 vcc, exec, s[4:5]
	s_cbranch_vccnz .LBB212_2952
; %bb.2951:
	v_trunc_f32_e32 v0, v0
	s_mov_b32 s4, 0x2f800000
	v_mul_f32_e64 v1, |v0|, s4
	v_floor_f32_e32 v1, v1
	s_mov_b32 s4, 0xcf800000
	v_fma_f32 v1, v1, s4, |v0|
	v_cvt_u32_f32_e32 v1, v1
	v_ashrrev_i32_e32 v0, 31, v0
	v_xor_b32_e32 v1, v1, v0
	v_sub_u32_e32 v0, v1, v0
	global_store_byte v[2:3], v0, off
.LBB212_2952:
	s_mov_b64 s[8:9], -1
.LBB212_2953:
	s_andn2_b64 vcc, exec, s[8:9]
	s_cbranch_vccnz .LBB212_3030
; %bb.2954:
	v_mov_b32_e32 v0, v34
	v_mov_b32_e32 v1, v35
	s_getpc_b64 s[4:5]
	s_add_u32 s4, s4, _ZZZZN2at6native33launch_standard_gamma_grad_kernelERNS_18TensorIteratorBaseEENKUlvE_clEvENKUlvE2_clEvENKUlN3c108BFloat16ES6_E_clES6_S6_@rel32@lo+4
	s_addc_u32 s5, s5, _ZZZZN2at6native33launch_standard_gamma_grad_kernelERNS_18TensorIteratorBaseEENKUlvE_clEvENKUlvE2_clEvENKUlN3c108BFloat16ES6_E_clES6_S6_@rel32@hi+12
	s_swappc_b64 s[30:31], s[4:5]
	v_add_u32_e32 v1, s22, v30
	v_ashrrev_i32_e32 v3, 31, v1
	v_mov_b32_e32 v4, s25
	v_add_co_u32_e32 v2, vcc, s24, v1
	v_addc_co_u32_e32 v3, vcc, v4, v3, vcc
	v_and_b32_e32 v1, 0xff, v36
	v_cmp_gt_i16_e32 vcc, 11, v1
	s_cbranch_vccnz .LBB212_3075
; %bb.2955:
	v_cmp_lt_i16_e32 vcc, 25, v1
	s_mov_b64 s[8:9], -1
	s_mov_b64 s[6:7], 0
	s_mov_b64 s[4:5], 0
	s_cbranch_vccz .LBB212_2988
; %bb.2956:
	v_cmp_lt_i16_e32 vcc, 28, v1
	s_cbranch_vccz .LBB212_2972
; %bb.2957:
	v_cmp_lt_i16_e32 vcc, 43, v1
	;; [unrolled: 3-line block ×3, first 2 shown]
	s_cbranch_vccz .LBB212_2962
; %bb.2959:
	v_cmp_eq_u16_e32 vcc, 46, v1
	s_mov_b64 s[4:5], -1
	s_cbranch_vccz .LBB212_2961
; %bb.2960:
	v_and_b32_e32 v4, 0xffff, v0
	global_store_dword v[2:3], v4, off
	s_mov_b64 s[4:5], 0
.LBB212_2961:
	s_mov_b64 s[8:9], 0
.LBB212_2962:
	s_and_b64 vcc, exec, s[8:9]
	s_cbranch_vccz .LBB212_2967
; %bb.2963:
	v_cmp_eq_u16_e32 vcc, 44, v1
	s_mov_b64 s[4:5], -1
	s_cbranch_vccz .LBB212_2967
; %bb.2964:
	v_and_b32_e32 v5, 0xffff, v0
	v_bfe_u32 v4, v5, 7, 8
	s_movk_i32 s4, 0xff
	v_cmp_ne_u32_e32 vcc, s4, v4
	v_mov_b32_e32 v6, 0xff
	s_and_saveexec_b64 s[8:9], vcc
; %bb.2965:
	v_lshlrev_b32_e32 v7, 16, v5
	s_mov_b32 s4, 0x3f0000
	v_lshrrev_b32_e32 v6, 7, v5
	v_and_b32_e32 v5, 64, v5
	v_and_or_b32 v4, v7, s4, v4
	v_cmp_ne_u32_e32 vcc, 0, v5
	v_cmp_ne_u32_e64 s[4:5], 0, v4
	s_and_b64 s[4:5], vcc, s[4:5]
	v_cndmask_b32_e64 v4, 0, 1, s[4:5]
	v_add_u32_e32 v6, v6, v4
; %bb.2966:
	s_or_b64 exec, exec, s[8:9]
	s_mov_b64 s[4:5], 0
	global_store_byte v[2:3], v6, off
.LBB212_2967:
	s_mov_b64 s[8:9], 0
.LBB212_2968:
	s_and_b64 vcc, exec, s[8:9]
	s_cbranch_vccz .LBB212_2971
; %bb.2969:
	v_cmp_eq_u16_e32 vcc, 29, v1
	s_mov_b64 s[4:5], -1
	s_cbranch_vccz .LBB212_2971
; %bb.2970:
	v_lshlrev_b32_e32 v4, 16, v0
	v_trunc_f32_e32 v4, v4
	v_mul_f32_e32 v5, 0x2f800000, v4
	v_floor_f32_e32 v6, v5
	v_fmac_f32_e32 v4, 0xcf800000, v6
	v_cvt_u32_f32_e32 v5, v6
	v_cvt_u32_f32_e32 v4, v4
	s_mov_b64 s[4:5], 0
	global_store_dwordx2 v[2:3], v[4:5], off
.LBB212_2971:
	s_mov_b64 s[8:9], 0
.LBB212_2972:
	s_and_b64 vcc, exec, s[8:9]
	s_cbranch_vccz .LBB212_2987
; %bb.2973:
	v_cmp_gt_i16_e32 vcc, 27, v1
	s_mov_b64 s[8:9], -1
	s_cbranch_vccnz .LBB212_2979
; %bb.2974:
	v_cmp_lt_i16_e32 vcc, 27, v1
	s_cbranch_vccz .LBB212_2976
; %bb.2975:
	v_lshlrev_b32_e32 v4, 16, v0
	v_cvt_u32_f32_e32 v4, v4
	s_mov_b64 s[8:9], 0
	global_store_dword v[2:3], v4, off
.LBB212_2976:
	s_andn2_b64 vcc, exec, s[8:9]
	s_cbranch_vccnz .LBB212_2978
; %bb.2977:
	v_lshlrev_b32_e32 v4, 16, v0
	v_cvt_u32_f32_e32 v4, v4
	global_store_short v[2:3], v4, off
.LBB212_2978:
	s_mov_b64 s[8:9], 0
.LBB212_2979:
	s_andn2_b64 vcc, exec, s[8:9]
	s_cbranch_vccnz .LBB212_2987
; %bb.2980:
	v_lshlrev_b32_e32 v6, 16, v0
	v_and_b32_e32 v5, 0x7fffffff, v6
	s_mov_b32 s8, 0x43800000
	v_cmp_gt_u32_e32 vcc, s8, v5
	v_mov_b32_e32 v7, 0x80
	s_and_saveexec_b64 s[8:9], vcc
	s_cbranch_execz .LBB212_2986
; %bb.2981:
	s_mov_b32 s10, 0x3bffffff
	v_and_b32_e32 v4, 0xffff, v0
	v_cmp_lt_u32_e32 vcc, s10, v5
	s_mov_b64 s[10:11], 0
                                        ; implicit-def: $vgpr5
	s_and_saveexec_b64 s[12:13], vcc
	s_xor_b64 s[12:13], exec, s[12:13]
	s_cbranch_execz .LBB212_3081
; %bb.2982:
	v_bfe_u32 v5, v4, 4, 1
	s_mov_b32 s14, 0x487ffff
	v_add3_u32 v5, v6, v5, s14
	s_mov_b64 s[10:11], exec
	v_lshrrev_b32_e32 v5, 20, v5
                                        ; implicit-def: $vgpr6
	s_or_saveexec_b64 s[12:13], s[12:13]
                                        ; implicit-def: $sgpr14
	s_xor_b64 exec, exec, s[12:13]
	s_cbranch_execnz .LBB212_3082
.LBB212_2983:
	s_or_b64 exec, exec, s[12:13]
	v_mov_b32_e32 v7, s14
	s_and_saveexec_b64 s[12:13], s[10:11]
.LBB212_2984:
	v_lshrrev_b32_e32 v4, 8, v4
	s_movk_i32 s10, 0x80
	v_and_or_b32 v7, v4, s10, v5
.LBB212_2985:
	s_or_b64 exec, exec, s[12:13]
.LBB212_2986:
	s_or_b64 exec, exec, s[8:9]
	global_store_byte v[2:3], v7, off
.LBB212_2987:
	s_mov_b64 s[8:9], 0
.LBB212_2988:
	s_and_b64 vcc, exec, s[8:9]
	s_cbranch_vccz .LBB212_3028
; %bb.2989:
	v_cmp_lt_i16_e32 vcc, 22, v1
	s_mov_b64 s[6:7], -1
	s_cbranch_vccz .LBB212_3021
; %bb.2990:
	v_cmp_gt_i16_e32 vcc, 24, v1
	s_cbranch_vccnz .LBB212_3010
; %bb.2991:
	v_cmp_lt_i16_e32 vcc, 24, v1
	s_cbranch_vccz .LBB212_2999
; %bb.2992:
	v_lshlrev_b32_e32 v6, 16, v0
	v_and_b32_e32 v5, 0x7fffffff, v6
	s_mov_b32 s6, 0x47800000
	v_cmp_gt_u32_e32 vcc, s6, v5
	v_mov_b32_e32 v7, 0x80
	s_and_saveexec_b64 s[6:7], vcc
	s_cbranch_execz .LBB212_2998
; %bb.2993:
	s_mov_b32 s8, 0x37ffffff
	v_and_b32_e32 v4, 0xffff, v0
	v_cmp_lt_u32_e32 vcc, s8, v5
	s_mov_b64 s[8:9], 0
                                        ; implicit-def: $vgpr5
	s_and_saveexec_b64 s[10:11], vcc
	s_xor_b64 s[10:11], exec, s[10:11]
	s_cbranch_execz .LBB212_3084
; %bb.2994:
	v_bfe_u32 v5, v4, 5, 1
	s_mov_b32 s12, 0x88fffff
	v_add3_u32 v5, v6, v5, s12
	s_mov_b64 s[8:9], exec
	v_lshrrev_b32_e32 v5, 21, v5
                                        ; implicit-def: $vgpr6
	s_or_saveexec_b64 s[10:11], s[10:11]
                                        ; implicit-def: $sgpr12
	s_xor_b64 exec, exec, s[10:11]
	s_cbranch_execnz .LBB212_3085
.LBB212_2995:
	s_or_b64 exec, exec, s[10:11]
	v_mov_b32_e32 v7, s12
	s_and_saveexec_b64 s[10:11], s[8:9]
.LBB212_2996:
	v_lshrrev_b32_e32 v4, 8, v4
	s_movk_i32 s8, 0x80
	v_and_or_b32 v7, v4, s8, v5
.LBB212_2997:
	s_or_b64 exec, exec, s[10:11]
.LBB212_2998:
	s_or_b64 exec, exec, s[6:7]
	s_mov_b64 s[6:7], 0
	global_store_byte v[2:3], v7, off
.LBB212_2999:
	s_and_b64 vcc, exec, s[6:7]
	s_cbranch_vccz .LBB212_3009
; %bb.3000:
	v_lshlrev_b32_e32 v6, 16, v0
	v_and_b32_e32 v7, 0x7fffffff, v6
	s_mov_b32 s6, 0x43f00000
	v_and_b32_e32 v4, 0xffff, v0
	v_cmp_gt_u32_e32 vcc, s6, v7
                                        ; implicit-def: $vgpr5
	s_and_saveexec_b64 s[6:7], vcc
	s_xor_b64 s[6:7], exec, s[6:7]
	s_cbranch_execz .LBB212_3006
; %bb.3001:
	s_mov_b32 s8, 0x3c7fffff
	v_cmp_lt_u32_e32 vcc, s8, v7
                                        ; implicit-def: $vgpr5
	s_and_saveexec_b64 s[8:9], vcc
	s_xor_b64 s[8:9], exec, s[8:9]
; %bb.3002:
	v_bfe_u32 v5, v4, 4, 1
	s_mov_b32 s10, 0x407ffff
	v_add3_u32 v5, v6, v5, s10
	v_lshrrev_b32_e32 v6, 20, v5
	v_and_b32_e32 v5, 0xff00000, v5
	s_mov_b32 s10, 0x7f00000
	v_mov_b32_e32 v7, 0x7e
	v_cmp_ne_u32_e32 vcc, s10, v5
	v_cndmask_b32_e32 v5, v7, v6, vcc
                                        ; implicit-def: $vgpr6
; %bb.3003:
	s_andn2_saveexec_b64 s[8:9], s[8:9]
; %bb.3004:
	s_mov_b32 s10, 0x46800000
	v_add_f32_e64 v5, |v6|, s10
; %bb.3005:
	s_or_b64 exec, exec, s[8:9]
                                        ; implicit-def: $vgpr7
.LBB212_3006:
	s_andn2_saveexec_b64 s[6:7], s[6:7]
; %bb.3007:
	s_mov_b32 s8, 0x7f800000
	v_mov_b32_e32 v5, 0x7e
	v_mov_b32_e32 v6, 0x7f
	v_cmp_lt_u32_e32 vcc, s8, v7
	v_cndmask_b32_e32 v5, v5, v6, vcc
; %bb.3008:
	s_or_b64 exec, exec, s[6:7]
	v_lshrrev_b32_e32 v4, 8, v4
	s_movk_i32 s6, 0x80
	v_and_or_b32 v4, v4, s6, v5
	global_store_byte v[2:3], v4, off
.LBB212_3009:
	s_mov_b64 s[6:7], 0
.LBB212_3010:
	s_andn2_b64 vcc, exec, s[6:7]
	s_cbranch_vccnz .LBB212_3020
; %bb.3011:
	v_lshlrev_b32_e32 v6, 16, v0
	v_and_b32_e32 v7, 0x7fffffff, v6
	s_mov_b32 s6, 0x47800000
	v_and_b32_e32 v4, 0xffff, v0
	v_cmp_gt_u32_e32 vcc, s6, v7
                                        ; implicit-def: $vgpr5
	s_and_saveexec_b64 s[6:7], vcc
	s_xor_b64 s[6:7], exec, s[6:7]
	s_cbranch_execz .LBB212_3017
; %bb.3012:
	s_mov_b32 s8, 0x387fffff
	v_cmp_lt_u32_e32 vcc, s8, v7
                                        ; implicit-def: $vgpr5
	s_and_saveexec_b64 s[8:9], vcc
	s_xor_b64 s[8:9], exec, s[8:9]
; %bb.3013:
	v_bfe_u32 v5, v4, 5, 1
	s_mov_b32 s10, 0x80fffff
	v_add3_u32 v5, v6, v5, s10
	v_lshrrev_b32_e32 v5, 21, v5
                                        ; implicit-def: $vgpr6
; %bb.3014:
	s_andn2_saveexec_b64 s[8:9], s[8:9]
; %bb.3015:
	s_mov_b32 s10, 0x43000000
	v_add_f32_e64 v5, |v6|, s10
; %bb.3016:
	s_or_b64 exec, exec, s[8:9]
                                        ; implicit-def: $vgpr7
.LBB212_3017:
	s_andn2_saveexec_b64 s[6:7], s[6:7]
; %bb.3018:
	s_mov_b32 s8, 0x7f800000
	v_mov_b32_e32 v5, 0x7c
	v_mov_b32_e32 v6, 0x7f
	v_cmp_lt_u32_e32 vcc, s8, v7
	v_cndmask_b32_e32 v5, v5, v6, vcc
; %bb.3019:
	s_or_b64 exec, exec, s[6:7]
	v_lshrrev_b32_e32 v4, 8, v4
	s_movk_i32 s6, 0x80
	v_and_or_b32 v4, v4, s6, v5
	global_store_byte v[2:3], v4, off
.LBB212_3020:
	s_mov_b64 s[6:7], 0
.LBB212_3021:
	s_andn2_b64 vcc, exec, s[6:7]
	s_mov_b64 s[6:7], 0
	s_cbranch_vccnz .LBB212_3028
; %bb.3022:
	v_cmp_lt_i16_e32 vcc, 14, v1
	s_mov_b64 s[8:9], -1
	s_cbranch_vccz .LBB212_3026
; %bb.3023:
	v_cmp_eq_u16_e32 vcc, 15, v1
	s_mov_b64 s[4:5], -1
	s_cbranch_vccz .LBB212_3025
; %bb.3024:
	global_store_short v[2:3], v0, off
	s_mov_b64 s[4:5], 0
.LBB212_3025:
	s_mov_b64 s[8:9], 0
.LBB212_3026:
	s_and_b64 vcc, exec, s[8:9]
	s_cbranch_vccz .LBB212_3028
; %bb.3027:
	v_cmp_ne_u16_e64 s[4:5], 11, v1
	s_mov_b64 s[6:7], -1
.LBB212_3028:
	s_and_b64 vcc, exec, s[4:5]
	s_cbranch_vccnz .LBB212_3083
.LBB212_3029:
	s_mov_b64 s[4:5], 0
	s_branch .LBB212_3031
.LBB212_3030:
	s_mov_b64 s[4:5], 0
	s_mov_b64 s[6:7], 0
                                        ; implicit-def: $vgpr1
                                        ; implicit-def: $vgpr2_vgpr3
                                        ; implicit-def: $vgpr0
.LBB212_3031:
	s_and_b64 s[28:29], s[6:7], exec
	s_andn2_b64 s[6:7], s[40:41], exec
	s_and_b64 s[8:9], s[42:43], exec
	s_and_b64 s[4:5], s[4:5], exec
	s_or_b64 s[40:41], s[6:7], s[8:9]
.LBB212_3032:
	s_or_b64 exec, exec, s[34:35]
	s_and_saveexec_b64 s[6:7], s[40:41]
	s_cbranch_execz .LBB212_3035
; %bb.3033:
	; divergent unreachable
	s_or_b64 exec, exec, s[6:7]
	s_and_saveexec_b64 s[6:7], s[28:29]
	s_xor_b64 s[6:7], exec, s[6:7]
	s_cbranch_execnz .LBB212_3036
.LBB212_3034:
	s_or_b64 exec, exec, s[6:7]
	s_and_saveexec_b64 s[6:7], s[4:5]
	s_cbranch_execnz .LBB212_3037
	s_branch .LBB212_3074
.LBB212_3035:
	s_or_b64 exec, exec, s[6:7]
	s_and_saveexec_b64 s[6:7], s[28:29]
	s_xor_b64 s[6:7], exec, s[6:7]
	s_cbranch_execz .LBB212_3034
.LBB212_3036:
	s_waitcnt vmcnt(0)
	v_and_b32_e32 v4, 0x7fff, v0
	v_cmp_ne_u16_e32 vcc, 0, v4
	v_cndmask_b32_e64 v4, 0, 1, vcc
	global_store_byte v[2:3], v4, off
	s_or_b64 exec, exec, s[6:7]
	s_and_saveexec_b64 s[6:7], s[4:5]
	s_cbranch_execz .LBB212_3074
.LBB212_3037:
	s_waitcnt vmcnt(0)
	v_cmp_gt_i16_e32 vcc, 5, v1
	s_mov_b64 s[4:5], -1
	s_cbranch_vccnz .LBB212_3058
; %bb.3038:
	v_cmp_gt_i16_e32 vcc, 8, v1
	s_cbranch_vccnz .LBB212_3048
; %bb.3039:
	v_cmp_gt_i16_e32 vcc, 9, v1
	s_cbranch_vccnz .LBB212_3045
; %bb.3040:
	v_cmp_lt_i16_e32 vcc, 9, v1
	v_lshlrev_b32_e32 v4, 16, v0
	s_cbranch_vccz .LBB212_3042
; %bb.3041:
	v_mov_b32_e32 v8, 0
	v_cvt_f64_f32_e32 v[6:7], v4
	v_mov_b32_e32 v9, v8
	global_store_dwordx4 v[2:3], v[6:9], off
	s_mov_b64 s[4:5], 0
.LBB212_3042:
	s_andn2_b64 vcc, exec, s[4:5]
	s_cbranch_vccnz .LBB212_3044
; %bb.3043:
	v_mov_b32_e32 v5, 0
	global_store_dwordx2 v[2:3], v[4:5], off
.LBB212_3044:
	s_mov_b64 s[4:5], 0
.LBB212_3045:
	s_andn2_b64 vcc, exec, s[4:5]
	s_cbranch_vccnz .LBB212_3047
; %bb.3046:
	v_lshlrev_b32_e32 v4, 16, v0
	v_cvt_f16_f32_e32 v4, v4
	global_store_dword v[2:3], v4, off
.LBB212_3047:
	s_mov_b64 s[4:5], 0
.LBB212_3048:
	s_andn2_b64 vcc, exec, s[4:5]
	s_cbranch_vccnz .LBB212_3057
; %bb.3049:
	v_cmp_gt_i16_e32 vcc, 6, v1
	s_mov_b64 s[4:5], -1
	s_cbranch_vccnz .LBB212_3055
; %bb.3050:
	v_cmp_lt_i16_e32 vcc, 6, v1
	v_lshlrev_b32_e32 v4, 16, v0
	s_cbranch_vccz .LBB212_3052
; %bb.3051:
	v_cvt_f64_f32_e32 v[6:7], v4
	global_store_dwordx2 v[2:3], v[6:7], off
	s_mov_b64 s[4:5], 0
.LBB212_3052:
	s_andn2_b64 vcc, exec, s[4:5]
	s_cbranch_vccnz .LBB212_3054
; %bb.3053:
	global_store_dword v[2:3], v4, off
.LBB212_3054:
	s_mov_b64 s[4:5], 0
.LBB212_3055:
	s_andn2_b64 vcc, exec, s[4:5]
	s_cbranch_vccnz .LBB212_3057
; %bb.3056:
	v_lshlrev_b32_e32 v4, 16, v0
	v_cvt_f16_f32_e32 v4, v4
	global_store_short v[2:3], v4, off
.LBB212_3057:
	s_mov_b64 s[4:5], 0
.LBB212_3058:
	s_andn2_b64 vcc, exec, s[4:5]
	s_cbranch_vccnz .LBB212_3074
; %bb.3059:
	v_cmp_gt_i16_e32 vcc, 2, v1
	s_mov_b64 s[4:5], -1
	s_cbranch_vccnz .LBB212_3069
; %bb.3060:
	v_cmp_gt_i16_e32 vcc, 3, v1
	s_cbranch_vccnz .LBB212_3066
; %bb.3061:
	v_cmp_lt_i16_e32 vcc, 3, v1
	v_lshlrev_b32_e32 v4, 16, v0
	s_cbranch_vccz .LBB212_3063
; %bb.3062:
	v_trunc_f32_e32 v5, v4
	s_mov_b32 s4, 0x2f800000
	v_mul_f32_e64 v6, |v5|, s4
	v_floor_f32_e32 v6, v6
	s_mov_b32 s4, 0xcf800000
	v_cvt_u32_f32_e32 v7, v6
	v_fma_f32 v6, v6, s4, |v5|
	v_cvt_u32_f32_e32 v6, v6
	v_ashrrev_i32_e32 v5, 31, v5
	v_xor_b32_e32 v7, v7, v5
	s_mov_b64 s[4:5], 0
	v_xor_b32_e32 v6, v6, v5
	v_sub_co_u32_e32 v6, vcc, v6, v5
	v_subb_co_u32_e32 v7, vcc, v7, v5, vcc
	global_store_dwordx2 v[2:3], v[6:7], off
.LBB212_3063:
	s_andn2_b64 vcc, exec, s[4:5]
	s_cbranch_vccnz .LBB212_3065
; %bb.3064:
	v_cvt_i32_f32_e32 v4, v4
	global_store_dword v[2:3], v4, off
.LBB212_3065:
	s_mov_b64 s[4:5], 0
.LBB212_3066:
	s_andn2_b64 vcc, exec, s[4:5]
	s_cbranch_vccnz .LBB212_3068
; %bb.3067:
	v_lshlrev_b32_e32 v4, 16, v0
	v_cvt_i32_f32_e32 v4, v4
	global_store_short v[2:3], v4, off
.LBB212_3068:
	s_mov_b64 s[4:5], 0
.LBB212_3069:
	s_andn2_b64 vcc, exec, s[4:5]
	s_cbranch_vccnz .LBB212_3074
; %bb.3070:
	v_cmp_lt_i16_e32 vcc, 0, v1
	s_mov_b64 s[4:5], -1
	v_lshlrev_b32_e32 v0, 16, v0
	s_cbranch_vccz .LBB212_3072
; %bb.3071:
	v_cvt_i32_f32_e32 v1, v0
	s_mov_b64 s[4:5], 0
	global_store_byte v[2:3], v1, off
.LBB212_3072:
	s_andn2_b64 vcc, exec, s[4:5]
	s_cbranch_vccnz .LBB212_3074
; %bb.3073:
	v_trunc_f32_e32 v0, v0
	s_mov_b32 s4, 0x2f800000
	v_mul_f32_e64 v1, |v0|, s4
	v_floor_f32_e32 v1, v1
	s_mov_b32 s4, 0xcf800000
	v_fma_f32 v1, v1, s4, |v0|
	v_cvt_u32_f32_e32 v1, v1
	v_ashrrev_i32_e32 v0, 31, v0
	v_xor_b32_e32 v1, v1, v0
	v_sub_u32_e32 v0, v1, v0
	global_store_byte v[2:3], v0, off
	s_endpgm
.LBB212_3074:
	s_endpgm
.LBB212_3075:
	s_mov_b64 s[6:7], 0
	s_mov_b64 s[4:5], -1
	s_branch .LBB212_3031
.LBB212_3076:
	s_or_saveexec_b64 s[12:13], s[12:13]
                                        ; implicit-def: $sgpr14
	s_xor_b64 exec, exec, s[12:13]
	s_cbranch_execz .LBB212_2864
.LBB212_3077:
	s_mov_b32 s14, 0x46000000
	v_add_f32_e64 v4, |v5|, s14
	v_and_b32_e32 v4, 0xff, v4
	v_cmp_ne_u32_e32 vcc, 0, v4
	s_andn2_b64 s[10:11], s[10:11], exec
	s_and_b64 s[16:17], vcc, exec
	s_mov_b32 s14, 0
	s_or_b64 s[10:11], s[10:11], s[16:17]
	s_or_b64 exec, exec, s[12:13]
	v_mov_b32_e32 v6, s14
	s_and_saveexec_b64 s[12:13], s[10:11]
	s_cbranch_execnz .LBB212_2865
	s_branch .LBB212_2866
.LBB212_3078:
	s_trap 2
	s_or_b64 s[42:43], s[42:43], exec
	s_cbranch_execz .LBB212_2912
	s_branch .LBB212_2913
.LBB212_3079:
	s_or_saveexec_b64 s[10:11], s[10:11]
                                        ; implicit-def: $sgpr12
	s_xor_b64 exec, exec, s[10:11]
	s_cbranch_execz .LBB212_2877
.LBB212_3080:
	s_mov_b32 s12, 0x42800000
	v_add_f32_e64 v4, |v5|, s12
	v_and_b32_e32 v4, 0xff, v4
	v_cmp_ne_u32_e32 vcc, 0, v4
	s_andn2_b64 s[8:9], s[8:9], exec
	s_and_b64 s[14:15], vcc, exec
	s_mov_b32 s12, 0
	s_or_b64 s[8:9], s[8:9], s[14:15]
	s_or_b64 exec, exec, s[10:11]
	v_mov_b32_e32 v6, s12
	s_and_saveexec_b64 s[10:11], s[8:9]
	s_cbranch_execnz .LBB212_2878
	s_branch .LBB212_2879
.LBB212_3081:
	s_or_saveexec_b64 s[12:13], s[12:13]
                                        ; implicit-def: $sgpr14
	s_xor_b64 exec, exec, s[12:13]
	s_cbranch_execz .LBB212_2983
.LBB212_3082:
	s_mov_b32 s14, 0x46000000
	v_add_f32_e64 v5, |v6|, s14
	v_and_b32_e32 v5, 0xff, v5
	v_cmp_ne_u32_e32 vcc, 0, v5
	s_andn2_b64 s[10:11], s[10:11], exec
	s_and_b64 s[16:17], vcc, exec
	s_mov_b32 s14, 0
	s_or_b64 s[10:11], s[10:11], s[16:17]
	s_or_b64 exec, exec, s[12:13]
	v_mov_b32_e32 v7, s14
	s_and_saveexec_b64 s[12:13], s[10:11]
	s_cbranch_execnz .LBB212_2984
	s_branch .LBB212_2985
.LBB212_3083:
	s_mov_b64 s[6:7], 0
	s_or_b64 s[42:43], s[42:43], exec
	s_trap 2
	s_branch .LBB212_3029
.LBB212_3084:
	s_or_saveexec_b64 s[10:11], s[10:11]
                                        ; implicit-def: $sgpr12
	s_xor_b64 exec, exec, s[10:11]
	s_cbranch_execz .LBB212_2995
.LBB212_3085:
	s_mov_b32 s12, 0x42800000
	v_add_f32_e64 v5, |v6|, s12
	v_and_b32_e32 v5, 0xff, v5
	v_cmp_ne_u32_e32 vcc, 0, v5
	s_andn2_b64 s[8:9], s[8:9], exec
	s_and_b64 s[14:15], vcc, exec
	s_mov_b32 s12, 0
	s_or_b64 s[8:9], s[8:9], s[14:15]
	s_or_b64 exec, exec, s[10:11]
	v_mov_b32_e32 v7, s12
	s_and_saveexec_b64 s[10:11], s[8:9]
	s_cbranch_execnz .LBB212_2996
	s_branch .LBB212_2997
	.section	.rodata,"a",@progbits
	.p2align	6, 0x0
	.amdhsa_kernel _ZN2at6native32elementwise_kernel_manual_unrollILi128ELi4EZNS0_15gpu_kernel_implIZZZNS0_33launch_standard_gamma_grad_kernelERNS_18TensorIteratorBaseEENKUlvE_clEvENKUlvE2_clEvEUlN3c108BFloat16ES8_E_EEvS4_RKT_EUlibE_EEviT1_
		.amdhsa_group_segment_fixed_size 0
		.amdhsa_private_segment_fixed_size 0
		.amdhsa_kernarg_size 48
		.amdhsa_user_sgpr_count 8
		.amdhsa_user_sgpr_private_segment_buffer 1
		.amdhsa_user_sgpr_dispatch_ptr 0
		.amdhsa_user_sgpr_queue_ptr 0
		.amdhsa_user_sgpr_kernarg_segment_ptr 1
		.amdhsa_user_sgpr_dispatch_id 0
		.amdhsa_user_sgpr_flat_scratch_init 1
		.amdhsa_user_sgpr_kernarg_preload_length 0
		.amdhsa_user_sgpr_kernarg_preload_offset 0
		.amdhsa_user_sgpr_private_segment_size 0
		.amdhsa_uses_dynamic_stack 0
		.amdhsa_system_sgpr_private_segment_wavefront_offset 0
		.amdhsa_system_sgpr_workgroup_id_x 1
		.amdhsa_system_sgpr_workgroup_id_y 0
		.amdhsa_system_sgpr_workgroup_id_z 0
		.amdhsa_system_sgpr_workgroup_info 0
		.amdhsa_system_vgpr_workitem_id 0
		.amdhsa_next_free_vgpr 39
		.amdhsa_next_free_sgpr 62
		.amdhsa_accum_offset 40
		.amdhsa_reserve_vcc 1
		.amdhsa_reserve_flat_scratch 1
		.amdhsa_float_round_mode_32 0
		.amdhsa_float_round_mode_16_64 0
		.amdhsa_float_denorm_mode_32 3
		.amdhsa_float_denorm_mode_16_64 3
		.amdhsa_dx10_clamp 1
		.amdhsa_ieee_mode 1
		.amdhsa_fp16_overflow 0
		.amdhsa_tg_split 0
		.amdhsa_exception_fp_ieee_invalid_op 0
		.amdhsa_exception_fp_denorm_src 0
		.amdhsa_exception_fp_ieee_div_zero 0
		.amdhsa_exception_fp_ieee_overflow 0
		.amdhsa_exception_fp_ieee_underflow 0
		.amdhsa_exception_fp_ieee_inexact 0
		.amdhsa_exception_int_div_zero 0
	.end_amdhsa_kernel
	.section	.text._ZN2at6native32elementwise_kernel_manual_unrollILi128ELi4EZNS0_15gpu_kernel_implIZZZNS0_33launch_standard_gamma_grad_kernelERNS_18TensorIteratorBaseEENKUlvE_clEvENKUlvE2_clEvEUlN3c108BFloat16ES8_E_EEvS4_RKT_EUlibE_EEviT1_,"axG",@progbits,_ZN2at6native32elementwise_kernel_manual_unrollILi128ELi4EZNS0_15gpu_kernel_implIZZZNS0_33launch_standard_gamma_grad_kernelERNS_18TensorIteratorBaseEENKUlvE_clEvENKUlvE2_clEvEUlN3c108BFloat16ES8_E_EEvS4_RKT_EUlibE_EEviT1_,comdat
.Lfunc_end212:
	.size	_ZN2at6native32elementwise_kernel_manual_unrollILi128ELi4EZNS0_15gpu_kernel_implIZZZNS0_33launch_standard_gamma_grad_kernelERNS_18TensorIteratorBaseEENKUlvE_clEvENKUlvE2_clEvEUlN3c108BFloat16ES8_E_EEvS4_RKT_EUlibE_EEviT1_, .Lfunc_end212-_ZN2at6native32elementwise_kernel_manual_unrollILi128ELi4EZNS0_15gpu_kernel_implIZZZNS0_33launch_standard_gamma_grad_kernelERNS_18TensorIteratorBaseEENKUlvE_clEvENKUlvE2_clEvEUlN3c108BFloat16ES8_E_EEvS4_RKT_EUlibE_EEviT1_
                                        ; -- End function
	.section	.AMDGPU.csdata,"",@progbits
; Kernel info:
; codeLenInByte = 64192
; NumSgprs: 68
; NumVgprs: 39
; NumAgprs: 0
; TotalNumVgprs: 39
; ScratchSize: 0
; MemoryBound: 0
; FloatMode: 240
; IeeeMode: 1
; LDSByteSize: 0 bytes/workgroup (compile time only)
; SGPRBlocks: 8
; VGPRBlocks: 4
; NumSGPRsForWavesPerEU: 68
; NumVGPRsForWavesPerEU: 39
; AccumOffset: 40
; Occupancy: 8
; WaveLimiterHint : 0
; COMPUTE_PGM_RSRC2:SCRATCH_EN: 0
; COMPUTE_PGM_RSRC2:USER_SGPR: 8
; COMPUTE_PGM_RSRC2:TRAP_HANDLER: 0
; COMPUTE_PGM_RSRC2:TGID_X_EN: 1
; COMPUTE_PGM_RSRC2:TGID_Y_EN: 0
; COMPUTE_PGM_RSRC2:TGID_Z_EN: 0
; COMPUTE_PGM_RSRC2:TIDIG_COMP_CNT: 0
; COMPUTE_PGM_RSRC3_GFX90A:ACCUM_OFFSET: 9
; COMPUTE_PGM_RSRC3_GFX90A:TG_SPLIT: 0
	.section	.text._ZN2at6native32elementwise_kernel_manual_unrollILi128ELi4EZNS0_15gpu_kernel_implIZZZNS0_33launch_standard_gamma_grad_kernelERNS_18TensorIteratorBaseEENKUlvE_clEvENKUlvE2_clEvEUlN3c108BFloat16ES8_E_EEvS4_RKT_EUlibE0_EEviT1_,"axG",@progbits,_ZN2at6native32elementwise_kernel_manual_unrollILi128ELi4EZNS0_15gpu_kernel_implIZZZNS0_33launch_standard_gamma_grad_kernelERNS_18TensorIteratorBaseEENKUlvE_clEvENKUlvE2_clEvEUlN3c108BFloat16ES8_E_EEvS4_RKT_EUlibE0_EEviT1_,comdat
	.globl	_ZN2at6native32elementwise_kernel_manual_unrollILi128ELi4EZNS0_15gpu_kernel_implIZZZNS0_33launch_standard_gamma_grad_kernelERNS_18TensorIteratorBaseEENKUlvE_clEvENKUlvE2_clEvEUlN3c108BFloat16ES8_E_EEvS4_RKT_EUlibE0_EEviT1_ ; -- Begin function _ZN2at6native32elementwise_kernel_manual_unrollILi128ELi4EZNS0_15gpu_kernel_implIZZZNS0_33launch_standard_gamma_grad_kernelERNS_18TensorIteratorBaseEENKUlvE_clEvENKUlvE2_clEvEUlN3c108BFloat16ES8_E_EEvS4_RKT_EUlibE0_EEviT1_
	.p2align	8
	.type	_ZN2at6native32elementwise_kernel_manual_unrollILi128ELi4EZNS0_15gpu_kernel_implIZZZNS0_33launch_standard_gamma_grad_kernelERNS_18TensorIteratorBaseEENKUlvE_clEvENKUlvE2_clEvEUlN3c108BFloat16ES8_E_EEvS4_RKT_EUlibE0_EEviT1_,@function
_ZN2at6native32elementwise_kernel_manual_unrollILi128ELi4EZNS0_15gpu_kernel_implIZZZNS0_33launch_standard_gamma_grad_kernelERNS_18TensorIteratorBaseEENKUlvE_clEvENKUlvE2_clEvEUlN3c108BFloat16ES8_E_EEvS4_RKT_EUlibE0_EEviT1_: ; @_ZN2at6native32elementwise_kernel_manual_unrollILi128ELi4EZNS0_15gpu_kernel_implIZZZNS0_33launch_standard_gamma_grad_kernelERNS_18TensorIteratorBaseEENKUlvE_clEvENKUlvE2_clEvEUlN3c108BFloat16ES8_E_EEvS4_RKT_EUlibE0_EEviT1_
; %bb.0:
	s_load_dword s82, s[4:5], 0x0
	s_load_dword s33, s[4:5], 0x8
	s_add_u32 flat_scratch_lo, s6, s9
	s_addc_u32 flat_scratch_hi, s7, 0
	s_add_u32 s0, s0, s9
	s_addc_u32 s1, s1, 0
	s_or_b32 s22, s4, 8
	v_lshl_or_b32 v34, s8, 9, v0
	s_waitcnt lgkmcnt(0)
	s_add_i32 s80, s33, -1
	v_or_b32_e32 v16, 0x180, v34
	s_cmp_gt_u32 s80, 1
	s_mov_b32 s23, s5
	v_cmp_le_i32_e32 vcc, s82, v16
	s_cselect_b64 s[34:35], -1, 0
	s_mov_b64 s[28:29], 0
	s_mov_b64 s[36:37], 0
	s_mov_b32 s32, 0
	s_and_saveexec_b64 s[6:7], vcc
	s_xor_b64 s[44:45], exec, s[6:7]
	s_cbranch_execz .LBB213_1585
; %bb.1:
	v_mov_b32_e32 v0, 0
	global_load_ushort v32, v0, s[22:23] offset:417
	global_load_sbyte v33, v0, s[22:23] offset:419
	s_load_dwordx4 s[40:43], s[22:23], 0x4
	s_load_dwordx2 s[50:51], s[22:23], 0x14
	s_load_dwordx4 s[36:39], s[22:23], 0xc4
	s_load_dwordx2 s[48:49], s[22:23], 0xd4
	s_load_dwordx2 s[46:47], s[22:23], 0x198
	s_load_dwordx4 s[24:27], s[22:23], 0x188
	s_cmp_lg_u32 s33, 0
	s_cselect_b64 s[54:55], -1, 0
	s_min_u32 s81, s80, 15
	s_cmp_gt_u32 s33, 1
	v_cmp_gt_i32_e32 vcc, s82, v34
	s_mov_b64 s[6:7], -1
	s_mov_b64 s[66:67], 0
	s_mov_b64 s[60:61], 0
	;; [unrolled: 1-line block ×3, first 2 shown]
	s_cselect_b64 s[52:53], -1, 0
	s_mov_b64 s[56:57], 0
	s_waitcnt vmcnt(1)
	v_lshrrev_b32_e32 v35, 8, v32
	s_and_saveexec_b64 s[62:63], vcc
	s_cbranch_execz .LBB213_393
; %bb.2:
	s_andn2_b64 vcc, exec, s[34:35]
	s_cbranch_vccnz .LBB213_9
; %bb.3:
	s_andn2_b64 vcc, exec, s[54:55]
	v_mov_b32_e32 v2, 0
	v_mov_b32_e32 v0, 0
	;; [unrolled: 1-line block ×3, first 2 shown]
	s_cbranch_vccnz .LBB213_8
; %bb.4:
	s_add_i32 s6, s81, 1
	s_and_b32 s8, s6, 30
	s_add_u32 s6, s22, 0xffffffec
	s_addc_u32 s7, s23, -1
	v_mov_b32_e32 v30, 0
	v_mov_b32_e32 v1, v34
	;; [unrolled: 1-line block ×4, first 2 shown]
.LBB213_5:                              ; =>This Inner Loop Header: Depth=1
	s_mov_b64 s[10:11], s[6:7]
	s_load_dwordx4 s[12:15], s[10:11], 0x18
	s_load_dwordx2 s[20:21], s[10:11], 0x28
	s_load_dwordx2 s[30:31], s[10:11], 0xe8
	s_load_dwordx4 s[16:19], s[10:11], 0xd8
	s_add_u32 s6, s10, 24
	s_waitcnt lgkmcnt(0)
	v_mul_hi_u32 v3, s13, v1
	v_add_u32_e32 v3, v1, v3
	v_lshrrev_b32_e32 v3, s14, v3
	v_mul_lo_u32 v4, v3, s12
	v_mul_hi_u32 v5, s20, v3
	v_sub_u32_e32 v1, v1, v4
	v_add_u32_e32 v4, v3, v5
	v_mul_lo_u32 v5, v1, s16
	v_mul_lo_u32 v6, v1, s17
	;; [unrolled: 1-line block ×3, first 2 shown]
	v_lshrrev_b32_e32 v1, s21, v4
	v_mul_lo_u32 v4, v1, s15
	v_sub_u32_e32 v3, v3, v4
	s_addc_u32 s7, s11, 0
	s_add_i32 s8, s8, -2
	v_mul_lo_u32 v4, v3, s19
	v_mul_lo_u32 v8, v3, s30
	;; [unrolled: 1-line block ×3, first 2 shown]
	s_cmp_lg_u32 s8, 0
	v_add3_u32 v30, v5, v30, v4
	v_add3_u32 v2, v7, v2, v3
	;; [unrolled: 1-line block ×3, first 2 shown]
	s_cbranch_scc1 .LBB213_5
; %bb.6:
	s_bitcmp1_b32 s81, 0
	s_cselect_b64 s[8:9], -1, 0
	s_and_b64 vcc, exec, s[8:9]
	s_cbranch_vccnz .LBB213_8
; %bb.7:
	s_load_dwordx2 s[8:9], s[6:7], 0x18
	s_load_dword s10, s[6:7], 0x20
	s_load_dword s11, s[6:7], 0xe0
	s_nop 0
	s_load_dwordx2 s[6:7], s[6:7], 0xd8
	s_waitcnt lgkmcnt(0)
	v_mul_hi_u32 v3, s9, v1
	v_add_u32_e32 v3, v1, v3
	v_lshrrev_b32_e32 v3, s10, v3
	v_mul_lo_u32 v3, v3, s8
	v_sub_u32_e32 v3, v1, v3
	v_mad_u64_u32 v[30:31], s[8:9], v3, s6, v[30:31]
	v_mad_u64_u32 v[0:1], s[6:7], v3, s7, v[0:1]
	;; [unrolled: 1-line block ×3, first 2 shown]
.LBB213_8:
	s_cbranch_execz .LBB213_10
	s_branch .LBB213_12
.LBB213_9:
                                        ; implicit-def: $vgpr2
                                        ; implicit-def: $vgpr0
                                        ; implicit-def: $vgpr30
	s_andn2_b64 vcc, exec, s[6:7]
	s_cbranch_vccnz .LBB213_12
.LBB213_10:
	s_waitcnt lgkmcnt(0)
	v_mul_hi_u32 v0, s41, v34
	v_add_u32_e32 v0, v34, v0
	v_lshrrev_b32_e32 v1, s42, v0
	v_mul_lo_u32 v0, v1, s40
	v_sub_u32_e32 v0, v34, v0
	v_mul_lo_u32 v30, v0, s36
	v_mul_lo_u32 v2, v0, s38
	s_andn2_b64 vcc, exec, s[52:53]
	v_mul_lo_u32 v0, v0, s37
	s_cbranch_vccnz .LBB213_12
; %bb.11:
	v_mul_hi_u32 v3, s50, v1
	v_add_u32_e32 v3, v1, v3
	v_lshrrev_b32_e32 v3, s51, v3
	v_mul_lo_u32 v3, v3, s43
	v_sub_u32_e32 v3, v1, v3
	v_mad_u64_u32 v[30:31], s[6:7], v3, s39, v[30:31]
	v_mad_u64_u32 v[0:1], s[6:7], v3, s48, v[0:1]
	;; [unrolled: 1-line block ×3, first 2 shown]
.LBB213_12:
	s_waitcnt lgkmcnt(0)
	v_mov_b32_e32 v1, s27
	v_add_co_u32_e32 v4, vcc, s26, v0
	v_mov_b32_e32 v0, 11
	v_addc_co_u32_e32 v5, vcc, 0, v1, vcc
	v_cmp_lt_i16_sdwa s[6:7], v35, v0 src0_sel:BYTE_0 src1_sel:DWORD
	s_and_b64 vcc, exec, s[6:7]
	s_cbranch_vccnz .LBB213_19
; %bb.13:
	v_mov_b32_e32 v0, 25
	v_cmp_gt_i16_sdwa s[6:7], v35, v0 src0_sel:BYTE_0 src1_sel:DWORD
	s_and_b64 vcc, exec, s[6:7]
	s_cbranch_vccz .LBB213_28
; %bb.14:
	v_mov_b32_e32 v0, 28
	v_cmp_gt_i16_sdwa s[6:7], v35, v0 src0_sel:BYTE_0 src1_sel:DWORD
	s_and_b64 vcc, exec, s[6:7]
	s_cbranch_vccz .LBB213_38
	;; [unrolled: 5-line block ×4, first 2 shown]
; %bb.17:
	v_mov_b32_e32 v0, 46
	v_cmp_eq_u16_sdwa s[6:7], v35, v0 src0_sel:BYTE_0 src1_sel:DWORD
	s_mov_b64 s[8:9], 0
	s_and_b64 vcc, exec, s[6:7]
	s_cbranch_vccz .LBB213_47
; %bb.18:
	global_load_dword v0, v[4:5], off
	s_mov_b64 s[6:7], -1
	s_mov_b64 s[60:61], 0
	s_branch .LBB213_49
.LBB213_19:
	s_mov_b64 s[60:61], 0
                                        ; implicit-def: $vgpr0
	s_mov_b64 s[6:7], 0
	s_cbranch_execnz .LBB213_115
.LBB213_20:
	s_andn2_b64 vcc, exec, s[6:7]
	s_cbranch_vccnz .LBB213_162
.LBB213_21:
	v_mov_b32_e32 v1, s47
	v_add_co_u32_e32 v2, vcc, s46, v2
	v_addc_co_u32_e32 v3, vcc, 0, v1, vcc
	v_mov_b32_e32 v1, 11
	s_waitcnt vmcnt(0)
	v_cmp_lt_i16_sdwa s[6:7], v33, v1 src0_sel:BYTE_0 src1_sel:DWORD
	s_and_b64 vcc, exec, s[6:7]
	s_cbranch_vccnz .LBB213_29
; %bb.22:
	v_mov_b32_e32 v1, 25
	v_cmp_gt_i16_sdwa s[6:7], v33, v1 src0_sel:BYTE_0 src1_sel:DWORD
	s_and_b64 vcc, exec, s[6:7]
	s_cbranch_vccz .LBB213_39
; %bb.23:
	v_mov_b32_e32 v1, 28
	v_cmp_gt_i16_sdwa s[6:7], v33, v1 src0_sel:BYTE_0 src1_sel:DWORD
	s_and_b64 vcc, exec, s[6:7]
	s_cbranch_vccz .LBB213_42
	;; [unrolled: 5-line block ×4, first 2 shown]
; %bb.26:
	v_mov_b32_e32 v1, 46
	v_cmp_eq_u16_sdwa s[6:7], v33, v1 src0_sel:BYTE_0 src1_sel:DWORD
	s_mov_b64 s[8:9], 0
	s_and_b64 vcc, exec, s[6:7]
	s_cbranch_vccz .LBB213_163
; %bb.27:
	global_load_dword v1, v[2:3], off
	s_mov_b64 s[6:7], -1
	s_mov_b64 s[58:59], 0
	s_branch .LBB213_165
.LBB213_28:
	s_mov_b64 s[60:61], 0
	s_mov_b64 s[6:7], 0
                                        ; implicit-def: $vgpr0
	s_cbranch_execnz .LBB213_80
	s_branch .LBB213_114
.LBB213_29:
	s_mov_b64 s[58:59], 0
                                        ; implicit-def: $vgpr1
	s_mov_b64 s[6:7], 0
	s_cbranch_execnz .LBB213_342
.LBB213_30:
	s_andn2_b64 vcc, exec, s[6:7]
	s_cbranch_vccnz .LBB213_390
.LBB213_31:
	s_mov_b64 s[56:57], s[4:5]
	s_getpc_b64 s[4:5]
	s_add_u32 s4, s4, _ZZZZN2at6native33launch_standard_gamma_grad_kernelERNS_18TensorIteratorBaseEENKUlvE_clEvENKUlvE2_clEvENKUlN3c108BFloat16ES6_E_clES6_S6_@rel32@lo+4
	s_addc_u32 s5, s5, _ZZZZN2at6native33launch_standard_gamma_grad_kernelERNS_18TensorIteratorBaseEENKUlvE_clEvENKUlvE2_clEvENKUlN3c108BFloat16ES6_E_clES6_S6_@rel32@hi+12
	s_swappc_b64 s[30:31], s[4:5]
	v_mov_b32_e32 v1, s25
	v_add_co_u32_e32 v2, vcc, s24, v30
	v_addc_co_u32_e32 v3, vcc, 0, v1, vcc
	v_mov_b32_e32 v1, 11
	v_cmp_lt_i16_sdwa s[4:5], v32, v1 src0_sel:BYTE_0 src1_sel:DWORD
	s_and_b64 vcc, exec, s[4:5]
	s_cbranch_vccnz .LBB213_40
; %bb.32:
	v_mov_b32_e32 v1, 25
	v_cmp_gt_i16_sdwa s[4:5], v32, v1 src0_sel:BYTE_0 src1_sel:DWORD
	s_and_b64 vcc, exec, s[4:5]
	s_cbranch_vccz .LBB213_43
; %bb.33:
	v_mov_b32_e32 v1, 28
	v_cmp_gt_i16_sdwa s[4:5], v32, v1 src0_sel:BYTE_0 src1_sel:DWORD
	s_and_b64 vcc, exec, s[4:5]
	s_mov_b64 s[4:5], s[56:57]
	s_cbranch_vccz .LBB213_46
; %bb.34:
	v_mov_b32_e32 v1, 43
	v_cmp_gt_i16_sdwa s[6:7], v32, v1 src0_sel:BYTE_0 src1_sel:DWORD
	s_and_b64 vcc, exec, s[6:7]
	s_cbranch_vccz .LBB213_53
; %bb.35:
	v_mov_b32_e32 v1, 45
	v_cmp_gt_i16_sdwa s[6:7], v32, v1 src0_sel:BYTE_0 src1_sel:DWORD
	s_and_b64 vcc, exec, s[6:7]
	s_cbranch_vccz .LBB213_168
; %bb.36:
	v_mov_b32_e32 v1, 46
	v_cmp_eq_u16_sdwa s[8:9], v32, v1 src0_sel:BYTE_0 src1_sel:DWORD
	s_mov_b64 s[10:11], 0
	s_mov_b64 s[6:7], -1
	s_and_b64 vcc, exec, s[8:9]
	s_mov_b64 s[8:9], 0
	s_cbranch_vccz .LBB213_169
; %bb.37:
	v_and_b32_e32 v1, 0xffff, v0
	global_store_dword v[2:3], v1, off
	s_mov_b64 s[8:9], -1
	s_mov_b64 s[6:7], 0
	s_branch .LBB213_169
.LBB213_38:
	s_mov_b64 s[8:9], -1
	s_mov_b64 s[60:61], 0
	s_mov_b64 s[6:7], 0
                                        ; implicit-def: $vgpr0
	s_branch .LBB213_61
.LBB213_39:
	s_mov_b64 s[8:9], -1
	s_mov_b64 s[58:59], 0
	s_mov_b64 s[6:7], 0
                                        ; implicit-def: $vgpr1
	s_branch .LBB213_306
.LBB213_40:
	s_mov_b64 s[10:11], -1
	s_mov_b64 s[6:7], 0
	s_mov_b64 s[8:9], 0
	s_mov_b64 s[4:5], s[56:57]
	s_branch .LBB213_238
.LBB213_41:
	s_mov_b64 s[8:9], -1
	s_mov_b64 s[60:61], 0
	s_mov_b64 s[6:7], 0
                                        ; implicit-def: $vgpr0
	s_branch .LBB213_56
.LBB213_42:
	s_mov_b64 s[8:9], -1
	s_mov_b64 s[58:59], 0
	s_mov_b64 s[6:7], 0
                                        ; implicit-def: $vgpr1
	s_branch .LBB213_287
.LBB213_43:
	s_mov_b64 s[10:11], -1
	s_mov_b64 s[6:7], 0
	s_mov_b64 s[8:9], 0
	;; [unrolled: 1-line block ×3, first 2 shown]
	s_branch .LBB213_196
.LBB213_44:
	s_mov_b64 s[8:9], -1
	s_mov_b64 s[60:61], 0
	s_branch .LBB213_48
.LBB213_45:
	s_mov_b64 s[8:9], -1
	s_mov_b64 s[58:59], 0
	s_mov_b64 s[6:7], 0
                                        ; implicit-def: $vgpr1
	s_branch .LBB213_282
.LBB213_46:
	s_mov_b64 s[10:11], -1
	s_mov_b64 s[6:7], 0
	s_mov_b64 s[8:9], 0
	s_branch .LBB213_179
.LBB213_47:
	s_mov_b64 s[60:61], -1
.LBB213_48:
	s_mov_b64 s[6:7], 0
                                        ; implicit-def: $vgpr0
.LBB213_49:
	s_and_b64 vcc, exec, s[8:9]
	s_cbranch_vccz .LBB213_55
; %bb.50:
	s_waitcnt vmcnt(0)
	v_mov_b32_e32 v0, 44
	v_cmp_eq_u16_sdwa s[8:9], v35, v0 src0_sel:BYTE_0 src1_sel:DWORD
	s_and_b64 vcc, exec, s[8:9]
	s_cbranch_vccz .LBB213_54
; %bb.51:
	global_load_ubyte v0, v[4:5], off
	s_movk_i32 s8, 0xff
	v_mov_b32_e32 v1, 0x7f800001
	v_mov_b32_e32 v3, 0x400000
	;; [unrolled: 1-line block ×3, first 2 shown]
	s_mov_b64 s[6:7], -1
	s_mov_b64 s[60:61], 0
	s_waitcnt vmcnt(0)
	v_lshlrev_b32_e32 v7, 23, v0
	v_cmp_ne_u32_e32 vcc, s8, v0
	v_cndmask_b32_e32 v1, v1, v7, vcc
	v_cmp_ne_u32_e32 vcc, 0, v0
	v_cndmask_b32_e32 v0, v3, v1, vcc
	v_add_u32_e32 v1, 0x7fff, v0
	v_lshrrev_b32_e32 v1, 16, v1
	v_cmp_o_f32_e32 vcc, v0, v0
	v_cndmask_b32_e32 v0, v6, v1, vcc
	s_branch .LBB213_55
.LBB213_52:
	s_mov_b64 s[8:9], -1
	s_mov_b64 s[58:59], 0
	s_branch .LBB213_164
.LBB213_53:
	s_mov_b64 s[10:11], -1
	s_mov_b64 s[6:7], 0
	s_mov_b64 s[8:9], 0
	s_branch .LBB213_175
.LBB213_54:
	s_mov_b64 s[60:61], -1
                                        ; implicit-def: $vgpr0
.LBB213_55:
	s_mov_b64 s[8:9], 0
.LBB213_56:
	s_and_b64 vcc, exec, s[8:9]
	s_cbranch_vccz .LBB213_60
; %bb.57:
	s_waitcnt vmcnt(0)
	v_mov_b32_e32 v0, 29
	v_cmp_eq_u16_sdwa s[8:9], v35, v0 src0_sel:BYTE_0 src1_sel:DWORD
	s_and_b64 vcc, exec, s[8:9]
	s_cbranch_vccz .LBB213_59
; %bb.58:
	global_load_dwordx2 v[0:1], v[4:5], off
	s_movk_i32 s8, 0x7fff
	s_mov_b64 s[6:7], -1
	s_mov_b64 s[60:61], 0
	s_waitcnt vmcnt(0)
	v_ffbh_u32_e32 v3, v1
	v_min_u32_e32 v3, 32, v3
	v_lshlrev_b64 v[0:1], v3, v[0:1]
	v_min_u32_e32 v0, 1, v0
	v_or_b32_e32 v0, v1, v0
	v_cvt_f32_u32_e32 v0, v0
	v_sub_u32_e32 v1, 32, v3
	v_ldexp_f32 v0, v0, v1
	v_bfe_u32 v1, v0, 16, 1
	v_add3_u32 v0, v0, v1, s8
	v_lshrrev_b32_e32 v0, 16, v0
	s_branch .LBB213_60
.LBB213_59:
	s_mov_b64 s[60:61], -1
                                        ; implicit-def: $vgpr0
.LBB213_60:
	s_mov_b64 s[8:9], 0
.LBB213_61:
	s_and_b64 vcc, exec, s[8:9]
	s_cbranch_vccz .LBB213_79
; %bb.62:
	s_waitcnt vmcnt(0)
	v_mov_b32_e32 v0, 27
	v_cmp_lt_i16_sdwa s[6:7], v35, v0 src0_sel:BYTE_0 src1_sel:DWORD
	s_and_b64 vcc, exec, s[6:7]
	s_cbranch_vccnz .LBB213_65
; %bb.63:
	v_cmp_gt_i16_sdwa s[6:7], v35, v0 src0_sel:BYTE_0 src1_sel:DWORD
	s_and_b64 vcc, exec, s[6:7]
	s_cbranch_vccz .LBB213_66
; %bb.64:
	global_load_dword v0, v[4:5], off
	s_movk_i32 s6, 0x7fff
	s_waitcnt vmcnt(0)
	v_cvt_f32_u32_e32 v0, v0
	v_bfe_u32 v1, v0, 16, 1
	v_add3_u32 v0, v0, v1, s6
	v_lshrrev_b32_e32 v0, 16, v0
	s_mov_b64 s[6:7], 0
	s_branch .LBB213_67
.LBB213_65:
	s_mov_b64 s[6:7], -1
                                        ; implicit-def: $vgpr0
	s_branch .LBB213_70
.LBB213_66:
	s_mov_b64 s[6:7], -1
                                        ; implicit-def: $vgpr0
.LBB213_67:
	s_andn2_b64 vcc, exec, s[6:7]
	s_cbranch_vccnz .LBB213_69
; %bb.68:
	global_load_ushort v0, v[4:5], off
	s_movk_i32 s6, 0x7fff
	s_waitcnt vmcnt(0)
	v_cvt_f32_u32_e32 v0, v0
	v_bfe_u32 v1, v0, 16, 1
	v_add3_u32 v0, v0, v1, s6
	v_lshrrev_b32_e32 v0, 16, v0
.LBB213_69:
	s_mov_b64 s[6:7], 0
.LBB213_70:
	s_andn2_b64 vcc, exec, s[6:7]
	s_cbranch_vccnz .LBB213_78
; %bb.71:
	global_load_ubyte v0, v[4:5], off
	s_movk_i32 s6, 0x7f
                                        ; implicit-def: $sgpr12
	s_waitcnt vmcnt(0)
	v_cmp_lt_i16_e32 vcc, s6, v0
	s_mov_b64 s[6:7], 0
	s_and_saveexec_b64 s[8:9], vcc
	s_xor_b64 s[8:9], exec, s[8:9]
	s_cbranch_execz .LBB213_91
; %bb.72:
	s_movk_i32 s6, 0x80
	v_cmp_eq_u16_e32 vcc, s6, v0
	s_mov_b64 s[6:7], -1
                                        ; implicit-def: $sgpr12
	s_and_saveexec_b64 s[10:11], vcc
; %bb.73:
	s_mov_b32 s12, 0x7f800001
	s_xor_b64 s[6:7], exec, -1
; %bb.74:
	s_or_b64 exec, exec, s[10:11]
	s_and_b64 s[6:7], s[6:7], exec
	s_or_saveexec_b64 s[8:9], s[8:9]
	v_mov_b32_e32 v1, s12
	s_xor_b64 exec, exec, s[8:9]
	s_cbranch_execnz .LBB213_92
.LBB213_75:
	s_or_b64 exec, exec, s[8:9]
	s_and_saveexec_b64 s[8:9], s[6:7]
	s_cbranch_execz .LBB213_77
.LBB213_76:
	v_lshlrev_b32_e32 v1, 24, v0
	v_and_b32_e32 v0, 0xffff, v0
	v_and_b32_e32 v3, 7, v0
	v_ffbh_u32_e32 v7, v3
	v_min_u32_e32 v7, 32, v7
	v_subrev_u32_e32 v8, 28, v7
	v_bfe_u32 v6, v0, 3, 4
	v_lshlrev_b32_e32 v0, v8, v0
	v_sub_u32_e32 v7, 29, v7
	v_and_b32_e32 v0, 7, v0
	v_cmp_eq_u32_e32 vcc, 0, v6
	v_cndmask_b32_e32 v6, v6, v7, vcc
	v_cndmask_b32_e32 v0, v3, v0, vcc
	v_mov_b32_e32 v3, 0x3b800000
	v_lshlrev_b32_e32 v0, 20, v0
	v_and_b32_e32 v1, 0x80000000, v1
	v_lshl_add_u32 v3, v6, 23, v3
	v_or3_b32 v1, v1, v3, v0
.LBB213_77:
	s_or_b64 exec, exec, s[8:9]
	v_bfe_u32 v0, v1, 16, 1
	s_movk_i32 s6, 0x7fff
	v_add3_u32 v0, v1, v0, s6
	v_lshrrev_b32_e32 v0, 16, v0
	v_mov_b32_e32 v3, 0x7fc0
	v_cmp_o_f32_e32 vcc, v1, v1
	v_cndmask_b32_e32 v0, v3, v0, vcc
.LBB213_78:
	s_mov_b64 s[6:7], -1
.LBB213_79:
	s_branch .LBB213_114
.LBB213_80:
	s_waitcnt vmcnt(0)
	v_mov_b32_e32 v0, 22
	v_cmp_gt_i16_sdwa s[8:9], v35, v0 src0_sel:BYTE_0 src1_sel:DWORD
	s_and_b64 vcc, exec, s[8:9]
	s_cbranch_vccz .LBB213_90
; %bb.81:
	v_mov_b32_e32 v0, 24
	v_cmp_lt_i16_sdwa s[6:7], v35, v0 src0_sel:BYTE_0 src1_sel:DWORD
	s_and_b64 vcc, exec, s[6:7]
	s_cbranch_vccnz .LBB213_93
; %bb.82:
	v_cmp_gt_i16_sdwa s[6:7], v35, v0 src0_sel:BYTE_0 src1_sel:DWORD
	s_and_b64 vcc, exec, s[6:7]
	s_cbranch_vccz .LBB213_94
; %bb.83:
	global_load_ubyte v0, v[4:5], off
	s_movk_i32 s6, 0x7f
                                        ; implicit-def: $sgpr12
	s_waitcnt vmcnt(0)
	v_cmp_lt_i16_e32 vcc, s6, v0
	s_mov_b64 s[6:7], 0
	s_and_saveexec_b64 s[8:9], vcc
	s_xor_b64 s[8:9], exec, s[8:9]
	s_cbranch_execz .LBB213_106
; %bb.84:
	s_movk_i32 s6, 0x80
	v_cmp_eq_u16_e32 vcc, s6, v0
	s_mov_b64 s[6:7], -1
                                        ; implicit-def: $sgpr12
	s_and_saveexec_b64 s[10:11], vcc
; %bb.85:
	s_mov_b32 s12, 0x7f800001
	s_xor_b64 s[6:7], exec, -1
; %bb.86:
	s_or_b64 exec, exec, s[10:11]
	s_and_b64 s[6:7], s[6:7], exec
	s_or_saveexec_b64 s[8:9], s[8:9]
	v_mov_b32_e32 v1, s12
	s_xor_b64 exec, exec, s[8:9]
	s_cbranch_execnz .LBB213_107
.LBB213_87:
	s_or_b64 exec, exec, s[8:9]
	s_and_saveexec_b64 s[8:9], s[6:7]
	s_cbranch_execz .LBB213_89
.LBB213_88:
	v_lshlrev_b32_e32 v1, 24, v0
	v_and_b32_e32 v0, 0xffff, v0
	v_and_b32_e32 v3, 3, v0
	v_ffbh_u32_e32 v7, v3
	v_min_u32_e32 v7, 32, v7
	v_subrev_u32_e32 v8, 29, v7
	v_bfe_u32 v6, v0, 2, 5
	v_lshlrev_b32_e32 v0, v8, v0
	v_sub_u32_e32 v7, 30, v7
	v_and_b32_e32 v0, 3, v0
	v_cmp_eq_u32_e32 vcc, 0, v6
	v_cndmask_b32_e32 v6, v6, v7, vcc
	v_cndmask_b32_e32 v0, v3, v0, vcc
	v_mov_b32_e32 v3, 0x37800000
	v_lshlrev_b32_e32 v0, 21, v0
	v_and_b32_e32 v1, 0x80000000, v1
	v_lshl_add_u32 v3, v6, 23, v3
	v_or3_b32 v1, v1, v3, v0
.LBB213_89:
	s_or_b64 exec, exec, s[8:9]
	v_bfe_u32 v0, v1, 16, 1
	s_movk_i32 s6, 0x7fff
	v_add3_u32 v0, v1, v0, s6
	v_lshrrev_b32_e32 v0, 16, v0
	v_mov_b32_e32 v3, 0x7fc0
	v_cmp_o_f32_e32 vcc, v1, v1
	v_cndmask_b32_e32 v0, v3, v0, vcc
	s_mov_b64 s[6:7], 0
	s_branch .LBB213_95
.LBB213_90:
	s_mov_b64 s[8:9], -1
                                        ; implicit-def: $vgpr0
	s_branch .LBB213_101
.LBB213_91:
	s_or_saveexec_b64 s[8:9], s[8:9]
	v_mov_b32_e32 v1, s12
	s_xor_b64 exec, exec, s[8:9]
	s_cbranch_execz .LBB213_75
.LBB213_92:
	v_cmp_ne_u16_e32 vcc, 0, v0
	s_andn2_b64 s[6:7], s[6:7], exec
	s_and_b64 s[10:11], vcc, exec
	v_mov_b32_e32 v1, 0
	s_or_b64 s[6:7], s[6:7], s[10:11]
	s_or_b64 exec, exec, s[8:9]
	s_and_saveexec_b64 s[8:9], s[6:7]
	s_cbranch_execnz .LBB213_76
	s_branch .LBB213_77
.LBB213_93:
	s_mov_b64 s[6:7], -1
                                        ; implicit-def: $vgpr0
	s_branch .LBB213_98
.LBB213_94:
	s_mov_b64 s[6:7], -1
                                        ; implicit-def: $vgpr0
.LBB213_95:
	s_and_b64 vcc, exec, s[6:7]
	s_cbranch_vccz .LBB213_97
; %bb.96:
	global_load_ubyte v0, v[4:5], off
	s_mov_b32 s6, 0x7f800000
	s_brev_b32 s7, 1
	s_movk_i32 s8, 0x7fff
	v_mov_b32_e32 v1, 0x7fc0
	s_waitcnt vmcnt(0)
	v_lshlrev_b32_e32 v0, 24, v0
	v_and_b32_e32 v3, 0x7f000000, v0
	v_ffbh_u32_e32 v6, v3
	v_min_u32_e32 v6, 32, v6
	v_sub_u32_e64 v6, v6, 4 clamp
	v_lshlrev_b32_e32 v8, v6, v3
	v_lshlrev_b32_e32 v6, 23, v6
	v_lshrrev_b32_e32 v8, 4, v8
	v_add_u32_e32 v7, 0x1000000, v3
	v_sub_u32_e32 v6, v8, v6
	v_ashrrev_i32_e32 v7, 8, v7
	v_add_u32_e32 v6, 0x3c000000, v6
	v_and_or_b32 v6, v7, s6, v6
	v_cmp_ne_u32_e32 vcc, 0, v3
	v_cndmask_b32_e32 v3, 0, v6, vcc
	v_and_or_b32 v0, v0, s7, v3
	v_bfe_u32 v3, v3, 16, 1
	v_add3_u32 v3, v0, v3, s8
	v_lshrrev_b32_e32 v3, 16, v3
	v_cmp_o_f32_e32 vcc, v0, v0
	v_cndmask_b32_e32 v0, v1, v3, vcc
.LBB213_97:
	s_mov_b64 s[6:7], 0
.LBB213_98:
	s_andn2_b64 vcc, exec, s[6:7]
	s_cbranch_vccnz .LBB213_100
; %bb.99:
	global_load_ubyte v0, v[4:5], off
	s_movk_i32 s6, 0x7f00
	s_brev_b32 s7, 16
	s_brev_b32 s8, 1
	s_movk_i32 s9, 0x7fff
	v_mov_b32_e32 v1, 0x7fc0
	s_waitcnt vmcnt(0)
	v_lshlrev_b16_e32 v3, 8, v0
	v_lshlrev_b32_e32 v0, 25, v0
	v_lshrrev_b32_e32 v6, 4, v0
	v_and_or_b32 v7, v3, s6, 0.5
	v_or_b32_e32 v6, 0x70000000, v6
	v_add_f32_e32 v7, -0.5, v7
	v_mul_f32_e32 v6, 0x7800000, v6
	v_cmp_gt_u32_e32 vcc, s7, v0
	v_bfe_i32 v3, v3, 0, 16
	v_cndmask_b32_e32 v0, v6, v7, vcc
	v_and_or_b32 v3, v3, s8, v0
	v_bfe_u32 v0, v0, 16, 1
	v_add3_u32 v0, v3, v0, s9
	v_lshrrev_b32_e32 v0, 16, v0
	v_cmp_o_f32_e32 vcc, v3, v3
	v_cndmask_b32_e32 v0, v1, v0, vcc
.LBB213_100:
	s_mov_b64 s[8:9], 0
	s_mov_b64 s[6:7], -1
.LBB213_101:
	s_andn2_b64 vcc, exec, s[8:9]
	s_cbranch_vccnz .LBB213_114
; %bb.102:
	v_mov_b32_e32 v0, 14
	v_cmp_gt_i16_sdwa s[8:9], v35, v0 src0_sel:BYTE_0 src1_sel:DWORD
	s_and_b64 vcc, exec, s[8:9]
	s_cbranch_vccz .LBB213_105
; %bb.103:
	v_mov_b32_e32 v0, 15
	v_cmp_eq_u16_sdwa s[8:9], v35, v0 src0_sel:BYTE_0 src1_sel:DWORD
	s_and_b64 vcc, exec, s[8:9]
	s_cbranch_vccz .LBB213_108
; %bb.104:
	global_load_ushort v0, v[4:5], off
	s_mov_b64 s[6:7], -1
	s_mov_b64 s[60:61], 0
	s_branch .LBB213_109
.LBB213_105:
	s_mov_b64 s[8:9], -1
                                        ; implicit-def: $vgpr0
	s_branch .LBB213_110
.LBB213_106:
	s_or_saveexec_b64 s[8:9], s[8:9]
	v_mov_b32_e32 v1, s12
	s_xor_b64 exec, exec, s[8:9]
	s_cbranch_execz .LBB213_87
.LBB213_107:
	v_cmp_ne_u16_e32 vcc, 0, v0
	s_andn2_b64 s[6:7], s[6:7], exec
	s_and_b64 s[10:11], vcc, exec
	v_mov_b32_e32 v1, 0
	s_or_b64 s[6:7], s[6:7], s[10:11]
	s_or_b64 exec, exec, s[8:9]
	s_and_saveexec_b64 s[8:9], s[6:7]
	s_cbranch_execnz .LBB213_88
	s_branch .LBB213_89
.LBB213_108:
	s_mov_b64 s[60:61], -1
                                        ; implicit-def: $vgpr0
.LBB213_109:
	s_mov_b64 s[8:9], 0
.LBB213_110:
	s_and_b64 vcc, exec, s[8:9]
	s_cbranch_vccz .LBB213_114
; %bb.111:
	s_waitcnt vmcnt(0)
	v_mov_b32_e32 v0, 11
	v_cmp_eq_u16_sdwa s[8:9], v35, v0 src0_sel:BYTE_0 src1_sel:DWORD
	s_and_b64 vcc, exec, s[8:9]
	s_cbranch_vccz .LBB213_113
; %bb.112:
	global_load_ubyte v0, v[4:5], off
	s_mov_b64 s[6:7], -1
	s_mov_b64 s[60:61], 0
	s_waitcnt vmcnt(0)
	v_cmp_ne_u16_e32 vcc, 0, v0
	v_cndmask_b32_e64 v0, 0, 1.0, vcc
	v_lshrrev_b32_e32 v0, 16, v0
	s_branch .LBB213_114
.LBB213_113:
	s_mov_b64 s[60:61], -1
                                        ; implicit-def: $vgpr0
.LBB213_114:
	s_branch .LBB213_20
.LBB213_115:
	s_waitcnt vmcnt(0)
	v_mov_b32_e32 v0, 5
	v_cmp_lt_i16_sdwa s[6:7], v35, v0 src0_sel:BYTE_0 src1_sel:DWORD
	s_and_b64 vcc, exec, s[6:7]
	s_cbranch_vccnz .LBB213_120
; %bb.116:
	v_mov_b32_e32 v0, 8
	v_cmp_lt_i16_sdwa s[6:7], v35, v0 src0_sel:BYTE_0 src1_sel:DWORD
	s_and_b64 vcc, exec, s[6:7]
	s_cbranch_vccnz .LBB213_121
; %bb.117:
	v_mov_b32_e32 v0, 9
	v_cmp_lt_i16_sdwa s[6:7], v35, v0 src0_sel:BYTE_0 src1_sel:DWORD
	s_and_b64 vcc, exec, s[6:7]
	s_cbranch_vccnz .LBB213_122
; %bb.118:
	v_cmp_gt_i16_sdwa s[6:7], v35, v0 src0_sel:BYTE_0 src1_sel:DWORD
	s_and_b64 vcc, exec, s[6:7]
	s_cbranch_vccz .LBB213_123
; %bb.119:
	global_load_dwordx2 v[0:1], v[4:5], off
	s_movk_i32 s6, 0x7fff
	v_mov_b32_e32 v3, 0x7fc0
	s_waitcnt vmcnt(0)
	v_cvt_f32_f64_e32 v0, v[0:1]
	v_bfe_u32 v1, v0, 16, 1
	v_add3_u32 v1, v0, v1, s6
	v_lshrrev_b32_e32 v1, 16, v1
	v_cmp_o_f32_e32 vcc, v0, v0
	v_cndmask_b32_e32 v0, v3, v1, vcc
	s_mov_b64 s[6:7], 0
	s_branch .LBB213_124
.LBB213_120:
                                        ; implicit-def: $vgpr0
	s_branch .LBB213_142
.LBB213_121:
	s_mov_b64 s[6:7], -1
                                        ; implicit-def: $vgpr0
	s_branch .LBB213_130
.LBB213_122:
	s_mov_b64 s[6:7], -1
                                        ; implicit-def: $vgpr0
	s_branch .LBB213_127
.LBB213_123:
	s_mov_b64 s[6:7], -1
                                        ; implicit-def: $vgpr0
.LBB213_124:
	s_andn2_b64 vcc, exec, s[6:7]
	s_cbranch_vccnz .LBB213_126
; %bb.125:
	global_load_dword v0, v[4:5], off
	s_movk_i32 s6, 0x7fff
	v_mov_b32_e32 v1, 0x7fc0
	s_waitcnt vmcnt(0)
	v_bfe_u32 v3, v0, 16, 1
	v_add3_u32 v3, v0, v3, s6
	v_lshrrev_b32_e32 v3, 16, v3
	v_cmp_o_f32_e32 vcc, v0, v0
	v_cndmask_b32_e32 v0, v1, v3, vcc
.LBB213_126:
	s_mov_b64 s[6:7], 0
.LBB213_127:
	s_andn2_b64 vcc, exec, s[6:7]
	s_cbranch_vccnz .LBB213_129
; %bb.128:
	global_load_dword v0, v[4:5], off
	s_movk_i32 s6, 0x7fff
	v_mov_b32_e32 v3, 0x7fc0
	s_waitcnt vmcnt(0)
	v_cvt_f32_f16_e32 v1, v0
	v_cmp_o_f16_e32 vcc, v0, v0
	v_bfe_u32 v6, v1, 16, 1
	v_add3_u32 v1, v1, v6, s6
	v_lshrrev_b32_e32 v1, 16, v1
	v_cndmask_b32_e32 v0, v3, v1, vcc
.LBB213_129:
	s_mov_b64 s[6:7], 0
.LBB213_130:
	s_andn2_b64 vcc, exec, s[6:7]
	s_cbranch_vccnz .LBB213_141
; %bb.131:
	v_mov_b32_e32 v0, 6
	v_cmp_lt_i16_sdwa s[6:7], v35, v0 src0_sel:BYTE_0 src1_sel:DWORD
	s_and_b64 vcc, exec, s[6:7]
	s_cbranch_vccnz .LBB213_134
; %bb.132:
	v_cmp_gt_i16_sdwa s[6:7], v35, v0 src0_sel:BYTE_0 src1_sel:DWORD
	s_and_b64 vcc, exec, s[6:7]
	s_cbranch_vccz .LBB213_135
; %bb.133:
	global_load_dwordx2 v[0:1], v[4:5], off
	s_movk_i32 s6, 0x7fff
	v_mov_b32_e32 v3, 0x7fc0
	s_waitcnt vmcnt(0)
	v_cvt_f32_f64_e32 v0, v[0:1]
	v_bfe_u32 v1, v0, 16, 1
	v_add3_u32 v1, v0, v1, s6
	v_lshrrev_b32_e32 v1, 16, v1
	v_cmp_o_f32_e32 vcc, v0, v0
	v_cndmask_b32_e32 v0, v3, v1, vcc
	s_mov_b64 s[6:7], 0
	s_branch .LBB213_136
.LBB213_134:
	s_mov_b64 s[6:7], -1
                                        ; implicit-def: $vgpr0
	s_branch .LBB213_139
.LBB213_135:
	s_mov_b64 s[6:7], -1
                                        ; implicit-def: $vgpr0
.LBB213_136:
	s_andn2_b64 vcc, exec, s[6:7]
	s_cbranch_vccnz .LBB213_138
; %bb.137:
	global_load_dword v0, v[4:5], off
	s_movk_i32 s6, 0x7fff
	v_mov_b32_e32 v1, 0x7fc0
	s_waitcnt vmcnt(0)
	v_bfe_u32 v3, v0, 16, 1
	v_add3_u32 v3, v0, v3, s6
	v_lshrrev_b32_e32 v3, 16, v3
	v_cmp_o_f32_e32 vcc, v0, v0
	v_cndmask_b32_e32 v0, v1, v3, vcc
.LBB213_138:
	s_mov_b64 s[6:7], 0
.LBB213_139:
	s_andn2_b64 vcc, exec, s[6:7]
	s_cbranch_vccnz .LBB213_141
; %bb.140:
	global_load_ushort v0, v[4:5], off
	s_movk_i32 s6, 0x7fff
	v_mov_b32_e32 v3, 0x7fc0
	s_waitcnt vmcnt(0)
	v_cvt_f32_f16_e32 v1, v0
	v_cmp_o_f16_e32 vcc, v0, v0
	v_bfe_u32 v6, v1, 16, 1
	v_add3_u32 v1, v1, v6, s6
	v_lshrrev_b32_e32 v1, 16, v1
	v_cndmask_b32_e32 v0, v3, v1, vcc
.LBB213_141:
	s_cbranch_execnz .LBB213_161
.LBB213_142:
	v_mov_b32_e32 v0, 2
	v_cmp_lt_i16_sdwa s[6:7], v35, v0 src0_sel:BYTE_0 src1_sel:DWORD
	s_and_b64 vcc, exec, s[6:7]
	s_cbranch_vccnz .LBB213_146
; %bb.143:
	v_mov_b32_e32 v0, 3
	v_cmp_lt_i16_sdwa s[6:7], v35, v0 src0_sel:BYTE_0 src1_sel:DWORD
	s_and_b64 vcc, exec, s[6:7]
	s_cbranch_vccnz .LBB213_147
; %bb.144:
	v_cmp_gt_i16_sdwa s[6:7], v35, v0 src0_sel:BYTE_0 src1_sel:DWORD
	s_and_b64 vcc, exec, s[6:7]
	s_cbranch_vccz .LBB213_148
; %bb.145:
	global_load_dwordx2 v[0:1], v[4:5], off
	s_movk_i32 s6, 0x7fff
	s_waitcnt vmcnt(0)
	v_xor_b32_e32 v6, v0, v1
	v_ffbh_i32_e32 v3, v1
	v_ashrrev_i32_e32 v6, 31, v6
	v_add_u32_e32 v3, -1, v3
	v_add_u32_e32 v6, 32, v6
	v_min_u32_e32 v3, v3, v6
	v_lshlrev_b64 v[0:1], v3, v[0:1]
	v_min_u32_e32 v0, 1, v0
	v_or_b32_e32 v0, v1, v0
	v_cvt_f32_i32_e32 v0, v0
	v_sub_u32_e32 v1, 32, v3
	v_ldexp_f32 v0, v0, v1
	v_bfe_u32 v1, v0, 16, 1
	v_add3_u32 v0, v0, v1, s6
	v_lshrrev_b32_e32 v0, 16, v0
	s_mov_b64 s[6:7], 0
	s_branch .LBB213_149
.LBB213_146:
	s_mov_b64 s[6:7], -1
                                        ; implicit-def: $vgpr0
	s_branch .LBB213_155
.LBB213_147:
	s_mov_b64 s[6:7], -1
                                        ; implicit-def: $vgpr0
	s_branch .LBB213_152
.LBB213_148:
	s_mov_b64 s[6:7], -1
                                        ; implicit-def: $vgpr0
.LBB213_149:
	s_andn2_b64 vcc, exec, s[6:7]
	s_cbranch_vccnz .LBB213_151
; %bb.150:
	global_load_dword v0, v[4:5], off
	s_movk_i32 s6, 0x7fff
	s_waitcnt vmcnt(0)
	v_cvt_f32_i32_e32 v0, v0
	v_bfe_u32 v1, v0, 16, 1
	v_add3_u32 v0, v0, v1, s6
	v_lshrrev_b32_e32 v0, 16, v0
.LBB213_151:
	s_mov_b64 s[6:7], 0
.LBB213_152:
	s_andn2_b64 vcc, exec, s[6:7]
	s_cbranch_vccnz .LBB213_154
; %bb.153:
	global_load_sshort v0, v[4:5], off
	s_movk_i32 s6, 0x7fff
	s_waitcnt vmcnt(0)
	v_cvt_f32_i32_e32 v0, v0
	v_bfe_u32 v1, v0, 16, 1
	v_add3_u32 v0, v0, v1, s6
	v_lshrrev_b32_e32 v0, 16, v0
.LBB213_154:
	s_mov_b64 s[6:7], 0
.LBB213_155:
	s_andn2_b64 vcc, exec, s[6:7]
	s_cbranch_vccnz .LBB213_161
; %bb.156:
	v_mov_b32_e32 v0, 0
	v_cmp_gt_i16_sdwa s[6:7], v35, v0 src0_sel:BYTE_0 src1_sel:DWORD
	s_and_b64 vcc, exec, s[6:7]
	s_cbranch_vccz .LBB213_158
; %bb.157:
	global_load_sbyte v0, v[4:5], off
	s_movk_i32 s6, 0x7fff
	s_waitcnt vmcnt(0)
	v_cvt_f32_i32_e32 v0, v0
	v_bfe_u32 v1, v0, 16, 1
	v_add3_u32 v0, v0, v1, s6
	v_lshrrev_b32_e32 v0, 16, v0
	s_mov_b64 s[6:7], 0
	s_branch .LBB213_159
.LBB213_158:
	s_mov_b64 s[6:7], -1
                                        ; implicit-def: $vgpr0
.LBB213_159:
	s_andn2_b64 vcc, exec, s[6:7]
	s_cbranch_vccnz .LBB213_161
; %bb.160:
	global_load_ubyte v0, v[4:5], off
	s_movk_i32 s6, 0x7fff
	s_waitcnt vmcnt(0)
	v_cvt_f32_ubyte0_e32 v0, v0
	v_bfe_u32 v1, v0, 16, 1
	v_add3_u32 v0, v0, v1, s6
	v_lshrrev_b32_e32 v0, 16, v0
.LBB213_161:
	s_branch .LBB213_21
.LBB213_162:
	s_mov_b64 s[6:7], 0
	s_mov_b64 s[58:59], 0
	s_branch .LBB213_391
.LBB213_163:
	s_mov_b64 s[58:59], -1
.LBB213_164:
	s_mov_b64 s[6:7], 0
                                        ; implicit-def: $vgpr1
.LBB213_165:
	s_and_b64 vcc, exec, s[8:9]
	s_cbranch_vccz .LBB213_281
; %bb.166:
	s_waitcnt vmcnt(0)
	v_mov_b32_e32 v1, 44
	v_cmp_eq_u16_sdwa s[8:9], v33, v1 src0_sel:BYTE_0 src1_sel:DWORD
	s_and_b64 vcc, exec, s[8:9]
	s_cbranch_vccz .LBB213_280
; %bb.167:
	global_load_ubyte v1, v[2:3], off
	s_movk_i32 s8, 0xff
	v_mov_b32_e32 v4, 0x7f800001
	v_mov_b32_e32 v5, 0x400000
	;; [unrolled: 1-line block ×3, first 2 shown]
	s_mov_b64 s[6:7], -1
	s_mov_b64 s[58:59], 0
	s_waitcnt vmcnt(0)
	v_lshlrev_b32_e32 v7, 23, v1
	v_cmp_ne_u32_e32 vcc, s8, v1
	v_cndmask_b32_e32 v4, v4, v7, vcc
	v_cmp_ne_u32_e32 vcc, 0, v1
	v_cndmask_b32_e32 v1, v5, v4, vcc
	v_add_u32_e32 v4, 0x7fff, v1
	v_lshrrev_b32_e32 v4, 16, v4
	v_cmp_o_f32_e32 vcc, v1, v1
	v_cndmask_b32_e32 v1, v6, v4, vcc
	s_branch .LBB213_281
.LBB213_168:
	s_mov_b64 s[10:11], -1
	s_mov_b64 s[6:7], 0
	s_mov_b64 s[8:9], 0
.LBB213_169:
	s_and_b64 vcc, exec, s[10:11]
	s_cbranch_vccz .LBB213_174
; %bb.170:
	v_mov_b32_e32 v1, 44
	v_cmp_eq_u16_sdwa s[10:11], v32, v1 src0_sel:BYTE_0 src1_sel:DWORD
	s_mov_b64 s[6:7], -1
	s_and_b64 vcc, exec, s[10:11]
	s_cbranch_vccz .LBB213_174
; %bb.171:
	v_and_b32_e32 v4, 0xffff, v0
	v_bfe_u32 v1, v4, 7, 8
	s_movk_i32 s6, 0xff
	v_cmp_ne_u32_e32 vcc, s6, v1
	v_mov_b32_e32 v5, 0xff
	s_and_saveexec_b64 s[8:9], vcc
; %bb.172:
	v_lshlrev_b32_e32 v6, 16, v4
	s_mov_b32 s6, 0x3f0000
	v_lshrrev_b32_e32 v5, 7, v4
	v_and_b32_e32 v4, 64, v4
	v_and_or_b32 v1, v6, s6, v1
	v_cmp_ne_u32_e32 vcc, 0, v4
	v_cmp_ne_u32_e64 s[6:7], 0, v1
	s_and_b64 s[6:7], vcc, s[6:7]
	v_cndmask_b32_e64 v1, 0, 1, s[6:7]
	v_add_u32_e32 v5, v5, v1
; %bb.173:
	s_or_b64 exec, exec, s[8:9]
	s_mov_b64 s[8:9], -1
	s_mov_b64 s[6:7], 0
	global_store_byte v[2:3], v5, off
.LBB213_174:
	s_mov_b64 s[10:11], 0
.LBB213_175:
	s_and_b64 vcc, exec, s[10:11]
	s_cbranch_vccz .LBB213_178
; %bb.176:
	v_mov_b32_e32 v1, 29
	v_cmp_eq_u16_sdwa s[10:11], v32, v1 src0_sel:BYTE_0 src1_sel:DWORD
	s_mov_b64 s[6:7], -1
	s_and_b64 vcc, exec, s[10:11]
	s_cbranch_vccz .LBB213_178
; %bb.177:
	v_lshlrev_b32_e32 v1, 16, v0
	v_trunc_f32_e32 v1, v1
	v_mul_f32_e32 v4, 0x2f800000, v1
	v_floor_f32_e32 v4, v4
	v_fmac_f32_e32 v1, 0xcf800000, v4
	v_cvt_u32_f32_e32 v5, v4
	v_cvt_u32_f32_e32 v4, v1
	s_mov_b64 s[8:9], -1
	s_mov_b64 s[6:7], 0
	s_mov_b64 s[10:11], 0
	global_store_dwordx2 v[2:3], v[4:5], off
	s_branch .LBB213_179
.LBB213_178:
	s_mov_b64 s[10:11], 0
.LBB213_179:
	s_and_b64 vcc, exec, s[10:11]
	s_cbranch_vccz .LBB213_195
; %bb.180:
	v_mov_b32_e32 v1, 27
	v_cmp_lt_i16_sdwa s[10:11], v32, v1 src0_sel:BYTE_0 src1_sel:DWORD
	s_mov_b64 s[8:9], -1
	s_and_b64 vcc, exec, s[10:11]
	s_cbranch_vccnz .LBB213_186
; %bb.181:
	v_cmp_gt_i16_sdwa s[10:11], v32, v1 src0_sel:BYTE_0 src1_sel:DWORD
	s_and_b64 vcc, exec, s[10:11]
	s_cbranch_vccz .LBB213_183
; %bb.182:
	v_lshlrev_b32_e32 v1, 16, v0
	v_cvt_u32_f32_e32 v1, v1
	s_mov_b64 s[8:9], 0
	global_store_dword v[2:3], v1, off
.LBB213_183:
	s_andn2_b64 vcc, exec, s[8:9]
	s_cbranch_vccnz .LBB213_185
; %bb.184:
	v_lshlrev_b32_e32 v1, 16, v0
	v_cvt_u32_f32_e32 v1, v1
	global_store_short v[2:3], v1, off
.LBB213_185:
	s_mov_b64 s[8:9], 0
.LBB213_186:
	s_andn2_b64 vcc, exec, s[8:9]
	s_cbranch_vccnz .LBB213_194
; %bb.187:
	v_lshlrev_b32_e32 v5, 16, v0
	v_and_b32_e32 v4, 0x7fffffff, v5
	s_mov_b32 s8, 0x43800000
	v_cmp_gt_u32_e32 vcc, s8, v4
	v_mov_b32_e32 v6, 0x80
	s_and_saveexec_b64 s[8:9], vcc
	s_cbranch_execz .LBB213_193
; %bb.188:
	s_mov_b32 s10, 0x3bffffff
	v_and_b32_e32 v1, 0xffff, v0
	v_cmp_lt_u32_e32 vcc, s10, v4
	s_mov_b64 s[10:11], 0
                                        ; implicit-def: $vgpr4
	s_and_saveexec_b64 s[12:13], vcc
	s_xor_b64 s[12:13], exec, s[12:13]
	s_cbranch_execz .LBB213_432
; %bb.189:
	v_bfe_u32 v4, v1, 4, 1
	s_mov_b32 s14, 0x487ffff
	v_add3_u32 v4, v5, v4, s14
	s_mov_b64 s[10:11], exec
	v_lshrrev_b32_e32 v4, 20, v4
                                        ; implicit-def: $vgpr5
	s_or_saveexec_b64 s[12:13], s[12:13]
                                        ; implicit-def: $sgpr14
	s_xor_b64 exec, exec, s[12:13]
	s_cbranch_execnz .LBB213_433
.LBB213_190:
	s_or_b64 exec, exec, s[12:13]
	v_mov_b32_e32 v6, s14
	s_and_saveexec_b64 s[12:13], s[10:11]
.LBB213_191:
	v_lshrrev_b32_e32 v1, 8, v1
	s_movk_i32 s10, 0x80
	v_and_or_b32 v6, v1, s10, v4
.LBB213_192:
	s_or_b64 exec, exec, s[12:13]
.LBB213_193:
	s_or_b64 exec, exec, s[8:9]
	global_store_byte v[2:3], v6, off
.LBB213_194:
	s_mov_b64 s[8:9], -1
.LBB213_195:
	s_mov_b64 s[10:11], 0
.LBB213_196:
	s_and_b64 vcc, exec, s[10:11]
	s_cbranch_vccz .LBB213_237
; %bb.197:
	v_mov_b32_e32 v1, 22
	v_cmp_gt_i16_sdwa s[12:13], v32, v1 src0_sel:BYTE_0 src1_sel:DWORD
	s_mov_b64 s[10:11], -1
	s_and_b64 vcc, exec, s[12:13]
	s_cbranch_vccz .LBB213_229
; %bb.198:
	v_mov_b32_e32 v1, 24
	v_cmp_lt_i16_sdwa s[10:11], v32, v1 src0_sel:BYTE_0 src1_sel:DWORD
	s_mov_b64 s[8:9], -1
	s_and_b64 vcc, exec, s[10:11]
	s_cbranch_vccnz .LBB213_218
; %bb.199:
	v_cmp_gt_i16_sdwa s[10:11], v32, v1 src0_sel:BYTE_0 src1_sel:DWORD
	s_and_b64 vcc, exec, s[10:11]
	s_cbranch_vccz .LBB213_207
; %bb.200:
	v_lshlrev_b32_e32 v5, 16, v0
	v_and_b32_e32 v4, 0x7fffffff, v5
	s_mov_b32 s8, 0x47800000
	v_cmp_gt_u32_e32 vcc, s8, v4
	v_mov_b32_e32 v6, 0x80
	s_and_saveexec_b64 s[8:9], vcc
	s_cbranch_execz .LBB213_206
; %bb.201:
	s_mov_b32 s10, 0x37ffffff
	v_and_b32_e32 v1, 0xffff, v0
	v_cmp_lt_u32_e32 vcc, s10, v4
	s_mov_b64 s[10:11], 0
                                        ; implicit-def: $vgpr4
	s_and_saveexec_b64 s[12:13], vcc
	s_xor_b64 s[12:13], exec, s[12:13]
	s_cbranch_execz .LBB213_551
; %bb.202:
	v_bfe_u32 v4, v1, 5, 1
	s_mov_b32 s14, 0x88fffff
	v_add3_u32 v4, v5, v4, s14
	s_mov_b64 s[10:11], exec
	v_lshrrev_b32_e32 v4, 21, v4
                                        ; implicit-def: $vgpr5
	s_or_saveexec_b64 s[12:13], s[12:13]
                                        ; implicit-def: $sgpr14
	s_xor_b64 exec, exec, s[12:13]
	s_cbranch_execnz .LBB213_552
.LBB213_203:
	s_or_b64 exec, exec, s[12:13]
	v_mov_b32_e32 v6, s14
	s_and_saveexec_b64 s[12:13], s[10:11]
.LBB213_204:
	v_lshrrev_b32_e32 v1, 8, v1
	s_movk_i32 s10, 0x80
	v_and_or_b32 v6, v1, s10, v4
.LBB213_205:
	s_or_b64 exec, exec, s[12:13]
.LBB213_206:
	s_or_b64 exec, exec, s[8:9]
	s_mov_b64 s[8:9], 0
	global_store_byte v[2:3], v6, off
.LBB213_207:
	s_and_b64 vcc, exec, s[8:9]
	s_cbranch_vccz .LBB213_217
; %bb.208:
	v_lshlrev_b32_e32 v5, 16, v0
	v_and_b32_e32 v6, 0x7fffffff, v5
	s_mov_b32 s8, 0x43f00000
	v_and_b32_e32 v1, 0xffff, v0
	v_cmp_gt_u32_e32 vcc, s8, v6
                                        ; implicit-def: $vgpr4
	s_and_saveexec_b64 s[8:9], vcc
	s_xor_b64 s[8:9], exec, s[8:9]
	s_cbranch_execz .LBB213_214
; %bb.209:
	s_mov_b32 s10, 0x3c7fffff
	v_cmp_lt_u32_e32 vcc, s10, v6
                                        ; implicit-def: $vgpr4
	s_and_saveexec_b64 s[10:11], vcc
	s_xor_b64 s[10:11], exec, s[10:11]
; %bb.210:
	v_bfe_u32 v4, v1, 4, 1
	s_mov_b32 s12, 0x407ffff
	v_add3_u32 v4, v5, v4, s12
	v_lshrrev_b32_e32 v5, 20, v4
	v_and_b32_e32 v4, 0xff00000, v4
	s_mov_b32 s12, 0x7f00000
	v_mov_b32_e32 v6, 0x7e
	v_cmp_ne_u32_e32 vcc, s12, v4
	v_cndmask_b32_e32 v4, v6, v5, vcc
                                        ; implicit-def: $vgpr5
; %bb.211:
	s_andn2_saveexec_b64 s[10:11], s[10:11]
; %bb.212:
	s_mov_b32 s12, 0x46800000
	v_add_f32_e64 v4, |v5|, s12
; %bb.213:
	s_or_b64 exec, exec, s[10:11]
                                        ; implicit-def: $vgpr6
.LBB213_214:
	s_andn2_saveexec_b64 s[8:9], s[8:9]
; %bb.215:
	s_mov_b32 s10, 0x7f800000
	v_mov_b32_e32 v4, 0x7e
	v_mov_b32_e32 v5, 0x7f
	v_cmp_lt_u32_e32 vcc, s10, v6
	v_cndmask_b32_e32 v4, v4, v5, vcc
; %bb.216:
	s_or_b64 exec, exec, s[8:9]
	v_lshrrev_b32_e32 v1, 8, v1
	s_movk_i32 s8, 0x80
	v_and_or_b32 v1, v1, s8, v4
	global_store_byte v[2:3], v1, off
.LBB213_217:
	s_mov_b64 s[8:9], 0
.LBB213_218:
	s_andn2_b64 vcc, exec, s[8:9]
	s_cbranch_vccnz .LBB213_228
; %bb.219:
	v_lshlrev_b32_e32 v5, 16, v0
	v_and_b32_e32 v6, 0x7fffffff, v5
	s_mov_b32 s8, 0x47800000
	v_and_b32_e32 v1, 0xffff, v0
	v_cmp_gt_u32_e32 vcc, s8, v6
                                        ; implicit-def: $vgpr4
	s_and_saveexec_b64 s[8:9], vcc
	s_xor_b64 s[8:9], exec, s[8:9]
	s_cbranch_execz .LBB213_225
; %bb.220:
	s_mov_b32 s10, 0x387fffff
	v_cmp_lt_u32_e32 vcc, s10, v6
                                        ; implicit-def: $vgpr4
	s_and_saveexec_b64 s[10:11], vcc
	s_xor_b64 s[10:11], exec, s[10:11]
; %bb.221:
	v_bfe_u32 v4, v1, 5, 1
	s_mov_b32 s12, 0x80fffff
	v_add3_u32 v4, v5, v4, s12
	v_lshrrev_b32_e32 v4, 21, v4
                                        ; implicit-def: $vgpr5
; %bb.222:
	s_andn2_saveexec_b64 s[10:11], s[10:11]
; %bb.223:
	s_mov_b32 s12, 0x43000000
	v_add_f32_e64 v4, |v5|, s12
; %bb.224:
	s_or_b64 exec, exec, s[10:11]
                                        ; implicit-def: $vgpr6
.LBB213_225:
	s_andn2_saveexec_b64 s[8:9], s[8:9]
; %bb.226:
	s_mov_b32 s10, 0x7f800000
	v_mov_b32_e32 v4, 0x7c
	v_mov_b32_e32 v5, 0x7f
	v_cmp_lt_u32_e32 vcc, s10, v6
	v_cndmask_b32_e32 v4, v4, v5, vcc
; %bb.227:
	s_or_b64 exec, exec, s[8:9]
	v_lshrrev_b32_e32 v1, 8, v1
	s_movk_i32 s8, 0x80
	v_and_or_b32 v1, v1, s8, v4
	global_store_byte v[2:3], v1, off
.LBB213_228:
	s_mov_b64 s[10:11], 0
	s_mov_b64 s[8:9], -1
.LBB213_229:
	s_andn2_b64 vcc, exec, s[10:11]
	s_cbranch_vccnz .LBB213_237
; %bb.230:
	v_mov_b32_e32 v1, 14
	v_cmp_gt_i16_sdwa s[12:13], v32, v1 src0_sel:BYTE_0 src1_sel:DWORD
	s_mov_b64 s[10:11], -1
	s_and_b64 vcc, exec, s[12:13]
	s_cbranch_vccz .LBB213_234
; %bb.231:
	v_mov_b32_e32 v1, 15
	v_cmp_eq_u16_sdwa s[10:11], v32, v1 src0_sel:BYTE_0 src1_sel:DWORD
	s_mov_b64 s[6:7], -1
	s_and_b64 vcc, exec, s[10:11]
	s_cbranch_vccz .LBB213_233
; %bb.232:
	global_store_short v[2:3], v0, off
	s_mov_b64 s[8:9], -1
	s_mov_b64 s[6:7], 0
.LBB213_233:
	s_mov_b64 s[10:11], 0
.LBB213_234:
	s_and_b64 vcc, exec, s[10:11]
	s_cbranch_vccz .LBB213_237
; %bb.235:
	v_mov_b32_e32 v1, 11
	v_cmp_eq_u16_sdwa s[10:11], v32, v1 src0_sel:BYTE_0 src1_sel:DWORD
	s_mov_b64 s[6:7], -1
	s_and_b64 vcc, exec, s[10:11]
	s_cbranch_vccz .LBB213_237
; %bb.236:
	v_and_b32_e32 v1, 0x7fff, v0
	v_cmp_ne_u16_e32 vcc, 0, v1
	v_cndmask_b32_e64 v1, 0, 1, vcc
	s_mov_b64 s[8:9], -1
	s_mov_b64 s[6:7], 0
	global_store_byte v[2:3], v1, off
.LBB213_237:
	s_mov_b64 s[10:11], 0
.LBB213_238:
	s_and_b64 vcc, exec, s[10:11]
	s_cbranch_vccz .LBB213_277
; %bb.239:
	v_mov_b32_e32 v1, 5
	v_cmp_lt_i16_sdwa s[10:11], v32, v1 src0_sel:BYTE_0 src1_sel:DWORD
	s_mov_b64 s[8:9], -1
	s_and_b64 vcc, exec, s[10:11]
	s_cbranch_vccnz .LBB213_260
; %bb.240:
	v_mov_b32_e32 v1, 8
	v_cmp_lt_i16_sdwa s[10:11], v32, v1 src0_sel:BYTE_0 src1_sel:DWORD
	s_and_b64 vcc, exec, s[10:11]
	s_cbranch_vccnz .LBB213_250
; %bb.241:
	v_mov_b32_e32 v1, 9
	v_cmp_lt_i16_sdwa s[10:11], v32, v1 src0_sel:BYTE_0 src1_sel:DWORD
	s_and_b64 vcc, exec, s[10:11]
	s_cbranch_vccnz .LBB213_247
; %bb.242:
	v_cmp_gt_i16_sdwa s[10:11], v32, v1 src0_sel:BYTE_0 src1_sel:DWORD
	s_and_b64 vcc, exec, s[10:11]
	s_cbranch_vccz .LBB213_244
; %bb.243:
	v_lshlrev_b32_e32 v1, 16, v0
	v_mov_b32_e32 v6, 0
	v_cvt_f64_f32_e32 v[4:5], v1
	v_mov_b32_e32 v7, v6
	global_store_dwordx4 v[2:3], v[4:7], off
	s_mov_b64 s[8:9], 0
.LBB213_244:
	s_andn2_b64 vcc, exec, s[8:9]
	s_cbranch_vccnz .LBB213_246
; %bb.245:
	v_lshlrev_b32_e32 v4, 16, v0
	v_mov_b32_e32 v5, 0
	global_store_dwordx2 v[2:3], v[4:5], off
.LBB213_246:
	s_mov_b64 s[8:9], 0
.LBB213_247:
	s_andn2_b64 vcc, exec, s[8:9]
	s_cbranch_vccnz .LBB213_249
; %bb.248:
	v_lshlrev_b32_e32 v1, 16, v0
	v_cvt_f16_f32_e32 v1, v1
	global_store_dword v[2:3], v1, off
.LBB213_249:
	s_mov_b64 s[8:9], 0
.LBB213_250:
	s_andn2_b64 vcc, exec, s[8:9]
	s_cbranch_vccnz .LBB213_259
; %bb.251:
	v_mov_b32_e32 v1, 6
	v_cmp_lt_i16_sdwa s[10:11], v32, v1 src0_sel:BYTE_0 src1_sel:DWORD
	s_mov_b64 s[8:9], -1
	s_and_b64 vcc, exec, s[10:11]
	s_cbranch_vccnz .LBB213_257
; %bb.252:
	v_cmp_gt_i16_sdwa s[10:11], v32, v1 src0_sel:BYTE_0 src1_sel:DWORD
	s_and_b64 vcc, exec, s[10:11]
	s_cbranch_vccz .LBB213_254
; %bb.253:
	v_lshlrev_b32_e32 v1, 16, v0
	v_cvt_f64_f32_e32 v[4:5], v1
	global_store_dwordx2 v[2:3], v[4:5], off
	s_mov_b64 s[8:9], 0
.LBB213_254:
	s_andn2_b64 vcc, exec, s[8:9]
	s_cbranch_vccnz .LBB213_256
; %bb.255:
	v_lshlrev_b32_e32 v1, 16, v0
	global_store_dword v[2:3], v1, off
.LBB213_256:
	s_mov_b64 s[8:9], 0
.LBB213_257:
	s_andn2_b64 vcc, exec, s[8:9]
	s_cbranch_vccnz .LBB213_259
; %bb.258:
	v_lshlrev_b32_e32 v1, 16, v0
	v_cvt_f16_f32_e32 v1, v1
	global_store_short v[2:3], v1, off
.LBB213_259:
	s_mov_b64 s[8:9], 0
.LBB213_260:
	s_andn2_b64 vcc, exec, s[8:9]
	s_cbranch_vccnz .LBB213_276
; %bb.261:
	v_mov_b32_e32 v1, 2
	v_cmp_lt_i16_sdwa s[10:11], v32, v1 src0_sel:BYTE_0 src1_sel:DWORD
	s_mov_b64 s[8:9], -1
	s_and_b64 vcc, exec, s[10:11]
	s_cbranch_vccnz .LBB213_271
; %bb.262:
	v_mov_b32_e32 v1, 3
	v_cmp_lt_i16_sdwa s[10:11], v32, v1 src0_sel:BYTE_0 src1_sel:DWORD
	s_and_b64 vcc, exec, s[10:11]
	s_cbranch_vccnz .LBB213_268
; %bb.263:
	v_cmp_gt_i16_sdwa s[10:11], v32, v1 src0_sel:BYTE_0 src1_sel:DWORD
	s_and_b64 vcc, exec, s[10:11]
	s_cbranch_vccz .LBB213_265
; %bb.264:
	v_lshlrev_b32_e32 v1, 16, v0
	v_trunc_f32_e32 v1, v1
	s_mov_b32 s8, 0x2f800000
	v_mul_f32_e64 v4, |v1|, s8
	v_floor_f32_e32 v4, v4
	s_mov_b32 s8, 0xcf800000
	v_cvt_u32_f32_e32 v5, v4
	v_fma_f32 v4, v4, s8, |v1|
	v_cvt_u32_f32_e32 v4, v4
	v_ashrrev_i32_e32 v1, 31, v1
	v_xor_b32_e32 v5, v5, v1
	s_mov_b64 s[8:9], 0
	v_xor_b32_e32 v4, v4, v1
	v_sub_co_u32_e32 v4, vcc, v4, v1
	v_subb_co_u32_e32 v5, vcc, v5, v1, vcc
	global_store_dwordx2 v[2:3], v[4:5], off
.LBB213_265:
	s_andn2_b64 vcc, exec, s[8:9]
	s_cbranch_vccnz .LBB213_267
; %bb.266:
	v_lshlrev_b32_e32 v1, 16, v0
	v_cvt_i32_f32_e32 v1, v1
	global_store_dword v[2:3], v1, off
.LBB213_267:
	s_mov_b64 s[8:9], 0
.LBB213_268:
	s_andn2_b64 vcc, exec, s[8:9]
	s_cbranch_vccnz .LBB213_270
; %bb.269:
	v_lshlrev_b32_e32 v1, 16, v0
	v_cvt_i32_f32_e32 v1, v1
	global_store_short v[2:3], v1, off
.LBB213_270:
	s_mov_b64 s[8:9], 0
.LBB213_271:
	s_andn2_b64 vcc, exec, s[8:9]
	s_cbranch_vccnz .LBB213_276
; %bb.272:
	v_mov_b32_e32 v1, 0
	v_cmp_gt_i16_sdwa s[10:11], v32, v1 src0_sel:BYTE_0 src1_sel:DWORD
	s_mov_b64 s[8:9], -1
	s_and_b64 vcc, exec, s[10:11]
	s_cbranch_vccz .LBB213_274
; %bb.273:
	v_lshlrev_b32_e32 v1, 16, v0
	v_cvt_i32_f32_e32 v1, v1
	s_mov_b64 s[8:9], 0
	global_store_byte v[2:3], v1, off
.LBB213_274:
	s_andn2_b64 vcc, exec, s[8:9]
	s_cbranch_vccnz .LBB213_276
; %bb.275:
	v_lshlrev_b32_e32 v0, 16, v0
	v_trunc_f32_e32 v0, v0
	s_mov_b32 s8, 0x2f800000
	v_mul_f32_e64 v1, |v0|, s8
	v_floor_f32_e32 v1, v1
	s_mov_b32 s8, 0xcf800000
	v_fma_f32 v1, v1, s8, |v0|
	v_cvt_u32_f32_e32 v1, v1
	v_ashrrev_i32_e32 v0, 31, v0
	v_xor_b32_e32 v1, v1, v0
	v_sub_u32_e32 v0, v1, v0
	global_store_byte v[2:3], v0, off
.LBB213_276:
	s_mov_b64 s[8:9], -1
.LBB213_277:
	s_andn2_b64 vcc, exec, s[8:9]
	s_cbranch_vccnz .LBB213_279
; %bb.278:
	v_add_u32_e32 v34, 0x80, v34
	s_mov_b64 s[8:9], -1
	s_branch .LBB213_392
.LBB213_279:
	s_mov_b64 s[8:9], 0
                                        ; implicit-def: $vgpr34
	s_branch .LBB213_392
.LBB213_280:
	s_mov_b64 s[58:59], -1
                                        ; implicit-def: $vgpr1
.LBB213_281:
	s_mov_b64 s[8:9], 0
.LBB213_282:
	s_and_b64 vcc, exec, s[8:9]
	s_cbranch_vccz .LBB213_286
; %bb.283:
	s_waitcnt vmcnt(0)
	v_mov_b32_e32 v1, 29
	v_cmp_eq_u16_sdwa s[8:9], v33, v1 src0_sel:BYTE_0 src1_sel:DWORD
	s_and_b64 vcc, exec, s[8:9]
	s_cbranch_vccz .LBB213_285
; %bb.284:
	global_load_dwordx2 v[4:5], v[2:3], off
	s_movk_i32 s8, 0x7fff
	s_mov_b64 s[6:7], -1
	s_mov_b64 s[58:59], 0
	s_waitcnt vmcnt(0)
	v_ffbh_u32_e32 v1, v5
	v_min_u32_e32 v1, 32, v1
	v_lshlrev_b64 v[4:5], v1, v[4:5]
	v_min_u32_e32 v4, 1, v4
	v_or_b32_e32 v4, v5, v4
	v_cvt_f32_u32_e32 v4, v4
	v_sub_u32_e32 v1, 32, v1
	v_ldexp_f32 v1, v4, v1
	v_bfe_u32 v4, v1, 16, 1
	v_add3_u32 v1, v1, v4, s8
	v_lshrrev_b32_e32 v1, 16, v1
	s_branch .LBB213_286
.LBB213_285:
	s_mov_b64 s[58:59], -1
                                        ; implicit-def: $vgpr1
.LBB213_286:
	s_mov_b64 s[8:9], 0
.LBB213_287:
	s_and_b64 vcc, exec, s[8:9]
	s_cbranch_vccz .LBB213_305
; %bb.288:
	s_waitcnt vmcnt(0)
	v_mov_b32_e32 v1, 27
	v_cmp_lt_i16_sdwa s[6:7], v33, v1 src0_sel:BYTE_0 src1_sel:DWORD
	s_and_b64 vcc, exec, s[6:7]
	s_cbranch_vccnz .LBB213_291
; %bb.289:
	v_cmp_gt_i16_sdwa s[6:7], v33, v1 src0_sel:BYTE_0 src1_sel:DWORD
	s_and_b64 vcc, exec, s[6:7]
	s_cbranch_vccz .LBB213_292
; %bb.290:
	global_load_dword v1, v[2:3], off
	s_movk_i32 s6, 0x7fff
	s_waitcnt vmcnt(0)
	v_cvt_f32_u32_e32 v1, v1
	v_bfe_u32 v4, v1, 16, 1
	v_add3_u32 v1, v1, v4, s6
	v_lshrrev_b32_e32 v1, 16, v1
	s_mov_b64 s[6:7], 0
	s_branch .LBB213_293
.LBB213_291:
	s_mov_b64 s[6:7], -1
                                        ; implicit-def: $vgpr1
	s_branch .LBB213_296
.LBB213_292:
	s_mov_b64 s[6:7], -1
                                        ; implicit-def: $vgpr1
.LBB213_293:
	s_andn2_b64 vcc, exec, s[6:7]
	s_cbranch_vccnz .LBB213_295
; %bb.294:
	global_load_ushort v1, v[2:3], off
	s_movk_i32 s6, 0x7fff
	s_waitcnt vmcnt(0)
	v_cvt_f32_u32_e32 v1, v1
	v_bfe_u32 v4, v1, 16, 1
	v_add3_u32 v1, v1, v4, s6
	v_lshrrev_b32_e32 v1, 16, v1
.LBB213_295:
	s_mov_b64 s[6:7], 0
.LBB213_296:
	s_andn2_b64 vcc, exec, s[6:7]
	s_cbranch_vccnz .LBB213_304
; %bb.297:
	global_load_ubyte v1, v[2:3], off
	s_movk_i32 s6, 0x7f
                                        ; implicit-def: $sgpr12
	s_waitcnt vmcnt(0)
	v_cmp_lt_i16_e32 vcc, s6, v1
	s_mov_b64 s[6:7], 0
	s_and_saveexec_b64 s[8:9], vcc
	s_xor_b64 s[8:9], exec, s[8:9]
	s_cbranch_execz .LBB213_318
; %bb.298:
	s_movk_i32 s6, 0x80
	v_cmp_eq_u16_e32 vcc, s6, v1
	s_mov_b64 s[6:7], -1
                                        ; implicit-def: $sgpr12
	s_and_saveexec_b64 s[10:11], vcc
; %bb.299:
	s_mov_b32 s12, 0x7f800001
	s_xor_b64 s[6:7], exec, -1
; %bb.300:
	s_or_b64 exec, exec, s[10:11]
	s_and_b64 s[6:7], s[6:7], exec
	s_or_saveexec_b64 s[8:9], s[8:9]
	v_mov_b32_e32 v4, s12
	s_xor_b64 exec, exec, s[8:9]
	s_cbranch_execnz .LBB213_319
.LBB213_301:
	s_or_b64 exec, exec, s[8:9]
	s_and_saveexec_b64 s[8:9], s[6:7]
	s_cbranch_execz .LBB213_303
.LBB213_302:
	v_lshlrev_b32_e32 v4, 24, v1
	v_and_b32_e32 v1, 0xffff, v1
	v_and_b32_e32 v5, 7, v1
	v_ffbh_u32_e32 v7, v5
	v_min_u32_e32 v7, 32, v7
	v_subrev_u32_e32 v8, 28, v7
	v_bfe_u32 v6, v1, 3, 4
	v_lshlrev_b32_e32 v1, v8, v1
	v_sub_u32_e32 v7, 29, v7
	v_and_b32_e32 v1, 7, v1
	v_cmp_eq_u32_e32 vcc, 0, v6
	v_cndmask_b32_e32 v6, v6, v7, vcc
	v_cndmask_b32_e32 v1, v5, v1, vcc
	v_mov_b32_e32 v5, 0x3b800000
	v_lshlrev_b32_e32 v1, 20, v1
	v_and_b32_e32 v4, 0x80000000, v4
	v_lshl_add_u32 v5, v6, 23, v5
	v_or3_b32 v4, v4, v5, v1
.LBB213_303:
	s_or_b64 exec, exec, s[8:9]
	v_bfe_u32 v1, v4, 16, 1
	s_movk_i32 s6, 0x7fff
	v_add3_u32 v1, v4, v1, s6
	v_lshrrev_b32_e32 v1, 16, v1
	v_mov_b32_e32 v5, 0x7fc0
	v_cmp_o_f32_e32 vcc, v4, v4
	v_cndmask_b32_e32 v1, v5, v1, vcc
.LBB213_304:
	s_mov_b64 s[6:7], -1
.LBB213_305:
	s_mov_b64 s[8:9], 0
.LBB213_306:
	s_and_b64 vcc, exec, s[8:9]
	s_cbranch_vccz .LBB213_341
; %bb.307:
	s_waitcnt vmcnt(0)
	v_mov_b32_e32 v1, 22
	v_cmp_gt_i16_sdwa s[8:9], v33, v1 src0_sel:BYTE_0 src1_sel:DWORD
	s_and_b64 vcc, exec, s[8:9]
	s_cbranch_vccz .LBB213_317
; %bb.308:
	v_mov_b32_e32 v1, 24
	v_cmp_lt_i16_sdwa s[6:7], v33, v1 src0_sel:BYTE_0 src1_sel:DWORD
	s_and_b64 vcc, exec, s[6:7]
	s_cbranch_vccnz .LBB213_320
; %bb.309:
	v_cmp_gt_i16_sdwa s[6:7], v33, v1 src0_sel:BYTE_0 src1_sel:DWORD
	s_and_b64 vcc, exec, s[6:7]
	s_cbranch_vccz .LBB213_321
; %bb.310:
	global_load_ubyte v1, v[2:3], off
	s_movk_i32 s6, 0x7f
                                        ; implicit-def: $sgpr12
	s_waitcnt vmcnt(0)
	v_cmp_lt_i16_e32 vcc, s6, v1
	s_mov_b64 s[6:7], 0
	s_and_saveexec_b64 s[8:9], vcc
	s_xor_b64 s[8:9], exec, s[8:9]
	s_cbranch_execz .LBB213_333
; %bb.311:
	s_movk_i32 s6, 0x80
	v_cmp_eq_u16_e32 vcc, s6, v1
	s_mov_b64 s[6:7], -1
                                        ; implicit-def: $sgpr12
	s_and_saveexec_b64 s[10:11], vcc
; %bb.312:
	s_mov_b32 s12, 0x7f800001
	s_xor_b64 s[6:7], exec, -1
; %bb.313:
	s_or_b64 exec, exec, s[10:11]
	s_and_b64 s[6:7], s[6:7], exec
	s_or_saveexec_b64 s[8:9], s[8:9]
	v_mov_b32_e32 v4, s12
	s_xor_b64 exec, exec, s[8:9]
	s_cbranch_execnz .LBB213_334
.LBB213_314:
	s_or_b64 exec, exec, s[8:9]
	s_and_saveexec_b64 s[8:9], s[6:7]
	s_cbranch_execz .LBB213_316
.LBB213_315:
	v_lshlrev_b32_e32 v4, 24, v1
	v_and_b32_e32 v1, 0xffff, v1
	v_and_b32_e32 v5, 3, v1
	v_ffbh_u32_e32 v7, v5
	v_min_u32_e32 v7, 32, v7
	v_subrev_u32_e32 v8, 29, v7
	v_bfe_u32 v6, v1, 2, 5
	v_lshlrev_b32_e32 v1, v8, v1
	v_sub_u32_e32 v7, 30, v7
	v_and_b32_e32 v1, 3, v1
	v_cmp_eq_u32_e32 vcc, 0, v6
	v_cndmask_b32_e32 v6, v6, v7, vcc
	v_cndmask_b32_e32 v1, v5, v1, vcc
	v_mov_b32_e32 v5, 0x37800000
	v_lshlrev_b32_e32 v1, 21, v1
	v_and_b32_e32 v4, 0x80000000, v4
	v_lshl_add_u32 v5, v6, 23, v5
	v_or3_b32 v4, v4, v5, v1
.LBB213_316:
	s_or_b64 exec, exec, s[8:9]
	v_bfe_u32 v1, v4, 16, 1
	s_movk_i32 s6, 0x7fff
	v_add3_u32 v1, v4, v1, s6
	v_lshrrev_b32_e32 v1, 16, v1
	v_mov_b32_e32 v5, 0x7fc0
	v_cmp_o_f32_e32 vcc, v4, v4
	v_cndmask_b32_e32 v1, v5, v1, vcc
	s_mov_b64 s[6:7], 0
	s_branch .LBB213_322
.LBB213_317:
	s_mov_b64 s[8:9], -1
                                        ; implicit-def: $vgpr1
	s_branch .LBB213_328
.LBB213_318:
	s_or_saveexec_b64 s[8:9], s[8:9]
	v_mov_b32_e32 v4, s12
	s_xor_b64 exec, exec, s[8:9]
	s_cbranch_execz .LBB213_301
.LBB213_319:
	v_cmp_ne_u16_e32 vcc, 0, v1
	s_andn2_b64 s[6:7], s[6:7], exec
	s_and_b64 s[10:11], vcc, exec
	v_mov_b32_e32 v4, 0
	s_or_b64 s[6:7], s[6:7], s[10:11]
	s_or_b64 exec, exec, s[8:9]
	s_and_saveexec_b64 s[8:9], s[6:7]
	s_cbranch_execnz .LBB213_302
	s_branch .LBB213_303
.LBB213_320:
	s_mov_b64 s[6:7], -1
                                        ; implicit-def: $vgpr1
	s_branch .LBB213_325
.LBB213_321:
	s_mov_b64 s[6:7], -1
                                        ; implicit-def: $vgpr1
.LBB213_322:
	s_and_b64 vcc, exec, s[6:7]
	s_cbranch_vccz .LBB213_324
; %bb.323:
	global_load_ubyte v1, v[2:3], off
	s_mov_b32 s6, 0x7f800000
	s_brev_b32 s7, 1
	s_movk_i32 s8, 0x7fff
	v_mov_b32_e32 v4, 0x7fc0
	s_waitcnt vmcnt(0)
	v_lshlrev_b32_e32 v1, 24, v1
	v_and_b32_e32 v5, 0x7f000000, v1
	v_ffbh_u32_e32 v6, v5
	v_min_u32_e32 v6, 32, v6
	v_sub_u32_e64 v6, v6, 4 clamp
	v_lshlrev_b32_e32 v8, v6, v5
	v_lshlrev_b32_e32 v6, 23, v6
	v_lshrrev_b32_e32 v8, 4, v8
	v_add_u32_e32 v7, 0x1000000, v5
	v_sub_u32_e32 v6, v8, v6
	v_ashrrev_i32_e32 v7, 8, v7
	v_add_u32_e32 v6, 0x3c000000, v6
	v_and_or_b32 v6, v7, s6, v6
	v_cmp_ne_u32_e32 vcc, 0, v5
	v_cndmask_b32_e32 v5, 0, v6, vcc
	v_and_or_b32 v1, v1, s7, v5
	v_bfe_u32 v5, v5, 16, 1
	v_add3_u32 v5, v1, v5, s8
	v_lshrrev_b32_e32 v5, 16, v5
	v_cmp_o_f32_e32 vcc, v1, v1
	v_cndmask_b32_e32 v1, v4, v5, vcc
.LBB213_324:
	s_mov_b64 s[6:7], 0
.LBB213_325:
	s_andn2_b64 vcc, exec, s[6:7]
	s_cbranch_vccnz .LBB213_327
; %bb.326:
	global_load_ubyte v1, v[2:3], off
	s_movk_i32 s6, 0x7f00
	s_brev_b32 s7, 16
	s_brev_b32 s8, 1
	s_movk_i32 s9, 0x7fff
	v_mov_b32_e32 v4, 0x7fc0
	s_waitcnt vmcnt(0)
	v_lshlrev_b16_e32 v5, 8, v1
	v_lshlrev_b32_e32 v1, 25, v1
	v_lshrrev_b32_e32 v6, 4, v1
	v_and_or_b32 v7, v5, s6, 0.5
	v_or_b32_e32 v6, 0x70000000, v6
	v_add_f32_e32 v7, -0.5, v7
	v_mul_f32_e32 v6, 0x7800000, v6
	v_cmp_gt_u32_e32 vcc, s7, v1
	v_bfe_i32 v5, v5, 0, 16
	v_cndmask_b32_e32 v1, v6, v7, vcc
	v_and_or_b32 v5, v5, s8, v1
	v_bfe_u32 v1, v1, 16, 1
	v_add3_u32 v1, v5, v1, s9
	v_lshrrev_b32_e32 v1, 16, v1
	v_cmp_o_f32_e32 vcc, v5, v5
	v_cndmask_b32_e32 v1, v4, v1, vcc
.LBB213_327:
	s_mov_b64 s[8:9], 0
	s_mov_b64 s[6:7], -1
.LBB213_328:
	s_andn2_b64 vcc, exec, s[8:9]
	s_cbranch_vccnz .LBB213_341
; %bb.329:
	v_mov_b32_e32 v1, 14
	v_cmp_gt_i16_sdwa s[8:9], v33, v1 src0_sel:BYTE_0 src1_sel:DWORD
	s_and_b64 vcc, exec, s[8:9]
	s_cbranch_vccz .LBB213_332
; %bb.330:
	v_mov_b32_e32 v1, 15
	v_cmp_eq_u16_sdwa s[8:9], v33, v1 src0_sel:BYTE_0 src1_sel:DWORD
	s_and_b64 vcc, exec, s[8:9]
	s_cbranch_vccz .LBB213_335
; %bb.331:
	global_load_ushort v1, v[2:3], off
	s_mov_b64 s[6:7], -1
	s_mov_b64 s[58:59], 0
	s_branch .LBB213_336
.LBB213_332:
	s_mov_b64 s[8:9], -1
                                        ; implicit-def: $vgpr1
	s_branch .LBB213_337
.LBB213_333:
	s_or_saveexec_b64 s[8:9], s[8:9]
	v_mov_b32_e32 v4, s12
	s_xor_b64 exec, exec, s[8:9]
	s_cbranch_execz .LBB213_314
.LBB213_334:
	v_cmp_ne_u16_e32 vcc, 0, v1
	s_andn2_b64 s[6:7], s[6:7], exec
	s_and_b64 s[10:11], vcc, exec
	v_mov_b32_e32 v4, 0
	s_or_b64 s[6:7], s[6:7], s[10:11]
	s_or_b64 exec, exec, s[8:9]
	s_and_saveexec_b64 s[8:9], s[6:7]
	s_cbranch_execnz .LBB213_315
	s_branch .LBB213_316
.LBB213_335:
	s_mov_b64 s[58:59], -1
                                        ; implicit-def: $vgpr1
.LBB213_336:
	s_mov_b64 s[8:9], 0
.LBB213_337:
	s_and_b64 vcc, exec, s[8:9]
	s_cbranch_vccz .LBB213_341
; %bb.338:
	s_waitcnt vmcnt(0)
	v_mov_b32_e32 v1, 11
	v_cmp_eq_u16_sdwa s[8:9], v33, v1 src0_sel:BYTE_0 src1_sel:DWORD
	s_and_b64 vcc, exec, s[8:9]
	s_cbranch_vccz .LBB213_340
; %bb.339:
	global_load_ubyte v1, v[2:3], off
	s_mov_b64 s[6:7], -1
	s_mov_b64 s[58:59], 0
	s_waitcnt vmcnt(0)
	v_cmp_ne_u16_e32 vcc, 0, v1
	v_cndmask_b32_e64 v1, 0, 1.0, vcc
	v_lshrrev_b32_e32 v1, 16, v1
	s_branch .LBB213_341
.LBB213_340:
	s_mov_b64 s[58:59], -1
                                        ; implicit-def: $vgpr1
.LBB213_341:
	s_branch .LBB213_30
.LBB213_342:
	s_waitcnt vmcnt(0)
	v_mov_b32_e32 v1, 5
	v_cmp_lt_i16_sdwa s[6:7], v33, v1 src0_sel:BYTE_0 src1_sel:DWORD
	s_and_b64 vcc, exec, s[6:7]
	s_cbranch_vccnz .LBB213_347
; %bb.343:
	v_mov_b32_e32 v1, 8
	v_cmp_lt_i16_sdwa s[6:7], v33, v1 src0_sel:BYTE_0 src1_sel:DWORD
	s_and_b64 vcc, exec, s[6:7]
	s_cbranch_vccnz .LBB213_348
; %bb.344:
	;; [unrolled: 5-line block ×3, first 2 shown]
	v_cmp_gt_i16_sdwa s[6:7], v33, v1 src0_sel:BYTE_0 src1_sel:DWORD
	s_and_b64 vcc, exec, s[6:7]
	s_cbranch_vccz .LBB213_350
; %bb.346:
	global_load_dwordx2 v[4:5], v[2:3], off
	s_movk_i32 s6, 0x7fff
	v_mov_b32_e32 v1, 0x7fc0
	s_waitcnt vmcnt(0)
	v_cvt_f32_f64_e32 v4, v[4:5]
	v_bfe_u32 v5, v4, 16, 1
	v_add3_u32 v5, v4, v5, s6
	v_lshrrev_b32_e32 v5, 16, v5
	v_cmp_o_f32_e32 vcc, v4, v4
	v_cndmask_b32_e32 v1, v1, v5, vcc
	s_mov_b64 s[6:7], 0
	s_branch .LBB213_351
.LBB213_347:
	s_mov_b64 s[6:7], -1
                                        ; implicit-def: $vgpr1
	s_branch .LBB213_369
.LBB213_348:
	s_mov_b64 s[6:7], -1
                                        ; implicit-def: $vgpr1
	s_branch .LBB213_357
.LBB213_349:
	s_mov_b64 s[6:7], -1
                                        ; implicit-def: $vgpr1
	s_branch .LBB213_354
.LBB213_350:
	s_mov_b64 s[6:7], -1
                                        ; implicit-def: $vgpr1
.LBB213_351:
	s_andn2_b64 vcc, exec, s[6:7]
	s_cbranch_vccnz .LBB213_353
; %bb.352:
	global_load_dword v1, v[2:3], off
	s_movk_i32 s6, 0x7fff
	v_mov_b32_e32 v4, 0x7fc0
	s_waitcnt vmcnt(0)
	v_bfe_u32 v5, v1, 16, 1
	v_add3_u32 v5, v1, v5, s6
	v_lshrrev_b32_e32 v5, 16, v5
	v_cmp_o_f32_e32 vcc, v1, v1
	v_cndmask_b32_e32 v1, v4, v5, vcc
.LBB213_353:
	s_mov_b64 s[6:7], 0
.LBB213_354:
	s_andn2_b64 vcc, exec, s[6:7]
	s_cbranch_vccnz .LBB213_356
; %bb.355:
	global_load_dword v1, v[2:3], off
	s_movk_i32 s6, 0x7fff
	v_mov_b32_e32 v5, 0x7fc0
	s_waitcnt vmcnt(0)
	v_cvt_f32_f16_e32 v4, v1
	v_cmp_o_f16_e32 vcc, v1, v1
	v_bfe_u32 v6, v4, 16, 1
	v_add3_u32 v4, v4, v6, s6
	v_lshrrev_b32_e32 v4, 16, v4
	v_cndmask_b32_e32 v1, v5, v4, vcc
.LBB213_356:
	s_mov_b64 s[6:7], 0
.LBB213_357:
	s_andn2_b64 vcc, exec, s[6:7]
	s_cbranch_vccnz .LBB213_368
; %bb.358:
	v_mov_b32_e32 v1, 6
	v_cmp_lt_i16_sdwa s[6:7], v33, v1 src0_sel:BYTE_0 src1_sel:DWORD
	s_and_b64 vcc, exec, s[6:7]
	s_cbranch_vccnz .LBB213_361
; %bb.359:
	v_cmp_gt_i16_sdwa s[6:7], v33, v1 src0_sel:BYTE_0 src1_sel:DWORD
	s_and_b64 vcc, exec, s[6:7]
	s_cbranch_vccz .LBB213_362
; %bb.360:
	global_load_dwordx2 v[4:5], v[2:3], off
	s_movk_i32 s6, 0x7fff
	v_mov_b32_e32 v1, 0x7fc0
	s_waitcnt vmcnt(0)
	v_cvt_f32_f64_e32 v4, v[4:5]
	v_bfe_u32 v5, v4, 16, 1
	v_add3_u32 v5, v4, v5, s6
	v_lshrrev_b32_e32 v5, 16, v5
	v_cmp_o_f32_e32 vcc, v4, v4
	v_cndmask_b32_e32 v1, v1, v5, vcc
	s_mov_b64 s[6:7], 0
	s_branch .LBB213_363
.LBB213_361:
	s_mov_b64 s[6:7], -1
                                        ; implicit-def: $vgpr1
	s_branch .LBB213_366
.LBB213_362:
	s_mov_b64 s[6:7], -1
                                        ; implicit-def: $vgpr1
.LBB213_363:
	s_andn2_b64 vcc, exec, s[6:7]
	s_cbranch_vccnz .LBB213_365
; %bb.364:
	global_load_dword v1, v[2:3], off
	s_movk_i32 s6, 0x7fff
	v_mov_b32_e32 v4, 0x7fc0
	s_waitcnt vmcnt(0)
	v_bfe_u32 v5, v1, 16, 1
	v_add3_u32 v5, v1, v5, s6
	v_lshrrev_b32_e32 v5, 16, v5
	v_cmp_o_f32_e32 vcc, v1, v1
	v_cndmask_b32_e32 v1, v4, v5, vcc
.LBB213_365:
	s_mov_b64 s[6:7], 0
.LBB213_366:
	s_andn2_b64 vcc, exec, s[6:7]
	s_cbranch_vccnz .LBB213_368
; %bb.367:
	global_load_ushort v1, v[2:3], off
	s_movk_i32 s6, 0x7fff
	v_mov_b32_e32 v5, 0x7fc0
	s_waitcnt vmcnt(0)
	v_cvt_f32_f16_e32 v4, v1
	v_cmp_o_f16_e32 vcc, v1, v1
	v_bfe_u32 v6, v4, 16, 1
	v_add3_u32 v4, v4, v6, s6
	v_lshrrev_b32_e32 v4, 16, v4
	v_cndmask_b32_e32 v1, v5, v4, vcc
.LBB213_368:
	s_mov_b64 s[6:7], 0
.LBB213_369:
	s_andn2_b64 vcc, exec, s[6:7]
	s_cbranch_vccnz .LBB213_389
; %bb.370:
	v_mov_b32_e32 v1, 2
	v_cmp_lt_i16_sdwa s[6:7], v33, v1 src0_sel:BYTE_0 src1_sel:DWORD
	s_and_b64 vcc, exec, s[6:7]
	s_cbranch_vccnz .LBB213_374
; %bb.371:
	v_mov_b32_e32 v1, 3
	v_cmp_lt_i16_sdwa s[6:7], v33, v1 src0_sel:BYTE_0 src1_sel:DWORD
	s_and_b64 vcc, exec, s[6:7]
	s_cbranch_vccnz .LBB213_375
; %bb.372:
	v_cmp_gt_i16_sdwa s[6:7], v33, v1 src0_sel:BYTE_0 src1_sel:DWORD
	s_and_b64 vcc, exec, s[6:7]
	s_cbranch_vccz .LBB213_376
; %bb.373:
	global_load_dwordx2 v[4:5], v[2:3], off
	s_movk_i32 s6, 0x7fff
	s_waitcnt vmcnt(0)
	v_xor_b32_e32 v6, v4, v5
	v_ffbh_i32_e32 v1, v5
	v_ashrrev_i32_e32 v6, 31, v6
	v_add_u32_e32 v1, -1, v1
	v_add_u32_e32 v6, 32, v6
	v_min_u32_e32 v1, v1, v6
	v_lshlrev_b64 v[4:5], v1, v[4:5]
	v_min_u32_e32 v4, 1, v4
	v_or_b32_e32 v4, v5, v4
	v_cvt_f32_i32_e32 v4, v4
	v_sub_u32_e32 v1, 32, v1
	v_ldexp_f32 v1, v4, v1
	v_bfe_u32 v4, v1, 16, 1
	v_add3_u32 v1, v1, v4, s6
	v_lshrrev_b32_e32 v1, 16, v1
	s_mov_b64 s[6:7], 0
	s_branch .LBB213_377
.LBB213_374:
	s_mov_b64 s[6:7], -1
                                        ; implicit-def: $vgpr1
	s_branch .LBB213_383
.LBB213_375:
	s_mov_b64 s[6:7], -1
                                        ; implicit-def: $vgpr1
	s_branch .LBB213_380
.LBB213_376:
	s_mov_b64 s[6:7], -1
                                        ; implicit-def: $vgpr1
.LBB213_377:
	s_andn2_b64 vcc, exec, s[6:7]
	s_cbranch_vccnz .LBB213_379
; %bb.378:
	global_load_dword v1, v[2:3], off
	s_movk_i32 s6, 0x7fff
	s_waitcnt vmcnt(0)
	v_cvt_f32_i32_e32 v1, v1
	v_bfe_u32 v4, v1, 16, 1
	v_add3_u32 v1, v1, v4, s6
	v_lshrrev_b32_e32 v1, 16, v1
.LBB213_379:
	s_mov_b64 s[6:7], 0
.LBB213_380:
	s_andn2_b64 vcc, exec, s[6:7]
	s_cbranch_vccnz .LBB213_382
; %bb.381:
	global_load_sshort v1, v[2:3], off
	s_movk_i32 s6, 0x7fff
	s_waitcnt vmcnt(0)
	v_cvt_f32_i32_e32 v1, v1
	v_bfe_u32 v4, v1, 16, 1
	v_add3_u32 v1, v1, v4, s6
	v_lshrrev_b32_e32 v1, 16, v1
.LBB213_382:
	s_mov_b64 s[6:7], 0
.LBB213_383:
	s_andn2_b64 vcc, exec, s[6:7]
	s_cbranch_vccnz .LBB213_389
; %bb.384:
	v_mov_b32_e32 v1, 0
	v_cmp_gt_i16_sdwa s[6:7], v33, v1 src0_sel:BYTE_0 src1_sel:DWORD
	s_and_b64 vcc, exec, s[6:7]
	s_cbranch_vccz .LBB213_386
; %bb.385:
	global_load_sbyte v1, v[2:3], off
	s_movk_i32 s6, 0x7fff
	s_waitcnt vmcnt(0)
	v_cvt_f32_i32_e32 v1, v1
	v_bfe_u32 v4, v1, 16, 1
	v_add3_u32 v1, v1, v4, s6
	v_lshrrev_b32_e32 v1, 16, v1
	s_mov_b64 s[6:7], 0
	s_branch .LBB213_387
.LBB213_386:
	s_mov_b64 s[6:7], -1
                                        ; implicit-def: $vgpr1
.LBB213_387:
	s_andn2_b64 vcc, exec, s[6:7]
	s_cbranch_vccnz .LBB213_389
; %bb.388:
	global_load_ubyte v1, v[2:3], off
	s_movk_i32 s6, 0x7fff
	s_waitcnt vmcnt(0)
	v_cvt_f32_ubyte0_e32 v1, v1
	v_bfe_u32 v2, v1, 16, 1
	v_add3_u32 v1, v1, v2, s6
	v_lshrrev_b32_e32 v1, 16, v1
.LBB213_389:
	s_branch .LBB213_31
.LBB213_390:
	s_mov_b64 s[6:7], 0
.LBB213_391:
                                        ; implicit-def: $vgpr34
	s_mov_b64 s[8:9], 0
.LBB213_392:
	s_and_b64 s[56:57], s[6:7], exec
	s_and_b64 s[58:59], s[58:59], exec
	;; [unrolled: 1-line block ×3, first 2 shown]
	s_orn2_b64 s[6:7], s[8:9], exec
.LBB213_393:
	s_or_b64 exec, exec, s[62:63]
	s_mov_b64 s[10:11], 0
	s_mov_b64 s[8:9], 0
                                        ; implicit-def: $vgpr1
                                        ; implicit-def: $vgpr4_vgpr5
                                        ; implicit-def: $vgpr2
                                        ; implicit-def: $vgpr30
                                        ; implicit-def: $vgpr0
	s_and_saveexec_b64 s[62:63], s[6:7]
	s_cbranch_execz .LBB213_402
; %bb.394:
	v_cmp_gt_i32_e32 vcc, s82, v34
	s_mov_b64 s[6:7], -1
	s_mov_b64 s[64:65], s[60:61]
	s_mov_b64 s[66:67], s[58:59]
	;; [unrolled: 1-line block ×3, first 2 shown]
	s_and_saveexec_b64 s[70:71], vcc
	s_cbranch_execz .LBB213_793
; %bb.395:
	s_andn2_b64 vcc, exec, s[34:35]
	s_cbranch_vccnz .LBB213_405
; %bb.396:
	s_andn2_b64 vcc, exec, s[54:55]
	v_mov_b32_e32 v2, 0
	s_waitcnt vmcnt(0)
	v_mov_b32_e32 v0, 0
	v_mov_b32_e32 v30, 0
	s_cbranch_vccnz .LBB213_401
; %bb.397:
	s_add_i32 s6, s81, 1
	s_and_b32 s8, s6, 30
	s_add_u32 s6, s22, 0xffffffec
	s_addc_u32 s7, s23, -1
	v_mov_b32_e32 v30, 0
	v_mov_b32_e32 v1, v34
	;; [unrolled: 1-line block ×4, first 2 shown]
.LBB213_398:                            ; =>This Inner Loop Header: Depth=1
	s_mov_b64 s[10:11], s[6:7]
	s_load_dwordx4 s[12:15], s[10:11], 0x18
	s_load_dwordx2 s[20:21], s[10:11], 0x28
	s_load_dwordx2 s[30:31], s[10:11], 0xe8
	s_load_dwordx4 s[16:19], s[10:11], 0xd8
	s_add_u32 s6, s10, 24
	s_waitcnt lgkmcnt(0)
	v_mul_hi_u32 v3, s13, v1
	v_add_u32_e32 v3, v1, v3
	v_lshrrev_b32_e32 v3, s14, v3
	v_mul_lo_u32 v4, v3, s12
	v_mul_hi_u32 v5, s20, v3
	v_sub_u32_e32 v1, v1, v4
	v_add_u32_e32 v4, v3, v5
	v_mul_lo_u32 v5, v1, s16
	v_mul_lo_u32 v6, v1, s17
	v_mul_lo_u32 v7, v1, s18
	v_lshrrev_b32_e32 v1, s21, v4
	v_mul_lo_u32 v4, v1, s15
	v_sub_u32_e32 v3, v3, v4
	s_addc_u32 s7, s11, 0
	s_add_i32 s8, s8, -2
	v_mul_lo_u32 v4, v3, s19
	v_mul_lo_u32 v8, v3, s30
	;; [unrolled: 1-line block ×3, first 2 shown]
	s_cmp_eq_u32 s8, 0
	v_add3_u32 v30, v5, v30, v4
	v_add3_u32 v2, v7, v2, v3
	;; [unrolled: 1-line block ×3, first 2 shown]
	s_cbranch_scc0 .LBB213_398
; %bb.399:
	s_bitcmp1_b32 s81, 0
	s_cselect_b64 s[8:9], -1, 0
	s_and_b64 vcc, exec, s[8:9]
	s_cbranch_vccnz .LBB213_401
; %bb.400:
	s_load_dwordx2 s[8:9], s[6:7], 0x18
	s_load_dword s10, s[6:7], 0x20
	s_load_dword s11, s[6:7], 0xe0
	s_nop 0
	s_load_dwordx2 s[6:7], s[6:7], 0xd8
	s_waitcnt lgkmcnt(0)
	v_mul_hi_u32 v3, s9, v1
	v_add_u32_e32 v3, v1, v3
	v_lshrrev_b32_e32 v3, s10, v3
	v_mul_lo_u32 v3, v3, s8
	v_sub_u32_e32 v3, v1, v3
	v_mad_u64_u32 v[30:31], s[8:9], v3, s6, v[30:31]
	v_mad_u64_u32 v[0:1], s[6:7], v3, s7, v[0:1]
	;; [unrolled: 1-line block ×3, first 2 shown]
.LBB213_401:
	s_cbranch_execz .LBB213_406
	s_branch .LBB213_408
.LBB213_402:
	s_or_b64 exec, exec, s[62:63]
	s_waitcnt lgkmcnt(0)
	s_mov_b64 s[26:27], 0
	s_and_saveexec_b64 s[6:7], s[60:61]
	s_cbranch_execnz .LBB213_1289
.LBB213_403:
	s_or_b64 exec, exec, s[6:7]
	s_and_saveexec_b64 s[6:7], s[66:67]
	s_xor_b64 s[6:7], exec, s[6:7]
	s_cbranch_execz .LBB213_1290
.LBB213_404:
	global_load_ubyte v0, v[4:5], off
	s_or_b64 s[8:9], s[8:9], exec
	s_waitcnt vmcnt(0)
	v_cmp_ne_u16_e32 vcc, 0, v0
	v_cndmask_b32_e64 v0, 0, 1.0, vcc
	v_lshrrev_b32_e32 v0, 16, v0
	s_or_b64 exec, exec, s[6:7]
	s_and_saveexec_b64 s[6:7], s[10:11]
	s_cbranch_execz .LBB213_1336
	s_branch .LBB213_1291
.LBB213_405:
                                        ; implicit-def: $vgpr2
                                        ; implicit-def: $vgpr0
                                        ; implicit-def: $vgpr30
	s_andn2_b64 vcc, exec, s[6:7]
	s_cbranch_vccnz .LBB213_408
.LBB213_406:
	s_waitcnt vmcnt(0) lgkmcnt(0)
	v_mul_hi_u32 v0, s41, v34
	v_add_u32_e32 v0, v34, v0
	v_lshrrev_b32_e32 v1, s42, v0
	v_mul_lo_u32 v0, v1, s40
	v_sub_u32_e32 v0, v34, v0
	v_mul_lo_u32 v30, v0, s36
	v_mul_lo_u32 v2, v0, s38
	s_andn2_b64 vcc, exec, s[52:53]
	v_mul_lo_u32 v0, v0, s37
	s_cbranch_vccnz .LBB213_408
; %bb.407:
	v_mul_hi_u32 v3, s50, v1
	v_add_u32_e32 v3, v1, v3
	v_lshrrev_b32_e32 v3, s51, v3
	v_mul_lo_u32 v3, v3, s43
	v_sub_u32_e32 v3, v1, v3
	v_mad_u64_u32 v[30:31], s[6:7], v3, s39, v[30:31]
	v_mad_u64_u32 v[0:1], s[6:7], v3, s48, v[0:1]
	;; [unrolled: 1-line block ×3, first 2 shown]
.LBB213_408:
	s_waitcnt vmcnt(0) lgkmcnt(0)
	v_mov_b32_e32 v1, s27
	v_add_co_u32_e32 v4, vcc, s26, v0
	v_mov_b32_e32 v0, 11
	v_addc_co_u32_e32 v5, vcc, 0, v1, vcc
	v_cmp_lt_i16_sdwa s[6:7], v35, v0 src0_sel:BYTE_0 src1_sel:DWORD
	s_and_b64 vcc, exec, s[6:7]
	s_cbranch_vccnz .LBB213_415
; %bb.409:
	v_mov_b32_e32 v0, 25
	v_cmp_gt_i16_sdwa s[6:7], v35, v0 src0_sel:BYTE_0 src1_sel:DWORD
	s_and_b64 vcc, exec, s[6:7]
	s_cbranch_vccz .LBB213_424
; %bb.410:
	v_mov_b32_e32 v0, 28
	v_cmp_gt_i16_sdwa s[6:7], v35, v0 src0_sel:BYTE_0 src1_sel:DWORD
	s_and_b64 vcc, exec, s[6:7]
	s_cbranch_vccz .LBB213_426
	;; [unrolled: 5-line block ×4, first 2 shown]
; %bb.413:
	v_mov_b32_e32 v0, 46
	v_cmp_eq_u16_sdwa s[6:7], v35, v0 src0_sel:BYTE_0 src1_sel:DWORD
	s_mov_b64 s[8:9], 0
	s_and_b64 vcc, exec, s[6:7]
	s_cbranch_vccz .LBB213_434
; %bb.414:
	global_load_dword v0, v[4:5], off
	s_mov_b64 s[6:7], -1
	s_mov_b64 s[64:65], 0
	s_branch .LBB213_435
.LBB213_415:
	s_mov_b64 s[6:7], 0
                                        ; implicit-def: $vgpr0
	s_mov_b64 s[64:65], s[60:61]
	s_cbranch_execnz .LBB213_501
.LBB213_416:
	s_andn2_b64 vcc, exec, s[6:7]
	s_cbranch_vccnz .LBB213_549
.LBB213_417:
	v_mov_b32_e32 v1, s47
	v_add_co_u32_e32 v2, vcc, s46, v2
	v_addc_co_u32_e32 v3, vcc, 0, v1, vcc
	v_mov_b32_e32 v1, 11
	v_cmp_lt_i16_sdwa s[6:7], v33, v1 src0_sel:BYTE_0 src1_sel:DWORD
	s_and_b64 vcc, exec, s[6:7]
	s_cbranch_vccnz .LBB213_425
; %bb.418:
	v_mov_b32_e32 v1, 25
	v_cmp_gt_i16_sdwa s[6:7], v33, v1 src0_sel:BYTE_0 src1_sel:DWORD
	s_and_b64 vcc, exec, s[6:7]
	s_cbranch_vccz .LBB213_427
; %bb.419:
	v_mov_b32_e32 v1, 28
	v_cmp_gt_i16_sdwa s[6:7], v33, v1 src0_sel:BYTE_0 src1_sel:DWORD
	s_and_b64 vcc, exec, s[6:7]
	s_cbranch_vccz .LBB213_429
	;; [unrolled: 5-line block ×4, first 2 shown]
; %bb.422:
	v_mov_b32_e32 v1, 46
	v_cmp_eq_u16_sdwa s[6:7], v33, v1 src0_sel:BYTE_0 src1_sel:DWORD
	s_mov_b64 s[8:9], 0
	s_and_b64 vcc, exec, s[6:7]
	s_cbranch_vccz .LBB213_553
; %bb.423:
	global_load_dword v1, v[2:3], off
	s_mov_b64 s[6:7], -1
	s_mov_b64 s[66:67], 0
	s_branch .LBB213_554
.LBB213_424:
	s_mov_b64 s[8:9], -1
	s_mov_b64 s[6:7], 0
	s_mov_b64 s[64:65], s[60:61]
                                        ; implicit-def: $vgpr0
	s_branch .LBB213_465
.LBB213_425:
	s_mov_b64 s[8:9], -1
	s_mov_b64 s[6:7], 0
                                        ; implicit-def: $vgpr1
	s_mov_b64 s[66:67], s[58:59]
	s_branch .LBB213_619
.LBB213_426:
	s_mov_b64 s[8:9], -1
	s_mov_b64 s[6:7], 0
	s_mov_b64 s[64:65], s[60:61]
                                        ; implicit-def: $vgpr0
	s_branch .LBB213_446
.LBB213_427:
	s_mov_b64 s[8:9], -1
	s_mov_b64 s[6:7], 0
	s_mov_b64 s[66:67], s[58:59]
                                        ; implicit-def: $vgpr1
	s_branch .LBB213_583
.LBB213_428:
	s_mov_b64 s[8:9], -1
	s_mov_b64 s[6:7], 0
	s_mov_b64 s[64:65], s[60:61]
                                        ; implicit-def: $vgpr0
	s_branch .LBB213_441
.LBB213_429:
	s_mov_b64 s[8:9], -1
	s_mov_b64 s[6:7], 0
	s_mov_b64 s[66:67], s[58:59]
                                        ; implicit-def: $vgpr1
	s_branch .LBB213_564
.LBB213_430:
	s_mov_b64 s[8:9], -1
	s_mov_b64 s[6:7], 0
	s_mov_b64 s[64:65], s[60:61]
                                        ; implicit-def: $vgpr0
	s_branch .LBB213_435
.LBB213_431:
	s_mov_b64 s[8:9], -1
	s_mov_b64 s[6:7], 0
	s_mov_b64 s[66:67], s[58:59]
                                        ; implicit-def: $vgpr1
	s_branch .LBB213_559
.LBB213_432:
	s_or_saveexec_b64 s[12:13], s[12:13]
                                        ; implicit-def: $sgpr14
	s_xor_b64 exec, exec, s[12:13]
	s_cbranch_execz .LBB213_190
.LBB213_433:
	s_mov_b32 s14, 0x46000000
	v_add_f32_e64 v4, |v5|, s14
	v_and_b32_e32 v4, 0xff, v4
	v_cmp_ne_u32_e32 vcc, 0, v4
	s_andn2_b64 s[10:11], s[10:11], exec
	s_and_b64 s[16:17], vcc, exec
	s_mov_b32 s14, 0
	s_or_b64 s[10:11], s[10:11], s[16:17]
	s_or_b64 exec, exec, s[12:13]
	v_mov_b32_e32 v6, s14
	s_and_saveexec_b64 s[12:13], s[10:11]
	s_cbranch_execnz .LBB213_191
	s_branch .LBB213_192
.LBB213_434:
	s_mov_b64 s[64:65], -1
                                        ; implicit-def: $vgpr0
	s_mov_b64 s[6:7], 0
.LBB213_435:
	s_and_b64 vcc, exec, s[8:9]
	s_cbranch_vccz .LBB213_440
; %bb.436:
	s_waitcnt vmcnt(0)
	v_mov_b32_e32 v0, 44
	v_cmp_eq_u16_sdwa s[8:9], v35, v0 src0_sel:BYTE_0 src1_sel:DWORD
	s_and_b64 vcc, exec, s[8:9]
	s_cbranch_vccz .LBB213_439
; %bb.437:
	global_load_ubyte v0, v[4:5], off
	s_movk_i32 s8, 0xff
	v_mov_b32_e32 v1, 0x7f800001
	v_mov_b32_e32 v3, 0x400000
	;; [unrolled: 1-line block ×3, first 2 shown]
	s_mov_b64 s[6:7], -1
	s_mov_b64 s[64:65], 0
	s_waitcnt vmcnt(0)
	v_lshlrev_b32_e32 v7, 23, v0
	v_cmp_ne_u32_e32 vcc, s8, v0
	v_cndmask_b32_e32 v1, v1, v7, vcc
	v_cmp_ne_u32_e32 vcc, 0, v0
	v_cndmask_b32_e32 v0, v3, v1, vcc
	v_add_u32_e32 v1, 0x7fff, v0
	v_lshrrev_b32_e32 v1, 16, v1
	v_cmp_o_f32_e32 vcc, v0, v0
	v_cndmask_b32_e32 v0, v6, v1, vcc
	s_branch .LBB213_440
.LBB213_438:
	s_mov_b64 s[8:9], -1
	s_mov_b64 s[6:7], 0
	s_mov_b64 s[66:67], s[58:59]
                                        ; implicit-def: $vgpr1
	s_branch .LBB213_554
.LBB213_439:
	s_mov_b64 s[64:65], -1
                                        ; implicit-def: $vgpr0
.LBB213_440:
	s_mov_b64 s[8:9], 0
.LBB213_441:
	s_and_b64 vcc, exec, s[8:9]
	s_cbranch_vccz .LBB213_445
; %bb.442:
	s_waitcnt vmcnt(0)
	v_mov_b32_e32 v0, 29
	v_cmp_eq_u16_sdwa s[8:9], v35, v0 src0_sel:BYTE_0 src1_sel:DWORD
	s_and_b64 vcc, exec, s[8:9]
	s_cbranch_vccz .LBB213_444
; %bb.443:
	global_load_dwordx2 v[0:1], v[4:5], off
	s_movk_i32 s8, 0x7fff
	s_mov_b64 s[6:7], -1
	s_mov_b64 s[64:65], 0
	s_waitcnt vmcnt(0)
	v_ffbh_u32_e32 v3, v1
	v_min_u32_e32 v3, 32, v3
	v_lshlrev_b64 v[0:1], v3, v[0:1]
	v_min_u32_e32 v0, 1, v0
	v_or_b32_e32 v0, v1, v0
	v_cvt_f32_u32_e32 v0, v0
	v_sub_u32_e32 v1, 32, v3
	v_ldexp_f32 v0, v0, v1
	v_bfe_u32 v1, v0, 16, 1
	v_add3_u32 v0, v0, v1, s8
	v_lshrrev_b32_e32 v0, 16, v0
	s_branch .LBB213_445
.LBB213_444:
	s_mov_b64 s[64:65], -1
                                        ; implicit-def: $vgpr0
.LBB213_445:
	s_mov_b64 s[8:9], 0
.LBB213_446:
	s_and_b64 vcc, exec, s[8:9]
	s_cbranch_vccz .LBB213_464
; %bb.447:
	s_waitcnt vmcnt(0)
	v_mov_b32_e32 v0, 27
	v_cmp_lt_i16_sdwa s[6:7], v35, v0 src0_sel:BYTE_0 src1_sel:DWORD
	s_and_b64 vcc, exec, s[6:7]
	s_cbranch_vccnz .LBB213_450
; %bb.448:
	v_cmp_gt_i16_sdwa s[6:7], v35, v0 src0_sel:BYTE_0 src1_sel:DWORD
	s_and_b64 vcc, exec, s[6:7]
	s_cbranch_vccz .LBB213_451
; %bb.449:
	global_load_dword v0, v[4:5], off
	s_movk_i32 s6, 0x7fff
	s_waitcnt vmcnt(0)
	v_cvt_f32_u32_e32 v0, v0
	v_bfe_u32 v1, v0, 16, 1
	v_add3_u32 v0, v0, v1, s6
	v_lshrrev_b32_e32 v0, 16, v0
	s_mov_b64 s[6:7], 0
	s_branch .LBB213_452
.LBB213_450:
	s_mov_b64 s[6:7], -1
                                        ; implicit-def: $vgpr0
	s_branch .LBB213_455
.LBB213_451:
	s_mov_b64 s[6:7], -1
                                        ; implicit-def: $vgpr0
.LBB213_452:
	s_andn2_b64 vcc, exec, s[6:7]
	s_cbranch_vccnz .LBB213_454
; %bb.453:
	global_load_ushort v0, v[4:5], off
	s_movk_i32 s6, 0x7fff
	s_waitcnt vmcnt(0)
	v_cvt_f32_u32_e32 v0, v0
	v_bfe_u32 v1, v0, 16, 1
	v_add3_u32 v0, v0, v1, s6
	v_lshrrev_b32_e32 v0, 16, v0
.LBB213_454:
	s_mov_b64 s[6:7], 0
.LBB213_455:
	s_andn2_b64 vcc, exec, s[6:7]
	s_cbranch_vccnz .LBB213_463
; %bb.456:
	global_load_ubyte v0, v[4:5], off
	s_movk_i32 s6, 0x7f
                                        ; implicit-def: $sgpr12
	s_waitcnt vmcnt(0)
	v_cmp_lt_i16_e32 vcc, s6, v0
	s_mov_b64 s[6:7], 0
	s_and_saveexec_b64 s[8:9], vcc
	s_xor_b64 s[8:9], exec, s[8:9]
	s_cbranch_execz .LBB213_477
; %bb.457:
	s_movk_i32 s6, 0x80
	v_cmp_eq_u16_e32 vcc, s6, v0
	s_mov_b64 s[6:7], -1
                                        ; implicit-def: $sgpr12
	s_and_saveexec_b64 s[10:11], vcc
; %bb.458:
	s_mov_b32 s12, 0x7f800001
	s_xor_b64 s[6:7], exec, -1
; %bb.459:
	s_or_b64 exec, exec, s[10:11]
	s_and_b64 s[6:7], s[6:7], exec
	s_or_saveexec_b64 s[8:9], s[8:9]
	v_mov_b32_e32 v1, s12
	s_xor_b64 exec, exec, s[8:9]
	s_cbranch_execnz .LBB213_478
.LBB213_460:
	s_or_b64 exec, exec, s[8:9]
	s_and_saveexec_b64 s[8:9], s[6:7]
	s_cbranch_execz .LBB213_462
.LBB213_461:
	v_lshlrev_b32_e32 v1, 24, v0
	v_and_b32_e32 v0, 0xffff, v0
	v_and_b32_e32 v3, 7, v0
	v_ffbh_u32_e32 v7, v3
	v_min_u32_e32 v7, 32, v7
	v_subrev_u32_e32 v8, 28, v7
	v_bfe_u32 v6, v0, 3, 4
	v_lshlrev_b32_e32 v0, v8, v0
	v_sub_u32_e32 v7, 29, v7
	v_and_b32_e32 v0, 7, v0
	v_cmp_eq_u32_e32 vcc, 0, v6
	v_cndmask_b32_e32 v6, v6, v7, vcc
	v_cndmask_b32_e32 v0, v3, v0, vcc
	v_mov_b32_e32 v3, 0x3b800000
	v_lshlrev_b32_e32 v0, 20, v0
	v_and_b32_e32 v1, 0x80000000, v1
	v_lshl_add_u32 v3, v6, 23, v3
	v_or3_b32 v1, v1, v3, v0
.LBB213_462:
	s_or_b64 exec, exec, s[8:9]
	v_bfe_u32 v0, v1, 16, 1
	s_movk_i32 s6, 0x7fff
	v_add3_u32 v0, v1, v0, s6
	v_lshrrev_b32_e32 v0, 16, v0
	v_mov_b32_e32 v3, 0x7fc0
	v_cmp_o_f32_e32 vcc, v1, v1
	v_cndmask_b32_e32 v0, v3, v0, vcc
.LBB213_463:
	s_mov_b64 s[6:7], -1
.LBB213_464:
	s_mov_b64 s[8:9], 0
.LBB213_465:
	s_and_b64 vcc, exec, s[8:9]
	s_cbranch_vccz .LBB213_500
; %bb.466:
	s_waitcnt vmcnt(0)
	v_mov_b32_e32 v0, 22
	v_cmp_gt_i16_sdwa s[8:9], v35, v0 src0_sel:BYTE_0 src1_sel:DWORD
	s_and_b64 vcc, exec, s[8:9]
	s_cbranch_vccz .LBB213_476
; %bb.467:
	v_mov_b32_e32 v0, 24
	v_cmp_lt_i16_sdwa s[6:7], v35, v0 src0_sel:BYTE_0 src1_sel:DWORD
	s_and_b64 vcc, exec, s[6:7]
	s_cbranch_vccnz .LBB213_479
; %bb.468:
	v_cmp_gt_i16_sdwa s[6:7], v35, v0 src0_sel:BYTE_0 src1_sel:DWORD
	s_and_b64 vcc, exec, s[6:7]
	s_cbranch_vccz .LBB213_480
; %bb.469:
	global_load_ubyte v0, v[4:5], off
	s_movk_i32 s6, 0x7f
                                        ; implicit-def: $sgpr12
	s_waitcnt vmcnt(0)
	v_cmp_lt_i16_e32 vcc, s6, v0
	s_mov_b64 s[6:7], 0
	s_and_saveexec_b64 s[8:9], vcc
	s_xor_b64 s[8:9], exec, s[8:9]
	s_cbranch_execz .LBB213_492
; %bb.470:
	s_movk_i32 s6, 0x80
	v_cmp_eq_u16_e32 vcc, s6, v0
	s_mov_b64 s[6:7], -1
                                        ; implicit-def: $sgpr12
	s_and_saveexec_b64 s[10:11], vcc
; %bb.471:
	s_mov_b32 s12, 0x7f800001
	s_xor_b64 s[6:7], exec, -1
; %bb.472:
	s_or_b64 exec, exec, s[10:11]
	s_and_b64 s[6:7], s[6:7], exec
	s_or_saveexec_b64 s[8:9], s[8:9]
	v_mov_b32_e32 v1, s12
	s_xor_b64 exec, exec, s[8:9]
	s_cbranch_execnz .LBB213_493
.LBB213_473:
	s_or_b64 exec, exec, s[8:9]
	s_and_saveexec_b64 s[8:9], s[6:7]
	s_cbranch_execz .LBB213_475
.LBB213_474:
	v_lshlrev_b32_e32 v1, 24, v0
	v_and_b32_e32 v0, 0xffff, v0
	v_and_b32_e32 v3, 3, v0
	v_ffbh_u32_e32 v7, v3
	v_min_u32_e32 v7, 32, v7
	v_subrev_u32_e32 v8, 29, v7
	v_bfe_u32 v6, v0, 2, 5
	v_lshlrev_b32_e32 v0, v8, v0
	v_sub_u32_e32 v7, 30, v7
	v_and_b32_e32 v0, 3, v0
	v_cmp_eq_u32_e32 vcc, 0, v6
	v_cndmask_b32_e32 v6, v6, v7, vcc
	v_cndmask_b32_e32 v0, v3, v0, vcc
	v_mov_b32_e32 v3, 0x37800000
	v_lshlrev_b32_e32 v0, 21, v0
	v_and_b32_e32 v1, 0x80000000, v1
	v_lshl_add_u32 v3, v6, 23, v3
	v_or3_b32 v1, v1, v3, v0
.LBB213_475:
	s_or_b64 exec, exec, s[8:9]
	v_bfe_u32 v0, v1, 16, 1
	s_movk_i32 s6, 0x7fff
	v_add3_u32 v0, v1, v0, s6
	v_lshrrev_b32_e32 v0, 16, v0
	v_mov_b32_e32 v3, 0x7fc0
	v_cmp_o_f32_e32 vcc, v1, v1
	v_cndmask_b32_e32 v0, v3, v0, vcc
	s_mov_b64 s[6:7], 0
	s_branch .LBB213_481
.LBB213_476:
	s_mov_b64 s[8:9], -1
                                        ; implicit-def: $vgpr0
	s_branch .LBB213_487
.LBB213_477:
	s_or_saveexec_b64 s[8:9], s[8:9]
	v_mov_b32_e32 v1, s12
	s_xor_b64 exec, exec, s[8:9]
	s_cbranch_execz .LBB213_460
.LBB213_478:
	v_cmp_ne_u16_e32 vcc, 0, v0
	s_andn2_b64 s[6:7], s[6:7], exec
	s_and_b64 s[10:11], vcc, exec
	v_mov_b32_e32 v1, 0
	s_or_b64 s[6:7], s[6:7], s[10:11]
	s_or_b64 exec, exec, s[8:9]
	s_and_saveexec_b64 s[8:9], s[6:7]
	s_cbranch_execnz .LBB213_461
	s_branch .LBB213_462
.LBB213_479:
	s_mov_b64 s[6:7], -1
                                        ; implicit-def: $vgpr0
	s_branch .LBB213_484
.LBB213_480:
	s_mov_b64 s[6:7], -1
                                        ; implicit-def: $vgpr0
.LBB213_481:
	s_and_b64 vcc, exec, s[6:7]
	s_cbranch_vccz .LBB213_483
; %bb.482:
	global_load_ubyte v0, v[4:5], off
	s_mov_b32 s6, 0x7f800000
	s_brev_b32 s7, 1
	s_movk_i32 s8, 0x7fff
	v_mov_b32_e32 v1, 0x7fc0
	s_waitcnt vmcnt(0)
	v_lshlrev_b32_e32 v0, 24, v0
	v_and_b32_e32 v3, 0x7f000000, v0
	v_ffbh_u32_e32 v6, v3
	v_min_u32_e32 v6, 32, v6
	v_sub_u32_e64 v6, v6, 4 clamp
	v_lshlrev_b32_e32 v8, v6, v3
	v_lshlrev_b32_e32 v6, 23, v6
	v_lshrrev_b32_e32 v8, 4, v8
	v_add_u32_e32 v7, 0x1000000, v3
	v_sub_u32_e32 v6, v8, v6
	v_ashrrev_i32_e32 v7, 8, v7
	v_add_u32_e32 v6, 0x3c000000, v6
	v_and_or_b32 v6, v7, s6, v6
	v_cmp_ne_u32_e32 vcc, 0, v3
	v_cndmask_b32_e32 v3, 0, v6, vcc
	v_and_or_b32 v0, v0, s7, v3
	v_bfe_u32 v3, v3, 16, 1
	v_add3_u32 v3, v0, v3, s8
	v_lshrrev_b32_e32 v3, 16, v3
	v_cmp_o_f32_e32 vcc, v0, v0
	v_cndmask_b32_e32 v0, v1, v3, vcc
.LBB213_483:
	s_mov_b64 s[6:7], 0
.LBB213_484:
	s_andn2_b64 vcc, exec, s[6:7]
	s_cbranch_vccnz .LBB213_486
; %bb.485:
	global_load_ubyte v0, v[4:5], off
	s_movk_i32 s6, 0x7f00
	s_brev_b32 s7, 16
	s_brev_b32 s8, 1
	s_movk_i32 s9, 0x7fff
	v_mov_b32_e32 v1, 0x7fc0
	s_waitcnt vmcnt(0)
	v_lshlrev_b16_e32 v3, 8, v0
	v_lshlrev_b32_e32 v0, 25, v0
	v_lshrrev_b32_e32 v6, 4, v0
	v_and_or_b32 v7, v3, s6, 0.5
	v_or_b32_e32 v6, 0x70000000, v6
	v_add_f32_e32 v7, -0.5, v7
	v_mul_f32_e32 v6, 0x7800000, v6
	v_cmp_gt_u32_e32 vcc, s7, v0
	v_bfe_i32 v3, v3, 0, 16
	v_cndmask_b32_e32 v0, v6, v7, vcc
	v_and_or_b32 v3, v3, s8, v0
	v_bfe_u32 v0, v0, 16, 1
	v_add3_u32 v0, v3, v0, s9
	v_lshrrev_b32_e32 v0, 16, v0
	v_cmp_o_f32_e32 vcc, v3, v3
	v_cndmask_b32_e32 v0, v1, v0, vcc
.LBB213_486:
	s_mov_b64 s[8:9], 0
	s_mov_b64 s[6:7], -1
.LBB213_487:
	s_andn2_b64 vcc, exec, s[8:9]
	s_cbranch_vccnz .LBB213_500
; %bb.488:
	v_mov_b32_e32 v0, 14
	v_cmp_gt_i16_sdwa s[8:9], v35, v0 src0_sel:BYTE_0 src1_sel:DWORD
	s_and_b64 vcc, exec, s[8:9]
	s_cbranch_vccz .LBB213_491
; %bb.489:
	v_mov_b32_e32 v0, 15
	v_cmp_eq_u16_sdwa s[8:9], v35, v0 src0_sel:BYTE_0 src1_sel:DWORD
	s_and_b64 vcc, exec, s[8:9]
	s_cbranch_vccz .LBB213_494
; %bb.490:
	global_load_ushort v0, v[4:5], off
	s_mov_b64 s[6:7], -1
	s_mov_b64 s[64:65], 0
	s_branch .LBB213_495
.LBB213_491:
	s_mov_b64 s[8:9], -1
                                        ; implicit-def: $vgpr0
	s_branch .LBB213_496
.LBB213_492:
	s_or_saveexec_b64 s[8:9], s[8:9]
	v_mov_b32_e32 v1, s12
	s_xor_b64 exec, exec, s[8:9]
	s_cbranch_execz .LBB213_473
.LBB213_493:
	v_cmp_ne_u16_e32 vcc, 0, v0
	s_andn2_b64 s[6:7], s[6:7], exec
	s_and_b64 s[10:11], vcc, exec
	v_mov_b32_e32 v1, 0
	s_or_b64 s[6:7], s[6:7], s[10:11]
	s_or_b64 exec, exec, s[8:9]
	s_and_saveexec_b64 s[8:9], s[6:7]
	s_cbranch_execnz .LBB213_474
	s_branch .LBB213_475
.LBB213_494:
	s_mov_b64 s[64:65], -1
                                        ; implicit-def: $vgpr0
.LBB213_495:
	s_mov_b64 s[8:9], 0
.LBB213_496:
	s_and_b64 vcc, exec, s[8:9]
	s_cbranch_vccz .LBB213_500
; %bb.497:
	s_waitcnt vmcnt(0)
	v_mov_b32_e32 v0, 11
	v_cmp_eq_u16_sdwa s[8:9], v35, v0 src0_sel:BYTE_0 src1_sel:DWORD
	s_and_b64 vcc, exec, s[8:9]
	s_cbranch_vccz .LBB213_499
; %bb.498:
	global_load_ubyte v0, v[4:5], off
	s_mov_b64 s[6:7], -1
	s_mov_b64 s[64:65], 0
	s_waitcnt vmcnt(0)
	v_cmp_ne_u16_e32 vcc, 0, v0
	v_cndmask_b32_e64 v0, 0, 1.0, vcc
	v_lshrrev_b32_e32 v0, 16, v0
	s_branch .LBB213_500
.LBB213_499:
	s_mov_b64 s[64:65], -1
                                        ; implicit-def: $vgpr0
.LBB213_500:
	s_branch .LBB213_416
.LBB213_501:
	s_waitcnt vmcnt(0)
	v_mov_b32_e32 v0, 5
	v_cmp_lt_i16_sdwa s[6:7], v35, v0 src0_sel:BYTE_0 src1_sel:DWORD
	s_and_b64 vcc, exec, s[6:7]
	s_cbranch_vccnz .LBB213_506
; %bb.502:
	v_mov_b32_e32 v0, 8
	v_cmp_lt_i16_sdwa s[6:7], v35, v0 src0_sel:BYTE_0 src1_sel:DWORD
	s_and_b64 vcc, exec, s[6:7]
	s_cbranch_vccnz .LBB213_507
; %bb.503:
	;; [unrolled: 5-line block ×3, first 2 shown]
	v_cmp_gt_i16_sdwa s[6:7], v35, v0 src0_sel:BYTE_0 src1_sel:DWORD
	s_and_b64 vcc, exec, s[6:7]
	s_cbranch_vccz .LBB213_509
; %bb.505:
	global_load_dwordx2 v[0:1], v[4:5], off
	s_movk_i32 s6, 0x7fff
	v_mov_b32_e32 v3, 0x7fc0
	s_waitcnt vmcnt(0)
	v_cvt_f32_f64_e32 v0, v[0:1]
	v_bfe_u32 v1, v0, 16, 1
	v_add3_u32 v1, v0, v1, s6
	v_lshrrev_b32_e32 v1, 16, v1
	v_cmp_o_f32_e32 vcc, v0, v0
	v_cndmask_b32_e32 v0, v3, v1, vcc
	s_mov_b64 s[6:7], 0
	s_branch .LBB213_510
.LBB213_506:
	s_mov_b64 s[6:7], -1
                                        ; implicit-def: $vgpr0
	s_branch .LBB213_528
.LBB213_507:
	s_mov_b64 s[6:7], -1
                                        ; implicit-def: $vgpr0
	s_branch .LBB213_516
.LBB213_508:
	s_mov_b64 s[6:7], -1
                                        ; implicit-def: $vgpr0
	s_branch .LBB213_513
.LBB213_509:
	s_mov_b64 s[6:7], -1
                                        ; implicit-def: $vgpr0
.LBB213_510:
	s_andn2_b64 vcc, exec, s[6:7]
	s_cbranch_vccnz .LBB213_512
; %bb.511:
	global_load_dword v0, v[4:5], off
	s_movk_i32 s6, 0x7fff
	v_mov_b32_e32 v1, 0x7fc0
	s_waitcnt vmcnt(0)
	v_bfe_u32 v3, v0, 16, 1
	v_add3_u32 v3, v0, v3, s6
	v_lshrrev_b32_e32 v3, 16, v3
	v_cmp_o_f32_e32 vcc, v0, v0
	v_cndmask_b32_e32 v0, v1, v3, vcc
.LBB213_512:
	s_mov_b64 s[6:7], 0
.LBB213_513:
	s_andn2_b64 vcc, exec, s[6:7]
	s_cbranch_vccnz .LBB213_515
; %bb.514:
	global_load_dword v0, v[4:5], off
	s_movk_i32 s6, 0x7fff
	v_mov_b32_e32 v3, 0x7fc0
	s_waitcnt vmcnt(0)
	v_cvt_f32_f16_e32 v1, v0
	v_cmp_o_f16_e32 vcc, v0, v0
	v_bfe_u32 v6, v1, 16, 1
	v_add3_u32 v1, v1, v6, s6
	v_lshrrev_b32_e32 v1, 16, v1
	v_cndmask_b32_e32 v0, v3, v1, vcc
.LBB213_515:
	s_mov_b64 s[6:7], 0
.LBB213_516:
	s_andn2_b64 vcc, exec, s[6:7]
	s_cbranch_vccnz .LBB213_527
; %bb.517:
	v_mov_b32_e32 v0, 6
	v_cmp_lt_i16_sdwa s[6:7], v35, v0 src0_sel:BYTE_0 src1_sel:DWORD
	s_and_b64 vcc, exec, s[6:7]
	s_cbranch_vccnz .LBB213_520
; %bb.518:
	v_cmp_gt_i16_sdwa s[6:7], v35, v0 src0_sel:BYTE_0 src1_sel:DWORD
	s_and_b64 vcc, exec, s[6:7]
	s_cbranch_vccz .LBB213_521
; %bb.519:
	global_load_dwordx2 v[0:1], v[4:5], off
	s_movk_i32 s6, 0x7fff
	v_mov_b32_e32 v3, 0x7fc0
	s_waitcnt vmcnt(0)
	v_cvt_f32_f64_e32 v0, v[0:1]
	v_bfe_u32 v1, v0, 16, 1
	v_add3_u32 v1, v0, v1, s6
	v_lshrrev_b32_e32 v1, 16, v1
	v_cmp_o_f32_e32 vcc, v0, v0
	v_cndmask_b32_e32 v0, v3, v1, vcc
	s_mov_b64 s[6:7], 0
	s_branch .LBB213_522
.LBB213_520:
	s_mov_b64 s[6:7], -1
                                        ; implicit-def: $vgpr0
	s_branch .LBB213_525
.LBB213_521:
	s_mov_b64 s[6:7], -1
                                        ; implicit-def: $vgpr0
.LBB213_522:
	s_andn2_b64 vcc, exec, s[6:7]
	s_cbranch_vccnz .LBB213_524
; %bb.523:
	global_load_dword v0, v[4:5], off
	s_movk_i32 s6, 0x7fff
	v_mov_b32_e32 v1, 0x7fc0
	s_waitcnt vmcnt(0)
	v_bfe_u32 v3, v0, 16, 1
	v_add3_u32 v3, v0, v3, s6
	v_lshrrev_b32_e32 v3, 16, v3
	v_cmp_o_f32_e32 vcc, v0, v0
	v_cndmask_b32_e32 v0, v1, v3, vcc
.LBB213_524:
	s_mov_b64 s[6:7], 0
.LBB213_525:
	s_andn2_b64 vcc, exec, s[6:7]
	s_cbranch_vccnz .LBB213_527
; %bb.526:
	global_load_ushort v0, v[4:5], off
	s_movk_i32 s6, 0x7fff
	v_mov_b32_e32 v3, 0x7fc0
	s_waitcnt vmcnt(0)
	v_cvt_f32_f16_e32 v1, v0
	v_cmp_o_f16_e32 vcc, v0, v0
	v_bfe_u32 v6, v1, 16, 1
	v_add3_u32 v1, v1, v6, s6
	v_lshrrev_b32_e32 v1, 16, v1
	v_cndmask_b32_e32 v0, v3, v1, vcc
.LBB213_527:
	s_mov_b64 s[6:7], 0
.LBB213_528:
	s_andn2_b64 vcc, exec, s[6:7]
	s_cbranch_vccnz .LBB213_548
; %bb.529:
	v_mov_b32_e32 v0, 2
	v_cmp_lt_i16_sdwa s[6:7], v35, v0 src0_sel:BYTE_0 src1_sel:DWORD
	s_and_b64 vcc, exec, s[6:7]
	s_cbranch_vccnz .LBB213_533
; %bb.530:
	v_mov_b32_e32 v0, 3
	v_cmp_lt_i16_sdwa s[6:7], v35, v0 src0_sel:BYTE_0 src1_sel:DWORD
	s_and_b64 vcc, exec, s[6:7]
	s_cbranch_vccnz .LBB213_534
; %bb.531:
	v_cmp_gt_i16_sdwa s[6:7], v35, v0 src0_sel:BYTE_0 src1_sel:DWORD
	s_and_b64 vcc, exec, s[6:7]
	s_cbranch_vccz .LBB213_535
; %bb.532:
	global_load_dwordx2 v[0:1], v[4:5], off
	s_movk_i32 s6, 0x7fff
	s_waitcnt vmcnt(0)
	v_xor_b32_e32 v6, v0, v1
	v_ffbh_i32_e32 v3, v1
	v_ashrrev_i32_e32 v6, 31, v6
	v_add_u32_e32 v3, -1, v3
	v_add_u32_e32 v6, 32, v6
	v_min_u32_e32 v3, v3, v6
	v_lshlrev_b64 v[0:1], v3, v[0:1]
	v_min_u32_e32 v0, 1, v0
	v_or_b32_e32 v0, v1, v0
	v_cvt_f32_i32_e32 v0, v0
	v_sub_u32_e32 v1, 32, v3
	v_ldexp_f32 v0, v0, v1
	v_bfe_u32 v1, v0, 16, 1
	v_add3_u32 v0, v0, v1, s6
	v_lshrrev_b32_e32 v0, 16, v0
	s_mov_b64 s[6:7], 0
	s_branch .LBB213_536
.LBB213_533:
	s_mov_b64 s[6:7], -1
                                        ; implicit-def: $vgpr0
	s_branch .LBB213_542
.LBB213_534:
	s_mov_b64 s[6:7], -1
                                        ; implicit-def: $vgpr0
	s_branch .LBB213_539
.LBB213_535:
	s_mov_b64 s[6:7], -1
                                        ; implicit-def: $vgpr0
.LBB213_536:
	s_andn2_b64 vcc, exec, s[6:7]
	s_cbranch_vccnz .LBB213_538
; %bb.537:
	global_load_dword v0, v[4:5], off
	s_movk_i32 s6, 0x7fff
	s_waitcnt vmcnt(0)
	v_cvt_f32_i32_e32 v0, v0
	v_bfe_u32 v1, v0, 16, 1
	v_add3_u32 v0, v0, v1, s6
	v_lshrrev_b32_e32 v0, 16, v0
.LBB213_538:
	s_mov_b64 s[6:7], 0
.LBB213_539:
	s_andn2_b64 vcc, exec, s[6:7]
	s_cbranch_vccnz .LBB213_541
; %bb.540:
	global_load_sshort v0, v[4:5], off
	s_movk_i32 s6, 0x7fff
	s_waitcnt vmcnt(0)
	v_cvt_f32_i32_e32 v0, v0
	v_bfe_u32 v1, v0, 16, 1
	v_add3_u32 v0, v0, v1, s6
	v_lshrrev_b32_e32 v0, 16, v0
.LBB213_541:
	s_mov_b64 s[6:7], 0
.LBB213_542:
	s_andn2_b64 vcc, exec, s[6:7]
	s_cbranch_vccnz .LBB213_548
; %bb.543:
	v_mov_b32_e32 v0, 0
	v_cmp_gt_i16_sdwa s[6:7], v35, v0 src0_sel:BYTE_0 src1_sel:DWORD
	s_and_b64 vcc, exec, s[6:7]
	s_cbranch_vccz .LBB213_545
; %bb.544:
	global_load_sbyte v0, v[4:5], off
	s_movk_i32 s6, 0x7fff
	s_waitcnt vmcnt(0)
	v_cvt_f32_i32_e32 v0, v0
	v_bfe_u32 v1, v0, 16, 1
	v_add3_u32 v0, v0, v1, s6
	v_lshrrev_b32_e32 v0, 16, v0
	s_mov_b64 s[6:7], 0
	s_branch .LBB213_546
.LBB213_545:
	s_mov_b64 s[6:7], -1
                                        ; implicit-def: $vgpr0
.LBB213_546:
	s_andn2_b64 vcc, exec, s[6:7]
	s_cbranch_vccnz .LBB213_548
; %bb.547:
	global_load_ubyte v0, v[4:5], off
	s_movk_i32 s6, 0x7fff
	s_waitcnt vmcnt(0)
	v_cvt_f32_ubyte0_e32 v0, v0
	v_bfe_u32 v1, v0, 16, 1
	v_add3_u32 v0, v0, v1, s6
	v_lshrrev_b32_e32 v0, 16, v0
.LBB213_548:
	s_branch .LBB213_417
.LBB213_549:
	s_mov_b64 s[8:9], 0
	s_mov_b64 s[6:7], s[56:57]
	;; [unrolled: 1-line block ×3, first 2 shown]
.LBB213_550:
                                        ; implicit-def: $vgpr34
	s_branch .LBB213_792
.LBB213_551:
	s_or_saveexec_b64 s[12:13], s[12:13]
                                        ; implicit-def: $sgpr14
	s_xor_b64 exec, exec, s[12:13]
	s_cbranch_execz .LBB213_203
.LBB213_552:
	s_mov_b32 s14, 0x42800000
	v_add_f32_e64 v4, |v5|, s14
	v_and_b32_e32 v4, 0xff, v4
	v_cmp_ne_u32_e32 vcc, 0, v4
	s_andn2_b64 s[10:11], s[10:11], exec
	s_and_b64 s[16:17], vcc, exec
	s_mov_b32 s14, 0
	s_or_b64 s[10:11], s[10:11], s[16:17]
	s_or_b64 exec, exec, s[12:13]
	v_mov_b32_e32 v6, s14
	s_and_saveexec_b64 s[12:13], s[10:11]
	s_cbranch_execnz .LBB213_204
	s_branch .LBB213_205
.LBB213_553:
	s_mov_b64 s[66:67], -1
                                        ; implicit-def: $vgpr1
	s_mov_b64 s[6:7], 0
.LBB213_554:
	s_and_b64 vcc, exec, s[8:9]
	s_cbranch_vccz .LBB213_558
; %bb.555:
	s_waitcnt vmcnt(0)
	v_mov_b32_e32 v1, 44
	v_cmp_eq_u16_sdwa s[8:9], v33, v1 src0_sel:BYTE_0 src1_sel:DWORD
	s_and_b64 vcc, exec, s[8:9]
	s_cbranch_vccz .LBB213_557
; %bb.556:
	global_load_ubyte v1, v[2:3], off
	s_movk_i32 s8, 0xff
	v_mov_b32_e32 v4, 0x7f800001
	v_mov_b32_e32 v5, 0x400000
	;; [unrolled: 1-line block ×3, first 2 shown]
	s_mov_b64 s[6:7], -1
	s_mov_b64 s[66:67], 0
	s_waitcnt vmcnt(0)
	v_lshlrev_b32_e32 v7, 23, v1
	v_cmp_ne_u32_e32 vcc, s8, v1
	v_cndmask_b32_e32 v4, v4, v7, vcc
	v_cmp_ne_u32_e32 vcc, 0, v1
	v_cndmask_b32_e32 v1, v5, v4, vcc
	v_add_u32_e32 v4, 0x7fff, v1
	v_lshrrev_b32_e32 v4, 16, v4
	v_cmp_o_f32_e32 vcc, v1, v1
	v_cndmask_b32_e32 v1, v6, v4, vcc
	s_branch .LBB213_558
.LBB213_557:
	s_mov_b64 s[66:67], -1
                                        ; implicit-def: $vgpr1
.LBB213_558:
	s_mov_b64 s[8:9], 0
.LBB213_559:
	s_and_b64 vcc, exec, s[8:9]
	s_cbranch_vccz .LBB213_563
; %bb.560:
	s_waitcnt vmcnt(0)
	v_mov_b32_e32 v1, 29
	v_cmp_eq_u16_sdwa s[8:9], v33, v1 src0_sel:BYTE_0 src1_sel:DWORD
	s_and_b64 vcc, exec, s[8:9]
	s_cbranch_vccz .LBB213_562
; %bb.561:
	global_load_dwordx2 v[4:5], v[2:3], off
	s_movk_i32 s8, 0x7fff
	s_mov_b64 s[6:7], -1
	s_mov_b64 s[66:67], 0
	s_waitcnt vmcnt(0)
	v_ffbh_u32_e32 v1, v5
	v_min_u32_e32 v1, 32, v1
	v_lshlrev_b64 v[4:5], v1, v[4:5]
	v_min_u32_e32 v4, 1, v4
	v_or_b32_e32 v4, v5, v4
	v_cvt_f32_u32_e32 v4, v4
	v_sub_u32_e32 v1, 32, v1
	v_ldexp_f32 v1, v4, v1
	v_bfe_u32 v4, v1, 16, 1
	v_add3_u32 v1, v1, v4, s8
	v_lshrrev_b32_e32 v1, 16, v1
	s_branch .LBB213_563
.LBB213_562:
	s_mov_b64 s[66:67], -1
                                        ; implicit-def: $vgpr1
.LBB213_563:
	s_mov_b64 s[8:9], 0
.LBB213_564:
	s_and_b64 vcc, exec, s[8:9]
	s_cbranch_vccz .LBB213_582
; %bb.565:
	s_waitcnt vmcnt(0)
	v_mov_b32_e32 v1, 27
	v_cmp_lt_i16_sdwa s[6:7], v33, v1 src0_sel:BYTE_0 src1_sel:DWORD
	s_and_b64 vcc, exec, s[6:7]
	s_cbranch_vccnz .LBB213_568
; %bb.566:
	v_cmp_gt_i16_sdwa s[6:7], v33, v1 src0_sel:BYTE_0 src1_sel:DWORD
	s_and_b64 vcc, exec, s[6:7]
	s_cbranch_vccz .LBB213_569
; %bb.567:
	global_load_dword v1, v[2:3], off
	s_movk_i32 s6, 0x7fff
	s_waitcnt vmcnt(0)
	v_cvt_f32_u32_e32 v1, v1
	v_bfe_u32 v4, v1, 16, 1
	v_add3_u32 v1, v1, v4, s6
	v_lshrrev_b32_e32 v1, 16, v1
	s_mov_b64 s[6:7], 0
	s_branch .LBB213_570
.LBB213_568:
	s_mov_b64 s[6:7], -1
                                        ; implicit-def: $vgpr1
	s_branch .LBB213_573
.LBB213_569:
	s_mov_b64 s[6:7], -1
                                        ; implicit-def: $vgpr1
.LBB213_570:
	s_andn2_b64 vcc, exec, s[6:7]
	s_cbranch_vccnz .LBB213_572
; %bb.571:
	global_load_ushort v1, v[2:3], off
	s_movk_i32 s6, 0x7fff
	s_waitcnt vmcnt(0)
	v_cvt_f32_u32_e32 v1, v1
	v_bfe_u32 v4, v1, 16, 1
	v_add3_u32 v1, v1, v4, s6
	v_lshrrev_b32_e32 v1, 16, v1
.LBB213_572:
	s_mov_b64 s[6:7], 0
.LBB213_573:
	s_andn2_b64 vcc, exec, s[6:7]
	s_cbranch_vccnz .LBB213_581
; %bb.574:
	global_load_ubyte v1, v[2:3], off
	s_movk_i32 s6, 0x7f
                                        ; implicit-def: $sgpr12
	s_waitcnt vmcnt(0)
	v_cmp_lt_i16_e32 vcc, s6, v1
	s_mov_b64 s[6:7], 0
	s_and_saveexec_b64 s[8:9], vcc
	s_xor_b64 s[8:9], exec, s[8:9]
	s_cbranch_execz .LBB213_595
; %bb.575:
	s_movk_i32 s6, 0x80
	v_cmp_eq_u16_e32 vcc, s6, v1
	s_mov_b64 s[6:7], -1
                                        ; implicit-def: $sgpr12
	s_and_saveexec_b64 s[10:11], vcc
; %bb.576:
	s_mov_b32 s12, 0x7f800001
	s_xor_b64 s[6:7], exec, -1
; %bb.577:
	s_or_b64 exec, exec, s[10:11]
	s_and_b64 s[6:7], s[6:7], exec
	s_or_saveexec_b64 s[8:9], s[8:9]
	v_mov_b32_e32 v4, s12
	s_xor_b64 exec, exec, s[8:9]
	s_cbranch_execnz .LBB213_596
.LBB213_578:
	s_or_b64 exec, exec, s[8:9]
	s_and_saveexec_b64 s[8:9], s[6:7]
	s_cbranch_execz .LBB213_580
.LBB213_579:
	v_lshlrev_b32_e32 v4, 24, v1
	v_and_b32_e32 v1, 0xffff, v1
	v_and_b32_e32 v5, 7, v1
	v_ffbh_u32_e32 v7, v5
	v_min_u32_e32 v7, 32, v7
	v_subrev_u32_e32 v8, 28, v7
	v_bfe_u32 v6, v1, 3, 4
	v_lshlrev_b32_e32 v1, v8, v1
	v_sub_u32_e32 v7, 29, v7
	v_and_b32_e32 v1, 7, v1
	v_cmp_eq_u32_e32 vcc, 0, v6
	v_cndmask_b32_e32 v6, v6, v7, vcc
	v_cndmask_b32_e32 v1, v5, v1, vcc
	v_mov_b32_e32 v5, 0x3b800000
	v_lshlrev_b32_e32 v1, 20, v1
	v_and_b32_e32 v4, 0x80000000, v4
	v_lshl_add_u32 v5, v6, 23, v5
	v_or3_b32 v4, v4, v5, v1
.LBB213_580:
	s_or_b64 exec, exec, s[8:9]
	v_bfe_u32 v1, v4, 16, 1
	s_movk_i32 s6, 0x7fff
	v_add3_u32 v1, v4, v1, s6
	v_lshrrev_b32_e32 v1, 16, v1
	v_mov_b32_e32 v5, 0x7fc0
	v_cmp_o_f32_e32 vcc, v4, v4
	v_cndmask_b32_e32 v1, v5, v1, vcc
.LBB213_581:
	s_mov_b64 s[6:7], -1
.LBB213_582:
	s_mov_b64 s[8:9], 0
.LBB213_583:
	s_and_b64 vcc, exec, s[8:9]
	s_cbranch_vccz .LBB213_618
; %bb.584:
	s_waitcnt vmcnt(0)
	v_mov_b32_e32 v1, 22
	v_cmp_gt_i16_sdwa s[8:9], v33, v1 src0_sel:BYTE_0 src1_sel:DWORD
	s_and_b64 vcc, exec, s[8:9]
	s_cbranch_vccz .LBB213_594
; %bb.585:
	v_mov_b32_e32 v1, 24
	v_cmp_lt_i16_sdwa s[6:7], v33, v1 src0_sel:BYTE_0 src1_sel:DWORD
	s_and_b64 vcc, exec, s[6:7]
	s_cbranch_vccnz .LBB213_597
; %bb.586:
	v_cmp_gt_i16_sdwa s[6:7], v33, v1 src0_sel:BYTE_0 src1_sel:DWORD
	s_and_b64 vcc, exec, s[6:7]
	s_cbranch_vccz .LBB213_598
; %bb.587:
	global_load_ubyte v1, v[2:3], off
	s_movk_i32 s6, 0x7f
                                        ; implicit-def: $sgpr12
	s_waitcnt vmcnt(0)
	v_cmp_lt_i16_e32 vcc, s6, v1
	s_mov_b64 s[6:7], 0
	s_and_saveexec_b64 s[8:9], vcc
	s_xor_b64 s[8:9], exec, s[8:9]
	s_cbranch_execz .LBB213_610
; %bb.588:
	s_movk_i32 s6, 0x80
	v_cmp_eq_u16_e32 vcc, s6, v1
	s_mov_b64 s[6:7], -1
                                        ; implicit-def: $sgpr12
	s_and_saveexec_b64 s[10:11], vcc
; %bb.589:
	s_mov_b32 s12, 0x7f800001
	s_xor_b64 s[6:7], exec, -1
; %bb.590:
	s_or_b64 exec, exec, s[10:11]
	s_and_b64 s[6:7], s[6:7], exec
	s_or_saveexec_b64 s[8:9], s[8:9]
	v_mov_b32_e32 v4, s12
	s_xor_b64 exec, exec, s[8:9]
	s_cbranch_execnz .LBB213_611
.LBB213_591:
	s_or_b64 exec, exec, s[8:9]
	s_and_saveexec_b64 s[8:9], s[6:7]
	s_cbranch_execz .LBB213_593
.LBB213_592:
	v_lshlrev_b32_e32 v4, 24, v1
	v_and_b32_e32 v1, 0xffff, v1
	v_and_b32_e32 v5, 3, v1
	v_ffbh_u32_e32 v7, v5
	v_min_u32_e32 v7, 32, v7
	v_subrev_u32_e32 v8, 29, v7
	v_bfe_u32 v6, v1, 2, 5
	v_lshlrev_b32_e32 v1, v8, v1
	v_sub_u32_e32 v7, 30, v7
	v_and_b32_e32 v1, 3, v1
	v_cmp_eq_u32_e32 vcc, 0, v6
	v_cndmask_b32_e32 v6, v6, v7, vcc
	v_cndmask_b32_e32 v1, v5, v1, vcc
	v_mov_b32_e32 v5, 0x37800000
	v_lshlrev_b32_e32 v1, 21, v1
	v_and_b32_e32 v4, 0x80000000, v4
	v_lshl_add_u32 v5, v6, 23, v5
	v_or3_b32 v4, v4, v5, v1
.LBB213_593:
	s_or_b64 exec, exec, s[8:9]
	v_bfe_u32 v1, v4, 16, 1
	s_movk_i32 s6, 0x7fff
	v_add3_u32 v1, v4, v1, s6
	v_lshrrev_b32_e32 v1, 16, v1
	v_mov_b32_e32 v5, 0x7fc0
	v_cmp_o_f32_e32 vcc, v4, v4
	v_cndmask_b32_e32 v1, v5, v1, vcc
	s_mov_b64 s[6:7], 0
	s_branch .LBB213_599
.LBB213_594:
	s_mov_b64 s[8:9], -1
                                        ; implicit-def: $vgpr1
	s_branch .LBB213_605
.LBB213_595:
	s_or_saveexec_b64 s[8:9], s[8:9]
	v_mov_b32_e32 v4, s12
	s_xor_b64 exec, exec, s[8:9]
	s_cbranch_execz .LBB213_578
.LBB213_596:
	v_cmp_ne_u16_e32 vcc, 0, v1
	s_andn2_b64 s[6:7], s[6:7], exec
	s_and_b64 s[10:11], vcc, exec
	v_mov_b32_e32 v4, 0
	s_or_b64 s[6:7], s[6:7], s[10:11]
	s_or_b64 exec, exec, s[8:9]
	s_and_saveexec_b64 s[8:9], s[6:7]
	s_cbranch_execnz .LBB213_579
	s_branch .LBB213_580
.LBB213_597:
	s_mov_b64 s[6:7], -1
                                        ; implicit-def: $vgpr1
	s_branch .LBB213_602
.LBB213_598:
	s_mov_b64 s[6:7], -1
                                        ; implicit-def: $vgpr1
.LBB213_599:
	s_and_b64 vcc, exec, s[6:7]
	s_cbranch_vccz .LBB213_601
; %bb.600:
	global_load_ubyte v1, v[2:3], off
	s_mov_b32 s6, 0x7f800000
	s_brev_b32 s7, 1
	s_movk_i32 s8, 0x7fff
	v_mov_b32_e32 v4, 0x7fc0
	s_waitcnt vmcnt(0)
	v_lshlrev_b32_e32 v1, 24, v1
	v_and_b32_e32 v5, 0x7f000000, v1
	v_ffbh_u32_e32 v6, v5
	v_min_u32_e32 v6, 32, v6
	v_sub_u32_e64 v6, v6, 4 clamp
	v_lshlrev_b32_e32 v8, v6, v5
	v_lshlrev_b32_e32 v6, 23, v6
	v_lshrrev_b32_e32 v8, 4, v8
	v_add_u32_e32 v7, 0x1000000, v5
	v_sub_u32_e32 v6, v8, v6
	v_ashrrev_i32_e32 v7, 8, v7
	v_add_u32_e32 v6, 0x3c000000, v6
	v_and_or_b32 v6, v7, s6, v6
	v_cmp_ne_u32_e32 vcc, 0, v5
	v_cndmask_b32_e32 v5, 0, v6, vcc
	v_and_or_b32 v1, v1, s7, v5
	v_bfe_u32 v5, v5, 16, 1
	v_add3_u32 v5, v1, v5, s8
	v_lshrrev_b32_e32 v5, 16, v5
	v_cmp_o_f32_e32 vcc, v1, v1
	v_cndmask_b32_e32 v1, v4, v5, vcc
.LBB213_601:
	s_mov_b64 s[6:7], 0
.LBB213_602:
	s_andn2_b64 vcc, exec, s[6:7]
	s_cbranch_vccnz .LBB213_604
; %bb.603:
	global_load_ubyte v1, v[2:3], off
	s_movk_i32 s6, 0x7f00
	s_brev_b32 s7, 16
	s_brev_b32 s8, 1
	s_movk_i32 s9, 0x7fff
	v_mov_b32_e32 v4, 0x7fc0
	s_waitcnt vmcnt(0)
	v_lshlrev_b16_e32 v5, 8, v1
	v_lshlrev_b32_e32 v1, 25, v1
	v_lshrrev_b32_e32 v6, 4, v1
	v_and_or_b32 v7, v5, s6, 0.5
	v_or_b32_e32 v6, 0x70000000, v6
	v_add_f32_e32 v7, -0.5, v7
	v_mul_f32_e32 v6, 0x7800000, v6
	v_cmp_gt_u32_e32 vcc, s7, v1
	v_bfe_i32 v5, v5, 0, 16
	v_cndmask_b32_e32 v1, v6, v7, vcc
	v_and_or_b32 v5, v5, s8, v1
	v_bfe_u32 v1, v1, 16, 1
	v_add3_u32 v1, v5, v1, s9
	v_lshrrev_b32_e32 v1, 16, v1
	v_cmp_o_f32_e32 vcc, v5, v5
	v_cndmask_b32_e32 v1, v4, v1, vcc
.LBB213_604:
	s_mov_b64 s[8:9], 0
	s_mov_b64 s[6:7], -1
.LBB213_605:
	s_andn2_b64 vcc, exec, s[8:9]
	s_cbranch_vccnz .LBB213_618
; %bb.606:
	v_mov_b32_e32 v1, 14
	v_cmp_gt_i16_sdwa s[8:9], v33, v1 src0_sel:BYTE_0 src1_sel:DWORD
	s_and_b64 vcc, exec, s[8:9]
	s_cbranch_vccz .LBB213_609
; %bb.607:
	v_mov_b32_e32 v1, 15
	v_cmp_eq_u16_sdwa s[8:9], v33, v1 src0_sel:BYTE_0 src1_sel:DWORD
	s_and_b64 vcc, exec, s[8:9]
	s_cbranch_vccz .LBB213_612
; %bb.608:
	global_load_ushort v1, v[2:3], off
	s_mov_b64 s[6:7], -1
	s_mov_b64 s[66:67], 0
	s_branch .LBB213_613
.LBB213_609:
	s_mov_b64 s[8:9], -1
                                        ; implicit-def: $vgpr1
	s_branch .LBB213_614
.LBB213_610:
	s_or_saveexec_b64 s[8:9], s[8:9]
	v_mov_b32_e32 v4, s12
	s_xor_b64 exec, exec, s[8:9]
	s_cbranch_execz .LBB213_591
.LBB213_611:
	v_cmp_ne_u16_e32 vcc, 0, v1
	s_andn2_b64 s[6:7], s[6:7], exec
	s_and_b64 s[10:11], vcc, exec
	v_mov_b32_e32 v4, 0
	s_or_b64 s[6:7], s[6:7], s[10:11]
	s_or_b64 exec, exec, s[8:9]
	s_and_saveexec_b64 s[8:9], s[6:7]
	s_cbranch_execnz .LBB213_592
	s_branch .LBB213_593
.LBB213_612:
	s_mov_b64 s[66:67], -1
                                        ; implicit-def: $vgpr1
.LBB213_613:
	s_mov_b64 s[8:9], 0
.LBB213_614:
	s_and_b64 vcc, exec, s[8:9]
	s_cbranch_vccz .LBB213_618
; %bb.615:
	s_waitcnt vmcnt(0)
	v_mov_b32_e32 v1, 11
	v_cmp_eq_u16_sdwa s[8:9], v33, v1 src0_sel:BYTE_0 src1_sel:DWORD
	s_and_b64 vcc, exec, s[8:9]
	s_cbranch_vccz .LBB213_617
; %bb.616:
	global_load_ubyte v1, v[2:3], off
	s_mov_b64 s[6:7], -1
	s_mov_b64 s[66:67], 0
	s_waitcnt vmcnt(0)
	v_cmp_ne_u16_e32 vcc, 0, v1
	v_cndmask_b32_e64 v1, 0, 1.0, vcc
	v_lshrrev_b32_e32 v1, 16, v1
	s_branch .LBB213_618
.LBB213_617:
	s_mov_b64 s[66:67], -1
                                        ; implicit-def: $vgpr1
.LBB213_618:
	s_mov_b64 s[8:9], 0
.LBB213_619:
	s_and_b64 vcc, exec, s[8:9]
	s_cbranch_vccz .LBB213_668
; %bb.620:
	s_waitcnt vmcnt(0)
	v_mov_b32_e32 v1, 5
	v_cmp_lt_i16_sdwa s[6:7], v33, v1 src0_sel:BYTE_0 src1_sel:DWORD
	s_and_b64 vcc, exec, s[6:7]
	s_cbranch_vccnz .LBB213_625
; %bb.621:
	v_mov_b32_e32 v1, 8
	v_cmp_lt_i16_sdwa s[6:7], v33, v1 src0_sel:BYTE_0 src1_sel:DWORD
	s_and_b64 vcc, exec, s[6:7]
	s_cbranch_vccnz .LBB213_626
; %bb.622:
	;; [unrolled: 5-line block ×3, first 2 shown]
	v_cmp_gt_i16_sdwa s[6:7], v33, v1 src0_sel:BYTE_0 src1_sel:DWORD
	s_and_b64 vcc, exec, s[6:7]
	s_cbranch_vccz .LBB213_628
; %bb.624:
	global_load_dwordx2 v[4:5], v[2:3], off
	s_movk_i32 s6, 0x7fff
	v_mov_b32_e32 v1, 0x7fc0
	s_waitcnt vmcnt(0)
	v_cvt_f32_f64_e32 v4, v[4:5]
	v_bfe_u32 v5, v4, 16, 1
	v_add3_u32 v5, v4, v5, s6
	v_lshrrev_b32_e32 v5, 16, v5
	v_cmp_o_f32_e32 vcc, v4, v4
	v_cndmask_b32_e32 v1, v1, v5, vcc
	s_mov_b64 s[6:7], 0
	s_branch .LBB213_629
.LBB213_625:
	s_mov_b64 s[6:7], -1
                                        ; implicit-def: $vgpr1
	s_branch .LBB213_647
.LBB213_626:
	s_mov_b64 s[6:7], -1
                                        ; implicit-def: $vgpr1
	s_branch .LBB213_635
.LBB213_627:
	s_mov_b64 s[6:7], -1
                                        ; implicit-def: $vgpr1
	s_branch .LBB213_632
.LBB213_628:
	s_mov_b64 s[6:7], -1
                                        ; implicit-def: $vgpr1
.LBB213_629:
	s_andn2_b64 vcc, exec, s[6:7]
	s_cbranch_vccnz .LBB213_631
; %bb.630:
	global_load_dword v1, v[2:3], off
	s_movk_i32 s6, 0x7fff
	v_mov_b32_e32 v4, 0x7fc0
	s_waitcnt vmcnt(0)
	v_bfe_u32 v5, v1, 16, 1
	v_add3_u32 v5, v1, v5, s6
	v_lshrrev_b32_e32 v5, 16, v5
	v_cmp_o_f32_e32 vcc, v1, v1
	v_cndmask_b32_e32 v1, v4, v5, vcc
.LBB213_631:
	s_mov_b64 s[6:7], 0
.LBB213_632:
	s_andn2_b64 vcc, exec, s[6:7]
	s_cbranch_vccnz .LBB213_634
; %bb.633:
	global_load_dword v1, v[2:3], off
	s_movk_i32 s6, 0x7fff
	v_mov_b32_e32 v5, 0x7fc0
	s_waitcnt vmcnt(0)
	v_cvt_f32_f16_e32 v4, v1
	v_cmp_o_f16_e32 vcc, v1, v1
	v_bfe_u32 v6, v4, 16, 1
	v_add3_u32 v4, v4, v6, s6
	v_lshrrev_b32_e32 v4, 16, v4
	v_cndmask_b32_e32 v1, v5, v4, vcc
.LBB213_634:
	s_mov_b64 s[6:7], 0
.LBB213_635:
	s_andn2_b64 vcc, exec, s[6:7]
	s_cbranch_vccnz .LBB213_646
; %bb.636:
	v_mov_b32_e32 v1, 6
	v_cmp_lt_i16_sdwa s[6:7], v33, v1 src0_sel:BYTE_0 src1_sel:DWORD
	s_and_b64 vcc, exec, s[6:7]
	s_cbranch_vccnz .LBB213_639
; %bb.637:
	v_cmp_gt_i16_sdwa s[6:7], v33, v1 src0_sel:BYTE_0 src1_sel:DWORD
	s_and_b64 vcc, exec, s[6:7]
	s_cbranch_vccz .LBB213_640
; %bb.638:
	global_load_dwordx2 v[4:5], v[2:3], off
	s_movk_i32 s6, 0x7fff
	v_mov_b32_e32 v1, 0x7fc0
	s_waitcnt vmcnt(0)
	v_cvt_f32_f64_e32 v4, v[4:5]
	v_bfe_u32 v5, v4, 16, 1
	v_add3_u32 v5, v4, v5, s6
	v_lshrrev_b32_e32 v5, 16, v5
	v_cmp_o_f32_e32 vcc, v4, v4
	v_cndmask_b32_e32 v1, v1, v5, vcc
	s_mov_b64 s[6:7], 0
	s_branch .LBB213_641
.LBB213_639:
	s_mov_b64 s[6:7], -1
                                        ; implicit-def: $vgpr1
	s_branch .LBB213_644
.LBB213_640:
	s_mov_b64 s[6:7], -1
                                        ; implicit-def: $vgpr1
.LBB213_641:
	s_andn2_b64 vcc, exec, s[6:7]
	s_cbranch_vccnz .LBB213_643
; %bb.642:
	global_load_dword v1, v[2:3], off
	s_movk_i32 s6, 0x7fff
	v_mov_b32_e32 v4, 0x7fc0
	s_waitcnt vmcnt(0)
	v_bfe_u32 v5, v1, 16, 1
	v_add3_u32 v5, v1, v5, s6
	v_lshrrev_b32_e32 v5, 16, v5
	v_cmp_o_f32_e32 vcc, v1, v1
	v_cndmask_b32_e32 v1, v4, v5, vcc
.LBB213_643:
	s_mov_b64 s[6:7], 0
.LBB213_644:
	s_andn2_b64 vcc, exec, s[6:7]
	s_cbranch_vccnz .LBB213_646
; %bb.645:
	global_load_ushort v1, v[2:3], off
	s_movk_i32 s6, 0x7fff
	v_mov_b32_e32 v5, 0x7fc0
	s_waitcnt vmcnt(0)
	v_cvt_f32_f16_e32 v4, v1
	v_cmp_o_f16_e32 vcc, v1, v1
	v_bfe_u32 v6, v4, 16, 1
	v_add3_u32 v4, v4, v6, s6
	v_lshrrev_b32_e32 v4, 16, v4
	v_cndmask_b32_e32 v1, v5, v4, vcc
.LBB213_646:
	s_mov_b64 s[6:7], 0
.LBB213_647:
	s_andn2_b64 vcc, exec, s[6:7]
	s_cbranch_vccnz .LBB213_667
; %bb.648:
	v_mov_b32_e32 v1, 2
	v_cmp_lt_i16_sdwa s[6:7], v33, v1 src0_sel:BYTE_0 src1_sel:DWORD
	s_and_b64 vcc, exec, s[6:7]
	s_cbranch_vccnz .LBB213_652
; %bb.649:
	v_mov_b32_e32 v1, 3
	v_cmp_lt_i16_sdwa s[6:7], v33, v1 src0_sel:BYTE_0 src1_sel:DWORD
	s_and_b64 vcc, exec, s[6:7]
	s_cbranch_vccnz .LBB213_653
; %bb.650:
	v_cmp_gt_i16_sdwa s[6:7], v33, v1 src0_sel:BYTE_0 src1_sel:DWORD
	s_and_b64 vcc, exec, s[6:7]
	s_cbranch_vccz .LBB213_654
; %bb.651:
	global_load_dwordx2 v[4:5], v[2:3], off
	s_movk_i32 s6, 0x7fff
	s_waitcnt vmcnt(0)
	v_xor_b32_e32 v6, v4, v5
	v_ffbh_i32_e32 v1, v5
	v_ashrrev_i32_e32 v6, 31, v6
	v_add_u32_e32 v1, -1, v1
	v_add_u32_e32 v6, 32, v6
	v_min_u32_e32 v1, v1, v6
	v_lshlrev_b64 v[4:5], v1, v[4:5]
	v_min_u32_e32 v4, 1, v4
	v_or_b32_e32 v4, v5, v4
	v_cvt_f32_i32_e32 v4, v4
	v_sub_u32_e32 v1, 32, v1
	v_ldexp_f32 v1, v4, v1
	v_bfe_u32 v4, v1, 16, 1
	v_add3_u32 v1, v1, v4, s6
	v_lshrrev_b32_e32 v1, 16, v1
	s_mov_b64 s[6:7], 0
	s_branch .LBB213_655
.LBB213_652:
	s_mov_b64 s[6:7], -1
                                        ; implicit-def: $vgpr1
	s_branch .LBB213_661
.LBB213_653:
	s_mov_b64 s[6:7], -1
                                        ; implicit-def: $vgpr1
	s_branch .LBB213_658
.LBB213_654:
	s_mov_b64 s[6:7], -1
                                        ; implicit-def: $vgpr1
.LBB213_655:
	s_andn2_b64 vcc, exec, s[6:7]
	s_cbranch_vccnz .LBB213_657
; %bb.656:
	global_load_dword v1, v[2:3], off
	s_movk_i32 s6, 0x7fff
	s_waitcnt vmcnt(0)
	v_cvt_f32_i32_e32 v1, v1
	v_bfe_u32 v4, v1, 16, 1
	v_add3_u32 v1, v1, v4, s6
	v_lshrrev_b32_e32 v1, 16, v1
.LBB213_657:
	s_mov_b64 s[6:7], 0
.LBB213_658:
	s_andn2_b64 vcc, exec, s[6:7]
	s_cbranch_vccnz .LBB213_660
; %bb.659:
	global_load_sshort v1, v[2:3], off
	s_movk_i32 s6, 0x7fff
	s_waitcnt vmcnt(0)
	v_cvt_f32_i32_e32 v1, v1
	v_bfe_u32 v4, v1, 16, 1
	v_add3_u32 v1, v1, v4, s6
	v_lshrrev_b32_e32 v1, 16, v1
.LBB213_660:
	s_mov_b64 s[6:7], 0
.LBB213_661:
	s_andn2_b64 vcc, exec, s[6:7]
	s_cbranch_vccnz .LBB213_667
; %bb.662:
	v_mov_b32_e32 v1, 0
	v_cmp_gt_i16_sdwa s[6:7], v33, v1 src0_sel:BYTE_0 src1_sel:DWORD
	s_and_b64 vcc, exec, s[6:7]
	s_cbranch_vccz .LBB213_664
; %bb.663:
	global_load_sbyte v1, v[2:3], off
	s_movk_i32 s6, 0x7fff
	s_waitcnt vmcnt(0)
	v_cvt_f32_i32_e32 v1, v1
	v_bfe_u32 v4, v1, 16, 1
	v_add3_u32 v1, v1, v4, s6
	v_lshrrev_b32_e32 v1, 16, v1
	s_mov_b64 s[6:7], 0
	s_branch .LBB213_665
.LBB213_664:
	s_mov_b64 s[6:7], -1
                                        ; implicit-def: $vgpr1
.LBB213_665:
	s_andn2_b64 vcc, exec, s[6:7]
	s_cbranch_vccnz .LBB213_667
; %bb.666:
	global_load_ubyte v1, v[2:3], off
	s_movk_i32 s6, 0x7fff
	s_waitcnt vmcnt(0)
	v_cvt_f32_ubyte0_e32 v1, v1
	v_bfe_u32 v2, v1, 16, 1
	v_add3_u32 v1, v1, v2, s6
	v_lshrrev_b32_e32 v1, 16, v1
.LBB213_667:
	s_mov_b64 s[6:7], -1
.LBB213_668:
	s_andn2_b64 vcc, exec, s[6:7]
	s_cbranch_vccnz .LBB213_676
; %bb.669:
	s_mov_b64 s[68:69], s[4:5]
	s_getpc_b64 s[4:5]
	s_add_u32 s4, s4, _ZZZZN2at6native33launch_standard_gamma_grad_kernelERNS_18TensorIteratorBaseEENKUlvE_clEvENKUlvE2_clEvENKUlN3c108BFloat16ES6_E_clES6_S6_@rel32@lo+4
	s_addc_u32 s5, s5, _ZZZZN2at6native33launch_standard_gamma_grad_kernelERNS_18TensorIteratorBaseEENKUlvE_clEvENKUlvE2_clEvENKUlN3c108BFloat16ES6_E_clES6_S6_@rel32@hi+12
	s_swappc_b64 s[30:31], s[4:5]
	v_mov_b32_e32 v1, s25
	v_add_co_u32_e32 v2, vcc, s24, v30
	v_addc_co_u32_e32 v3, vcc, 0, v1, vcc
	v_mov_b32_e32 v1, 11
	v_cmp_lt_i16_sdwa s[4:5], v32, v1 src0_sel:BYTE_0 src1_sel:DWORD
	s_and_b64 vcc, exec, s[4:5]
	s_cbranch_vccnz .LBB213_677
; %bb.670:
	v_mov_b32_e32 v1, 25
	v_cmp_gt_i16_sdwa s[4:5], v32, v1 src0_sel:BYTE_0 src1_sel:DWORD
	s_and_b64 vcc, exec, s[4:5]
	s_cbranch_vccz .LBB213_678
; %bb.671:
	v_mov_b32_e32 v1, 28
	v_cmp_gt_i16_sdwa s[4:5], v32, v1 src0_sel:BYTE_0 src1_sel:DWORD
	s_and_b64 vcc, exec, s[4:5]
	s_mov_b64 s[4:5], s[68:69]
	s_cbranch_vccz .LBB213_679
; %bb.672:
	v_mov_b32_e32 v1, 43
	v_cmp_gt_i16_sdwa s[6:7], v32, v1 src0_sel:BYTE_0 src1_sel:DWORD
	s_and_b64 vcc, exec, s[6:7]
	s_cbranch_vccz .LBB213_680
; %bb.673:
	v_mov_b32_e32 v1, 45
	v_cmp_gt_i16_sdwa s[6:7], v32, v1 src0_sel:BYTE_0 src1_sel:DWORD
	s_and_b64 vcc, exec, s[6:7]
	s_cbranch_vccz .LBB213_681
; %bb.674:
	v_mov_b32_e32 v1, 46
	v_cmp_eq_u16_sdwa s[8:9], v32, v1 src0_sel:BYTE_0 src1_sel:DWORD
	s_mov_b64 s[10:11], 0
	s_mov_b64 s[6:7], -1
	s_and_b64 vcc, exec, s[8:9]
	s_mov_b64 s[8:9], 0
	s_cbranch_vccz .LBB213_682
; %bb.675:
	v_and_b32_e32 v1, 0xffff, v0
	global_store_dword v[2:3], v1, off
	s_mov_b64 s[8:9], -1
	s_mov_b64 s[6:7], 0
	s_branch .LBB213_682
.LBB213_676:
	s_mov_b64 s[8:9], 0
                                        ; implicit-def: $vgpr34
	s_mov_b64 s[6:7], s[56:57]
	s_branch .LBB213_792
.LBB213_677:
	s_mov_b64 s[10:11], -1
	s_mov_b64 s[8:9], 0
	s_mov_b64 s[6:7], s[56:57]
	;; [unrolled: 1-line block ×3, first 2 shown]
	s_branch .LBB213_751
.LBB213_678:
	s_mov_b64 s[10:11], -1
	s_mov_b64 s[8:9], 0
	s_mov_b64 s[6:7], s[56:57]
	;; [unrolled: 1-line block ×3, first 2 shown]
	s_branch .LBB213_709
.LBB213_679:
	s_mov_b64 s[10:11], -1
	s_mov_b64 s[8:9], 0
	s_mov_b64 s[6:7], s[56:57]
	s_branch .LBB213_692
.LBB213_680:
	s_mov_b64 s[10:11], -1
	s_mov_b64 s[8:9], 0
	s_mov_b64 s[6:7], s[56:57]
	s_branch .LBB213_688
.LBB213_681:
	s_mov_b64 s[10:11], -1
	s_mov_b64 s[8:9], 0
	s_mov_b64 s[6:7], s[56:57]
.LBB213_682:
	s_and_b64 vcc, exec, s[10:11]
	s_cbranch_vccz .LBB213_687
; %bb.683:
	v_mov_b32_e32 v1, 44
	v_cmp_eq_u16_sdwa s[10:11], v32, v1 src0_sel:BYTE_0 src1_sel:DWORD
	s_mov_b64 s[6:7], -1
	s_and_b64 vcc, exec, s[10:11]
	s_cbranch_vccz .LBB213_687
; %bb.684:
	v_and_b32_e32 v4, 0xffff, v0
	v_bfe_u32 v1, v4, 7, 8
	s_movk_i32 s6, 0xff
	v_cmp_ne_u32_e32 vcc, s6, v1
	v_mov_b32_e32 v5, 0xff
	s_and_saveexec_b64 s[8:9], vcc
; %bb.685:
	v_lshlrev_b32_e32 v6, 16, v4
	s_mov_b32 s6, 0x3f0000
	v_lshrrev_b32_e32 v5, 7, v4
	v_and_b32_e32 v4, 64, v4
	v_and_or_b32 v1, v6, s6, v1
	v_cmp_ne_u32_e32 vcc, 0, v4
	v_cmp_ne_u32_e64 s[6:7], 0, v1
	s_and_b64 s[6:7], vcc, s[6:7]
	v_cndmask_b32_e64 v1, 0, 1, s[6:7]
	v_add_u32_e32 v5, v5, v1
; %bb.686:
	s_or_b64 exec, exec, s[8:9]
	s_mov_b64 s[8:9], -1
	s_mov_b64 s[6:7], 0
	global_store_byte v[2:3], v5, off
.LBB213_687:
	s_mov_b64 s[10:11], 0
.LBB213_688:
	s_and_b64 vcc, exec, s[10:11]
	s_cbranch_vccz .LBB213_691
; %bb.689:
	v_mov_b32_e32 v1, 29
	v_cmp_eq_u16_sdwa s[10:11], v32, v1 src0_sel:BYTE_0 src1_sel:DWORD
	s_mov_b64 s[6:7], -1
	s_and_b64 vcc, exec, s[10:11]
	s_cbranch_vccz .LBB213_691
; %bb.690:
	v_lshlrev_b32_e32 v1, 16, v0
	v_trunc_f32_e32 v1, v1
	v_mul_f32_e32 v4, 0x2f800000, v1
	v_floor_f32_e32 v4, v4
	v_fmac_f32_e32 v1, 0xcf800000, v4
	v_cvt_u32_f32_e32 v5, v4
	v_cvt_u32_f32_e32 v4, v1
	s_mov_b64 s[8:9], -1
	s_mov_b64 s[6:7], 0
	s_mov_b64 s[10:11], 0
	global_store_dwordx2 v[2:3], v[4:5], off
	s_branch .LBB213_692
.LBB213_691:
	s_mov_b64 s[10:11], 0
.LBB213_692:
	s_and_b64 vcc, exec, s[10:11]
	s_cbranch_vccz .LBB213_708
; %bb.693:
	v_mov_b32_e32 v1, 27
	v_cmp_lt_i16_sdwa s[10:11], v32, v1 src0_sel:BYTE_0 src1_sel:DWORD
	s_mov_b64 s[8:9], -1
	s_and_b64 vcc, exec, s[10:11]
	s_cbranch_vccnz .LBB213_699
; %bb.694:
	v_cmp_gt_i16_sdwa s[10:11], v32, v1 src0_sel:BYTE_0 src1_sel:DWORD
	s_and_b64 vcc, exec, s[10:11]
	s_cbranch_vccz .LBB213_696
; %bb.695:
	v_lshlrev_b32_e32 v1, 16, v0
	v_cvt_u32_f32_e32 v1, v1
	s_mov_b64 s[8:9], 0
	global_store_dword v[2:3], v1, off
.LBB213_696:
	s_andn2_b64 vcc, exec, s[8:9]
	s_cbranch_vccnz .LBB213_698
; %bb.697:
	v_lshlrev_b32_e32 v1, 16, v0
	v_cvt_u32_f32_e32 v1, v1
	global_store_short v[2:3], v1, off
.LBB213_698:
	s_mov_b64 s[8:9], 0
.LBB213_699:
	s_andn2_b64 vcc, exec, s[8:9]
	s_cbranch_vccnz .LBB213_707
; %bb.700:
	v_lshlrev_b32_e32 v5, 16, v0
	v_and_b32_e32 v4, 0x7fffffff, v5
	s_mov_b32 s8, 0x43800000
	v_cmp_gt_u32_e32 vcc, s8, v4
	v_mov_b32_e32 v6, 0x80
	s_and_saveexec_b64 s[8:9], vcc
	s_cbranch_execz .LBB213_706
; %bb.701:
	s_mov_b32 s10, 0x3bffffff
	v_and_b32_e32 v1, 0xffff, v0
	v_cmp_lt_u32_e32 vcc, s10, v4
	s_mov_b64 s[10:11], 0
                                        ; implicit-def: $vgpr4
	s_and_saveexec_b64 s[12:13], vcc
	s_xor_b64 s[12:13], exec, s[12:13]
	s_cbranch_execz .LBB213_819
; %bb.702:
	v_bfe_u32 v4, v1, 4, 1
	s_mov_b32 s14, 0x487ffff
	v_add3_u32 v4, v5, v4, s14
	s_mov_b64 s[10:11], exec
	v_lshrrev_b32_e32 v4, 20, v4
                                        ; implicit-def: $vgpr5
	s_or_saveexec_b64 s[12:13], s[12:13]
                                        ; implicit-def: $sgpr14
	s_xor_b64 exec, exec, s[12:13]
	s_cbranch_execnz .LBB213_820
.LBB213_703:
	s_or_b64 exec, exec, s[12:13]
	v_mov_b32_e32 v6, s14
	s_and_saveexec_b64 s[12:13], s[10:11]
.LBB213_704:
	v_lshrrev_b32_e32 v1, 8, v1
	s_movk_i32 s10, 0x80
	v_and_or_b32 v6, v1, s10, v4
.LBB213_705:
	s_or_b64 exec, exec, s[12:13]
.LBB213_706:
	s_or_b64 exec, exec, s[8:9]
	global_store_byte v[2:3], v6, off
.LBB213_707:
	s_mov_b64 s[8:9], -1
.LBB213_708:
	s_mov_b64 s[10:11], 0
.LBB213_709:
	s_and_b64 vcc, exec, s[10:11]
	s_cbranch_vccz .LBB213_750
; %bb.710:
	v_mov_b32_e32 v1, 22
	v_cmp_gt_i16_sdwa s[12:13], v32, v1 src0_sel:BYTE_0 src1_sel:DWORD
	s_mov_b64 s[10:11], -1
	s_and_b64 vcc, exec, s[12:13]
	s_cbranch_vccz .LBB213_742
; %bb.711:
	v_mov_b32_e32 v1, 24
	v_cmp_lt_i16_sdwa s[10:11], v32, v1 src0_sel:BYTE_0 src1_sel:DWORD
	s_mov_b64 s[8:9], -1
	s_and_b64 vcc, exec, s[10:11]
	s_cbranch_vccnz .LBB213_731
; %bb.712:
	v_cmp_gt_i16_sdwa s[10:11], v32, v1 src0_sel:BYTE_0 src1_sel:DWORD
	s_and_b64 vcc, exec, s[10:11]
	s_cbranch_vccz .LBB213_720
; %bb.713:
	v_lshlrev_b32_e32 v5, 16, v0
	v_and_b32_e32 v4, 0x7fffffff, v5
	s_mov_b32 s8, 0x47800000
	v_cmp_gt_u32_e32 vcc, s8, v4
	v_mov_b32_e32 v6, 0x80
	s_and_saveexec_b64 s[8:9], vcc
	s_cbranch_execz .LBB213_719
; %bb.714:
	s_mov_b32 s10, 0x37ffffff
	v_and_b32_e32 v1, 0xffff, v0
	v_cmp_lt_u32_e32 vcc, s10, v4
	s_mov_b64 s[10:11], 0
                                        ; implicit-def: $vgpr4
	s_and_saveexec_b64 s[12:13], vcc
	s_xor_b64 s[12:13], exec, s[12:13]
	s_cbranch_execz .LBB213_951
; %bb.715:
	v_bfe_u32 v4, v1, 5, 1
	s_mov_b32 s14, 0x88fffff
	v_add3_u32 v4, v5, v4, s14
	s_mov_b64 s[10:11], exec
	v_lshrrev_b32_e32 v4, 21, v4
                                        ; implicit-def: $vgpr5
	s_or_saveexec_b64 s[12:13], s[12:13]
                                        ; implicit-def: $sgpr14
	s_xor_b64 exec, exec, s[12:13]
	s_cbranch_execnz .LBB213_952
.LBB213_716:
	s_or_b64 exec, exec, s[12:13]
	v_mov_b32_e32 v6, s14
	s_and_saveexec_b64 s[12:13], s[10:11]
.LBB213_717:
	v_lshrrev_b32_e32 v1, 8, v1
	s_movk_i32 s10, 0x80
	v_and_or_b32 v6, v1, s10, v4
.LBB213_718:
	s_or_b64 exec, exec, s[12:13]
.LBB213_719:
	s_or_b64 exec, exec, s[8:9]
	s_mov_b64 s[8:9], 0
	global_store_byte v[2:3], v6, off
.LBB213_720:
	s_and_b64 vcc, exec, s[8:9]
	s_cbranch_vccz .LBB213_730
; %bb.721:
	v_lshlrev_b32_e32 v5, 16, v0
	v_and_b32_e32 v6, 0x7fffffff, v5
	s_mov_b32 s8, 0x43f00000
	v_and_b32_e32 v1, 0xffff, v0
	v_cmp_gt_u32_e32 vcc, s8, v6
                                        ; implicit-def: $vgpr4
	s_and_saveexec_b64 s[8:9], vcc
	s_xor_b64 s[8:9], exec, s[8:9]
	s_cbranch_execz .LBB213_727
; %bb.722:
	s_mov_b32 s10, 0x3c7fffff
	v_cmp_lt_u32_e32 vcc, s10, v6
                                        ; implicit-def: $vgpr4
	s_and_saveexec_b64 s[10:11], vcc
	s_xor_b64 s[10:11], exec, s[10:11]
; %bb.723:
	v_bfe_u32 v4, v1, 4, 1
	s_mov_b32 s12, 0x407ffff
	v_add3_u32 v4, v5, v4, s12
	v_lshrrev_b32_e32 v5, 20, v4
	v_and_b32_e32 v4, 0xff00000, v4
	s_mov_b32 s12, 0x7f00000
	v_mov_b32_e32 v6, 0x7e
	v_cmp_ne_u32_e32 vcc, s12, v4
	v_cndmask_b32_e32 v4, v6, v5, vcc
                                        ; implicit-def: $vgpr5
; %bb.724:
	s_andn2_saveexec_b64 s[10:11], s[10:11]
; %bb.725:
	s_mov_b32 s12, 0x46800000
	v_add_f32_e64 v4, |v5|, s12
; %bb.726:
	s_or_b64 exec, exec, s[10:11]
                                        ; implicit-def: $vgpr6
.LBB213_727:
	s_andn2_saveexec_b64 s[8:9], s[8:9]
; %bb.728:
	s_mov_b32 s10, 0x7f800000
	v_mov_b32_e32 v4, 0x7e
	v_mov_b32_e32 v5, 0x7f
	v_cmp_lt_u32_e32 vcc, s10, v6
	v_cndmask_b32_e32 v4, v4, v5, vcc
; %bb.729:
	s_or_b64 exec, exec, s[8:9]
	v_lshrrev_b32_e32 v1, 8, v1
	s_movk_i32 s8, 0x80
	v_and_or_b32 v1, v1, s8, v4
	global_store_byte v[2:3], v1, off
.LBB213_730:
	s_mov_b64 s[8:9], 0
.LBB213_731:
	s_andn2_b64 vcc, exec, s[8:9]
	s_cbranch_vccnz .LBB213_741
; %bb.732:
	v_lshlrev_b32_e32 v5, 16, v0
	v_and_b32_e32 v6, 0x7fffffff, v5
	s_mov_b32 s8, 0x47800000
	v_and_b32_e32 v1, 0xffff, v0
	v_cmp_gt_u32_e32 vcc, s8, v6
                                        ; implicit-def: $vgpr4
	s_and_saveexec_b64 s[8:9], vcc
	s_xor_b64 s[8:9], exec, s[8:9]
	s_cbranch_execz .LBB213_738
; %bb.733:
	s_mov_b32 s10, 0x387fffff
	v_cmp_lt_u32_e32 vcc, s10, v6
                                        ; implicit-def: $vgpr4
	s_and_saveexec_b64 s[10:11], vcc
	s_xor_b64 s[10:11], exec, s[10:11]
; %bb.734:
	v_bfe_u32 v4, v1, 5, 1
	s_mov_b32 s12, 0x80fffff
	v_add3_u32 v4, v5, v4, s12
	v_lshrrev_b32_e32 v4, 21, v4
                                        ; implicit-def: $vgpr5
; %bb.735:
	s_andn2_saveexec_b64 s[10:11], s[10:11]
; %bb.736:
	s_mov_b32 s12, 0x43000000
	v_add_f32_e64 v4, |v5|, s12
; %bb.737:
	s_or_b64 exec, exec, s[10:11]
                                        ; implicit-def: $vgpr6
.LBB213_738:
	s_andn2_saveexec_b64 s[8:9], s[8:9]
; %bb.739:
	s_mov_b32 s10, 0x7f800000
	v_mov_b32_e32 v4, 0x7c
	v_mov_b32_e32 v5, 0x7f
	v_cmp_lt_u32_e32 vcc, s10, v6
	v_cndmask_b32_e32 v4, v4, v5, vcc
; %bb.740:
	s_or_b64 exec, exec, s[8:9]
	v_lshrrev_b32_e32 v1, 8, v1
	s_movk_i32 s8, 0x80
	v_and_or_b32 v1, v1, s8, v4
	global_store_byte v[2:3], v1, off
.LBB213_741:
	s_mov_b64 s[10:11], 0
	s_mov_b64 s[8:9], -1
.LBB213_742:
	s_andn2_b64 vcc, exec, s[10:11]
	s_cbranch_vccnz .LBB213_750
; %bb.743:
	v_mov_b32_e32 v1, 14
	v_cmp_gt_i16_sdwa s[12:13], v32, v1 src0_sel:BYTE_0 src1_sel:DWORD
	s_mov_b64 s[10:11], -1
	s_and_b64 vcc, exec, s[12:13]
	s_cbranch_vccz .LBB213_747
; %bb.744:
	v_mov_b32_e32 v1, 15
	v_cmp_eq_u16_sdwa s[10:11], v32, v1 src0_sel:BYTE_0 src1_sel:DWORD
	s_mov_b64 s[6:7], -1
	s_and_b64 vcc, exec, s[10:11]
	s_cbranch_vccz .LBB213_746
; %bb.745:
	global_store_short v[2:3], v0, off
	s_mov_b64 s[8:9], -1
	s_mov_b64 s[6:7], 0
.LBB213_746:
	s_mov_b64 s[10:11], 0
.LBB213_747:
	s_and_b64 vcc, exec, s[10:11]
	s_cbranch_vccz .LBB213_750
; %bb.748:
	v_mov_b32_e32 v1, 11
	v_cmp_eq_u16_sdwa s[10:11], v32, v1 src0_sel:BYTE_0 src1_sel:DWORD
	s_mov_b64 s[6:7], -1
	s_and_b64 vcc, exec, s[10:11]
	s_cbranch_vccz .LBB213_750
; %bb.749:
	v_and_b32_e32 v1, 0x7fff, v0
	v_cmp_ne_u16_e32 vcc, 0, v1
	v_cndmask_b32_e64 v1, 0, 1, vcc
	s_mov_b64 s[8:9], -1
	s_mov_b64 s[6:7], 0
	global_store_byte v[2:3], v1, off
.LBB213_750:
	s_mov_b64 s[10:11], 0
.LBB213_751:
	s_and_b64 vcc, exec, s[10:11]
	s_cbranch_vccz .LBB213_790
; %bb.752:
	v_mov_b32_e32 v1, 5
	v_cmp_lt_i16_sdwa s[10:11], v32, v1 src0_sel:BYTE_0 src1_sel:DWORD
	s_mov_b64 s[8:9], -1
	s_and_b64 vcc, exec, s[10:11]
	s_cbranch_vccnz .LBB213_773
; %bb.753:
	v_mov_b32_e32 v1, 8
	v_cmp_lt_i16_sdwa s[10:11], v32, v1 src0_sel:BYTE_0 src1_sel:DWORD
	s_and_b64 vcc, exec, s[10:11]
	s_cbranch_vccnz .LBB213_763
; %bb.754:
	v_mov_b32_e32 v1, 9
	v_cmp_lt_i16_sdwa s[10:11], v32, v1 src0_sel:BYTE_0 src1_sel:DWORD
	s_and_b64 vcc, exec, s[10:11]
	s_cbranch_vccnz .LBB213_760
; %bb.755:
	v_cmp_gt_i16_sdwa s[10:11], v32, v1 src0_sel:BYTE_0 src1_sel:DWORD
	s_and_b64 vcc, exec, s[10:11]
	s_cbranch_vccz .LBB213_757
; %bb.756:
	v_lshlrev_b32_e32 v1, 16, v0
	v_mov_b32_e32 v6, 0
	v_cvt_f64_f32_e32 v[4:5], v1
	v_mov_b32_e32 v7, v6
	s_mov_b64 s[8:9], 0
	global_store_dwordx4 v[2:3], v[4:7], off
.LBB213_757:
	s_andn2_b64 vcc, exec, s[8:9]
	s_cbranch_vccnz .LBB213_759
; %bb.758:
	v_lshlrev_b32_e32 v4, 16, v0
	v_mov_b32_e32 v5, 0
	global_store_dwordx2 v[2:3], v[4:5], off
.LBB213_759:
	s_mov_b64 s[8:9], 0
.LBB213_760:
	s_andn2_b64 vcc, exec, s[8:9]
	s_cbranch_vccnz .LBB213_762
; %bb.761:
	v_lshlrev_b32_e32 v1, 16, v0
	v_cvt_f16_f32_e32 v1, v1
	global_store_dword v[2:3], v1, off
.LBB213_762:
	s_mov_b64 s[8:9], 0
.LBB213_763:
	s_andn2_b64 vcc, exec, s[8:9]
	s_cbranch_vccnz .LBB213_772
; %bb.764:
	v_mov_b32_e32 v1, 6
	v_cmp_lt_i16_sdwa s[10:11], v32, v1 src0_sel:BYTE_0 src1_sel:DWORD
	s_mov_b64 s[8:9], -1
	s_and_b64 vcc, exec, s[10:11]
	s_cbranch_vccnz .LBB213_770
; %bb.765:
	v_cmp_gt_i16_sdwa s[10:11], v32, v1 src0_sel:BYTE_0 src1_sel:DWORD
	s_and_b64 vcc, exec, s[10:11]
	s_cbranch_vccz .LBB213_767
; %bb.766:
	v_lshlrev_b32_e32 v1, 16, v0
	v_cvt_f64_f32_e32 v[4:5], v1
	s_mov_b64 s[8:9], 0
	global_store_dwordx2 v[2:3], v[4:5], off
.LBB213_767:
	s_andn2_b64 vcc, exec, s[8:9]
	s_cbranch_vccnz .LBB213_769
; %bb.768:
	v_lshlrev_b32_e32 v1, 16, v0
	global_store_dword v[2:3], v1, off
.LBB213_769:
	s_mov_b64 s[8:9], 0
.LBB213_770:
	s_andn2_b64 vcc, exec, s[8:9]
	s_cbranch_vccnz .LBB213_772
; %bb.771:
	v_lshlrev_b32_e32 v1, 16, v0
	v_cvt_f16_f32_e32 v1, v1
	global_store_short v[2:3], v1, off
.LBB213_772:
	s_mov_b64 s[8:9], 0
.LBB213_773:
	s_andn2_b64 vcc, exec, s[8:9]
	s_cbranch_vccnz .LBB213_789
; %bb.774:
	v_mov_b32_e32 v1, 2
	v_cmp_lt_i16_sdwa s[10:11], v32, v1 src0_sel:BYTE_0 src1_sel:DWORD
	s_mov_b64 s[8:9], -1
	s_and_b64 vcc, exec, s[10:11]
	s_cbranch_vccnz .LBB213_784
; %bb.775:
	v_mov_b32_e32 v1, 3
	v_cmp_lt_i16_sdwa s[10:11], v32, v1 src0_sel:BYTE_0 src1_sel:DWORD
	s_and_b64 vcc, exec, s[10:11]
	s_cbranch_vccnz .LBB213_781
; %bb.776:
	v_cmp_gt_i16_sdwa s[10:11], v32, v1 src0_sel:BYTE_0 src1_sel:DWORD
	s_and_b64 vcc, exec, s[10:11]
	s_cbranch_vccz .LBB213_778
; %bb.777:
	v_lshlrev_b32_e32 v1, 16, v0
	v_trunc_f32_e32 v1, v1
	s_mov_b32 s8, 0x2f800000
	v_mul_f32_e64 v4, |v1|, s8
	v_floor_f32_e32 v4, v4
	s_mov_b32 s8, 0xcf800000
	v_cvt_u32_f32_e32 v5, v4
	v_fma_f32 v4, v4, s8, |v1|
	v_cvt_u32_f32_e32 v4, v4
	v_ashrrev_i32_e32 v1, 31, v1
	v_xor_b32_e32 v5, v5, v1
	s_mov_b64 s[8:9], 0
	v_xor_b32_e32 v4, v4, v1
	v_sub_co_u32_e32 v4, vcc, v4, v1
	v_subb_co_u32_e32 v5, vcc, v5, v1, vcc
	global_store_dwordx2 v[2:3], v[4:5], off
.LBB213_778:
	s_andn2_b64 vcc, exec, s[8:9]
	s_cbranch_vccnz .LBB213_780
; %bb.779:
	v_lshlrev_b32_e32 v1, 16, v0
	v_cvt_i32_f32_e32 v1, v1
	global_store_dword v[2:3], v1, off
.LBB213_780:
	s_mov_b64 s[8:9], 0
.LBB213_781:
	s_andn2_b64 vcc, exec, s[8:9]
	s_cbranch_vccnz .LBB213_783
; %bb.782:
	v_lshlrev_b32_e32 v1, 16, v0
	v_cvt_i32_f32_e32 v1, v1
	global_store_short v[2:3], v1, off
.LBB213_783:
	s_mov_b64 s[8:9], 0
.LBB213_784:
	s_andn2_b64 vcc, exec, s[8:9]
	s_cbranch_vccnz .LBB213_789
; %bb.785:
	v_mov_b32_e32 v1, 0
	v_cmp_gt_i16_sdwa s[10:11], v32, v1 src0_sel:BYTE_0 src1_sel:DWORD
	s_mov_b64 s[8:9], -1
	s_and_b64 vcc, exec, s[10:11]
	v_lshlrev_b32_e32 v0, 16, v0
	s_cbranch_vccz .LBB213_787
; %bb.786:
	v_cvt_i32_f32_e32 v1, v0
	s_mov_b64 s[8:9], 0
	global_store_byte v[2:3], v1, off
.LBB213_787:
	s_andn2_b64 vcc, exec, s[8:9]
	s_cbranch_vccnz .LBB213_789
; %bb.788:
	v_trunc_f32_e32 v0, v0
	s_mov_b32 s8, 0x2f800000
	v_mul_f32_e64 v1, |v0|, s8
	v_floor_f32_e32 v1, v1
	s_mov_b32 s8, 0xcf800000
	v_fma_f32 v1, v1, s8, |v0|
	v_cvt_u32_f32_e32 v1, v1
	v_ashrrev_i32_e32 v0, 31, v0
	v_xor_b32_e32 v1, v1, v0
	v_sub_u32_e32 v0, v1, v0
	global_store_byte v[2:3], v0, off
.LBB213_789:
	s_mov_b64 s[8:9], -1
.LBB213_790:
	s_andn2_b64 vcc, exec, s[8:9]
	s_cbranch_vccnz .LBB213_814
; %bb.791:
	v_add_u32_e32 v34, 0x80, v34
	s_mov_b64 s[8:9], -1
.LBB213_792:
	s_andn2_b64 s[10:11], s[56:57], exec
	s_and_b64 s[6:7], s[6:7], exec
	s_or_b64 s[68:69], s[10:11], s[6:7]
	s_andn2_b64 s[6:7], s[58:59], exec
	s_and_b64 s[10:11], s[66:67], exec
	s_or_b64 s[66:67], s[6:7], s[10:11]
	;; [unrolled: 3-line block ×3, first 2 shown]
	s_orn2_b64 s[6:7], s[8:9], exec
.LBB213_793:
	s_or_b64 exec, exec, s[70:71]
	s_mov_b64 s[12:13], 0
	s_mov_b64 s[10:11], 0
	;; [unrolled: 1-line block ×3, first 2 shown]
                                        ; implicit-def: $vgpr1
                                        ; implicit-def: $vgpr4_vgpr5
                                        ; implicit-def: $vgpr2
                                        ; implicit-def: $vgpr30
                                        ; implicit-def: $vgpr0
	s_and_saveexec_b64 s[70:71], s[6:7]
	s_cbranch_execz .LBB213_1288
; %bb.794:
	v_cmp_gt_i32_e32 vcc, s82, v34
	s_mov_b64 s[20:21], -1
	s_mov_b64 s[6:7], s[64:65]
	s_mov_b64 s[8:9], s[66:67]
	;; [unrolled: 1-line block ×3, first 2 shown]
	s_and_saveexec_b64 s[72:73], vcc
	s_cbranch_execz .LBB213_1193
; %bb.795:
	s_andn2_b64 vcc, exec, s[34:35]
	s_cbranch_vccnz .LBB213_802
; %bb.796:
	s_andn2_b64 vcc, exec, s[54:55]
	v_mov_b32_e32 v2, 0
	s_waitcnt vmcnt(0)
	v_mov_b32_e32 v0, 0
	v_mov_b32_e32 v30, 0
	s_cbranch_vccnz .LBB213_801
; %bb.797:
	s_add_i32 s6, s81, 1
	s_and_b32 s8, s6, 30
	s_add_u32 s6, s22, 0xffffffec
	s_addc_u32 s7, s23, -1
	v_mov_b32_e32 v30, 0
	v_mov_b32_e32 v1, v34
	v_mov_b32_e32 v0, 0
	v_mov_b32_e32 v2, 0
.LBB213_798:                            ; =>This Inner Loop Header: Depth=1
	s_mov_b64 s[10:11], s[6:7]
	s_load_dwordx4 s[12:15], s[10:11], 0x18
	s_load_dwordx2 s[20:21], s[10:11], 0x28
	s_load_dwordx2 s[30:31], s[10:11], 0xe8
	s_load_dwordx4 s[16:19], s[10:11], 0xd8
	s_add_u32 s6, s10, 24
	s_waitcnt lgkmcnt(0)
	v_mul_hi_u32 v3, s13, v1
	v_add_u32_e32 v3, v1, v3
	v_lshrrev_b32_e32 v3, s14, v3
	v_mul_lo_u32 v4, v3, s12
	v_mul_hi_u32 v5, s20, v3
	v_sub_u32_e32 v1, v1, v4
	v_add_u32_e32 v4, v3, v5
	v_mul_lo_u32 v5, v1, s16
	v_mul_lo_u32 v6, v1, s17
	;; [unrolled: 1-line block ×3, first 2 shown]
	v_lshrrev_b32_e32 v1, s21, v4
	v_mul_lo_u32 v4, v1, s15
	v_sub_u32_e32 v3, v3, v4
	s_addc_u32 s7, s11, 0
	s_add_i32 s8, s8, -2
	v_mul_lo_u32 v4, v3, s19
	v_mul_lo_u32 v8, v3, s30
	;; [unrolled: 1-line block ×3, first 2 shown]
	s_cmp_eq_u32 s8, 0
	v_add3_u32 v30, v5, v30, v4
	v_add3_u32 v2, v7, v2, v3
	;; [unrolled: 1-line block ×3, first 2 shown]
	s_cbranch_scc0 .LBB213_798
; %bb.799:
	s_bitcmp1_b32 s81, 0
	s_cselect_b64 s[8:9], -1, 0
	s_and_b64 vcc, exec, s[8:9]
	s_cbranch_vccnz .LBB213_801
; %bb.800:
	s_load_dwordx2 s[8:9], s[6:7], 0x18
	s_load_dword s10, s[6:7], 0x20
	s_load_dword s11, s[6:7], 0xe0
	s_nop 0
	s_load_dwordx2 s[6:7], s[6:7], 0xd8
	s_waitcnt lgkmcnt(0)
	v_mul_hi_u32 v3, s9, v1
	v_add_u32_e32 v3, v1, v3
	v_lshrrev_b32_e32 v3, s10, v3
	v_mul_lo_u32 v3, v3, s8
	v_sub_u32_e32 v3, v1, v3
	v_mad_u64_u32 v[30:31], s[8:9], v3, s6, v[30:31]
	v_mad_u64_u32 v[0:1], s[6:7], v3, s7, v[0:1]
	;; [unrolled: 1-line block ×3, first 2 shown]
.LBB213_801:
	s_mov_b64 s[6:7], 0
	s_branch .LBB213_803
.LBB213_802:
	s_mov_b64 s[6:7], -1
                                        ; implicit-def: $vgpr2
                                        ; implicit-def: $vgpr0
                                        ; implicit-def: $vgpr30
.LBB213_803:
	s_andn2_b64 vcc, exec, s[6:7]
	s_cbranch_vccnz .LBB213_806
; %bb.804:
	s_waitcnt vmcnt(0) lgkmcnt(0)
	v_mul_hi_u32 v0, s41, v34
	v_add_u32_e32 v0, v34, v0
	v_lshrrev_b32_e32 v1, s42, v0
	v_mul_lo_u32 v0, v1, s40
	v_sub_u32_e32 v0, v34, v0
	v_mul_lo_u32 v30, v0, s36
	v_mul_lo_u32 v2, v0, s38
	s_andn2_b64 vcc, exec, s[52:53]
	v_mul_lo_u32 v0, v0, s37
	s_cbranch_vccnz .LBB213_806
; %bb.805:
	v_mul_hi_u32 v3, s50, v1
	v_add_u32_e32 v3, v1, v3
	v_lshrrev_b32_e32 v3, s51, v3
	v_mul_lo_u32 v3, v3, s43
	v_sub_u32_e32 v3, v1, v3
	v_mad_u64_u32 v[30:31], s[6:7], v3, s39, v[30:31]
	v_mad_u64_u32 v[0:1], s[6:7], v3, s48, v[0:1]
	;; [unrolled: 1-line block ×3, first 2 shown]
.LBB213_806:
	s_waitcnt vmcnt(0) lgkmcnt(0)
	v_mov_b32_e32 v1, s27
	v_add_co_u32_e32 v4, vcc, s26, v0
	v_mov_b32_e32 v0, 11
	v_addc_co_u32_e32 v5, vcc, 0, v1, vcc
	v_cmp_lt_i16_sdwa s[6:7], v35, v0 src0_sel:BYTE_0 src1_sel:DWORD
	s_and_b64 vcc, exec, s[6:7]
	s_cbranch_vccnz .LBB213_813
; %bb.807:
	v_mov_b32_e32 v0, 25
	v_cmp_gt_i16_sdwa s[6:7], v35, v0 src0_sel:BYTE_0 src1_sel:DWORD
	s_and_b64 vcc, exec, s[6:7]
	s_cbranch_vccz .LBB213_815
; %bb.808:
	v_mov_b32_e32 v0, 28
	v_cmp_gt_i16_sdwa s[6:7], v35, v0 src0_sel:BYTE_0 src1_sel:DWORD
	s_and_b64 vcc, exec, s[6:7]
	s_cbranch_vccz .LBB213_816
	;; [unrolled: 5-line block ×4, first 2 shown]
; %bb.811:
	v_mov_b32_e32 v0, 46
	v_cmp_eq_u16_sdwa s[6:7], v35, v0 src0_sel:BYTE_0 src1_sel:DWORD
	s_mov_b64 s[8:9], 0
	s_and_b64 vcc, exec, s[6:7]
	s_cbranch_vccz .LBB213_821
; %bb.812:
	global_load_dword v0, v[4:5], off
	s_mov_b64 s[6:7], -1
	s_mov_b64 s[74:75], 0
	s_branch .LBB213_822
.LBB213_813:
	s_mov_b64 s[8:9], -1
	s_mov_b64 s[6:7], 0
                                        ; implicit-def: $vgpr0
	s_mov_b64 s[74:75], s[64:65]
	s_branch .LBB213_887
.LBB213_814:
	s_mov_b64 s[8:9], 0
	s_branch .LBB213_550
.LBB213_815:
	s_mov_b64 s[8:9], -1
	s_mov_b64 s[6:7], 0
	s_mov_b64 s[74:75], s[64:65]
                                        ; implicit-def: $vgpr0
	s_branch .LBB213_851
.LBB213_816:
	s_mov_b64 s[8:9], -1
	s_mov_b64 s[6:7], 0
	s_mov_b64 s[74:75], s[64:65]
                                        ; implicit-def: $vgpr0
	s_branch .LBB213_832
.LBB213_817:
	s_mov_b64 s[8:9], -1
	s_mov_b64 s[6:7], 0
	s_mov_b64 s[74:75], s[64:65]
                                        ; implicit-def: $vgpr0
	s_branch .LBB213_827
.LBB213_818:
	s_mov_b64 s[8:9], -1
	s_mov_b64 s[6:7], 0
	s_mov_b64 s[74:75], s[64:65]
                                        ; implicit-def: $vgpr0
	s_branch .LBB213_822
.LBB213_819:
	s_or_saveexec_b64 s[12:13], s[12:13]
                                        ; implicit-def: $sgpr14
	s_xor_b64 exec, exec, s[12:13]
	s_cbranch_execz .LBB213_703
.LBB213_820:
	s_mov_b32 s14, 0x46000000
	v_add_f32_e64 v4, |v5|, s14
	v_and_b32_e32 v4, 0xff, v4
	v_cmp_ne_u32_e32 vcc, 0, v4
	s_andn2_b64 s[10:11], s[10:11], exec
	s_and_b64 s[16:17], vcc, exec
	s_mov_b32 s14, 0
	s_or_b64 s[10:11], s[10:11], s[16:17]
	s_or_b64 exec, exec, s[12:13]
	v_mov_b32_e32 v6, s14
	s_and_saveexec_b64 s[12:13], s[10:11]
	s_cbranch_execnz .LBB213_704
	s_branch .LBB213_705
.LBB213_821:
	s_mov_b64 s[74:75], -1
                                        ; implicit-def: $vgpr0
	s_mov_b64 s[6:7], 0
.LBB213_822:
	s_and_b64 vcc, exec, s[8:9]
	s_cbranch_vccz .LBB213_826
; %bb.823:
	s_waitcnt vmcnt(0)
	v_mov_b32_e32 v0, 44
	v_cmp_eq_u16_sdwa s[8:9], v35, v0 src0_sel:BYTE_0 src1_sel:DWORD
	s_and_b64 vcc, exec, s[8:9]
	s_cbranch_vccz .LBB213_825
; %bb.824:
	global_load_ubyte v0, v[4:5], off
	s_movk_i32 s8, 0xff
	v_mov_b32_e32 v1, 0x7f800001
	v_mov_b32_e32 v3, 0x400000
	;; [unrolled: 1-line block ×3, first 2 shown]
	s_mov_b64 s[6:7], -1
	s_mov_b64 s[74:75], 0
	s_waitcnt vmcnt(0)
	v_lshlrev_b32_e32 v7, 23, v0
	v_cmp_ne_u32_e32 vcc, s8, v0
	v_cndmask_b32_e32 v1, v1, v7, vcc
	v_cmp_ne_u32_e32 vcc, 0, v0
	v_cndmask_b32_e32 v0, v3, v1, vcc
	v_add_u32_e32 v1, 0x7fff, v0
	v_lshrrev_b32_e32 v1, 16, v1
	v_cmp_o_f32_e32 vcc, v0, v0
	v_cndmask_b32_e32 v0, v6, v1, vcc
	s_branch .LBB213_826
.LBB213_825:
	s_mov_b64 s[74:75], -1
                                        ; implicit-def: $vgpr0
.LBB213_826:
	s_mov_b64 s[8:9], 0
.LBB213_827:
	s_and_b64 vcc, exec, s[8:9]
	s_cbranch_vccz .LBB213_831
; %bb.828:
	s_waitcnt vmcnt(0)
	v_mov_b32_e32 v0, 29
	v_cmp_eq_u16_sdwa s[8:9], v35, v0 src0_sel:BYTE_0 src1_sel:DWORD
	s_and_b64 vcc, exec, s[8:9]
	s_cbranch_vccz .LBB213_830
; %bb.829:
	global_load_dwordx2 v[0:1], v[4:5], off
	s_movk_i32 s8, 0x7fff
	s_mov_b64 s[6:7], -1
	s_mov_b64 s[74:75], 0
	s_waitcnt vmcnt(0)
	v_ffbh_u32_e32 v3, v1
	v_min_u32_e32 v3, 32, v3
	v_lshlrev_b64 v[0:1], v3, v[0:1]
	v_min_u32_e32 v0, 1, v0
	v_or_b32_e32 v0, v1, v0
	v_cvt_f32_u32_e32 v0, v0
	v_sub_u32_e32 v1, 32, v3
	v_ldexp_f32 v0, v0, v1
	v_bfe_u32 v1, v0, 16, 1
	v_add3_u32 v0, v0, v1, s8
	v_lshrrev_b32_e32 v0, 16, v0
	s_branch .LBB213_831
.LBB213_830:
	s_mov_b64 s[74:75], -1
                                        ; implicit-def: $vgpr0
.LBB213_831:
	s_mov_b64 s[8:9], 0
.LBB213_832:
	s_and_b64 vcc, exec, s[8:9]
	s_cbranch_vccz .LBB213_850
; %bb.833:
	s_waitcnt vmcnt(0)
	v_mov_b32_e32 v0, 27
	v_cmp_lt_i16_sdwa s[6:7], v35, v0 src0_sel:BYTE_0 src1_sel:DWORD
	s_and_b64 vcc, exec, s[6:7]
	s_cbranch_vccnz .LBB213_836
; %bb.834:
	v_cmp_gt_i16_sdwa s[6:7], v35, v0 src0_sel:BYTE_0 src1_sel:DWORD
	s_and_b64 vcc, exec, s[6:7]
	s_cbranch_vccz .LBB213_837
; %bb.835:
	global_load_dword v0, v[4:5], off
	s_movk_i32 s6, 0x7fff
	s_waitcnt vmcnt(0)
	v_cvt_f32_u32_e32 v0, v0
	v_bfe_u32 v1, v0, 16, 1
	v_add3_u32 v0, v0, v1, s6
	v_lshrrev_b32_e32 v0, 16, v0
	s_mov_b64 s[6:7], 0
	s_branch .LBB213_838
.LBB213_836:
	s_mov_b64 s[6:7], -1
                                        ; implicit-def: $vgpr0
	s_branch .LBB213_841
.LBB213_837:
	s_mov_b64 s[6:7], -1
                                        ; implicit-def: $vgpr0
.LBB213_838:
	s_andn2_b64 vcc, exec, s[6:7]
	s_cbranch_vccnz .LBB213_840
; %bb.839:
	global_load_ushort v0, v[4:5], off
	s_movk_i32 s6, 0x7fff
	s_waitcnt vmcnt(0)
	v_cvt_f32_u32_e32 v0, v0
	v_bfe_u32 v1, v0, 16, 1
	v_add3_u32 v0, v0, v1, s6
	v_lshrrev_b32_e32 v0, 16, v0
.LBB213_840:
	s_mov_b64 s[6:7], 0
.LBB213_841:
	s_andn2_b64 vcc, exec, s[6:7]
	s_cbranch_vccnz .LBB213_849
; %bb.842:
	global_load_ubyte v0, v[4:5], off
	s_movk_i32 s6, 0x7f
                                        ; implicit-def: $sgpr12
	s_waitcnt vmcnt(0)
	v_cmp_lt_i16_e32 vcc, s6, v0
	s_mov_b64 s[6:7], 0
	s_and_saveexec_b64 s[8:9], vcc
	s_xor_b64 s[8:9], exec, s[8:9]
	s_cbranch_execz .LBB213_863
; %bb.843:
	s_movk_i32 s6, 0x80
	v_cmp_eq_u16_e32 vcc, s6, v0
	s_mov_b64 s[6:7], -1
                                        ; implicit-def: $sgpr12
	s_and_saveexec_b64 s[10:11], vcc
; %bb.844:
	s_mov_b32 s12, 0x7f800001
	s_xor_b64 s[6:7], exec, -1
; %bb.845:
	s_or_b64 exec, exec, s[10:11]
	s_and_b64 s[6:7], s[6:7], exec
	s_or_saveexec_b64 s[8:9], s[8:9]
	v_mov_b32_e32 v1, s12
	s_xor_b64 exec, exec, s[8:9]
	s_cbranch_execnz .LBB213_864
.LBB213_846:
	s_or_b64 exec, exec, s[8:9]
	s_and_saveexec_b64 s[8:9], s[6:7]
	s_cbranch_execz .LBB213_848
.LBB213_847:
	v_lshlrev_b32_e32 v1, 24, v0
	v_and_b32_e32 v0, 0xffff, v0
	v_and_b32_e32 v3, 7, v0
	v_ffbh_u32_e32 v7, v3
	v_min_u32_e32 v7, 32, v7
	v_subrev_u32_e32 v8, 28, v7
	v_bfe_u32 v6, v0, 3, 4
	v_lshlrev_b32_e32 v0, v8, v0
	v_sub_u32_e32 v7, 29, v7
	v_and_b32_e32 v0, 7, v0
	v_cmp_eq_u32_e32 vcc, 0, v6
	v_cndmask_b32_e32 v6, v6, v7, vcc
	v_cndmask_b32_e32 v0, v3, v0, vcc
	v_mov_b32_e32 v3, 0x3b800000
	v_lshlrev_b32_e32 v0, 20, v0
	v_and_b32_e32 v1, 0x80000000, v1
	v_lshl_add_u32 v3, v6, 23, v3
	v_or3_b32 v1, v1, v3, v0
.LBB213_848:
	s_or_b64 exec, exec, s[8:9]
	v_bfe_u32 v0, v1, 16, 1
	s_movk_i32 s6, 0x7fff
	v_add3_u32 v0, v1, v0, s6
	v_lshrrev_b32_e32 v0, 16, v0
	v_mov_b32_e32 v3, 0x7fc0
	v_cmp_o_f32_e32 vcc, v1, v1
	v_cndmask_b32_e32 v0, v3, v0, vcc
.LBB213_849:
	s_mov_b64 s[6:7], -1
.LBB213_850:
	s_mov_b64 s[8:9], 0
.LBB213_851:
	s_and_b64 vcc, exec, s[8:9]
	s_cbranch_vccz .LBB213_886
; %bb.852:
	s_waitcnt vmcnt(0)
	v_mov_b32_e32 v0, 22
	v_cmp_gt_i16_sdwa s[8:9], v35, v0 src0_sel:BYTE_0 src1_sel:DWORD
	s_and_b64 vcc, exec, s[8:9]
	s_cbranch_vccz .LBB213_862
; %bb.853:
	v_mov_b32_e32 v0, 24
	v_cmp_lt_i16_sdwa s[6:7], v35, v0 src0_sel:BYTE_0 src1_sel:DWORD
	s_and_b64 vcc, exec, s[6:7]
	s_cbranch_vccnz .LBB213_865
; %bb.854:
	v_cmp_gt_i16_sdwa s[6:7], v35, v0 src0_sel:BYTE_0 src1_sel:DWORD
	s_and_b64 vcc, exec, s[6:7]
	s_cbranch_vccz .LBB213_866
; %bb.855:
	global_load_ubyte v0, v[4:5], off
	s_movk_i32 s6, 0x7f
                                        ; implicit-def: $sgpr12
	s_waitcnt vmcnt(0)
	v_cmp_lt_i16_e32 vcc, s6, v0
	s_mov_b64 s[6:7], 0
	s_and_saveexec_b64 s[8:9], vcc
	s_xor_b64 s[8:9], exec, s[8:9]
	s_cbranch_execz .LBB213_878
; %bb.856:
	s_movk_i32 s6, 0x80
	v_cmp_eq_u16_e32 vcc, s6, v0
	s_mov_b64 s[6:7], -1
                                        ; implicit-def: $sgpr12
	s_and_saveexec_b64 s[10:11], vcc
; %bb.857:
	s_mov_b32 s12, 0x7f800001
	s_xor_b64 s[6:7], exec, -1
; %bb.858:
	s_or_b64 exec, exec, s[10:11]
	s_and_b64 s[6:7], s[6:7], exec
	s_or_saveexec_b64 s[8:9], s[8:9]
	v_mov_b32_e32 v1, s12
	s_xor_b64 exec, exec, s[8:9]
	s_cbranch_execnz .LBB213_879
.LBB213_859:
	s_or_b64 exec, exec, s[8:9]
	s_and_saveexec_b64 s[8:9], s[6:7]
	s_cbranch_execz .LBB213_861
.LBB213_860:
	v_lshlrev_b32_e32 v1, 24, v0
	v_and_b32_e32 v0, 0xffff, v0
	v_and_b32_e32 v3, 3, v0
	v_ffbh_u32_e32 v7, v3
	v_min_u32_e32 v7, 32, v7
	v_subrev_u32_e32 v8, 29, v7
	v_bfe_u32 v6, v0, 2, 5
	v_lshlrev_b32_e32 v0, v8, v0
	v_sub_u32_e32 v7, 30, v7
	v_and_b32_e32 v0, 3, v0
	v_cmp_eq_u32_e32 vcc, 0, v6
	v_cndmask_b32_e32 v6, v6, v7, vcc
	v_cndmask_b32_e32 v0, v3, v0, vcc
	v_mov_b32_e32 v3, 0x37800000
	v_lshlrev_b32_e32 v0, 21, v0
	v_and_b32_e32 v1, 0x80000000, v1
	v_lshl_add_u32 v3, v6, 23, v3
	v_or3_b32 v1, v1, v3, v0
.LBB213_861:
	s_or_b64 exec, exec, s[8:9]
	v_bfe_u32 v0, v1, 16, 1
	s_movk_i32 s6, 0x7fff
	v_add3_u32 v0, v1, v0, s6
	v_lshrrev_b32_e32 v0, 16, v0
	v_mov_b32_e32 v3, 0x7fc0
	v_cmp_o_f32_e32 vcc, v1, v1
	v_cndmask_b32_e32 v0, v3, v0, vcc
	s_mov_b64 s[6:7], 0
	s_branch .LBB213_867
.LBB213_862:
	s_mov_b64 s[8:9], -1
                                        ; implicit-def: $vgpr0
	s_branch .LBB213_873
.LBB213_863:
	s_or_saveexec_b64 s[8:9], s[8:9]
	v_mov_b32_e32 v1, s12
	s_xor_b64 exec, exec, s[8:9]
	s_cbranch_execz .LBB213_846
.LBB213_864:
	v_cmp_ne_u16_e32 vcc, 0, v0
	s_andn2_b64 s[6:7], s[6:7], exec
	s_and_b64 s[10:11], vcc, exec
	v_mov_b32_e32 v1, 0
	s_or_b64 s[6:7], s[6:7], s[10:11]
	s_or_b64 exec, exec, s[8:9]
	s_and_saveexec_b64 s[8:9], s[6:7]
	s_cbranch_execnz .LBB213_847
	s_branch .LBB213_848
.LBB213_865:
	s_mov_b64 s[6:7], -1
                                        ; implicit-def: $vgpr0
	s_branch .LBB213_870
.LBB213_866:
	s_mov_b64 s[6:7], -1
                                        ; implicit-def: $vgpr0
.LBB213_867:
	s_and_b64 vcc, exec, s[6:7]
	s_cbranch_vccz .LBB213_869
; %bb.868:
	global_load_ubyte v0, v[4:5], off
	s_mov_b32 s6, 0x7f800000
	s_brev_b32 s7, 1
	s_movk_i32 s8, 0x7fff
	v_mov_b32_e32 v1, 0x7fc0
	s_waitcnt vmcnt(0)
	v_lshlrev_b32_e32 v0, 24, v0
	v_and_b32_e32 v3, 0x7f000000, v0
	v_ffbh_u32_e32 v6, v3
	v_min_u32_e32 v6, 32, v6
	v_sub_u32_e64 v6, v6, 4 clamp
	v_lshlrev_b32_e32 v8, v6, v3
	v_lshlrev_b32_e32 v6, 23, v6
	v_lshrrev_b32_e32 v8, 4, v8
	v_add_u32_e32 v7, 0x1000000, v3
	v_sub_u32_e32 v6, v8, v6
	v_ashrrev_i32_e32 v7, 8, v7
	v_add_u32_e32 v6, 0x3c000000, v6
	v_and_or_b32 v6, v7, s6, v6
	v_cmp_ne_u32_e32 vcc, 0, v3
	v_cndmask_b32_e32 v3, 0, v6, vcc
	v_and_or_b32 v0, v0, s7, v3
	v_bfe_u32 v3, v3, 16, 1
	v_add3_u32 v3, v0, v3, s8
	v_lshrrev_b32_e32 v3, 16, v3
	v_cmp_o_f32_e32 vcc, v0, v0
	v_cndmask_b32_e32 v0, v1, v3, vcc
.LBB213_869:
	s_mov_b64 s[6:7], 0
.LBB213_870:
	s_andn2_b64 vcc, exec, s[6:7]
	s_cbranch_vccnz .LBB213_872
; %bb.871:
	global_load_ubyte v0, v[4:5], off
	s_movk_i32 s6, 0x7f00
	s_brev_b32 s7, 16
	s_brev_b32 s8, 1
	s_movk_i32 s9, 0x7fff
	v_mov_b32_e32 v1, 0x7fc0
	s_waitcnt vmcnt(0)
	v_lshlrev_b16_e32 v3, 8, v0
	v_lshlrev_b32_e32 v0, 25, v0
	v_lshrrev_b32_e32 v6, 4, v0
	v_and_or_b32 v7, v3, s6, 0.5
	v_or_b32_e32 v6, 0x70000000, v6
	v_add_f32_e32 v7, -0.5, v7
	v_mul_f32_e32 v6, 0x7800000, v6
	v_cmp_gt_u32_e32 vcc, s7, v0
	v_bfe_i32 v3, v3, 0, 16
	v_cndmask_b32_e32 v0, v6, v7, vcc
	v_and_or_b32 v3, v3, s8, v0
	v_bfe_u32 v0, v0, 16, 1
	v_add3_u32 v0, v3, v0, s9
	v_lshrrev_b32_e32 v0, 16, v0
	v_cmp_o_f32_e32 vcc, v3, v3
	v_cndmask_b32_e32 v0, v1, v0, vcc
.LBB213_872:
	s_mov_b64 s[8:9], 0
	s_mov_b64 s[6:7], -1
.LBB213_873:
	s_andn2_b64 vcc, exec, s[8:9]
	s_cbranch_vccnz .LBB213_886
; %bb.874:
	v_mov_b32_e32 v0, 14
	v_cmp_gt_i16_sdwa s[8:9], v35, v0 src0_sel:BYTE_0 src1_sel:DWORD
	s_and_b64 vcc, exec, s[8:9]
	s_cbranch_vccz .LBB213_877
; %bb.875:
	v_mov_b32_e32 v0, 15
	v_cmp_eq_u16_sdwa s[8:9], v35, v0 src0_sel:BYTE_0 src1_sel:DWORD
	s_and_b64 vcc, exec, s[8:9]
	s_cbranch_vccz .LBB213_880
; %bb.876:
	global_load_ushort v0, v[4:5], off
	s_mov_b64 s[6:7], -1
	s_mov_b64 s[74:75], 0
	s_branch .LBB213_881
.LBB213_877:
	s_mov_b64 s[8:9], -1
                                        ; implicit-def: $vgpr0
	s_branch .LBB213_882
.LBB213_878:
	s_or_saveexec_b64 s[8:9], s[8:9]
	v_mov_b32_e32 v1, s12
	s_xor_b64 exec, exec, s[8:9]
	s_cbranch_execz .LBB213_859
.LBB213_879:
	v_cmp_ne_u16_e32 vcc, 0, v0
	s_andn2_b64 s[6:7], s[6:7], exec
	s_and_b64 s[10:11], vcc, exec
	v_mov_b32_e32 v1, 0
	s_or_b64 s[6:7], s[6:7], s[10:11]
	s_or_b64 exec, exec, s[8:9]
	s_and_saveexec_b64 s[8:9], s[6:7]
	s_cbranch_execnz .LBB213_860
	s_branch .LBB213_861
.LBB213_880:
	s_mov_b64 s[74:75], -1
                                        ; implicit-def: $vgpr0
.LBB213_881:
	s_mov_b64 s[8:9], 0
.LBB213_882:
	s_and_b64 vcc, exec, s[8:9]
	s_cbranch_vccz .LBB213_886
; %bb.883:
	s_waitcnt vmcnt(0)
	v_mov_b32_e32 v0, 11
	v_cmp_eq_u16_sdwa s[8:9], v35, v0 src0_sel:BYTE_0 src1_sel:DWORD
	s_and_b64 vcc, exec, s[8:9]
	s_cbranch_vccz .LBB213_885
; %bb.884:
	global_load_ubyte v0, v[4:5], off
	s_mov_b64 s[6:7], -1
	s_mov_b64 s[74:75], 0
	s_waitcnt vmcnt(0)
	v_cmp_ne_u16_e32 vcc, 0, v0
	v_cndmask_b32_e64 v0, 0, 1.0, vcc
	v_lshrrev_b32_e32 v0, 16, v0
	s_branch .LBB213_886
.LBB213_885:
	s_mov_b64 s[74:75], -1
                                        ; implicit-def: $vgpr0
.LBB213_886:
	s_mov_b64 s[8:9], 0
.LBB213_887:
	s_and_b64 vcc, exec, s[8:9]
	s_cbranch_vccz .LBB213_936
; %bb.888:
	s_waitcnt vmcnt(0)
	v_mov_b32_e32 v0, 5
	v_cmp_lt_i16_sdwa s[6:7], v35, v0 src0_sel:BYTE_0 src1_sel:DWORD
	s_and_b64 vcc, exec, s[6:7]
	s_cbranch_vccnz .LBB213_893
; %bb.889:
	v_mov_b32_e32 v0, 8
	v_cmp_lt_i16_sdwa s[6:7], v35, v0 src0_sel:BYTE_0 src1_sel:DWORD
	s_and_b64 vcc, exec, s[6:7]
	s_cbranch_vccnz .LBB213_894
; %bb.890:
	;; [unrolled: 5-line block ×3, first 2 shown]
	v_cmp_gt_i16_sdwa s[6:7], v35, v0 src0_sel:BYTE_0 src1_sel:DWORD
	s_and_b64 vcc, exec, s[6:7]
	s_cbranch_vccz .LBB213_896
; %bb.892:
	global_load_dwordx2 v[0:1], v[4:5], off
	s_movk_i32 s6, 0x7fff
	v_mov_b32_e32 v3, 0x7fc0
	s_waitcnt vmcnt(0)
	v_cvt_f32_f64_e32 v0, v[0:1]
	v_bfe_u32 v1, v0, 16, 1
	v_add3_u32 v1, v0, v1, s6
	v_lshrrev_b32_e32 v1, 16, v1
	v_cmp_o_f32_e32 vcc, v0, v0
	v_cndmask_b32_e32 v0, v3, v1, vcc
	s_mov_b64 s[6:7], 0
	s_branch .LBB213_897
.LBB213_893:
	s_mov_b64 s[6:7], -1
                                        ; implicit-def: $vgpr0
	s_branch .LBB213_915
.LBB213_894:
	s_mov_b64 s[6:7], -1
                                        ; implicit-def: $vgpr0
	s_branch .LBB213_903
.LBB213_895:
	s_mov_b64 s[6:7], -1
                                        ; implicit-def: $vgpr0
	s_branch .LBB213_900
.LBB213_896:
	s_mov_b64 s[6:7], -1
                                        ; implicit-def: $vgpr0
.LBB213_897:
	s_andn2_b64 vcc, exec, s[6:7]
	s_cbranch_vccnz .LBB213_899
; %bb.898:
	global_load_dword v0, v[4:5], off
	s_movk_i32 s6, 0x7fff
	v_mov_b32_e32 v1, 0x7fc0
	s_waitcnt vmcnt(0)
	v_bfe_u32 v3, v0, 16, 1
	v_add3_u32 v3, v0, v3, s6
	v_lshrrev_b32_e32 v3, 16, v3
	v_cmp_o_f32_e32 vcc, v0, v0
	v_cndmask_b32_e32 v0, v1, v3, vcc
.LBB213_899:
	s_mov_b64 s[6:7], 0
.LBB213_900:
	s_andn2_b64 vcc, exec, s[6:7]
	s_cbranch_vccnz .LBB213_902
; %bb.901:
	global_load_dword v0, v[4:5], off
	s_movk_i32 s6, 0x7fff
	v_mov_b32_e32 v3, 0x7fc0
	s_waitcnt vmcnt(0)
	v_cvt_f32_f16_e32 v1, v0
	v_cmp_o_f16_e32 vcc, v0, v0
	v_bfe_u32 v6, v1, 16, 1
	v_add3_u32 v1, v1, v6, s6
	v_lshrrev_b32_e32 v1, 16, v1
	v_cndmask_b32_e32 v0, v3, v1, vcc
.LBB213_902:
	s_mov_b64 s[6:7], 0
.LBB213_903:
	s_andn2_b64 vcc, exec, s[6:7]
	s_cbranch_vccnz .LBB213_914
; %bb.904:
	v_mov_b32_e32 v0, 6
	v_cmp_lt_i16_sdwa s[6:7], v35, v0 src0_sel:BYTE_0 src1_sel:DWORD
	s_and_b64 vcc, exec, s[6:7]
	s_cbranch_vccnz .LBB213_907
; %bb.905:
	v_cmp_gt_i16_sdwa s[6:7], v35, v0 src0_sel:BYTE_0 src1_sel:DWORD
	s_and_b64 vcc, exec, s[6:7]
	s_cbranch_vccz .LBB213_908
; %bb.906:
	global_load_dwordx2 v[0:1], v[4:5], off
	s_movk_i32 s6, 0x7fff
	v_mov_b32_e32 v3, 0x7fc0
	s_waitcnt vmcnt(0)
	v_cvt_f32_f64_e32 v0, v[0:1]
	v_bfe_u32 v1, v0, 16, 1
	v_add3_u32 v1, v0, v1, s6
	v_lshrrev_b32_e32 v1, 16, v1
	v_cmp_o_f32_e32 vcc, v0, v0
	v_cndmask_b32_e32 v0, v3, v1, vcc
	s_mov_b64 s[6:7], 0
	s_branch .LBB213_909
.LBB213_907:
	s_mov_b64 s[6:7], -1
                                        ; implicit-def: $vgpr0
	s_branch .LBB213_912
.LBB213_908:
	s_mov_b64 s[6:7], -1
                                        ; implicit-def: $vgpr0
.LBB213_909:
	s_andn2_b64 vcc, exec, s[6:7]
	s_cbranch_vccnz .LBB213_911
; %bb.910:
	global_load_dword v0, v[4:5], off
	s_movk_i32 s6, 0x7fff
	v_mov_b32_e32 v1, 0x7fc0
	s_waitcnt vmcnt(0)
	v_bfe_u32 v3, v0, 16, 1
	v_add3_u32 v3, v0, v3, s6
	v_lshrrev_b32_e32 v3, 16, v3
	v_cmp_o_f32_e32 vcc, v0, v0
	v_cndmask_b32_e32 v0, v1, v3, vcc
.LBB213_911:
	s_mov_b64 s[6:7], 0
.LBB213_912:
	s_andn2_b64 vcc, exec, s[6:7]
	s_cbranch_vccnz .LBB213_914
; %bb.913:
	global_load_ushort v0, v[4:5], off
	s_movk_i32 s6, 0x7fff
	v_mov_b32_e32 v3, 0x7fc0
	s_waitcnt vmcnt(0)
	v_cvt_f32_f16_e32 v1, v0
	v_cmp_o_f16_e32 vcc, v0, v0
	v_bfe_u32 v6, v1, 16, 1
	v_add3_u32 v1, v1, v6, s6
	v_lshrrev_b32_e32 v1, 16, v1
	v_cndmask_b32_e32 v0, v3, v1, vcc
.LBB213_914:
	s_mov_b64 s[6:7], 0
.LBB213_915:
	s_andn2_b64 vcc, exec, s[6:7]
	s_cbranch_vccnz .LBB213_935
; %bb.916:
	v_mov_b32_e32 v0, 2
	v_cmp_lt_i16_sdwa s[6:7], v35, v0 src0_sel:BYTE_0 src1_sel:DWORD
	s_and_b64 vcc, exec, s[6:7]
	s_cbranch_vccnz .LBB213_920
; %bb.917:
	v_mov_b32_e32 v0, 3
	v_cmp_lt_i16_sdwa s[6:7], v35, v0 src0_sel:BYTE_0 src1_sel:DWORD
	s_and_b64 vcc, exec, s[6:7]
	s_cbranch_vccnz .LBB213_921
; %bb.918:
	v_cmp_gt_i16_sdwa s[6:7], v35, v0 src0_sel:BYTE_0 src1_sel:DWORD
	s_and_b64 vcc, exec, s[6:7]
	s_cbranch_vccz .LBB213_922
; %bb.919:
	global_load_dwordx2 v[0:1], v[4:5], off
	s_movk_i32 s6, 0x7fff
	s_waitcnt vmcnt(0)
	v_xor_b32_e32 v6, v0, v1
	v_ffbh_i32_e32 v3, v1
	v_ashrrev_i32_e32 v6, 31, v6
	v_add_u32_e32 v3, -1, v3
	v_add_u32_e32 v6, 32, v6
	v_min_u32_e32 v3, v3, v6
	v_lshlrev_b64 v[0:1], v3, v[0:1]
	v_min_u32_e32 v0, 1, v0
	v_or_b32_e32 v0, v1, v0
	v_cvt_f32_i32_e32 v0, v0
	v_sub_u32_e32 v1, 32, v3
	v_ldexp_f32 v0, v0, v1
	v_bfe_u32 v1, v0, 16, 1
	v_add3_u32 v0, v0, v1, s6
	v_lshrrev_b32_e32 v0, 16, v0
	s_mov_b64 s[6:7], 0
	s_branch .LBB213_923
.LBB213_920:
	s_mov_b64 s[6:7], -1
                                        ; implicit-def: $vgpr0
	s_branch .LBB213_929
.LBB213_921:
	s_mov_b64 s[6:7], -1
                                        ; implicit-def: $vgpr0
	s_branch .LBB213_926
.LBB213_922:
	s_mov_b64 s[6:7], -1
                                        ; implicit-def: $vgpr0
.LBB213_923:
	s_andn2_b64 vcc, exec, s[6:7]
	s_cbranch_vccnz .LBB213_925
; %bb.924:
	global_load_dword v0, v[4:5], off
	s_movk_i32 s6, 0x7fff
	s_waitcnt vmcnt(0)
	v_cvt_f32_i32_e32 v0, v0
	v_bfe_u32 v1, v0, 16, 1
	v_add3_u32 v0, v0, v1, s6
	v_lshrrev_b32_e32 v0, 16, v0
.LBB213_925:
	s_mov_b64 s[6:7], 0
.LBB213_926:
	s_andn2_b64 vcc, exec, s[6:7]
	s_cbranch_vccnz .LBB213_928
; %bb.927:
	global_load_sshort v0, v[4:5], off
	s_movk_i32 s6, 0x7fff
	s_waitcnt vmcnt(0)
	v_cvt_f32_i32_e32 v0, v0
	v_bfe_u32 v1, v0, 16, 1
	v_add3_u32 v0, v0, v1, s6
	v_lshrrev_b32_e32 v0, 16, v0
.LBB213_928:
	s_mov_b64 s[6:7], 0
.LBB213_929:
	s_andn2_b64 vcc, exec, s[6:7]
	s_cbranch_vccnz .LBB213_935
; %bb.930:
	v_mov_b32_e32 v0, 0
	v_cmp_gt_i16_sdwa s[6:7], v35, v0 src0_sel:BYTE_0 src1_sel:DWORD
	s_and_b64 vcc, exec, s[6:7]
	s_cbranch_vccz .LBB213_932
; %bb.931:
	global_load_sbyte v0, v[4:5], off
	s_movk_i32 s6, 0x7fff
	s_waitcnt vmcnt(0)
	v_cvt_f32_i32_e32 v0, v0
	v_bfe_u32 v1, v0, 16, 1
	v_add3_u32 v0, v0, v1, s6
	v_lshrrev_b32_e32 v0, 16, v0
	s_mov_b64 s[6:7], 0
	s_branch .LBB213_933
.LBB213_932:
	s_mov_b64 s[6:7], -1
                                        ; implicit-def: $vgpr0
.LBB213_933:
	s_andn2_b64 vcc, exec, s[6:7]
	s_cbranch_vccnz .LBB213_935
; %bb.934:
	global_load_ubyte v0, v[4:5], off
	s_movk_i32 s6, 0x7fff
	s_waitcnt vmcnt(0)
	v_cvt_f32_ubyte0_e32 v0, v0
	v_bfe_u32 v1, v0, 16, 1
	v_add3_u32 v0, v0, v1, s6
	v_lshrrev_b32_e32 v0, 16, v0
.LBB213_935:
	s_mov_b64 s[6:7], -1
.LBB213_936:
	s_andn2_b64 vcc, exec, s[6:7]
	s_cbranch_vccnz .LBB213_944
; %bb.937:
	v_mov_b32_e32 v1, s47
	v_add_co_u32_e32 v2, vcc, s46, v2
	v_addc_co_u32_e32 v3, vcc, 0, v1, vcc
	v_mov_b32_e32 v1, 11
	v_cmp_lt_i16_sdwa s[6:7], v33, v1 src0_sel:BYTE_0 src1_sel:DWORD
	s_and_b64 vcc, exec, s[6:7]
	s_cbranch_vccnz .LBB213_946
; %bb.938:
	v_mov_b32_e32 v1, 25
	v_cmp_gt_i16_sdwa s[6:7], v33, v1 src0_sel:BYTE_0 src1_sel:DWORD
	s_and_b64 vcc, exec, s[6:7]
	s_cbranch_vccz .LBB213_947
; %bb.939:
	v_mov_b32_e32 v1, 28
	v_cmp_gt_i16_sdwa s[6:7], v33, v1 src0_sel:BYTE_0 src1_sel:DWORD
	s_and_b64 vcc, exec, s[6:7]
	s_cbranch_vccz .LBB213_948
	;; [unrolled: 5-line block ×4, first 2 shown]
; %bb.942:
	v_mov_b32_e32 v1, 46
	v_cmp_eq_u16_sdwa s[6:7], v33, v1 src0_sel:BYTE_0 src1_sel:DWORD
	s_mov_b64 s[8:9], 0
	s_and_b64 vcc, exec, s[6:7]
	s_cbranch_vccz .LBB213_953
; %bb.943:
	global_load_dword v1, v[2:3], off
	s_mov_b64 s[6:7], -1
	s_mov_b64 s[76:77], 0
	s_branch .LBB213_954
.LBB213_944:
	s_mov_b64 s[12:13], 0
	s_mov_b64 s[6:7], s[68:69]
	;; [unrolled: 1-line block ×3, first 2 shown]
.LBB213_945:
                                        ; implicit-def: $vgpr34
	s_branch .LBB213_1192
.LBB213_946:
	s_mov_b64 s[8:9], -1
	s_mov_b64 s[6:7], 0
                                        ; implicit-def: $vgpr1
	s_mov_b64 s[76:77], s[66:67]
	s_branch .LBB213_1019
.LBB213_947:
	s_mov_b64 s[8:9], -1
	s_mov_b64 s[6:7], 0
	s_mov_b64 s[76:77], s[66:67]
                                        ; implicit-def: $vgpr1
	s_branch .LBB213_983
.LBB213_948:
	s_mov_b64 s[8:9], -1
	s_mov_b64 s[6:7], 0
	s_mov_b64 s[76:77], s[66:67]
                                        ; implicit-def: $vgpr1
	s_branch .LBB213_964
.LBB213_949:
	s_mov_b64 s[8:9], -1
	s_mov_b64 s[6:7], 0
	s_mov_b64 s[76:77], s[66:67]
                                        ; implicit-def: $vgpr1
	s_branch .LBB213_959
.LBB213_950:
	s_mov_b64 s[8:9], -1
	s_mov_b64 s[6:7], 0
	s_mov_b64 s[76:77], s[66:67]
                                        ; implicit-def: $vgpr1
	s_branch .LBB213_954
.LBB213_951:
	s_or_saveexec_b64 s[12:13], s[12:13]
                                        ; implicit-def: $sgpr14
	s_xor_b64 exec, exec, s[12:13]
	s_cbranch_execz .LBB213_716
.LBB213_952:
	s_mov_b32 s14, 0x42800000
	v_add_f32_e64 v4, |v5|, s14
	v_and_b32_e32 v4, 0xff, v4
	v_cmp_ne_u32_e32 vcc, 0, v4
	s_andn2_b64 s[10:11], s[10:11], exec
	s_and_b64 s[16:17], vcc, exec
	s_mov_b32 s14, 0
	s_or_b64 s[10:11], s[10:11], s[16:17]
	s_or_b64 exec, exec, s[12:13]
	v_mov_b32_e32 v6, s14
	s_and_saveexec_b64 s[12:13], s[10:11]
	s_cbranch_execnz .LBB213_717
	s_branch .LBB213_718
.LBB213_953:
	s_mov_b64 s[76:77], -1
                                        ; implicit-def: $vgpr1
	s_mov_b64 s[6:7], 0
.LBB213_954:
	s_and_b64 vcc, exec, s[8:9]
	s_cbranch_vccz .LBB213_958
; %bb.955:
	s_waitcnt vmcnt(0)
	v_mov_b32_e32 v1, 44
	v_cmp_eq_u16_sdwa s[8:9], v33, v1 src0_sel:BYTE_0 src1_sel:DWORD
	s_and_b64 vcc, exec, s[8:9]
	s_cbranch_vccz .LBB213_957
; %bb.956:
	global_load_ubyte v1, v[2:3], off
	s_movk_i32 s8, 0xff
	v_mov_b32_e32 v4, 0x7f800001
	v_mov_b32_e32 v5, 0x400000
	;; [unrolled: 1-line block ×3, first 2 shown]
	s_mov_b64 s[6:7], -1
	s_mov_b64 s[76:77], 0
	s_waitcnt vmcnt(0)
	v_lshlrev_b32_e32 v7, 23, v1
	v_cmp_ne_u32_e32 vcc, s8, v1
	v_cndmask_b32_e32 v4, v4, v7, vcc
	v_cmp_ne_u32_e32 vcc, 0, v1
	v_cndmask_b32_e32 v1, v5, v4, vcc
	v_add_u32_e32 v4, 0x7fff, v1
	v_lshrrev_b32_e32 v4, 16, v4
	v_cmp_o_f32_e32 vcc, v1, v1
	v_cndmask_b32_e32 v1, v6, v4, vcc
	s_branch .LBB213_958
.LBB213_957:
	s_mov_b64 s[76:77], -1
                                        ; implicit-def: $vgpr1
.LBB213_958:
	s_mov_b64 s[8:9], 0
.LBB213_959:
	s_and_b64 vcc, exec, s[8:9]
	s_cbranch_vccz .LBB213_963
; %bb.960:
	s_waitcnt vmcnt(0)
	v_mov_b32_e32 v1, 29
	v_cmp_eq_u16_sdwa s[8:9], v33, v1 src0_sel:BYTE_0 src1_sel:DWORD
	s_and_b64 vcc, exec, s[8:9]
	s_cbranch_vccz .LBB213_962
; %bb.961:
	global_load_dwordx2 v[4:5], v[2:3], off
	s_movk_i32 s8, 0x7fff
	s_mov_b64 s[6:7], -1
	s_mov_b64 s[76:77], 0
	s_waitcnt vmcnt(0)
	v_ffbh_u32_e32 v1, v5
	v_min_u32_e32 v1, 32, v1
	v_lshlrev_b64 v[4:5], v1, v[4:5]
	v_min_u32_e32 v4, 1, v4
	v_or_b32_e32 v4, v5, v4
	v_cvt_f32_u32_e32 v4, v4
	v_sub_u32_e32 v1, 32, v1
	v_ldexp_f32 v1, v4, v1
	v_bfe_u32 v4, v1, 16, 1
	v_add3_u32 v1, v1, v4, s8
	v_lshrrev_b32_e32 v1, 16, v1
	s_branch .LBB213_963
.LBB213_962:
	s_mov_b64 s[76:77], -1
                                        ; implicit-def: $vgpr1
.LBB213_963:
	s_mov_b64 s[8:9], 0
.LBB213_964:
	s_and_b64 vcc, exec, s[8:9]
	s_cbranch_vccz .LBB213_982
; %bb.965:
	s_waitcnt vmcnt(0)
	v_mov_b32_e32 v1, 27
	v_cmp_lt_i16_sdwa s[6:7], v33, v1 src0_sel:BYTE_0 src1_sel:DWORD
	s_and_b64 vcc, exec, s[6:7]
	s_cbranch_vccnz .LBB213_968
; %bb.966:
	v_cmp_gt_i16_sdwa s[6:7], v33, v1 src0_sel:BYTE_0 src1_sel:DWORD
	s_and_b64 vcc, exec, s[6:7]
	s_cbranch_vccz .LBB213_969
; %bb.967:
	global_load_dword v1, v[2:3], off
	s_movk_i32 s6, 0x7fff
	s_waitcnt vmcnt(0)
	v_cvt_f32_u32_e32 v1, v1
	v_bfe_u32 v4, v1, 16, 1
	v_add3_u32 v1, v1, v4, s6
	v_lshrrev_b32_e32 v1, 16, v1
	s_mov_b64 s[6:7], 0
	s_branch .LBB213_970
.LBB213_968:
	s_mov_b64 s[6:7], -1
                                        ; implicit-def: $vgpr1
	s_branch .LBB213_973
.LBB213_969:
	s_mov_b64 s[6:7], -1
                                        ; implicit-def: $vgpr1
.LBB213_970:
	s_andn2_b64 vcc, exec, s[6:7]
	s_cbranch_vccnz .LBB213_972
; %bb.971:
	global_load_ushort v1, v[2:3], off
	s_movk_i32 s6, 0x7fff
	s_waitcnt vmcnt(0)
	v_cvt_f32_u32_e32 v1, v1
	v_bfe_u32 v4, v1, 16, 1
	v_add3_u32 v1, v1, v4, s6
	v_lshrrev_b32_e32 v1, 16, v1
.LBB213_972:
	s_mov_b64 s[6:7], 0
.LBB213_973:
	s_andn2_b64 vcc, exec, s[6:7]
	s_cbranch_vccnz .LBB213_981
; %bb.974:
	global_load_ubyte v1, v[2:3], off
	s_movk_i32 s6, 0x7f
                                        ; implicit-def: $sgpr12
	s_waitcnt vmcnt(0)
	v_cmp_lt_i16_e32 vcc, s6, v1
	s_mov_b64 s[6:7], 0
	s_and_saveexec_b64 s[8:9], vcc
	s_xor_b64 s[8:9], exec, s[8:9]
	s_cbranch_execz .LBB213_995
; %bb.975:
	s_movk_i32 s6, 0x80
	v_cmp_eq_u16_e32 vcc, s6, v1
	s_mov_b64 s[6:7], -1
                                        ; implicit-def: $sgpr12
	s_and_saveexec_b64 s[10:11], vcc
; %bb.976:
	s_mov_b32 s12, 0x7f800001
	s_xor_b64 s[6:7], exec, -1
; %bb.977:
	s_or_b64 exec, exec, s[10:11]
	s_and_b64 s[6:7], s[6:7], exec
	s_or_saveexec_b64 s[8:9], s[8:9]
	v_mov_b32_e32 v4, s12
	s_xor_b64 exec, exec, s[8:9]
	s_cbranch_execnz .LBB213_996
.LBB213_978:
	s_or_b64 exec, exec, s[8:9]
	s_and_saveexec_b64 s[8:9], s[6:7]
	s_cbranch_execz .LBB213_980
.LBB213_979:
	v_lshlrev_b32_e32 v4, 24, v1
	v_and_b32_e32 v1, 0xffff, v1
	v_and_b32_e32 v5, 7, v1
	v_ffbh_u32_e32 v7, v5
	v_min_u32_e32 v7, 32, v7
	v_subrev_u32_e32 v8, 28, v7
	v_bfe_u32 v6, v1, 3, 4
	v_lshlrev_b32_e32 v1, v8, v1
	v_sub_u32_e32 v7, 29, v7
	v_and_b32_e32 v1, 7, v1
	v_cmp_eq_u32_e32 vcc, 0, v6
	v_cndmask_b32_e32 v6, v6, v7, vcc
	v_cndmask_b32_e32 v1, v5, v1, vcc
	v_mov_b32_e32 v5, 0x3b800000
	v_lshlrev_b32_e32 v1, 20, v1
	v_and_b32_e32 v4, 0x80000000, v4
	v_lshl_add_u32 v5, v6, 23, v5
	v_or3_b32 v4, v4, v5, v1
.LBB213_980:
	s_or_b64 exec, exec, s[8:9]
	v_bfe_u32 v1, v4, 16, 1
	s_movk_i32 s6, 0x7fff
	v_add3_u32 v1, v4, v1, s6
	v_lshrrev_b32_e32 v1, 16, v1
	v_mov_b32_e32 v5, 0x7fc0
	v_cmp_o_f32_e32 vcc, v4, v4
	v_cndmask_b32_e32 v1, v5, v1, vcc
.LBB213_981:
	s_mov_b64 s[6:7], -1
.LBB213_982:
	s_mov_b64 s[8:9], 0
.LBB213_983:
	s_and_b64 vcc, exec, s[8:9]
	s_cbranch_vccz .LBB213_1018
; %bb.984:
	s_waitcnt vmcnt(0)
	v_mov_b32_e32 v1, 22
	v_cmp_gt_i16_sdwa s[8:9], v33, v1 src0_sel:BYTE_0 src1_sel:DWORD
	s_and_b64 vcc, exec, s[8:9]
	s_cbranch_vccz .LBB213_994
; %bb.985:
	v_mov_b32_e32 v1, 24
	v_cmp_lt_i16_sdwa s[6:7], v33, v1 src0_sel:BYTE_0 src1_sel:DWORD
	s_and_b64 vcc, exec, s[6:7]
	s_cbranch_vccnz .LBB213_997
; %bb.986:
	v_cmp_gt_i16_sdwa s[6:7], v33, v1 src0_sel:BYTE_0 src1_sel:DWORD
	s_and_b64 vcc, exec, s[6:7]
	s_cbranch_vccz .LBB213_998
; %bb.987:
	global_load_ubyte v1, v[2:3], off
	s_movk_i32 s6, 0x7f
                                        ; implicit-def: $sgpr12
	s_waitcnt vmcnt(0)
	v_cmp_lt_i16_e32 vcc, s6, v1
	s_mov_b64 s[6:7], 0
	s_and_saveexec_b64 s[8:9], vcc
	s_xor_b64 s[8:9], exec, s[8:9]
	s_cbranch_execz .LBB213_1010
; %bb.988:
	s_movk_i32 s6, 0x80
	v_cmp_eq_u16_e32 vcc, s6, v1
	s_mov_b64 s[6:7], -1
                                        ; implicit-def: $sgpr12
	s_and_saveexec_b64 s[10:11], vcc
; %bb.989:
	s_mov_b32 s12, 0x7f800001
	s_xor_b64 s[6:7], exec, -1
; %bb.990:
	s_or_b64 exec, exec, s[10:11]
	s_and_b64 s[6:7], s[6:7], exec
	s_or_saveexec_b64 s[8:9], s[8:9]
	v_mov_b32_e32 v4, s12
	s_xor_b64 exec, exec, s[8:9]
	s_cbranch_execnz .LBB213_1011
.LBB213_991:
	s_or_b64 exec, exec, s[8:9]
	s_and_saveexec_b64 s[8:9], s[6:7]
	s_cbranch_execz .LBB213_993
.LBB213_992:
	v_lshlrev_b32_e32 v4, 24, v1
	v_and_b32_e32 v1, 0xffff, v1
	v_and_b32_e32 v5, 3, v1
	v_ffbh_u32_e32 v7, v5
	v_min_u32_e32 v7, 32, v7
	v_subrev_u32_e32 v8, 29, v7
	v_bfe_u32 v6, v1, 2, 5
	v_lshlrev_b32_e32 v1, v8, v1
	v_sub_u32_e32 v7, 30, v7
	v_and_b32_e32 v1, 3, v1
	v_cmp_eq_u32_e32 vcc, 0, v6
	v_cndmask_b32_e32 v6, v6, v7, vcc
	v_cndmask_b32_e32 v1, v5, v1, vcc
	v_mov_b32_e32 v5, 0x37800000
	v_lshlrev_b32_e32 v1, 21, v1
	v_and_b32_e32 v4, 0x80000000, v4
	v_lshl_add_u32 v5, v6, 23, v5
	v_or3_b32 v4, v4, v5, v1
.LBB213_993:
	s_or_b64 exec, exec, s[8:9]
	v_bfe_u32 v1, v4, 16, 1
	s_movk_i32 s6, 0x7fff
	v_add3_u32 v1, v4, v1, s6
	v_lshrrev_b32_e32 v1, 16, v1
	v_mov_b32_e32 v5, 0x7fc0
	v_cmp_o_f32_e32 vcc, v4, v4
	v_cndmask_b32_e32 v1, v5, v1, vcc
	s_mov_b64 s[6:7], 0
	s_branch .LBB213_999
.LBB213_994:
	s_mov_b64 s[8:9], -1
                                        ; implicit-def: $vgpr1
	s_branch .LBB213_1005
.LBB213_995:
	s_or_saveexec_b64 s[8:9], s[8:9]
	v_mov_b32_e32 v4, s12
	s_xor_b64 exec, exec, s[8:9]
	s_cbranch_execz .LBB213_978
.LBB213_996:
	v_cmp_ne_u16_e32 vcc, 0, v1
	s_andn2_b64 s[6:7], s[6:7], exec
	s_and_b64 s[10:11], vcc, exec
	v_mov_b32_e32 v4, 0
	s_or_b64 s[6:7], s[6:7], s[10:11]
	s_or_b64 exec, exec, s[8:9]
	s_and_saveexec_b64 s[8:9], s[6:7]
	s_cbranch_execnz .LBB213_979
	s_branch .LBB213_980
.LBB213_997:
	s_mov_b64 s[6:7], -1
                                        ; implicit-def: $vgpr1
	s_branch .LBB213_1002
.LBB213_998:
	s_mov_b64 s[6:7], -1
                                        ; implicit-def: $vgpr1
.LBB213_999:
	s_and_b64 vcc, exec, s[6:7]
	s_cbranch_vccz .LBB213_1001
; %bb.1000:
	global_load_ubyte v1, v[2:3], off
	s_mov_b32 s6, 0x7f800000
	s_brev_b32 s7, 1
	s_movk_i32 s8, 0x7fff
	v_mov_b32_e32 v4, 0x7fc0
	s_waitcnt vmcnt(0)
	v_lshlrev_b32_e32 v1, 24, v1
	v_and_b32_e32 v5, 0x7f000000, v1
	v_ffbh_u32_e32 v6, v5
	v_min_u32_e32 v6, 32, v6
	v_sub_u32_e64 v6, v6, 4 clamp
	v_lshlrev_b32_e32 v8, v6, v5
	v_lshlrev_b32_e32 v6, 23, v6
	v_lshrrev_b32_e32 v8, 4, v8
	v_add_u32_e32 v7, 0x1000000, v5
	v_sub_u32_e32 v6, v8, v6
	v_ashrrev_i32_e32 v7, 8, v7
	v_add_u32_e32 v6, 0x3c000000, v6
	v_and_or_b32 v6, v7, s6, v6
	v_cmp_ne_u32_e32 vcc, 0, v5
	v_cndmask_b32_e32 v5, 0, v6, vcc
	v_and_or_b32 v1, v1, s7, v5
	v_bfe_u32 v5, v5, 16, 1
	v_add3_u32 v5, v1, v5, s8
	v_lshrrev_b32_e32 v5, 16, v5
	v_cmp_o_f32_e32 vcc, v1, v1
	v_cndmask_b32_e32 v1, v4, v5, vcc
.LBB213_1001:
	s_mov_b64 s[6:7], 0
.LBB213_1002:
	s_andn2_b64 vcc, exec, s[6:7]
	s_cbranch_vccnz .LBB213_1004
; %bb.1003:
	global_load_ubyte v1, v[2:3], off
	s_movk_i32 s6, 0x7f00
	s_brev_b32 s7, 16
	s_brev_b32 s8, 1
	s_movk_i32 s9, 0x7fff
	v_mov_b32_e32 v4, 0x7fc0
	s_waitcnt vmcnt(0)
	v_lshlrev_b16_e32 v5, 8, v1
	v_lshlrev_b32_e32 v1, 25, v1
	v_lshrrev_b32_e32 v6, 4, v1
	v_and_or_b32 v7, v5, s6, 0.5
	v_or_b32_e32 v6, 0x70000000, v6
	v_add_f32_e32 v7, -0.5, v7
	v_mul_f32_e32 v6, 0x7800000, v6
	v_cmp_gt_u32_e32 vcc, s7, v1
	v_bfe_i32 v5, v5, 0, 16
	v_cndmask_b32_e32 v1, v6, v7, vcc
	v_and_or_b32 v5, v5, s8, v1
	v_bfe_u32 v1, v1, 16, 1
	v_add3_u32 v1, v5, v1, s9
	v_lshrrev_b32_e32 v1, 16, v1
	v_cmp_o_f32_e32 vcc, v5, v5
	v_cndmask_b32_e32 v1, v4, v1, vcc
.LBB213_1004:
	s_mov_b64 s[8:9], 0
	s_mov_b64 s[6:7], -1
.LBB213_1005:
	s_andn2_b64 vcc, exec, s[8:9]
	s_cbranch_vccnz .LBB213_1018
; %bb.1006:
	v_mov_b32_e32 v1, 14
	v_cmp_gt_i16_sdwa s[8:9], v33, v1 src0_sel:BYTE_0 src1_sel:DWORD
	s_and_b64 vcc, exec, s[8:9]
	s_cbranch_vccz .LBB213_1009
; %bb.1007:
	v_mov_b32_e32 v1, 15
	v_cmp_eq_u16_sdwa s[8:9], v33, v1 src0_sel:BYTE_0 src1_sel:DWORD
	s_and_b64 vcc, exec, s[8:9]
	s_cbranch_vccz .LBB213_1012
; %bb.1008:
	global_load_ushort v1, v[2:3], off
	s_mov_b64 s[6:7], -1
	s_mov_b64 s[76:77], 0
	s_branch .LBB213_1013
.LBB213_1009:
	s_mov_b64 s[8:9], -1
                                        ; implicit-def: $vgpr1
	s_branch .LBB213_1014
.LBB213_1010:
	s_or_saveexec_b64 s[8:9], s[8:9]
	v_mov_b32_e32 v4, s12
	s_xor_b64 exec, exec, s[8:9]
	s_cbranch_execz .LBB213_991
.LBB213_1011:
	v_cmp_ne_u16_e32 vcc, 0, v1
	s_andn2_b64 s[6:7], s[6:7], exec
	s_and_b64 s[10:11], vcc, exec
	v_mov_b32_e32 v4, 0
	s_or_b64 s[6:7], s[6:7], s[10:11]
	s_or_b64 exec, exec, s[8:9]
	s_and_saveexec_b64 s[8:9], s[6:7]
	s_cbranch_execnz .LBB213_992
	s_branch .LBB213_993
.LBB213_1012:
	s_mov_b64 s[76:77], -1
                                        ; implicit-def: $vgpr1
.LBB213_1013:
	s_mov_b64 s[8:9], 0
.LBB213_1014:
	s_and_b64 vcc, exec, s[8:9]
	s_cbranch_vccz .LBB213_1018
; %bb.1015:
	s_waitcnt vmcnt(0)
	v_mov_b32_e32 v1, 11
	v_cmp_eq_u16_sdwa s[8:9], v33, v1 src0_sel:BYTE_0 src1_sel:DWORD
	s_and_b64 vcc, exec, s[8:9]
	s_cbranch_vccz .LBB213_1017
; %bb.1016:
	global_load_ubyte v1, v[2:3], off
	s_mov_b64 s[6:7], -1
	s_mov_b64 s[76:77], 0
	s_waitcnt vmcnt(0)
	v_cmp_ne_u16_e32 vcc, 0, v1
	v_cndmask_b32_e64 v1, 0, 1.0, vcc
	v_lshrrev_b32_e32 v1, 16, v1
	s_branch .LBB213_1018
.LBB213_1017:
	s_mov_b64 s[76:77], -1
                                        ; implicit-def: $vgpr1
.LBB213_1018:
	s_mov_b64 s[8:9], 0
.LBB213_1019:
	s_and_b64 vcc, exec, s[8:9]
	s_cbranch_vccz .LBB213_1068
; %bb.1020:
	s_waitcnt vmcnt(0)
	v_mov_b32_e32 v1, 5
	v_cmp_lt_i16_sdwa s[6:7], v33, v1 src0_sel:BYTE_0 src1_sel:DWORD
	s_and_b64 vcc, exec, s[6:7]
	s_cbranch_vccnz .LBB213_1025
; %bb.1021:
	v_mov_b32_e32 v1, 8
	v_cmp_lt_i16_sdwa s[6:7], v33, v1 src0_sel:BYTE_0 src1_sel:DWORD
	s_and_b64 vcc, exec, s[6:7]
	s_cbranch_vccnz .LBB213_1026
; %bb.1022:
	;; [unrolled: 5-line block ×3, first 2 shown]
	v_cmp_gt_i16_sdwa s[6:7], v33, v1 src0_sel:BYTE_0 src1_sel:DWORD
	s_and_b64 vcc, exec, s[6:7]
	s_cbranch_vccz .LBB213_1028
; %bb.1024:
	global_load_dwordx2 v[4:5], v[2:3], off
	s_movk_i32 s6, 0x7fff
	v_mov_b32_e32 v1, 0x7fc0
	s_waitcnt vmcnt(0)
	v_cvt_f32_f64_e32 v4, v[4:5]
	v_bfe_u32 v5, v4, 16, 1
	v_add3_u32 v5, v4, v5, s6
	v_lshrrev_b32_e32 v5, 16, v5
	v_cmp_o_f32_e32 vcc, v4, v4
	v_cndmask_b32_e32 v1, v1, v5, vcc
	s_mov_b64 s[6:7], 0
	s_branch .LBB213_1029
.LBB213_1025:
	s_mov_b64 s[6:7], -1
                                        ; implicit-def: $vgpr1
	s_branch .LBB213_1047
.LBB213_1026:
	s_mov_b64 s[6:7], -1
                                        ; implicit-def: $vgpr1
	s_branch .LBB213_1035
.LBB213_1027:
	s_mov_b64 s[6:7], -1
                                        ; implicit-def: $vgpr1
	s_branch .LBB213_1032
.LBB213_1028:
	s_mov_b64 s[6:7], -1
                                        ; implicit-def: $vgpr1
.LBB213_1029:
	s_andn2_b64 vcc, exec, s[6:7]
	s_cbranch_vccnz .LBB213_1031
; %bb.1030:
	global_load_dword v1, v[2:3], off
	s_movk_i32 s6, 0x7fff
	v_mov_b32_e32 v4, 0x7fc0
	s_waitcnt vmcnt(0)
	v_bfe_u32 v5, v1, 16, 1
	v_add3_u32 v5, v1, v5, s6
	v_lshrrev_b32_e32 v5, 16, v5
	v_cmp_o_f32_e32 vcc, v1, v1
	v_cndmask_b32_e32 v1, v4, v5, vcc
.LBB213_1031:
	s_mov_b64 s[6:7], 0
.LBB213_1032:
	s_andn2_b64 vcc, exec, s[6:7]
	s_cbranch_vccnz .LBB213_1034
; %bb.1033:
	global_load_dword v1, v[2:3], off
	s_movk_i32 s6, 0x7fff
	v_mov_b32_e32 v5, 0x7fc0
	s_waitcnt vmcnt(0)
	v_cvt_f32_f16_e32 v4, v1
	v_cmp_o_f16_e32 vcc, v1, v1
	v_bfe_u32 v6, v4, 16, 1
	v_add3_u32 v4, v4, v6, s6
	v_lshrrev_b32_e32 v4, 16, v4
	v_cndmask_b32_e32 v1, v5, v4, vcc
.LBB213_1034:
	s_mov_b64 s[6:7], 0
.LBB213_1035:
	s_andn2_b64 vcc, exec, s[6:7]
	s_cbranch_vccnz .LBB213_1046
; %bb.1036:
	v_mov_b32_e32 v1, 6
	v_cmp_lt_i16_sdwa s[6:7], v33, v1 src0_sel:BYTE_0 src1_sel:DWORD
	s_and_b64 vcc, exec, s[6:7]
	s_cbranch_vccnz .LBB213_1039
; %bb.1037:
	v_cmp_gt_i16_sdwa s[6:7], v33, v1 src0_sel:BYTE_0 src1_sel:DWORD
	s_and_b64 vcc, exec, s[6:7]
	s_cbranch_vccz .LBB213_1040
; %bb.1038:
	global_load_dwordx2 v[4:5], v[2:3], off
	s_movk_i32 s6, 0x7fff
	v_mov_b32_e32 v1, 0x7fc0
	s_waitcnt vmcnt(0)
	v_cvt_f32_f64_e32 v4, v[4:5]
	v_bfe_u32 v5, v4, 16, 1
	v_add3_u32 v5, v4, v5, s6
	v_lshrrev_b32_e32 v5, 16, v5
	v_cmp_o_f32_e32 vcc, v4, v4
	v_cndmask_b32_e32 v1, v1, v5, vcc
	s_mov_b64 s[6:7], 0
	s_branch .LBB213_1041
.LBB213_1039:
	s_mov_b64 s[6:7], -1
                                        ; implicit-def: $vgpr1
	s_branch .LBB213_1044
.LBB213_1040:
	s_mov_b64 s[6:7], -1
                                        ; implicit-def: $vgpr1
.LBB213_1041:
	s_andn2_b64 vcc, exec, s[6:7]
	s_cbranch_vccnz .LBB213_1043
; %bb.1042:
	global_load_dword v1, v[2:3], off
	s_movk_i32 s6, 0x7fff
	v_mov_b32_e32 v4, 0x7fc0
	s_waitcnt vmcnt(0)
	v_bfe_u32 v5, v1, 16, 1
	v_add3_u32 v5, v1, v5, s6
	v_lshrrev_b32_e32 v5, 16, v5
	v_cmp_o_f32_e32 vcc, v1, v1
	v_cndmask_b32_e32 v1, v4, v5, vcc
.LBB213_1043:
	s_mov_b64 s[6:7], 0
.LBB213_1044:
	s_andn2_b64 vcc, exec, s[6:7]
	s_cbranch_vccnz .LBB213_1046
; %bb.1045:
	global_load_ushort v1, v[2:3], off
	s_movk_i32 s6, 0x7fff
	v_mov_b32_e32 v5, 0x7fc0
	s_waitcnt vmcnt(0)
	v_cvt_f32_f16_e32 v4, v1
	v_cmp_o_f16_e32 vcc, v1, v1
	v_bfe_u32 v6, v4, 16, 1
	v_add3_u32 v4, v4, v6, s6
	v_lshrrev_b32_e32 v4, 16, v4
	v_cndmask_b32_e32 v1, v5, v4, vcc
.LBB213_1046:
	s_mov_b64 s[6:7], 0
.LBB213_1047:
	s_andn2_b64 vcc, exec, s[6:7]
	s_cbranch_vccnz .LBB213_1067
; %bb.1048:
	v_mov_b32_e32 v1, 2
	v_cmp_lt_i16_sdwa s[6:7], v33, v1 src0_sel:BYTE_0 src1_sel:DWORD
	s_and_b64 vcc, exec, s[6:7]
	s_cbranch_vccnz .LBB213_1052
; %bb.1049:
	v_mov_b32_e32 v1, 3
	v_cmp_lt_i16_sdwa s[6:7], v33, v1 src0_sel:BYTE_0 src1_sel:DWORD
	s_and_b64 vcc, exec, s[6:7]
	s_cbranch_vccnz .LBB213_1053
; %bb.1050:
	v_cmp_gt_i16_sdwa s[6:7], v33, v1 src0_sel:BYTE_0 src1_sel:DWORD
	s_and_b64 vcc, exec, s[6:7]
	s_cbranch_vccz .LBB213_1054
; %bb.1051:
	global_load_dwordx2 v[4:5], v[2:3], off
	s_movk_i32 s6, 0x7fff
	s_waitcnt vmcnt(0)
	v_xor_b32_e32 v6, v4, v5
	v_ffbh_i32_e32 v1, v5
	v_ashrrev_i32_e32 v6, 31, v6
	v_add_u32_e32 v1, -1, v1
	v_add_u32_e32 v6, 32, v6
	v_min_u32_e32 v1, v1, v6
	v_lshlrev_b64 v[4:5], v1, v[4:5]
	v_min_u32_e32 v4, 1, v4
	v_or_b32_e32 v4, v5, v4
	v_cvt_f32_i32_e32 v4, v4
	v_sub_u32_e32 v1, 32, v1
	v_ldexp_f32 v1, v4, v1
	v_bfe_u32 v4, v1, 16, 1
	v_add3_u32 v1, v1, v4, s6
	v_lshrrev_b32_e32 v1, 16, v1
	s_mov_b64 s[6:7], 0
	s_branch .LBB213_1055
.LBB213_1052:
	s_mov_b64 s[6:7], -1
                                        ; implicit-def: $vgpr1
	s_branch .LBB213_1061
.LBB213_1053:
	s_mov_b64 s[6:7], -1
                                        ; implicit-def: $vgpr1
	s_branch .LBB213_1058
.LBB213_1054:
	s_mov_b64 s[6:7], -1
                                        ; implicit-def: $vgpr1
.LBB213_1055:
	s_andn2_b64 vcc, exec, s[6:7]
	s_cbranch_vccnz .LBB213_1057
; %bb.1056:
	global_load_dword v1, v[2:3], off
	s_movk_i32 s6, 0x7fff
	s_waitcnt vmcnt(0)
	v_cvt_f32_i32_e32 v1, v1
	v_bfe_u32 v4, v1, 16, 1
	v_add3_u32 v1, v1, v4, s6
	v_lshrrev_b32_e32 v1, 16, v1
.LBB213_1057:
	s_mov_b64 s[6:7], 0
.LBB213_1058:
	s_andn2_b64 vcc, exec, s[6:7]
	s_cbranch_vccnz .LBB213_1060
; %bb.1059:
	global_load_sshort v1, v[2:3], off
	s_movk_i32 s6, 0x7fff
	s_waitcnt vmcnt(0)
	v_cvt_f32_i32_e32 v1, v1
	v_bfe_u32 v4, v1, 16, 1
	v_add3_u32 v1, v1, v4, s6
	v_lshrrev_b32_e32 v1, 16, v1
.LBB213_1060:
	s_mov_b64 s[6:7], 0
.LBB213_1061:
	s_andn2_b64 vcc, exec, s[6:7]
	s_cbranch_vccnz .LBB213_1067
; %bb.1062:
	v_mov_b32_e32 v1, 0
	v_cmp_gt_i16_sdwa s[6:7], v33, v1 src0_sel:BYTE_0 src1_sel:DWORD
	s_and_b64 vcc, exec, s[6:7]
	s_cbranch_vccz .LBB213_1064
; %bb.1063:
	global_load_sbyte v1, v[2:3], off
	s_movk_i32 s6, 0x7fff
	s_waitcnt vmcnt(0)
	v_cvt_f32_i32_e32 v1, v1
	v_bfe_u32 v4, v1, 16, 1
	v_add3_u32 v1, v1, v4, s6
	v_lshrrev_b32_e32 v1, 16, v1
	s_mov_b64 s[6:7], 0
	s_branch .LBB213_1065
.LBB213_1064:
	s_mov_b64 s[6:7], -1
                                        ; implicit-def: $vgpr1
.LBB213_1065:
	s_andn2_b64 vcc, exec, s[6:7]
	s_cbranch_vccnz .LBB213_1067
; %bb.1066:
	global_load_ubyte v1, v[2:3], off
	s_movk_i32 s6, 0x7fff
	s_waitcnt vmcnt(0)
	v_cvt_f32_ubyte0_e32 v1, v1
	v_bfe_u32 v2, v1, 16, 1
	v_add3_u32 v1, v1, v2, s6
	v_lshrrev_b32_e32 v1, 16, v1
.LBB213_1067:
	s_mov_b64 s[6:7], -1
.LBB213_1068:
	s_andn2_b64 vcc, exec, s[6:7]
	s_cbranch_vccnz .LBB213_1076
; %bb.1069:
	s_mov_b64 s[78:79], s[4:5]
	s_getpc_b64 s[4:5]
	s_add_u32 s4, s4, _ZZZZN2at6native33launch_standard_gamma_grad_kernelERNS_18TensorIteratorBaseEENKUlvE_clEvENKUlvE2_clEvENKUlN3c108BFloat16ES6_E_clES6_S6_@rel32@lo+4
	s_addc_u32 s5, s5, _ZZZZN2at6native33launch_standard_gamma_grad_kernelERNS_18TensorIteratorBaseEENKUlvE_clEvENKUlvE2_clEvENKUlN3c108BFloat16ES6_E_clES6_S6_@rel32@hi+12
	s_swappc_b64 s[30:31], s[4:5]
	v_mov_b32_e32 v1, s25
	v_add_co_u32_e32 v2, vcc, s24, v30
	v_addc_co_u32_e32 v3, vcc, 0, v1, vcc
	v_mov_b32_e32 v1, 11
	v_cmp_lt_i16_sdwa s[4:5], v32, v1 src0_sel:BYTE_0 src1_sel:DWORD
	s_and_b64 vcc, exec, s[4:5]
	s_cbranch_vccnz .LBB213_1077
; %bb.1070:
	v_mov_b32_e32 v1, 25
	v_cmp_gt_i16_sdwa s[4:5], v32, v1 src0_sel:BYTE_0 src1_sel:DWORD
	s_and_b64 vcc, exec, s[4:5]
	s_cbranch_vccz .LBB213_1078
; %bb.1071:
	v_mov_b32_e32 v1, 28
	v_cmp_gt_i16_sdwa s[4:5], v32, v1 src0_sel:BYTE_0 src1_sel:DWORD
	s_and_b64 vcc, exec, s[4:5]
	s_mov_b64 s[4:5], s[78:79]
	s_cbranch_vccz .LBB213_1079
; %bb.1072:
	v_mov_b32_e32 v1, 43
	v_cmp_gt_i16_sdwa s[6:7], v32, v1 src0_sel:BYTE_0 src1_sel:DWORD
	s_and_b64 vcc, exec, s[6:7]
	s_cbranch_vccz .LBB213_1080
; %bb.1073:
	v_mov_b32_e32 v1, 45
	v_cmp_gt_i16_sdwa s[6:7], v32, v1 src0_sel:BYTE_0 src1_sel:DWORD
	s_and_b64 vcc, exec, s[6:7]
	s_cbranch_vccz .LBB213_1081
; %bb.1074:
	v_mov_b32_e32 v1, 46
	v_cmp_eq_u16_sdwa s[8:9], v32, v1 src0_sel:BYTE_0 src1_sel:DWORD
	s_mov_b64 s[10:11], 0
	s_mov_b64 s[6:7], -1
	s_and_b64 vcc, exec, s[8:9]
	s_mov_b64 s[8:9], 0
	s_cbranch_vccz .LBB213_1082
; %bb.1075:
	v_and_b32_e32 v1, 0xffff, v0
	global_store_dword v[2:3], v1, off
	s_mov_b64 s[8:9], -1
	s_mov_b64 s[6:7], 0
	s_branch .LBB213_1082
.LBB213_1076:
	s_mov_b64 s[12:13], 0
                                        ; implicit-def: $vgpr34
	s_mov_b64 s[6:7], s[68:69]
	s_branch .LBB213_1192
.LBB213_1077:
	s_mov_b64 s[10:11], -1
	s_mov_b64 s[8:9], 0
	s_mov_b64 s[6:7], s[68:69]
	;; [unrolled: 1-line block ×3, first 2 shown]
	s_branch .LBB213_1151
.LBB213_1078:
	s_mov_b64 s[10:11], -1
	s_mov_b64 s[8:9], 0
	s_mov_b64 s[6:7], s[68:69]
	;; [unrolled: 1-line block ×3, first 2 shown]
	s_branch .LBB213_1109
.LBB213_1079:
	s_mov_b64 s[10:11], -1
	s_mov_b64 s[8:9], 0
	s_mov_b64 s[6:7], s[68:69]
	s_branch .LBB213_1092
.LBB213_1080:
	s_mov_b64 s[10:11], -1
	s_mov_b64 s[8:9], 0
	s_mov_b64 s[6:7], s[68:69]
	s_branch .LBB213_1088
.LBB213_1081:
	s_mov_b64 s[10:11], -1
	s_mov_b64 s[8:9], 0
	s_mov_b64 s[6:7], s[68:69]
.LBB213_1082:
	s_and_b64 vcc, exec, s[10:11]
	s_cbranch_vccz .LBB213_1087
; %bb.1083:
	v_mov_b32_e32 v1, 44
	v_cmp_eq_u16_sdwa s[10:11], v32, v1 src0_sel:BYTE_0 src1_sel:DWORD
	s_mov_b64 s[6:7], -1
	s_and_b64 vcc, exec, s[10:11]
	s_cbranch_vccz .LBB213_1087
; %bb.1084:
	v_and_b32_e32 v4, 0xffff, v0
	v_bfe_u32 v1, v4, 7, 8
	s_movk_i32 s6, 0xff
	v_cmp_ne_u32_e32 vcc, s6, v1
	v_mov_b32_e32 v5, 0xff
	s_and_saveexec_b64 s[8:9], vcc
; %bb.1085:
	v_lshlrev_b32_e32 v6, 16, v4
	s_mov_b32 s6, 0x3f0000
	v_lshrrev_b32_e32 v5, 7, v4
	v_and_b32_e32 v4, 64, v4
	v_and_or_b32 v1, v6, s6, v1
	v_cmp_ne_u32_e32 vcc, 0, v4
	v_cmp_ne_u32_e64 s[6:7], 0, v1
	s_and_b64 s[6:7], vcc, s[6:7]
	v_cndmask_b32_e64 v1, 0, 1, s[6:7]
	v_add_u32_e32 v5, v5, v1
; %bb.1086:
	s_or_b64 exec, exec, s[8:9]
	s_mov_b64 s[8:9], -1
	s_mov_b64 s[6:7], 0
	global_store_byte v[2:3], v5, off
.LBB213_1087:
	s_mov_b64 s[10:11], 0
.LBB213_1088:
	s_and_b64 vcc, exec, s[10:11]
	s_cbranch_vccz .LBB213_1091
; %bb.1089:
	v_mov_b32_e32 v1, 29
	v_cmp_eq_u16_sdwa s[10:11], v32, v1 src0_sel:BYTE_0 src1_sel:DWORD
	s_mov_b64 s[6:7], -1
	s_and_b64 vcc, exec, s[10:11]
	s_cbranch_vccz .LBB213_1091
; %bb.1090:
	v_lshlrev_b32_e32 v1, 16, v0
	v_trunc_f32_e32 v1, v1
	v_mul_f32_e32 v4, 0x2f800000, v1
	v_floor_f32_e32 v4, v4
	v_fmac_f32_e32 v1, 0xcf800000, v4
	v_cvt_u32_f32_e32 v5, v4
	v_cvt_u32_f32_e32 v4, v1
	s_mov_b64 s[8:9], -1
	s_mov_b64 s[6:7], 0
	s_mov_b64 s[10:11], 0
	global_store_dwordx2 v[2:3], v[4:5], off
	s_branch .LBB213_1092
.LBB213_1091:
	s_mov_b64 s[10:11], 0
.LBB213_1092:
	s_and_b64 vcc, exec, s[10:11]
	s_cbranch_vccz .LBB213_1108
; %bb.1093:
	v_mov_b32_e32 v1, 27
	v_cmp_lt_i16_sdwa s[10:11], v32, v1 src0_sel:BYTE_0 src1_sel:DWORD
	s_mov_b64 s[8:9], -1
	s_and_b64 vcc, exec, s[10:11]
	s_cbranch_vccnz .LBB213_1099
; %bb.1094:
	v_cmp_gt_i16_sdwa s[10:11], v32, v1 src0_sel:BYTE_0 src1_sel:DWORD
	s_and_b64 vcc, exec, s[10:11]
	s_cbranch_vccz .LBB213_1096
; %bb.1095:
	v_lshlrev_b32_e32 v1, 16, v0
	v_cvt_u32_f32_e32 v1, v1
	s_mov_b64 s[8:9], 0
	global_store_dword v[2:3], v1, off
.LBB213_1096:
	s_andn2_b64 vcc, exec, s[8:9]
	s_cbranch_vccnz .LBB213_1098
; %bb.1097:
	v_lshlrev_b32_e32 v1, 16, v0
	v_cvt_u32_f32_e32 v1, v1
	global_store_short v[2:3], v1, off
.LBB213_1098:
	s_mov_b64 s[8:9], 0
.LBB213_1099:
	s_andn2_b64 vcc, exec, s[8:9]
	s_cbranch_vccnz .LBB213_1107
; %bb.1100:
	v_lshlrev_b32_e32 v5, 16, v0
	v_and_b32_e32 v4, 0x7fffffff, v5
	s_mov_b32 s8, 0x43800000
	v_cmp_gt_u32_e32 vcc, s8, v4
	v_mov_b32_e32 v6, 0x80
	s_and_saveexec_b64 s[8:9], vcc
	s_cbranch_execz .LBB213_1106
; %bb.1101:
	s_mov_b32 s10, 0x3bffffff
	v_and_b32_e32 v1, 0xffff, v0
	v_cmp_lt_u32_e32 vcc, s10, v4
	s_mov_b64 s[10:11], 0
                                        ; implicit-def: $vgpr4
	s_and_saveexec_b64 s[12:13], vcc
	s_xor_b64 s[12:13], exec, s[12:13]
	s_cbranch_execz .LBB213_1219
; %bb.1102:
	v_bfe_u32 v4, v1, 4, 1
	s_mov_b32 s14, 0x487ffff
	v_add3_u32 v4, v5, v4, s14
	s_mov_b64 s[10:11], exec
	v_lshrrev_b32_e32 v4, 20, v4
                                        ; implicit-def: $vgpr5
	s_or_saveexec_b64 s[12:13], s[12:13]
                                        ; implicit-def: $sgpr14
	s_xor_b64 exec, exec, s[12:13]
	s_cbranch_execnz .LBB213_1220
.LBB213_1103:
	s_or_b64 exec, exec, s[12:13]
	v_mov_b32_e32 v6, s14
	s_and_saveexec_b64 s[12:13], s[10:11]
.LBB213_1104:
	v_lshrrev_b32_e32 v1, 8, v1
	s_movk_i32 s10, 0x80
	v_and_or_b32 v6, v1, s10, v4
.LBB213_1105:
	s_or_b64 exec, exec, s[12:13]
.LBB213_1106:
	s_or_b64 exec, exec, s[8:9]
	global_store_byte v[2:3], v6, off
.LBB213_1107:
	s_mov_b64 s[8:9], -1
.LBB213_1108:
	s_mov_b64 s[10:11], 0
.LBB213_1109:
	s_and_b64 vcc, exec, s[10:11]
	s_cbranch_vccz .LBB213_1150
; %bb.1110:
	v_mov_b32_e32 v1, 22
	v_cmp_gt_i16_sdwa s[12:13], v32, v1 src0_sel:BYTE_0 src1_sel:DWORD
	s_mov_b64 s[10:11], -1
	s_and_b64 vcc, exec, s[12:13]
	s_cbranch_vccz .LBB213_1142
; %bb.1111:
	v_mov_b32_e32 v1, 24
	v_cmp_lt_i16_sdwa s[10:11], v32, v1 src0_sel:BYTE_0 src1_sel:DWORD
	s_mov_b64 s[8:9], -1
	s_and_b64 vcc, exec, s[10:11]
	s_cbranch_vccnz .LBB213_1131
; %bb.1112:
	v_cmp_gt_i16_sdwa s[10:11], v32, v1 src0_sel:BYTE_0 src1_sel:DWORD
	s_and_b64 vcc, exec, s[10:11]
	s_cbranch_vccz .LBB213_1120
; %bb.1113:
	v_lshlrev_b32_e32 v5, 16, v0
	v_and_b32_e32 v4, 0x7fffffff, v5
	s_mov_b32 s8, 0x47800000
	v_cmp_gt_u32_e32 vcc, s8, v4
	v_mov_b32_e32 v6, 0x80
	s_and_saveexec_b64 s[8:9], vcc
	s_cbranch_execz .LBB213_1119
; %bb.1114:
	s_mov_b32 s10, 0x37ffffff
	v_and_b32_e32 v1, 0xffff, v0
	v_cmp_lt_u32_e32 vcc, s10, v4
	s_mov_b64 s[10:11], 0
                                        ; implicit-def: $vgpr4
	s_and_saveexec_b64 s[12:13], vcc
	s_xor_b64 s[12:13], exec, s[12:13]
	s_cbranch_execz .LBB213_2281
; %bb.1115:
	v_bfe_u32 v4, v1, 5, 1
	s_mov_b32 s14, 0x88fffff
	v_add3_u32 v4, v5, v4, s14
	s_mov_b64 s[10:11], exec
	v_lshrrev_b32_e32 v4, 21, v4
                                        ; implicit-def: $vgpr5
	s_or_saveexec_b64 s[12:13], s[12:13]
                                        ; implicit-def: $sgpr14
	s_xor_b64 exec, exec, s[12:13]
	s_cbranch_execnz .LBB213_2282
.LBB213_1116:
	s_or_b64 exec, exec, s[12:13]
	v_mov_b32_e32 v6, s14
	s_and_saveexec_b64 s[12:13], s[10:11]
.LBB213_1117:
	v_lshrrev_b32_e32 v1, 8, v1
	s_movk_i32 s10, 0x80
	v_and_or_b32 v6, v1, s10, v4
.LBB213_1118:
	s_or_b64 exec, exec, s[12:13]
.LBB213_1119:
	s_or_b64 exec, exec, s[8:9]
	s_mov_b64 s[8:9], 0
	global_store_byte v[2:3], v6, off
.LBB213_1120:
	s_and_b64 vcc, exec, s[8:9]
	s_cbranch_vccz .LBB213_1130
; %bb.1121:
	v_lshlrev_b32_e32 v5, 16, v0
	v_and_b32_e32 v6, 0x7fffffff, v5
	s_mov_b32 s8, 0x43f00000
	v_and_b32_e32 v1, 0xffff, v0
	v_cmp_gt_u32_e32 vcc, s8, v6
                                        ; implicit-def: $vgpr4
	s_and_saveexec_b64 s[8:9], vcc
	s_xor_b64 s[8:9], exec, s[8:9]
	s_cbranch_execz .LBB213_1127
; %bb.1122:
	s_mov_b32 s10, 0x3c7fffff
	v_cmp_lt_u32_e32 vcc, s10, v6
                                        ; implicit-def: $vgpr4
	s_and_saveexec_b64 s[10:11], vcc
	s_xor_b64 s[10:11], exec, s[10:11]
; %bb.1123:
	v_bfe_u32 v4, v1, 4, 1
	s_mov_b32 s12, 0x407ffff
	v_add3_u32 v4, v5, v4, s12
	v_lshrrev_b32_e32 v5, 20, v4
	v_and_b32_e32 v4, 0xff00000, v4
	s_mov_b32 s12, 0x7f00000
	v_mov_b32_e32 v6, 0x7e
	v_cmp_ne_u32_e32 vcc, s12, v4
	v_cndmask_b32_e32 v4, v6, v5, vcc
                                        ; implicit-def: $vgpr5
; %bb.1124:
	s_andn2_saveexec_b64 s[10:11], s[10:11]
; %bb.1125:
	s_mov_b32 s12, 0x46800000
	v_add_f32_e64 v4, |v5|, s12
; %bb.1126:
	s_or_b64 exec, exec, s[10:11]
                                        ; implicit-def: $vgpr6
.LBB213_1127:
	s_andn2_saveexec_b64 s[8:9], s[8:9]
; %bb.1128:
	s_mov_b32 s10, 0x7f800000
	v_mov_b32_e32 v4, 0x7e
	v_mov_b32_e32 v5, 0x7f
	v_cmp_lt_u32_e32 vcc, s10, v6
	v_cndmask_b32_e32 v4, v4, v5, vcc
; %bb.1129:
	s_or_b64 exec, exec, s[8:9]
	v_lshrrev_b32_e32 v1, 8, v1
	s_movk_i32 s8, 0x80
	v_and_or_b32 v1, v1, s8, v4
	global_store_byte v[2:3], v1, off
.LBB213_1130:
	s_mov_b64 s[8:9], 0
.LBB213_1131:
	s_andn2_b64 vcc, exec, s[8:9]
	s_cbranch_vccnz .LBB213_1141
; %bb.1132:
	v_lshlrev_b32_e32 v5, 16, v0
	v_and_b32_e32 v6, 0x7fffffff, v5
	s_mov_b32 s8, 0x47800000
	v_and_b32_e32 v1, 0xffff, v0
	v_cmp_gt_u32_e32 vcc, s8, v6
                                        ; implicit-def: $vgpr4
	s_and_saveexec_b64 s[8:9], vcc
	s_xor_b64 s[8:9], exec, s[8:9]
	s_cbranch_execz .LBB213_1138
; %bb.1133:
	s_mov_b32 s10, 0x387fffff
	v_cmp_lt_u32_e32 vcc, s10, v6
                                        ; implicit-def: $vgpr4
	s_and_saveexec_b64 s[10:11], vcc
	s_xor_b64 s[10:11], exec, s[10:11]
; %bb.1134:
	v_bfe_u32 v4, v1, 5, 1
	s_mov_b32 s12, 0x80fffff
	v_add3_u32 v4, v5, v4, s12
	v_lshrrev_b32_e32 v4, 21, v4
                                        ; implicit-def: $vgpr5
; %bb.1135:
	s_andn2_saveexec_b64 s[10:11], s[10:11]
; %bb.1136:
	s_mov_b32 s12, 0x43000000
	v_add_f32_e64 v4, |v5|, s12
; %bb.1137:
	s_or_b64 exec, exec, s[10:11]
                                        ; implicit-def: $vgpr6
.LBB213_1138:
	s_andn2_saveexec_b64 s[8:9], s[8:9]
; %bb.1139:
	s_mov_b32 s10, 0x7f800000
	v_mov_b32_e32 v4, 0x7c
	v_mov_b32_e32 v5, 0x7f
	v_cmp_lt_u32_e32 vcc, s10, v6
	v_cndmask_b32_e32 v4, v4, v5, vcc
; %bb.1140:
	s_or_b64 exec, exec, s[8:9]
	v_lshrrev_b32_e32 v1, 8, v1
	s_movk_i32 s8, 0x80
	v_and_or_b32 v1, v1, s8, v4
	global_store_byte v[2:3], v1, off
.LBB213_1141:
	s_mov_b64 s[10:11], 0
	s_mov_b64 s[8:9], -1
.LBB213_1142:
	s_andn2_b64 vcc, exec, s[10:11]
	s_cbranch_vccnz .LBB213_1150
; %bb.1143:
	v_mov_b32_e32 v1, 14
	v_cmp_gt_i16_sdwa s[12:13], v32, v1 src0_sel:BYTE_0 src1_sel:DWORD
	s_mov_b64 s[10:11], -1
	s_and_b64 vcc, exec, s[12:13]
	s_cbranch_vccz .LBB213_1147
; %bb.1144:
	v_mov_b32_e32 v1, 15
	v_cmp_eq_u16_sdwa s[10:11], v32, v1 src0_sel:BYTE_0 src1_sel:DWORD
	s_mov_b64 s[6:7], -1
	s_and_b64 vcc, exec, s[10:11]
	s_cbranch_vccz .LBB213_1146
; %bb.1145:
	global_store_short v[2:3], v0, off
	s_mov_b64 s[8:9], -1
	s_mov_b64 s[6:7], 0
.LBB213_1146:
	s_mov_b64 s[10:11], 0
.LBB213_1147:
	s_and_b64 vcc, exec, s[10:11]
	s_cbranch_vccz .LBB213_1150
; %bb.1148:
	v_mov_b32_e32 v1, 11
	v_cmp_eq_u16_sdwa s[10:11], v32, v1 src0_sel:BYTE_0 src1_sel:DWORD
	s_mov_b64 s[6:7], -1
	s_and_b64 vcc, exec, s[10:11]
	s_cbranch_vccz .LBB213_1150
; %bb.1149:
	v_and_b32_e32 v1, 0x7fff, v0
	v_cmp_ne_u16_e32 vcc, 0, v1
	v_cndmask_b32_e64 v1, 0, 1, vcc
	s_mov_b64 s[8:9], -1
	s_mov_b64 s[6:7], 0
	global_store_byte v[2:3], v1, off
.LBB213_1150:
	s_mov_b64 s[10:11], 0
.LBB213_1151:
	s_and_b64 vcc, exec, s[10:11]
	s_cbranch_vccz .LBB213_1190
; %bb.1152:
	v_mov_b32_e32 v1, 5
	v_cmp_lt_i16_sdwa s[10:11], v32, v1 src0_sel:BYTE_0 src1_sel:DWORD
	s_mov_b64 s[8:9], -1
	s_and_b64 vcc, exec, s[10:11]
	s_cbranch_vccnz .LBB213_1173
; %bb.1153:
	v_mov_b32_e32 v1, 8
	v_cmp_lt_i16_sdwa s[10:11], v32, v1 src0_sel:BYTE_0 src1_sel:DWORD
	s_and_b64 vcc, exec, s[10:11]
	s_cbranch_vccnz .LBB213_1163
; %bb.1154:
	v_mov_b32_e32 v1, 9
	v_cmp_lt_i16_sdwa s[10:11], v32, v1 src0_sel:BYTE_0 src1_sel:DWORD
	s_and_b64 vcc, exec, s[10:11]
	s_cbranch_vccnz .LBB213_1160
; %bb.1155:
	v_cmp_gt_i16_sdwa s[10:11], v32, v1 src0_sel:BYTE_0 src1_sel:DWORD
	s_and_b64 vcc, exec, s[10:11]
	s_cbranch_vccz .LBB213_1157
; %bb.1156:
	v_lshlrev_b32_e32 v1, 16, v0
	v_mov_b32_e32 v6, 0
	v_cvt_f64_f32_e32 v[4:5], v1
	v_mov_b32_e32 v7, v6
	s_mov_b64 s[8:9], 0
	global_store_dwordx4 v[2:3], v[4:7], off
.LBB213_1157:
	s_andn2_b64 vcc, exec, s[8:9]
	s_cbranch_vccnz .LBB213_1159
; %bb.1158:
	v_lshlrev_b32_e32 v4, 16, v0
	v_mov_b32_e32 v5, 0
	global_store_dwordx2 v[2:3], v[4:5], off
.LBB213_1159:
	s_mov_b64 s[8:9], 0
.LBB213_1160:
	s_andn2_b64 vcc, exec, s[8:9]
	s_cbranch_vccnz .LBB213_1162
; %bb.1161:
	v_lshlrev_b32_e32 v1, 16, v0
	v_cvt_f16_f32_e32 v1, v1
	global_store_dword v[2:3], v1, off
.LBB213_1162:
	s_mov_b64 s[8:9], 0
.LBB213_1163:
	s_andn2_b64 vcc, exec, s[8:9]
	s_cbranch_vccnz .LBB213_1172
; %bb.1164:
	v_mov_b32_e32 v1, 6
	v_cmp_lt_i16_sdwa s[10:11], v32, v1 src0_sel:BYTE_0 src1_sel:DWORD
	s_mov_b64 s[8:9], -1
	s_and_b64 vcc, exec, s[10:11]
	s_cbranch_vccnz .LBB213_1170
; %bb.1165:
	v_cmp_gt_i16_sdwa s[10:11], v32, v1 src0_sel:BYTE_0 src1_sel:DWORD
	s_and_b64 vcc, exec, s[10:11]
	s_cbranch_vccz .LBB213_1167
; %bb.1166:
	v_lshlrev_b32_e32 v1, 16, v0
	v_cvt_f64_f32_e32 v[4:5], v1
	s_mov_b64 s[8:9], 0
	global_store_dwordx2 v[2:3], v[4:5], off
.LBB213_1167:
	s_andn2_b64 vcc, exec, s[8:9]
	s_cbranch_vccnz .LBB213_1169
; %bb.1168:
	v_lshlrev_b32_e32 v1, 16, v0
	global_store_dword v[2:3], v1, off
.LBB213_1169:
	s_mov_b64 s[8:9], 0
.LBB213_1170:
	s_andn2_b64 vcc, exec, s[8:9]
	s_cbranch_vccnz .LBB213_1172
; %bb.1171:
	v_lshlrev_b32_e32 v1, 16, v0
	v_cvt_f16_f32_e32 v1, v1
	global_store_short v[2:3], v1, off
.LBB213_1172:
	s_mov_b64 s[8:9], 0
.LBB213_1173:
	s_andn2_b64 vcc, exec, s[8:9]
	s_cbranch_vccnz .LBB213_1189
; %bb.1174:
	v_mov_b32_e32 v1, 2
	v_cmp_lt_i16_sdwa s[10:11], v32, v1 src0_sel:BYTE_0 src1_sel:DWORD
	s_mov_b64 s[8:9], -1
	s_and_b64 vcc, exec, s[10:11]
	s_cbranch_vccnz .LBB213_1184
; %bb.1175:
	v_mov_b32_e32 v1, 3
	v_cmp_lt_i16_sdwa s[10:11], v32, v1 src0_sel:BYTE_0 src1_sel:DWORD
	s_and_b64 vcc, exec, s[10:11]
	s_cbranch_vccnz .LBB213_1181
; %bb.1176:
	v_cmp_gt_i16_sdwa s[10:11], v32, v1 src0_sel:BYTE_0 src1_sel:DWORD
	s_and_b64 vcc, exec, s[10:11]
	s_cbranch_vccz .LBB213_1178
; %bb.1177:
	v_lshlrev_b32_e32 v1, 16, v0
	v_trunc_f32_e32 v1, v1
	s_mov_b32 s8, 0x2f800000
	v_mul_f32_e64 v4, |v1|, s8
	v_floor_f32_e32 v4, v4
	s_mov_b32 s8, 0xcf800000
	v_cvt_u32_f32_e32 v5, v4
	v_fma_f32 v4, v4, s8, |v1|
	v_cvt_u32_f32_e32 v4, v4
	v_ashrrev_i32_e32 v1, 31, v1
	v_xor_b32_e32 v5, v5, v1
	s_mov_b64 s[8:9], 0
	v_xor_b32_e32 v4, v4, v1
	v_sub_co_u32_e32 v4, vcc, v4, v1
	v_subb_co_u32_e32 v5, vcc, v5, v1, vcc
	global_store_dwordx2 v[2:3], v[4:5], off
.LBB213_1178:
	s_andn2_b64 vcc, exec, s[8:9]
	s_cbranch_vccnz .LBB213_1180
; %bb.1179:
	v_lshlrev_b32_e32 v1, 16, v0
	v_cvt_i32_f32_e32 v1, v1
	global_store_dword v[2:3], v1, off
.LBB213_1180:
	s_mov_b64 s[8:9], 0
.LBB213_1181:
	s_andn2_b64 vcc, exec, s[8:9]
	s_cbranch_vccnz .LBB213_1183
; %bb.1182:
	v_lshlrev_b32_e32 v1, 16, v0
	v_cvt_i32_f32_e32 v1, v1
	global_store_short v[2:3], v1, off
.LBB213_1183:
	s_mov_b64 s[8:9], 0
.LBB213_1184:
	s_andn2_b64 vcc, exec, s[8:9]
	s_cbranch_vccnz .LBB213_1189
; %bb.1185:
	v_mov_b32_e32 v1, 0
	v_cmp_gt_i16_sdwa s[10:11], v32, v1 src0_sel:BYTE_0 src1_sel:DWORD
	s_mov_b64 s[8:9], -1
	s_and_b64 vcc, exec, s[10:11]
	v_lshlrev_b32_e32 v0, 16, v0
	s_cbranch_vccz .LBB213_1187
; %bb.1186:
	v_cvt_i32_f32_e32 v1, v0
	s_mov_b64 s[8:9], 0
	global_store_byte v[2:3], v1, off
.LBB213_1187:
	s_andn2_b64 vcc, exec, s[8:9]
	s_cbranch_vccnz .LBB213_1189
; %bb.1188:
	v_trunc_f32_e32 v0, v0
	s_mov_b32 s8, 0x2f800000
	v_mul_f32_e64 v1, |v0|, s8
	v_floor_f32_e32 v1, v1
	s_mov_b32 s8, 0xcf800000
	v_fma_f32 v1, v1, s8, |v0|
	v_cvt_u32_f32_e32 v1, v1
	v_ashrrev_i32_e32 v0, 31, v0
	v_xor_b32_e32 v1, v1, v0
	v_sub_u32_e32 v0, v1, v0
	global_store_byte v[2:3], v0, off
.LBB213_1189:
	s_mov_b64 s[8:9], -1
.LBB213_1190:
	s_andn2_b64 vcc, exec, s[8:9]
	s_cbranch_vccnz .LBB213_1214
; %bb.1191:
	v_add_u32_e32 v34, 0x80, v34
	s_mov_b64 s[12:13], -1
.LBB213_1192:
	s_andn2_b64 s[8:9], s[68:69], exec
	s_and_b64 s[6:7], s[6:7], exec
	s_or_b64 s[10:11], s[8:9], s[6:7]
	s_andn2_b64 s[6:7], s[66:67], exec
	s_and_b64 s[8:9], s[76:77], exec
	s_or_b64 s[8:9], s[6:7], s[8:9]
	;; [unrolled: 3-line block ×3, first 2 shown]
	s_orn2_b64 s[20:21], s[12:13], exec
.LBB213_1193:
	s_or_b64 exec, exec, s[72:73]
	s_mov_b64 s[14:15], 0
	s_mov_b64 s[16:17], 0
	;; [unrolled: 1-line block ×3, first 2 shown]
                                        ; implicit-def: $vgpr1
                                        ; implicit-def: $vgpr4_vgpr5
                                        ; implicit-def: $vgpr2
                                        ; implicit-def: $vgpr30
                                        ; implicit-def: $vgpr0
	s_and_saveexec_b64 s[12:13], s[20:21]
	s_cbranch_execz .LBB213_1287
; %bb.1194:
	v_cmp_gt_i32_e32 vcc, s82, v34
	s_mov_b64 s[20:21], 0
	s_mov_b64 s[30:31], s[6:7]
	;; [unrolled: 1-line block ×4, first 2 shown]
                                        ; implicit-def: $vgpr1
                                        ; implicit-def: $vgpr4_vgpr5
                                        ; implicit-def: $vgpr2
                                        ; implicit-def: $vgpr30
                                        ; implicit-def: $vgpr0
	s_and_saveexec_b64 s[14:15], vcc
	s_cbranch_execz .LBB213_1286
; %bb.1195:
	s_andn2_b64 vcc, exec, s[34:35]
	s_cbranch_vccnz .LBB213_1202
; %bb.1196:
	s_andn2_b64 vcc, exec, s[54:55]
	v_mov_b32_e32 v2, 0
	s_waitcnt vmcnt(0)
	v_mov_b32_e32 v0, 0
	v_mov_b32_e32 v30, 0
	s_cbranch_vccnz .LBB213_1201
; %bb.1197:
	s_add_i32 s16, s81, 1
	s_and_b32 s18, s16, 30
	s_add_u32 s16, s22, 0xffffffec
	s_addc_u32 s17, s23, -1
	v_mov_b32_e32 v30, 0
	v_mov_b32_e32 v1, v34
	;; [unrolled: 1-line block ×4, first 2 shown]
.LBB213_1198:                           ; =>This Inner Loop Header: Depth=1
	s_mov_b64 s[20:21], s[16:17]
	s_load_dwordx4 s[72:75], s[20:21], 0x18
	s_load_dwordx2 s[30:31], s[20:21], 0x28
	s_load_dwordx2 s[54:55], s[20:21], 0xe8
	s_load_dwordx4 s[76:79], s[20:21], 0xd8
	s_add_u32 s16, s20, 24
	s_waitcnt lgkmcnt(0)
	v_mul_hi_u32 v3, s73, v1
	v_add_u32_e32 v3, v1, v3
	v_lshrrev_b32_e32 v3, s74, v3
	v_mul_lo_u32 v4, v3, s72
	v_mul_hi_u32 v5, s30, v3
	v_sub_u32_e32 v1, v1, v4
	v_add_u32_e32 v4, v3, v5
	v_mul_lo_u32 v5, v1, s76
	v_mul_lo_u32 v6, v1, s77
	;; [unrolled: 1-line block ×3, first 2 shown]
	v_lshrrev_b32_e32 v1, s31, v4
	v_mul_lo_u32 v4, v1, s75
	v_sub_u32_e32 v3, v3, v4
	s_addc_u32 s17, s21, 0
	s_add_i32 s18, s18, -2
	v_mul_lo_u32 v4, v3, s79
	v_mul_lo_u32 v8, v3, s54
	;; [unrolled: 1-line block ×3, first 2 shown]
	s_cmp_eq_u32 s18, 0
	v_add3_u32 v30, v5, v30, v4
	v_add3_u32 v2, v7, v2, v3
	;; [unrolled: 1-line block ×3, first 2 shown]
	s_cbranch_scc0 .LBB213_1198
; %bb.1199:
	s_bitcmp1_b32 s81, 0
	s_cselect_b64 s[18:19], -1, 0
	s_and_b64 vcc, exec, s[18:19]
	s_cbranch_vccnz .LBB213_1201
; %bb.1200:
	s_load_dwordx2 s[18:19], s[16:17], 0x18
	s_load_dword s20, s[16:17], 0x20
	s_load_dword s21, s[16:17], 0xe0
	s_nop 0
	s_load_dwordx2 s[16:17], s[16:17], 0xd8
	s_waitcnt lgkmcnt(0)
	v_mul_hi_u32 v3, s19, v1
	v_add_u32_e32 v3, v1, v3
	v_lshrrev_b32_e32 v3, s20, v3
	v_mul_lo_u32 v3, v3, s18
	v_sub_u32_e32 v3, v1, v3
	v_mad_u64_u32 v[30:31], s[18:19], v3, s16, v[30:31]
	v_mad_u64_u32 v[0:1], s[16:17], v3, s17, v[0:1]
	;; [unrolled: 1-line block ×3, first 2 shown]
.LBB213_1201:
	s_mov_b64 s[16:17], 0
	s_branch .LBB213_1203
.LBB213_1202:
	s_mov_b64 s[16:17], -1
                                        ; implicit-def: $vgpr2
                                        ; implicit-def: $vgpr0
                                        ; implicit-def: $vgpr30
.LBB213_1203:
	s_andn2_b64 vcc, exec, s[16:17]
	s_cbranch_vccnz .LBB213_1206
; %bb.1204:
	s_waitcnt vmcnt(0) lgkmcnt(0)
	v_mul_hi_u32 v0, s41, v34
	v_add_u32_e32 v0, v34, v0
	v_lshrrev_b32_e32 v1, s42, v0
	v_mul_lo_u32 v0, v1, s40
	v_sub_u32_e32 v0, v34, v0
	v_mul_lo_u32 v30, v0, s36
	v_mul_lo_u32 v2, v0, s38
	s_andn2_b64 vcc, exec, s[52:53]
	v_mul_lo_u32 v0, v0, s37
	s_cbranch_vccnz .LBB213_1206
; %bb.1205:
	v_mul_hi_u32 v3, s50, v1
	v_add_u32_e32 v3, v1, v3
	v_lshrrev_b32_e32 v3, s51, v3
	v_mul_lo_u32 v3, v3, s43
	v_sub_u32_e32 v3, v1, v3
	v_mad_u64_u32 v[30:31], s[16:17], v3, s39, v[30:31]
	v_mad_u64_u32 v[0:1], s[16:17], v3, s48, v[0:1]
	;; [unrolled: 1-line block ×3, first 2 shown]
.LBB213_1206:
	s_waitcnt vmcnt(0) lgkmcnt(0)
	v_mov_b32_e32 v1, s27
	v_add_co_u32_e32 v4, vcc, s26, v0
	v_addc_co_u32_e32 v5, vcc, 0, v1, vcc
	v_and_b32_e32 v1, 0xff, v35
	v_cmp_gt_i16_e32 vcc, 11, v1
	s_cbranch_vccnz .LBB213_1213
; %bb.1207:
	v_cmp_lt_i16_e32 vcc, 25, v1
	s_mov_b64 s[18:19], 0
	s_cbranch_vccz .LBB213_1215
; %bb.1208:
	v_cmp_lt_i16_e32 vcc, 28, v1
	s_cbranch_vccz .LBB213_1216
; %bb.1209:
	v_cmp_lt_i16_e32 vcc, 43, v1
	;; [unrolled: 3-line block ×3, first 2 shown]
	s_cbranch_vccz .LBB213_1218
; %bb.1211:
	v_cmp_eq_u16_e32 vcc, 46, v1
	s_mov_b64 s[26:27], 0
	s_cbranch_vccz .LBB213_1221
; %bb.1212:
	global_load_dword v0, v[4:5], off
	s_mov_b64 s[16:17], 0
	s_mov_b64 s[20:21], -1
	s_branch .LBB213_1222
.LBB213_1213:
	s_mov_b64 s[26:27], -1
	s_mov_b64 s[20:21], 0
	s_mov_b64 s[18:19], 0
	;; [unrolled: 1-line block ×3, first 2 shown]
                                        ; implicit-def: $vgpr0
	s_branch .LBB213_1285
.LBB213_1214:
	s_mov_b64 s[12:13], 0
	s_branch .LBB213_945
.LBB213_1215:
	s_mov_b64 s[26:27], -1
	s_mov_b64 s[20:21], 0
	s_mov_b64 s[16:17], s[6:7]
                                        ; implicit-def: $vgpr0
	s_branch .LBB213_1251
.LBB213_1216:
	s_mov_b64 s[26:27], -1
	s_mov_b64 s[20:21], 0
	s_mov_b64 s[16:17], s[6:7]
                                        ; implicit-def: $vgpr0
	s_branch .LBB213_1232
.LBB213_1217:
	s_mov_b64 s[26:27], -1
	s_mov_b64 s[20:21], 0
	s_mov_b64 s[16:17], s[6:7]
                                        ; implicit-def: $vgpr0
	s_branch .LBB213_1227
.LBB213_1218:
	s_mov_b64 s[26:27], -1
	s_mov_b64 s[20:21], 0
	s_mov_b64 s[16:17], s[6:7]
                                        ; implicit-def: $vgpr0
	s_branch .LBB213_1222
.LBB213_1219:
	s_or_saveexec_b64 s[12:13], s[12:13]
                                        ; implicit-def: $sgpr14
	s_xor_b64 exec, exec, s[12:13]
	s_cbranch_execz .LBB213_1103
.LBB213_1220:
	s_mov_b32 s14, 0x46000000
	v_add_f32_e64 v4, |v5|, s14
	v_and_b32_e32 v4, 0xff, v4
	v_cmp_ne_u32_e32 vcc, 0, v4
	s_andn2_b64 s[10:11], s[10:11], exec
	s_and_b64 s[16:17], vcc, exec
	s_mov_b32 s14, 0
	s_or_b64 s[10:11], s[10:11], s[16:17]
	s_or_b64 exec, exec, s[12:13]
	v_mov_b32_e32 v6, s14
	s_and_saveexec_b64 s[12:13], s[10:11]
	s_cbranch_execnz .LBB213_1104
	s_branch .LBB213_1105
.LBB213_1221:
	s_mov_b64 s[16:17], -1
                                        ; implicit-def: $vgpr0
	s_mov_b64 s[20:21], 0
.LBB213_1222:
	s_and_b64 vcc, exec, s[26:27]
	s_cbranch_vccz .LBB213_1226
; %bb.1223:
	v_cmp_eq_u16_e32 vcc, 44, v1
	s_cbranch_vccz .LBB213_1225
; %bb.1224:
	global_load_ubyte v0, v[4:5], off
	s_movk_i32 s20, 0xff
	v_mov_b32_e32 v3, 0x7f800001
	v_mov_b32_e32 v6, 0x400000
	;; [unrolled: 1-line block ×3, first 2 shown]
	s_mov_b64 s[16:17], 0
	s_waitcnt vmcnt(0)
	v_lshlrev_b32_e32 v8, 23, v0
	v_cmp_ne_u32_e32 vcc, s20, v0
	v_cndmask_b32_e32 v3, v3, v8, vcc
	v_cmp_ne_u32_e32 vcc, 0, v0
	v_cndmask_b32_e32 v0, v6, v3, vcc
	v_add_u32_e32 v3, 0x7fff, v0
	v_lshrrev_b32_e32 v3, 16, v3
	v_cmp_o_f32_e32 vcc, v0, v0
	v_cndmask_b32_e32 v0, v7, v3, vcc
	s_mov_b64 s[20:21], -1
	s_branch .LBB213_1226
.LBB213_1225:
	s_mov_b64 s[16:17], -1
                                        ; implicit-def: $vgpr0
.LBB213_1226:
	s_mov_b64 s[26:27], 0
.LBB213_1227:
	s_and_b64 vcc, exec, s[26:27]
	s_cbranch_vccz .LBB213_1231
; %bb.1228:
	v_cmp_eq_u16_e32 vcc, 29, v1
	s_cbranch_vccz .LBB213_1230
; %bb.1229:
	global_load_dwordx2 v[6:7], v[4:5], off
	s_movk_i32 s20, 0x7fff
	s_mov_b64 s[16:17], 0
	s_mov_b64 s[26:27], 0
	s_waitcnt vmcnt(0)
	v_ffbh_u32_e32 v0, v7
	v_min_u32_e32 v0, 32, v0
	v_lshlrev_b64 v[6:7], v0, v[6:7]
	v_min_u32_e32 v3, 1, v6
	v_or_b32_e32 v3, v7, v3
	v_cvt_f32_u32_e32 v3, v3
	v_sub_u32_e32 v0, 32, v0
	v_ldexp_f32 v0, v3, v0
	v_bfe_u32 v3, v0, 16, 1
	v_add3_u32 v0, v0, v3, s20
	v_lshrrev_b32_e32 v0, 16, v0
	s_mov_b64 s[20:21], -1
	s_branch .LBB213_1232
.LBB213_1230:
	s_mov_b64 s[16:17], -1
                                        ; implicit-def: $vgpr0
.LBB213_1231:
	s_mov_b64 s[26:27], 0
.LBB213_1232:
	s_and_b64 vcc, exec, s[26:27]
	s_cbranch_vccz .LBB213_1250
; %bb.1233:
	v_cmp_gt_i16_e32 vcc, 27, v1
	s_cbranch_vccnz .LBB213_1236
; %bb.1234:
	v_cmp_lt_i16_e32 vcc, 27, v1
	s_cbranch_vccz .LBB213_1237
; %bb.1235:
	global_load_dword v0, v[4:5], off
	s_movk_i32 s20, 0x7fff
	s_waitcnt vmcnt(0)
	v_cvt_f32_u32_e32 v0, v0
	v_bfe_u32 v3, v0, 16, 1
	v_add3_u32 v0, v0, v3, s20
	v_lshrrev_b32_e32 v0, 16, v0
	s_mov_b64 s[20:21], 0
	s_branch .LBB213_1238
.LBB213_1236:
	s_mov_b64 s[20:21], -1
                                        ; implicit-def: $vgpr0
	s_branch .LBB213_1241
.LBB213_1237:
	s_mov_b64 s[20:21], -1
                                        ; implicit-def: $vgpr0
.LBB213_1238:
	s_andn2_b64 vcc, exec, s[20:21]
	s_cbranch_vccnz .LBB213_1240
; %bb.1239:
	global_load_ushort v0, v[4:5], off
	s_movk_i32 s20, 0x7fff
	s_waitcnt vmcnt(0)
	v_cvt_f32_u32_e32 v0, v0
	v_bfe_u32 v3, v0, 16, 1
	v_add3_u32 v0, v0, v3, s20
	v_lshrrev_b32_e32 v0, 16, v0
.LBB213_1240:
	s_mov_b64 s[20:21], 0
.LBB213_1241:
	s_andn2_b64 vcc, exec, s[20:21]
	s_cbranch_vccnz .LBB213_1249
; %bb.1242:
	global_load_ubyte v0, v[4:5], off
	s_movk_i32 s20, 0x7f
                                        ; implicit-def: $sgpr36
	s_waitcnt vmcnt(0)
	v_cmp_lt_i16_e32 vcc, s20, v0
	s_mov_b64 s[20:21], 0
	s_and_saveexec_b64 s[26:27], vcc
	s_xor_b64 s[26:27], exec, s[26:27]
	s_cbranch_execz .LBB213_1263
; %bb.1243:
	s_movk_i32 s20, 0x80
	v_cmp_eq_u16_e32 vcc, s20, v0
	s_mov_b64 s[20:21], -1
                                        ; implicit-def: $sgpr36
	s_and_saveexec_b64 s[30:31], vcc
; %bb.1244:
	s_mov_b32 s36, 0x7f800001
	s_xor_b64 s[20:21], exec, -1
; %bb.1245:
	s_or_b64 exec, exec, s[30:31]
	s_and_b64 s[20:21], s[20:21], exec
	s_or_saveexec_b64 s[26:27], s[26:27]
	v_mov_b32_e32 v3, s36
	s_xor_b64 exec, exec, s[26:27]
	s_cbranch_execnz .LBB213_1264
.LBB213_1246:
	s_or_b64 exec, exec, s[26:27]
	s_and_saveexec_b64 s[26:27], s[20:21]
	s_cbranch_execz .LBB213_1248
.LBB213_1247:
	v_lshlrev_b32_e32 v3, 24, v0
	v_and_b32_e32 v0, 0xffff, v0
	v_and_b32_e32 v6, 7, v0
	v_ffbh_u32_e32 v8, v6
	v_min_u32_e32 v8, 32, v8
	v_subrev_u32_e32 v9, 28, v8
	v_bfe_u32 v7, v0, 3, 4
	v_lshlrev_b32_e32 v0, v9, v0
	v_sub_u32_e32 v8, 29, v8
	v_and_b32_e32 v0, 7, v0
	v_cmp_eq_u32_e32 vcc, 0, v7
	v_cndmask_b32_e32 v7, v7, v8, vcc
	v_cndmask_b32_e32 v0, v6, v0, vcc
	v_mov_b32_e32 v6, 0x3b800000
	v_lshlrev_b32_e32 v0, 20, v0
	v_and_b32_e32 v3, 0x80000000, v3
	v_lshl_add_u32 v6, v7, 23, v6
	v_or3_b32 v3, v3, v6, v0
.LBB213_1248:
	s_or_b64 exec, exec, s[26:27]
	v_bfe_u32 v0, v3, 16, 1
	s_movk_i32 s20, 0x7fff
	v_add3_u32 v0, v3, v0, s20
	v_lshrrev_b32_e32 v0, 16, v0
	v_mov_b32_e32 v6, 0x7fc0
	v_cmp_o_f32_e32 vcc, v3, v3
	v_cndmask_b32_e32 v0, v6, v0, vcc
.LBB213_1249:
	s_mov_b64 s[20:21], -1
.LBB213_1250:
	s_mov_b64 s[26:27], 0
.LBB213_1251:
	s_and_b64 vcc, exec, s[26:27]
	s_cbranch_vccz .LBB213_1284
; %bb.1252:
	v_cmp_lt_i16_e32 vcc, 22, v1
	s_cbranch_vccz .LBB213_1262
; %bb.1253:
	v_cmp_gt_i16_e32 vcc, 24, v1
	s_cbranch_vccnz .LBB213_1265
; %bb.1254:
	v_cmp_lt_i16_e32 vcc, 24, v1
	s_cbranch_vccz .LBB213_1266
; %bb.1255:
	global_load_ubyte v0, v[4:5], off
	s_movk_i32 s18, 0x7f
                                        ; implicit-def: $sgpr30
	s_waitcnt vmcnt(0)
	v_cmp_lt_i16_e32 vcc, s18, v0
	s_mov_b64 s[18:19], 0
	s_and_saveexec_b64 s[20:21], vcc
	s_xor_b64 s[20:21], exec, s[20:21]
	s_cbranch_execz .LBB213_1278
; %bb.1256:
	s_movk_i32 s18, 0x80
	v_cmp_eq_u16_e32 vcc, s18, v0
	s_mov_b64 s[18:19], -1
                                        ; implicit-def: $sgpr30
	s_and_saveexec_b64 s[26:27], vcc
; %bb.1257:
	s_mov_b32 s30, 0x7f800001
	s_xor_b64 s[18:19], exec, -1
; %bb.1258:
	s_or_b64 exec, exec, s[26:27]
	s_and_b64 s[18:19], s[18:19], exec
	s_or_saveexec_b64 s[20:21], s[20:21]
	v_mov_b32_e32 v3, s30
	s_xor_b64 exec, exec, s[20:21]
	s_cbranch_execnz .LBB213_1279
.LBB213_1259:
	s_or_b64 exec, exec, s[20:21]
	s_and_saveexec_b64 s[20:21], s[18:19]
	s_cbranch_execz .LBB213_1261
.LBB213_1260:
	v_lshlrev_b32_e32 v3, 24, v0
	v_and_b32_e32 v0, 0xffff, v0
	v_and_b32_e32 v6, 3, v0
	v_ffbh_u32_e32 v8, v6
	v_min_u32_e32 v8, 32, v8
	v_subrev_u32_e32 v9, 29, v8
	v_bfe_u32 v7, v0, 2, 5
	v_lshlrev_b32_e32 v0, v9, v0
	v_sub_u32_e32 v8, 30, v8
	v_and_b32_e32 v0, 3, v0
	v_cmp_eq_u32_e32 vcc, 0, v7
	v_cndmask_b32_e32 v7, v7, v8, vcc
	v_cndmask_b32_e32 v0, v6, v0, vcc
	v_mov_b32_e32 v6, 0x37800000
	v_lshlrev_b32_e32 v0, 21, v0
	v_and_b32_e32 v3, 0x80000000, v3
	v_lshl_add_u32 v6, v7, 23, v6
	v_or3_b32 v3, v3, v6, v0
.LBB213_1261:
	s_or_b64 exec, exec, s[20:21]
	v_bfe_u32 v0, v3, 16, 1
	s_movk_i32 s18, 0x7fff
	v_add3_u32 v0, v3, v0, s18
	v_lshrrev_b32_e32 v0, 16, v0
	v_mov_b32_e32 v6, 0x7fc0
	v_cmp_o_f32_e32 vcc, v3, v3
	v_cndmask_b32_e32 v0, v6, v0, vcc
	s_mov_b64 s[18:19], 0
	s_branch .LBB213_1267
.LBB213_1262:
	s_mov_b64 s[18:19], -1
                                        ; implicit-def: $vgpr0
	s_branch .LBB213_1273
.LBB213_1263:
	s_or_saveexec_b64 s[26:27], s[26:27]
	v_mov_b32_e32 v3, s36
	s_xor_b64 exec, exec, s[26:27]
	s_cbranch_execz .LBB213_1246
.LBB213_1264:
	v_cmp_ne_u16_e32 vcc, 0, v0
	s_andn2_b64 s[20:21], s[20:21], exec
	s_and_b64 s[30:31], vcc, exec
	v_mov_b32_e32 v3, 0
	s_or_b64 s[20:21], s[20:21], s[30:31]
	s_or_b64 exec, exec, s[26:27]
	s_and_saveexec_b64 s[26:27], s[20:21]
	s_cbranch_execnz .LBB213_1247
	s_branch .LBB213_1248
.LBB213_1265:
	s_mov_b64 s[18:19], -1
                                        ; implicit-def: $vgpr0
	s_branch .LBB213_1270
.LBB213_1266:
	s_mov_b64 s[18:19], -1
                                        ; implicit-def: $vgpr0
.LBB213_1267:
	s_and_b64 vcc, exec, s[18:19]
	s_cbranch_vccz .LBB213_1269
; %bb.1268:
	global_load_ubyte v0, v[4:5], off
	s_mov_b32 s18, 0x7f800000
	s_brev_b32 s19, 1
	s_movk_i32 s20, 0x7fff
	v_mov_b32_e32 v3, 0x7fc0
	s_waitcnt vmcnt(0)
	v_lshlrev_b32_e32 v0, 24, v0
	v_and_b32_e32 v6, 0x7f000000, v0
	v_ffbh_u32_e32 v7, v6
	v_min_u32_e32 v7, 32, v7
	v_sub_u32_e64 v7, v7, 4 clamp
	v_lshlrev_b32_e32 v9, v7, v6
	v_lshlrev_b32_e32 v7, 23, v7
	v_lshrrev_b32_e32 v9, 4, v9
	v_add_u32_e32 v8, 0x1000000, v6
	v_sub_u32_e32 v7, v9, v7
	v_ashrrev_i32_e32 v8, 8, v8
	v_add_u32_e32 v7, 0x3c000000, v7
	v_and_or_b32 v7, v8, s18, v7
	v_cmp_ne_u32_e32 vcc, 0, v6
	v_cndmask_b32_e32 v6, 0, v7, vcc
	v_and_or_b32 v0, v0, s19, v6
	v_bfe_u32 v6, v6, 16, 1
	v_add3_u32 v6, v0, v6, s20
	v_lshrrev_b32_e32 v6, 16, v6
	v_cmp_o_f32_e32 vcc, v0, v0
	v_cndmask_b32_e32 v0, v3, v6, vcc
.LBB213_1269:
	s_mov_b64 s[18:19], 0
.LBB213_1270:
	s_andn2_b64 vcc, exec, s[18:19]
	s_cbranch_vccnz .LBB213_1272
; %bb.1271:
	global_load_ubyte v0, v[4:5], off
	s_movk_i32 s18, 0x7f00
	s_brev_b32 s19, 16
	s_brev_b32 s20, 1
	s_movk_i32 s21, 0x7fff
	v_mov_b32_e32 v3, 0x7fc0
	s_waitcnt vmcnt(0)
	v_lshlrev_b16_e32 v6, 8, v0
	v_lshlrev_b32_e32 v0, 25, v0
	v_lshrrev_b32_e32 v7, 4, v0
	v_and_or_b32 v8, v6, s18, 0.5
	v_or_b32_e32 v7, 0x70000000, v7
	v_add_f32_e32 v8, -0.5, v8
	v_mul_f32_e32 v7, 0x7800000, v7
	v_cmp_gt_u32_e32 vcc, s19, v0
	v_bfe_i32 v6, v6, 0, 16
	v_cndmask_b32_e32 v0, v7, v8, vcc
	v_and_or_b32 v6, v6, s20, v0
	v_bfe_u32 v0, v0, 16, 1
	v_add3_u32 v0, v6, v0, s21
	v_lshrrev_b32_e32 v0, 16, v0
	v_cmp_o_f32_e32 vcc, v6, v6
	v_cndmask_b32_e32 v0, v3, v0, vcc
.LBB213_1272:
	s_mov_b64 s[18:19], 0
	s_mov_b64 s[20:21], -1
.LBB213_1273:
	s_andn2_b64 vcc, exec, s[18:19]
	s_mov_b64 s[18:19], 0
	s_cbranch_vccnz .LBB213_1284
; %bb.1274:
	v_cmp_lt_i16_e32 vcc, 14, v1
	s_cbranch_vccz .LBB213_1277
; %bb.1275:
	v_cmp_eq_u16_e32 vcc, 15, v1
	s_cbranch_vccz .LBB213_1280
; %bb.1276:
	global_load_ushort v0, v[4:5], off
	s_mov_b64 s[16:17], 0
	s_mov_b64 s[20:21], -1
	s_branch .LBB213_1281
.LBB213_1277:
	s_mov_b64 s[26:27], -1
                                        ; implicit-def: $vgpr0
	s_branch .LBB213_1282
.LBB213_1278:
	s_or_saveexec_b64 s[20:21], s[20:21]
	v_mov_b32_e32 v3, s30
	s_xor_b64 exec, exec, s[20:21]
	s_cbranch_execz .LBB213_1259
.LBB213_1279:
	v_cmp_ne_u16_e32 vcc, 0, v0
	s_andn2_b64 s[18:19], s[18:19], exec
	s_and_b64 s[26:27], vcc, exec
	v_mov_b32_e32 v3, 0
	s_or_b64 s[18:19], s[18:19], s[26:27]
	s_or_b64 exec, exec, s[20:21]
	s_and_saveexec_b64 s[20:21], s[18:19]
	s_cbranch_execnz .LBB213_1260
	s_branch .LBB213_1261
.LBB213_1280:
	s_mov_b64 s[16:17], -1
                                        ; implicit-def: $vgpr0
.LBB213_1281:
	s_mov_b64 s[26:27], 0
.LBB213_1282:
	s_and_b64 vcc, exec, s[26:27]
	s_cbranch_vccz .LBB213_1284
; %bb.1283:
	v_cmp_ne_u16_e32 vcc, 11, v1
	s_andn2_b64 s[16:17], s[16:17], exec
	s_and_b64 s[26:27], vcc, exec
	s_mov_b64 s[18:19], -1
	s_or_b64 s[16:17], s[16:17], s[26:27]
                                        ; implicit-def: $vgpr0
.LBB213_1284:
	s_mov_b64 s[26:27], 0
.LBB213_1285:
	s_and_b64 s[74:75], s[20:21], exec
	s_and_b64 s[20:21], s[18:19], exec
	s_andn2_b64 s[18:19], s[6:7], exec
	s_and_b64 s[16:17], s[16:17], exec
	s_and_b64 s[72:73], s[26:27], exec
	s_or_b64 s[30:31], s[18:19], s[16:17]
.LBB213_1286:
	s_or_b64 exec, exec, s[14:15]
	s_and_b64 s[14:15], s[20:21], exec
	s_andn2_b64 s[6:7], s[6:7], exec
	s_and_b64 s[20:21], s[30:31], exec
	s_and_b64 s[18:19], s[74:75], exec
	;; [unrolled: 1-line block ×3, first 2 shown]
	s_or_b64 s[6:7], s[6:7], s[20:21]
.LBB213_1287:
	s_or_b64 exec, exec, s[12:13]
	s_andn2_b64 s[12:13], s[68:69], exec
	s_and_b64 s[10:11], s[10:11], exec
	s_or_b64 s[68:69], s[12:13], s[10:11]
	s_andn2_b64 s[10:11], s[66:67], exec
	s_and_b64 s[8:9], s[8:9], exec
	s_and_b64 s[12:13], s[14:15], exec
	s_andn2_b64 s[14:15], s[64:65], exec
	s_and_b64 s[6:7], s[6:7], exec
	s_or_b64 s[66:67], s[10:11], s[8:9]
	s_and_b64 s[8:9], s[18:19], exec
	s_and_b64 s[10:11], s[16:17], exec
	s_or_b64 s[64:65], s[14:15], s[6:7]
.LBB213_1288:
	s_or_b64 exec, exec, s[70:71]
	s_andn2_b64 s[6:7], s[56:57], exec
	s_and_b64 s[14:15], s[68:69], exec
	s_or_b64 s[56:57], s[6:7], s[14:15]
	s_andn2_b64 s[6:7], s[58:59], exec
	s_and_b64 s[14:15], s[66:67], exec
	s_or_b64 s[58:59], s[6:7], s[14:15]
	s_and_b64 s[66:67], s[12:13], exec
	s_andn2_b64 s[6:7], s[60:61], exec
	s_and_b64 s[12:13], s[64:65], exec
	s_and_b64 s[8:9], s[8:9], exec
	;; [unrolled: 1-line block ×3, first 2 shown]
	s_or_b64 s[60:61], s[6:7], s[12:13]
	s_or_b64 exec, exec, s[62:63]
	s_waitcnt lgkmcnt(0)
	s_mov_b64 s[26:27], 0
	s_and_saveexec_b64 s[6:7], s[60:61]
	s_cbranch_execz .LBB213_403
.LBB213_1289:
	s_mov_b64 s[26:27], exec
	s_andn2_b64 s[66:67], s[66:67], exec
	s_trap 2
                                        ; implicit-def: $vgpr0
	s_or_b64 exec, exec, s[6:7]
	s_and_saveexec_b64 s[6:7], s[66:67]
	s_xor_b64 s[6:7], exec, s[6:7]
	s_cbranch_execnz .LBB213_404
.LBB213_1290:
	s_or_b64 exec, exec, s[6:7]
	s_and_saveexec_b64 s[6:7], s[10:11]
	s_cbranch_execz .LBB213_1336
.LBB213_1291:
	s_waitcnt vmcnt(0)
	v_cmp_gt_i16_e32 vcc, 5, v1
	s_cbranch_vccnz .LBB213_1296
; %bb.1292:
	v_cmp_gt_i16_e32 vcc, 8, v1
	s_cbranch_vccnz .LBB213_1297
; %bb.1293:
	;; [unrolled: 3-line block ×3, first 2 shown]
	v_cmp_lt_i16_e32 vcc, 9, v1
	s_cbranch_vccz .LBB213_1299
; %bb.1295:
	global_load_dwordx2 v[6:7], v[4:5], off
	s_movk_i32 s10, 0x7fff
	v_mov_b32_e32 v0, 0x7fc0
	s_waitcnt vmcnt(0)
	v_cvt_f32_f64_e32 v3, v[6:7]
	v_bfe_u32 v6, v3, 16, 1
	v_add3_u32 v6, v3, v6, s10
	v_lshrrev_b32_e32 v6, 16, v6
	v_cmp_o_f32_e32 vcc, v3, v3
	v_cndmask_b32_e32 v0, v0, v6, vcc
	s_mov_b64 s[10:11], 0
	s_branch .LBB213_1300
.LBB213_1296:
                                        ; implicit-def: $vgpr0
	s_branch .LBB213_1317
.LBB213_1297:
                                        ; implicit-def: $vgpr0
	s_branch .LBB213_1306
.LBB213_1298:
	s_mov_b64 s[10:11], -1
                                        ; implicit-def: $vgpr0
	s_branch .LBB213_1303
.LBB213_1299:
	s_mov_b64 s[10:11], -1
                                        ; implicit-def: $vgpr0
.LBB213_1300:
	s_andn2_b64 vcc, exec, s[10:11]
	s_cbranch_vccnz .LBB213_1302
; %bb.1301:
	global_load_dword v0, v[4:5], off
	s_movk_i32 s10, 0x7fff
	v_mov_b32_e32 v3, 0x7fc0
	s_waitcnt vmcnt(0)
	v_bfe_u32 v6, v0, 16, 1
	v_add3_u32 v6, v0, v6, s10
	v_lshrrev_b32_e32 v6, 16, v6
	v_cmp_o_f32_e32 vcc, v0, v0
	v_cndmask_b32_e32 v0, v3, v6, vcc
.LBB213_1302:
	s_mov_b64 s[10:11], 0
.LBB213_1303:
	s_andn2_b64 vcc, exec, s[10:11]
	s_cbranch_vccnz .LBB213_1305
; %bb.1304:
	global_load_dword v0, v[4:5], off
	s_movk_i32 s10, 0x7fff
	v_mov_b32_e32 v6, 0x7fc0
	s_waitcnt vmcnt(0)
	v_cvt_f32_f16_e32 v3, v0
	v_cmp_o_f16_e32 vcc, v0, v0
	v_bfe_u32 v7, v3, 16, 1
	v_add3_u32 v3, v3, v7, s10
	v_lshrrev_b32_e32 v3, 16, v3
	v_cndmask_b32_e32 v0, v6, v3, vcc
.LBB213_1305:
	s_cbranch_execnz .LBB213_1316
.LBB213_1306:
	v_cmp_gt_i16_e32 vcc, 6, v1
	s_cbranch_vccnz .LBB213_1309
; %bb.1307:
	v_cmp_lt_i16_e32 vcc, 6, v1
	s_cbranch_vccz .LBB213_1310
; %bb.1308:
	global_load_dwordx2 v[6:7], v[4:5], off
	s_movk_i32 s10, 0x7fff
	v_mov_b32_e32 v0, 0x7fc0
	s_waitcnt vmcnt(0)
	v_cvt_f32_f64_e32 v3, v[6:7]
	v_bfe_u32 v6, v3, 16, 1
	v_add3_u32 v6, v3, v6, s10
	v_lshrrev_b32_e32 v6, 16, v6
	v_cmp_o_f32_e32 vcc, v3, v3
	v_cndmask_b32_e32 v0, v0, v6, vcc
	s_mov_b64 s[10:11], 0
	s_branch .LBB213_1311
.LBB213_1309:
	s_mov_b64 s[10:11], -1
                                        ; implicit-def: $vgpr0
	s_branch .LBB213_1314
.LBB213_1310:
	s_mov_b64 s[10:11], -1
                                        ; implicit-def: $vgpr0
.LBB213_1311:
	s_andn2_b64 vcc, exec, s[10:11]
	s_cbranch_vccnz .LBB213_1313
; %bb.1312:
	global_load_dword v0, v[4:5], off
	s_movk_i32 s10, 0x7fff
	v_mov_b32_e32 v3, 0x7fc0
	s_waitcnt vmcnt(0)
	v_bfe_u32 v6, v0, 16, 1
	v_add3_u32 v6, v0, v6, s10
	v_lshrrev_b32_e32 v6, 16, v6
	v_cmp_o_f32_e32 vcc, v0, v0
	v_cndmask_b32_e32 v0, v3, v6, vcc
.LBB213_1313:
	s_mov_b64 s[10:11], 0
.LBB213_1314:
	s_andn2_b64 vcc, exec, s[10:11]
	s_cbranch_vccnz .LBB213_1316
; %bb.1315:
	global_load_ushort v0, v[4:5], off
	s_movk_i32 s10, 0x7fff
	v_mov_b32_e32 v6, 0x7fc0
	s_waitcnt vmcnt(0)
	v_cvt_f32_f16_e32 v3, v0
	v_cmp_o_f16_e32 vcc, v0, v0
	v_bfe_u32 v7, v3, 16, 1
	v_add3_u32 v3, v3, v7, s10
	v_lshrrev_b32_e32 v3, 16, v3
	v_cndmask_b32_e32 v0, v6, v3, vcc
.LBB213_1316:
	s_cbranch_execnz .LBB213_1335
.LBB213_1317:
	v_cmp_gt_i16_e32 vcc, 2, v1
	s_cbranch_vccnz .LBB213_1321
; %bb.1318:
	v_cmp_gt_i16_e32 vcc, 3, v1
	s_cbranch_vccnz .LBB213_1322
; %bb.1319:
	v_cmp_lt_i16_e32 vcc, 3, v1
	s_cbranch_vccz .LBB213_1323
; %bb.1320:
	global_load_dwordx2 v[6:7], v[4:5], off
	s_movk_i32 s10, 0x7fff
	s_waitcnt vmcnt(0)
	v_xor_b32_e32 v3, v6, v7
	v_ffbh_i32_e32 v0, v7
	v_ashrrev_i32_e32 v3, 31, v3
	v_add_u32_e32 v0, -1, v0
	v_add_u32_e32 v3, 32, v3
	v_min_u32_e32 v0, v0, v3
	v_lshlrev_b64 v[6:7], v0, v[6:7]
	v_min_u32_e32 v3, 1, v6
	v_or_b32_e32 v3, v7, v3
	v_cvt_f32_i32_e32 v3, v3
	v_sub_u32_e32 v0, 32, v0
	v_ldexp_f32 v0, v3, v0
	v_bfe_u32 v3, v0, 16, 1
	v_add3_u32 v0, v0, v3, s10
	v_lshrrev_b32_e32 v0, 16, v0
	s_mov_b64 s[10:11], 0
	s_branch .LBB213_1324
.LBB213_1321:
                                        ; implicit-def: $vgpr0
	s_branch .LBB213_1330
.LBB213_1322:
	s_mov_b64 s[10:11], -1
                                        ; implicit-def: $vgpr0
	s_branch .LBB213_1327
.LBB213_1323:
	s_mov_b64 s[10:11], -1
                                        ; implicit-def: $vgpr0
.LBB213_1324:
	s_andn2_b64 vcc, exec, s[10:11]
	s_cbranch_vccnz .LBB213_1326
; %bb.1325:
	global_load_dword v0, v[4:5], off
	s_movk_i32 s10, 0x7fff
	s_waitcnt vmcnt(0)
	v_cvt_f32_i32_e32 v0, v0
	v_bfe_u32 v3, v0, 16, 1
	v_add3_u32 v0, v0, v3, s10
	v_lshrrev_b32_e32 v0, 16, v0
.LBB213_1326:
	s_mov_b64 s[10:11], 0
.LBB213_1327:
	s_andn2_b64 vcc, exec, s[10:11]
	s_cbranch_vccnz .LBB213_1329
; %bb.1328:
	global_load_sshort v0, v[4:5], off
	s_movk_i32 s10, 0x7fff
	s_waitcnt vmcnt(0)
	v_cvt_f32_i32_e32 v0, v0
	v_bfe_u32 v3, v0, 16, 1
	v_add3_u32 v0, v0, v3, s10
	v_lshrrev_b32_e32 v0, 16, v0
.LBB213_1329:
	s_cbranch_execnz .LBB213_1335
.LBB213_1330:
	v_cmp_lt_i16_e32 vcc, 0, v1
	s_cbranch_vccz .LBB213_1332
; %bb.1331:
	global_load_sbyte v0, v[4:5], off
	s_movk_i32 s10, 0x7fff
	s_waitcnt vmcnt(0)
	v_cvt_f32_i32_e32 v0, v0
	v_bfe_u32 v1, v0, 16, 1
	v_add3_u32 v0, v0, v1, s10
	v_lshrrev_b32_e32 v0, 16, v0
	s_mov_b64 s[10:11], 0
	s_branch .LBB213_1333
.LBB213_1332:
	s_mov_b64 s[10:11], -1
                                        ; implicit-def: $vgpr0
.LBB213_1333:
	s_andn2_b64 vcc, exec, s[10:11]
	s_cbranch_vccnz .LBB213_1335
; %bb.1334:
	global_load_ubyte v0, v[4:5], off
	s_movk_i32 s10, 0x7fff
	s_waitcnt vmcnt(0)
	v_cvt_f32_ubyte0_e32 v0, v0
	v_bfe_u32 v1, v0, 16, 1
	v_add3_u32 v0, v0, v1, s10
	v_lshrrev_b32_e32 v0, 16, v0
.LBB213_1335:
	s_or_b64 s[8:9], s[8:9], exec
.LBB213_1336:
	s_or_b64 exec, exec, s[6:7]
	s_mov_b64 s[12:13], 0
	s_mov_b64 s[14:15], 0
	;; [unrolled: 1-line block ×3, first 2 shown]
                                        ; implicit-def: $vgpr3
                                        ; implicit-def: $vgpr4_vgpr5
                                        ; implicit-def: $vgpr1
	s_and_saveexec_b64 s[6:7], s[8:9]
	s_cbranch_execz .LBB213_1344
; %bb.1337:
	s_waitcnt vmcnt(0)
	v_mov_b32_e32 v1, s47
	v_add_co_u32_e32 v4, vcc, s46, v2
	v_addc_co_u32_e32 v5, vcc, 0, v1, vcc
	v_and_b32_e32 v3, 0xff, v33
	v_cmp_gt_i16_e32 vcc, 11, v3
	s_cbranch_vccnz .LBB213_1347
; %bb.1338:
	v_cmp_lt_i16_e32 vcc, 25, v3
	s_cbranch_vccz .LBB213_1348
; %bb.1339:
	v_cmp_lt_i16_e32 vcc, 28, v3
	s_cbranch_vccz .LBB213_1349
; %bb.1340:
	v_cmp_lt_i16_e32 vcc, 43, v3
	s_cbranch_vccz .LBB213_1350
; %bb.1341:
	v_cmp_lt_i16_e32 vcc, 45, v3
	s_cbranch_vccz .LBB213_1351
; %bb.1342:
	v_cmp_eq_u16_e32 vcc, 46, v3
	s_cbranch_vccz .LBB213_1352
; %bb.1343:
	global_load_dword v1, v[4:5], off
	s_mov_b64 s[8:9], 0
	s_mov_b64 s[10:11], -1
	s_branch .LBB213_1354
.LBB213_1344:
	s_or_b64 exec, exec, s[6:7]
	s_and_saveexec_b64 s[6:7], s[58:59]
	s_cbranch_execnz .LBB213_1417
.LBB213_1345:
	s_or_b64 exec, exec, s[6:7]
	s_and_saveexec_b64 s[6:7], s[12:13]
	s_xor_b64 s[6:7], exec, s[6:7]
	s_cbranch_execz .LBB213_1418
.LBB213_1346:
	global_load_ubyte v1, v[4:5], off
	s_or_b64 s[10:11], s[10:11], exec
	s_waitcnt vmcnt(0)
	v_cmp_ne_u16_e32 vcc, 0, v1
	v_cndmask_b32_e64 v1, 0, 1.0, vcc
	v_lshrrev_b32_e32 v1, 16, v1
	s_or_b64 exec, exec, s[6:7]
	s_and_saveexec_b64 s[6:7], s[14:15]
	s_cbranch_execz .LBB213_1464
	s_branch .LBB213_1419
.LBB213_1347:
	s_mov_b64 s[14:15], -1
                                        ; implicit-def: $vgpr1
	s_mov_b64 s[8:9], s[58:59]
	s_branch .LBB213_1416
.LBB213_1348:
	s_mov_b64 s[8:9], s[58:59]
                                        ; implicit-def: $vgpr1
	s_cbranch_execnz .LBB213_1383
	s_branch .LBB213_1415
.LBB213_1349:
	s_mov_b64 s[14:15], -1
	s_mov_b64 s[8:9], s[58:59]
                                        ; implicit-def: $vgpr1
	s_branch .LBB213_1364
.LBB213_1350:
	s_mov_b64 s[14:15], -1
	s_mov_b64 s[8:9], s[58:59]
                                        ; implicit-def: $vgpr1
	s_branch .LBB213_1359
.LBB213_1351:
	s_mov_b64 s[14:15], -1
	s_mov_b64 s[8:9], s[58:59]
	s_branch .LBB213_1353
.LBB213_1352:
	s_mov_b64 s[8:9], -1
.LBB213_1353:
                                        ; implicit-def: $vgpr1
.LBB213_1354:
	s_and_b64 vcc, exec, s[14:15]
	s_cbranch_vccz .LBB213_1358
; %bb.1355:
	v_cmp_eq_u16_e32 vcc, 44, v3
	s_cbranch_vccz .LBB213_1357
; %bb.1356:
	global_load_ubyte v1, v[4:5], off
	s_movk_i32 s10, 0xff
	v_mov_b32_e32 v2, 0x7f800001
	v_mov_b32_e32 v6, 0x400000
	;; [unrolled: 1-line block ×3, first 2 shown]
	s_mov_b64 s[8:9], 0
	s_waitcnt vmcnt(0)
	v_lshlrev_b32_e32 v8, 23, v1
	v_cmp_ne_u32_e32 vcc, s10, v1
	v_cndmask_b32_e32 v2, v2, v8, vcc
	v_cmp_ne_u32_e32 vcc, 0, v1
	v_cndmask_b32_e32 v1, v6, v2, vcc
	v_add_u32_e32 v2, 0x7fff, v1
	v_lshrrev_b32_e32 v2, 16, v2
	v_cmp_o_f32_e32 vcc, v1, v1
	v_cndmask_b32_e32 v1, v7, v2, vcc
	s_mov_b64 s[10:11], -1
	s_branch .LBB213_1358
.LBB213_1357:
	s_mov_b64 s[8:9], -1
                                        ; implicit-def: $vgpr1
.LBB213_1358:
	s_mov_b64 s[14:15], 0
.LBB213_1359:
	s_and_b64 vcc, exec, s[14:15]
	s_cbranch_vccz .LBB213_1363
; %bb.1360:
	v_cmp_eq_u16_e32 vcc, 29, v3
	s_cbranch_vccz .LBB213_1362
; %bb.1361:
	global_load_dwordx2 v[6:7], v[4:5], off
	s_movk_i32 s10, 0x7fff
	s_mov_b64 s[8:9], 0
	s_mov_b64 s[14:15], 0
	s_waitcnt vmcnt(0)
	v_ffbh_u32_e32 v1, v7
	v_min_u32_e32 v1, 32, v1
	v_lshlrev_b64 v[6:7], v1, v[6:7]
	v_min_u32_e32 v2, 1, v6
	v_or_b32_e32 v2, v7, v2
	v_cvt_f32_u32_e32 v2, v2
	v_sub_u32_e32 v1, 32, v1
	v_ldexp_f32 v1, v2, v1
	v_bfe_u32 v2, v1, 16, 1
	v_add3_u32 v1, v1, v2, s10
	v_lshrrev_b32_e32 v1, 16, v1
	s_mov_b64 s[10:11], -1
	s_branch .LBB213_1364
.LBB213_1362:
	s_mov_b64 s[8:9], -1
                                        ; implicit-def: $vgpr1
.LBB213_1363:
	s_mov_b64 s[14:15], 0
.LBB213_1364:
	s_and_b64 vcc, exec, s[14:15]
	s_cbranch_vccz .LBB213_1382
; %bb.1365:
	v_cmp_gt_i16_e32 vcc, 27, v3
	s_cbranch_vccnz .LBB213_1368
; %bb.1366:
	v_cmp_lt_i16_e32 vcc, 27, v3
	s_cbranch_vccz .LBB213_1369
; %bb.1367:
	global_load_dword v1, v[4:5], off
	s_movk_i32 s10, 0x7fff
	s_waitcnt vmcnt(0)
	v_cvt_f32_u32_e32 v1, v1
	v_bfe_u32 v2, v1, 16, 1
	v_add3_u32 v1, v1, v2, s10
	v_lshrrev_b32_e32 v1, 16, v1
	s_mov_b64 s[10:11], 0
	s_branch .LBB213_1370
.LBB213_1368:
	s_mov_b64 s[10:11], -1
                                        ; implicit-def: $vgpr1
	s_branch .LBB213_1373
.LBB213_1369:
	s_mov_b64 s[10:11], -1
                                        ; implicit-def: $vgpr1
.LBB213_1370:
	s_andn2_b64 vcc, exec, s[10:11]
	s_cbranch_vccnz .LBB213_1372
; %bb.1371:
	global_load_ushort v1, v[4:5], off
	s_movk_i32 s10, 0x7fff
	s_waitcnt vmcnt(0)
	v_cvt_f32_u32_e32 v1, v1
	v_bfe_u32 v2, v1, 16, 1
	v_add3_u32 v1, v1, v2, s10
	v_lshrrev_b32_e32 v1, 16, v1
.LBB213_1372:
	s_mov_b64 s[10:11], 0
.LBB213_1373:
	s_andn2_b64 vcc, exec, s[10:11]
	s_cbranch_vccnz .LBB213_1381
; %bb.1374:
	global_load_ubyte v1, v[4:5], off
	s_movk_i32 s10, 0x7f
                                        ; implicit-def: $sgpr18
	s_waitcnt vmcnt(0)
	v_cmp_lt_i16_e32 vcc, s10, v1
	s_mov_b64 s[10:11], 0
	s_and_saveexec_b64 s[14:15], vcc
	s_xor_b64 s[14:15], exec, s[14:15]
	s_cbranch_execz .LBB213_1394
; %bb.1375:
	s_movk_i32 s10, 0x80
	v_cmp_eq_u16_e32 vcc, s10, v1
	s_mov_b64 s[10:11], -1
                                        ; implicit-def: $sgpr18
	s_and_saveexec_b64 s[16:17], vcc
; %bb.1376:
	s_mov_b32 s18, 0x7f800001
	s_xor_b64 s[10:11], exec, -1
; %bb.1377:
	s_or_b64 exec, exec, s[16:17]
	s_and_b64 s[10:11], s[10:11], exec
	s_or_saveexec_b64 s[14:15], s[14:15]
	v_mov_b32_e32 v2, s18
	s_xor_b64 exec, exec, s[14:15]
	s_cbranch_execnz .LBB213_1395
.LBB213_1378:
	s_or_b64 exec, exec, s[14:15]
	s_and_saveexec_b64 s[14:15], s[10:11]
	s_cbranch_execz .LBB213_1380
.LBB213_1379:
	v_lshlrev_b32_e32 v2, 24, v1
	v_and_b32_e32 v1, 0xffff, v1
	v_and_b32_e32 v6, 7, v1
	v_ffbh_u32_e32 v8, v6
	v_min_u32_e32 v8, 32, v8
	v_subrev_u32_e32 v9, 28, v8
	v_bfe_u32 v7, v1, 3, 4
	v_lshlrev_b32_e32 v1, v9, v1
	v_sub_u32_e32 v8, 29, v8
	v_and_b32_e32 v1, 7, v1
	v_cmp_eq_u32_e32 vcc, 0, v7
	v_cndmask_b32_e32 v7, v7, v8, vcc
	v_cndmask_b32_e32 v1, v6, v1, vcc
	v_mov_b32_e32 v6, 0x3b800000
	v_lshlrev_b32_e32 v1, 20, v1
	v_and_b32_e32 v2, 0x80000000, v2
	v_lshl_add_u32 v6, v7, 23, v6
	v_or3_b32 v2, v2, v6, v1
.LBB213_1380:
	s_or_b64 exec, exec, s[14:15]
	v_bfe_u32 v1, v2, 16, 1
	s_movk_i32 s10, 0x7fff
	v_add3_u32 v1, v2, v1, s10
	v_lshrrev_b32_e32 v1, 16, v1
	v_mov_b32_e32 v6, 0x7fc0
	v_cmp_o_f32_e32 vcc, v2, v2
	v_cndmask_b32_e32 v1, v6, v1, vcc
.LBB213_1381:
	s_mov_b64 s[10:11], -1
.LBB213_1382:
	s_branch .LBB213_1415
.LBB213_1383:
	v_cmp_lt_i16_e32 vcc, 22, v3
	s_cbranch_vccz .LBB213_1393
; %bb.1384:
	v_cmp_gt_i16_e32 vcc, 24, v3
	s_cbranch_vccnz .LBB213_1396
; %bb.1385:
	v_cmp_lt_i16_e32 vcc, 24, v3
	s_cbranch_vccz .LBB213_1397
; %bb.1386:
	global_load_ubyte v1, v[4:5], off
	s_movk_i32 s10, 0x7f
                                        ; implicit-def: $sgpr16
	s_waitcnt vmcnt(0)
	v_cmp_lt_i16_e32 vcc, s10, v1
	s_mov_b64 s[10:11], 0
	s_and_saveexec_b64 s[12:13], vcc
	s_xor_b64 s[12:13], exec, s[12:13]
	s_cbranch_execz .LBB213_1409
; %bb.1387:
	s_movk_i32 s10, 0x80
	v_cmp_eq_u16_e32 vcc, s10, v1
	s_mov_b64 s[10:11], -1
                                        ; implicit-def: $sgpr16
	s_and_saveexec_b64 s[14:15], vcc
; %bb.1388:
	s_mov_b32 s16, 0x7f800001
	s_xor_b64 s[10:11], exec, -1
; %bb.1389:
	s_or_b64 exec, exec, s[14:15]
	s_and_b64 s[10:11], s[10:11], exec
	s_or_saveexec_b64 s[12:13], s[12:13]
	v_mov_b32_e32 v2, s16
	s_xor_b64 exec, exec, s[12:13]
	s_cbranch_execnz .LBB213_1410
.LBB213_1390:
	s_or_b64 exec, exec, s[12:13]
	s_and_saveexec_b64 s[12:13], s[10:11]
	s_cbranch_execz .LBB213_1392
.LBB213_1391:
	v_lshlrev_b32_e32 v2, 24, v1
	v_and_b32_e32 v1, 0xffff, v1
	v_and_b32_e32 v6, 3, v1
	v_ffbh_u32_e32 v8, v6
	v_min_u32_e32 v8, 32, v8
	v_subrev_u32_e32 v9, 29, v8
	v_bfe_u32 v7, v1, 2, 5
	v_lshlrev_b32_e32 v1, v9, v1
	v_sub_u32_e32 v8, 30, v8
	v_and_b32_e32 v1, 3, v1
	v_cmp_eq_u32_e32 vcc, 0, v7
	v_cndmask_b32_e32 v7, v7, v8, vcc
	v_cndmask_b32_e32 v1, v6, v1, vcc
	v_mov_b32_e32 v6, 0x37800000
	v_lshlrev_b32_e32 v1, 21, v1
	v_and_b32_e32 v2, 0x80000000, v2
	v_lshl_add_u32 v6, v7, 23, v6
	v_or3_b32 v2, v2, v6, v1
.LBB213_1392:
	s_or_b64 exec, exec, s[12:13]
	v_bfe_u32 v1, v2, 16, 1
	s_movk_i32 s10, 0x7fff
	v_add3_u32 v1, v2, v1, s10
	v_lshrrev_b32_e32 v1, 16, v1
	v_mov_b32_e32 v6, 0x7fc0
	v_cmp_o_f32_e32 vcc, v2, v2
	v_cndmask_b32_e32 v1, v6, v1, vcc
	s_mov_b64 s[10:11], 0
	s_branch .LBB213_1398
.LBB213_1393:
	s_mov_b64 s[12:13], -1
                                        ; implicit-def: $vgpr1
	s_branch .LBB213_1404
.LBB213_1394:
	s_or_saveexec_b64 s[14:15], s[14:15]
	v_mov_b32_e32 v2, s18
	s_xor_b64 exec, exec, s[14:15]
	s_cbranch_execz .LBB213_1378
.LBB213_1395:
	v_cmp_ne_u16_e32 vcc, 0, v1
	s_andn2_b64 s[10:11], s[10:11], exec
	s_and_b64 s[16:17], vcc, exec
	v_mov_b32_e32 v2, 0
	s_or_b64 s[10:11], s[10:11], s[16:17]
	s_or_b64 exec, exec, s[14:15]
	s_and_saveexec_b64 s[14:15], s[10:11]
	s_cbranch_execnz .LBB213_1379
	s_branch .LBB213_1380
.LBB213_1396:
	s_mov_b64 s[10:11], -1
                                        ; implicit-def: $vgpr1
	s_branch .LBB213_1401
.LBB213_1397:
	s_mov_b64 s[10:11], -1
                                        ; implicit-def: $vgpr1
.LBB213_1398:
	s_and_b64 vcc, exec, s[10:11]
	s_cbranch_vccz .LBB213_1400
; %bb.1399:
	global_load_ubyte v1, v[4:5], off
	s_mov_b32 s10, 0x7f800000
	s_brev_b32 s11, 1
	s_movk_i32 s12, 0x7fff
	v_mov_b32_e32 v2, 0x7fc0
	s_waitcnt vmcnt(0)
	v_lshlrev_b32_e32 v1, 24, v1
	v_and_b32_e32 v6, 0x7f000000, v1
	v_ffbh_u32_e32 v7, v6
	v_min_u32_e32 v7, 32, v7
	v_sub_u32_e64 v7, v7, 4 clamp
	v_lshlrev_b32_e32 v9, v7, v6
	v_lshlrev_b32_e32 v7, 23, v7
	v_lshrrev_b32_e32 v9, 4, v9
	v_add_u32_e32 v8, 0x1000000, v6
	v_sub_u32_e32 v7, v9, v7
	v_ashrrev_i32_e32 v8, 8, v8
	v_add_u32_e32 v7, 0x3c000000, v7
	v_and_or_b32 v7, v8, s10, v7
	v_cmp_ne_u32_e32 vcc, 0, v6
	v_cndmask_b32_e32 v6, 0, v7, vcc
	v_and_or_b32 v1, v1, s11, v6
	v_bfe_u32 v6, v6, 16, 1
	v_add3_u32 v6, v1, v6, s12
	v_lshrrev_b32_e32 v6, 16, v6
	v_cmp_o_f32_e32 vcc, v1, v1
	v_cndmask_b32_e32 v1, v2, v6, vcc
.LBB213_1400:
	s_mov_b64 s[10:11], 0
.LBB213_1401:
	s_andn2_b64 vcc, exec, s[10:11]
	s_cbranch_vccnz .LBB213_1403
; %bb.1402:
	global_load_ubyte v1, v[4:5], off
	s_movk_i32 s10, 0x7f00
	s_brev_b32 s11, 16
	s_brev_b32 s12, 1
	s_movk_i32 s13, 0x7fff
	v_mov_b32_e32 v2, 0x7fc0
	s_waitcnt vmcnt(0)
	v_lshlrev_b16_e32 v6, 8, v1
	v_lshlrev_b32_e32 v1, 25, v1
	v_lshrrev_b32_e32 v7, 4, v1
	v_and_or_b32 v8, v6, s10, 0.5
	v_or_b32_e32 v7, 0x70000000, v7
	v_add_f32_e32 v8, -0.5, v8
	v_mul_f32_e32 v7, 0x7800000, v7
	v_cmp_gt_u32_e32 vcc, s11, v1
	v_bfe_i32 v6, v6, 0, 16
	v_cndmask_b32_e32 v1, v7, v8, vcc
	v_and_or_b32 v6, v6, s12, v1
	v_bfe_u32 v1, v1, 16, 1
	v_add3_u32 v1, v6, v1, s13
	v_lshrrev_b32_e32 v1, 16, v1
	v_cmp_o_f32_e32 vcc, v6, v6
	v_cndmask_b32_e32 v1, v2, v1, vcc
.LBB213_1403:
	s_mov_b64 s[12:13], 0
	s_mov_b64 s[10:11], -1
.LBB213_1404:
	s_andn2_b64 vcc, exec, s[12:13]
	s_mov_b64 s[12:13], 0
	s_cbranch_vccnz .LBB213_1415
; %bb.1405:
	v_cmp_lt_i16_e32 vcc, 14, v3
	s_cbranch_vccz .LBB213_1408
; %bb.1406:
	v_cmp_eq_u16_e32 vcc, 15, v3
	s_cbranch_vccz .LBB213_1411
; %bb.1407:
	global_load_ushort v1, v[4:5], off
	s_mov_b64 s[8:9], 0
	s_mov_b64 s[10:11], -1
	s_branch .LBB213_1412
.LBB213_1408:
	s_mov_b64 s[14:15], -1
                                        ; implicit-def: $vgpr1
	s_branch .LBB213_1413
.LBB213_1409:
	s_or_saveexec_b64 s[12:13], s[12:13]
	v_mov_b32_e32 v2, s16
	s_xor_b64 exec, exec, s[12:13]
	s_cbranch_execz .LBB213_1390
.LBB213_1410:
	v_cmp_ne_u16_e32 vcc, 0, v1
	s_andn2_b64 s[10:11], s[10:11], exec
	s_and_b64 s[14:15], vcc, exec
	v_mov_b32_e32 v2, 0
	s_or_b64 s[10:11], s[10:11], s[14:15]
	s_or_b64 exec, exec, s[12:13]
	s_and_saveexec_b64 s[12:13], s[10:11]
	s_cbranch_execnz .LBB213_1391
	s_branch .LBB213_1392
.LBB213_1411:
	s_mov_b64 s[8:9], -1
                                        ; implicit-def: $vgpr1
.LBB213_1412:
	s_mov_b64 s[14:15], 0
.LBB213_1413:
	s_and_b64 vcc, exec, s[14:15]
	s_cbranch_vccz .LBB213_1415
; %bb.1414:
	v_cmp_ne_u16_e32 vcc, 11, v3
	s_andn2_b64 s[8:9], s[8:9], exec
	s_and_b64 s[14:15], vcc, exec
	s_mov_b64 s[12:13], -1
	s_or_b64 s[8:9], s[8:9], s[14:15]
                                        ; implicit-def: $vgpr1
.LBB213_1415:
	s_mov_b64 s[14:15], 0
.LBB213_1416:
	s_andn2_b64 s[16:17], s[58:59], exec
	s_and_b64 s[8:9], s[8:9], exec
	s_and_b64 s[10:11], s[10:11], exec
	;; [unrolled: 1-line block ×4, first 2 shown]
	s_or_b64 s[58:59], s[16:17], s[8:9]
	s_or_b64 exec, exec, s[6:7]
	s_and_saveexec_b64 s[6:7], s[58:59]
	s_cbranch_execz .LBB213_1345
.LBB213_1417:
	s_or_b64 s[26:27], s[26:27], exec
	s_andn2_b64 s[12:13], s[12:13], exec
	s_trap 2
                                        ; implicit-def: $vgpr1
	s_or_b64 exec, exec, s[6:7]
	s_and_saveexec_b64 s[6:7], s[12:13]
	s_xor_b64 s[6:7], exec, s[6:7]
	s_cbranch_execnz .LBB213_1346
.LBB213_1418:
	s_or_b64 exec, exec, s[6:7]
	s_and_saveexec_b64 s[6:7], s[14:15]
	s_cbranch_execz .LBB213_1464
.LBB213_1419:
	v_cmp_gt_i16_e32 vcc, 5, v3
	s_cbranch_vccnz .LBB213_1424
; %bb.1420:
	v_cmp_gt_i16_e32 vcc, 8, v3
	s_cbranch_vccnz .LBB213_1425
; %bb.1421:
	;; [unrolled: 3-line block ×3, first 2 shown]
	v_cmp_lt_i16_e32 vcc, 9, v3
	s_cbranch_vccz .LBB213_1427
; %bb.1423:
	global_load_dwordx2 v[6:7], v[4:5], off
	s_movk_i32 s8, 0x7fff
	s_waitcnt vmcnt(1)
	v_mov_b32_e32 v1, 0x7fc0
	s_waitcnt vmcnt(0)
	v_cvt_f32_f64_e32 v2, v[6:7]
	v_bfe_u32 v6, v2, 16, 1
	v_add3_u32 v6, v2, v6, s8
	v_lshrrev_b32_e32 v6, 16, v6
	v_cmp_o_f32_e32 vcc, v2, v2
	v_cndmask_b32_e32 v1, v1, v6, vcc
	s_mov_b64 s[8:9], 0
	s_branch .LBB213_1428
.LBB213_1424:
                                        ; implicit-def: $vgpr1
	s_branch .LBB213_1445
.LBB213_1425:
                                        ; implicit-def: $vgpr1
	s_branch .LBB213_1434
.LBB213_1426:
	s_mov_b64 s[8:9], -1
                                        ; implicit-def: $vgpr1
	s_branch .LBB213_1431
.LBB213_1427:
	s_mov_b64 s[8:9], -1
                                        ; implicit-def: $vgpr1
.LBB213_1428:
	s_andn2_b64 vcc, exec, s[8:9]
	s_cbranch_vccnz .LBB213_1430
; %bb.1429:
	global_load_dword v1, v[4:5], off
	s_movk_i32 s8, 0x7fff
	v_mov_b32_e32 v2, 0x7fc0
	s_waitcnt vmcnt(0)
	v_bfe_u32 v6, v1, 16, 1
	v_add3_u32 v6, v1, v6, s8
	v_lshrrev_b32_e32 v6, 16, v6
	v_cmp_o_f32_e32 vcc, v1, v1
	v_cndmask_b32_e32 v1, v2, v6, vcc
.LBB213_1430:
	s_mov_b64 s[8:9], 0
.LBB213_1431:
	s_andn2_b64 vcc, exec, s[8:9]
	s_cbranch_vccnz .LBB213_1433
; %bb.1432:
	global_load_dword v1, v[4:5], off
	s_movk_i32 s8, 0x7fff
	v_mov_b32_e32 v6, 0x7fc0
	s_waitcnt vmcnt(0)
	v_cvt_f32_f16_e32 v2, v1
	v_cmp_o_f16_e32 vcc, v1, v1
	v_bfe_u32 v7, v2, 16, 1
	v_add3_u32 v2, v2, v7, s8
	v_lshrrev_b32_e32 v2, 16, v2
	v_cndmask_b32_e32 v1, v6, v2, vcc
.LBB213_1433:
	s_cbranch_execnz .LBB213_1444
.LBB213_1434:
	v_cmp_gt_i16_e32 vcc, 6, v3
	s_cbranch_vccnz .LBB213_1437
; %bb.1435:
	v_cmp_lt_i16_e32 vcc, 6, v3
	s_cbranch_vccz .LBB213_1438
; %bb.1436:
	global_load_dwordx2 v[6:7], v[4:5], off
	s_movk_i32 s8, 0x7fff
	s_waitcnt vmcnt(1)
	v_mov_b32_e32 v1, 0x7fc0
	s_waitcnt vmcnt(0)
	v_cvt_f32_f64_e32 v2, v[6:7]
	v_bfe_u32 v6, v2, 16, 1
	v_add3_u32 v6, v2, v6, s8
	v_lshrrev_b32_e32 v6, 16, v6
	v_cmp_o_f32_e32 vcc, v2, v2
	v_cndmask_b32_e32 v1, v1, v6, vcc
	s_mov_b64 s[8:9], 0
	s_branch .LBB213_1439
.LBB213_1437:
	s_mov_b64 s[8:9], -1
                                        ; implicit-def: $vgpr1
	s_branch .LBB213_1442
.LBB213_1438:
	s_mov_b64 s[8:9], -1
                                        ; implicit-def: $vgpr1
.LBB213_1439:
	s_andn2_b64 vcc, exec, s[8:9]
	s_cbranch_vccnz .LBB213_1441
; %bb.1440:
	global_load_dword v1, v[4:5], off
	s_movk_i32 s8, 0x7fff
	v_mov_b32_e32 v2, 0x7fc0
	s_waitcnt vmcnt(0)
	v_bfe_u32 v6, v1, 16, 1
	v_add3_u32 v6, v1, v6, s8
	v_lshrrev_b32_e32 v6, 16, v6
	v_cmp_o_f32_e32 vcc, v1, v1
	v_cndmask_b32_e32 v1, v2, v6, vcc
.LBB213_1441:
	s_mov_b64 s[8:9], 0
.LBB213_1442:
	s_andn2_b64 vcc, exec, s[8:9]
	s_cbranch_vccnz .LBB213_1444
; %bb.1443:
	global_load_ushort v1, v[4:5], off
	s_movk_i32 s8, 0x7fff
	v_mov_b32_e32 v6, 0x7fc0
	s_waitcnt vmcnt(0)
	v_cvt_f32_f16_e32 v2, v1
	v_cmp_o_f16_e32 vcc, v1, v1
	v_bfe_u32 v7, v2, 16, 1
	v_add3_u32 v2, v2, v7, s8
	v_lshrrev_b32_e32 v2, 16, v2
	v_cndmask_b32_e32 v1, v6, v2, vcc
.LBB213_1444:
	s_cbranch_execnz .LBB213_1463
.LBB213_1445:
	v_cmp_gt_i16_e32 vcc, 2, v3
	s_cbranch_vccnz .LBB213_1449
; %bb.1446:
	v_cmp_gt_i16_e32 vcc, 3, v3
	s_cbranch_vccnz .LBB213_1450
; %bb.1447:
	v_cmp_lt_i16_e32 vcc, 3, v3
	s_cbranch_vccz .LBB213_1451
; %bb.1448:
	global_load_dwordx2 v[6:7], v[4:5], off
	s_movk_i32 s8, 0x7fff
	s_waitcnt vmcnt(0)
	v_xor_b32_e32 v2, v6, v7
	v_ffbh_i32_e32 v1, v7
	v_ashrrev_i32_e32 v2, 31, v2
	v_add_u32_e32 v1, -1, v1
	v_add_u32_e32 v2, 32, v2
	v_min_u32_e32 v1, v1, v2
	v_lshlrev_b64 v[6:7], v1, v[6:7]
	v_min_u32_e32 v2, 1, v6
	v_or_b32_e32 v2, v7, v2
	v_cvt_f32_i32_e32 v2, v2
	v_sub_u32_e32 v1, 32, v1
	v_ldexp_f32 v1, v2, v1
	v_bfe_u32 v2, v1, 16, 1
	v_add3_u32 v1, v1, v2, s8
	v_lshrrev_b32_e32 v1, 16, v1
	s_mov_b64 s[8:9], 0
	s_branch .LBB213_1452
.LBB213_1449:
                                        ; implicit-def: $vgpr1
	s_branch .LBB213_1458
.LBB213_1450:
	s_mov_b64 s[8:9], -1
                                        ; implicit-def: $vgpr1
	s_branch .LBB213_1455
.LBB213_1451:
	s_mov_b64 s[8:9], -1
                                        ; implicit-def: $vgpr1
.LBB213_1452:
	s_andn2_b64 vcc, exec, s[8:9]
	s_cbranch_vccnz .LBB213_1454
; %bb.1453:
	global_load_dword v1, v[4:5], off
	s_movk_i32 s8, 0x7fff
	s_waitcnt vmcnt(0)
	v_cvt_f32_i32_e32 v1, v1
	v_bfe_u32 v2, v1, 16, 1
	v_add3_u32 v1, v1, v2, s8
	v_lshrrev_b32_e32 v1, 16, v1
.LBB213_1454:
	s_mov_b64 s[8:9], 0
.LBB213_1455:
	s_andn2_b64 vcc, exec, s[8:9]
	s_cbranch_vccnz .LBB213_1457
; %bb.1456:
	global_load_sshort v1, v[4:5], off
	s_movk_i32 s8, 0x7fff
	s_waitcnt vmcnt(0)
	v_cvt_f32_i32_e32 v1, v1
	v_bfe_u32 v2, v1, 16, 1
	v_add3_u32 v1, v1, v2, s8
	v_lshrrev_b32_e32 v1, 16, v1
.LBB213_1457:
	s_cbranch_execnz .LBB213_1463
.LBB213_1458:
	v_cmp_lt_i16_e32 vcc, 0, v3
	s_cbranch_vccz .LBB213_1460
; %bb.1459:
	global_load_sbyte v1, v[4:5], off
	s_movk_i32 s8, 0x7fff
	s_waitcnt vmcnt(0)
	v_cvt_f32_i32_e32 v1, v1
	v_bfe_u32 v2, v1, 16, 1
	v_add3_u32 v1, v1, v2, s8
	v_lshrrev_b32_e32 v1, 16, v1
	s_mov_b64 s[8:9], 0
	s_branch .LBB213_1461
.LBB213_1460:
	s_mov_b64 s[8:9], -1
                                        ; implicit-def: $vgpr1
.LBB213_1461:
	s_andn2_b64 vcc, exec, s[8:9]
	s_cbranch_vccnz .LBB213_1463
; %bb.1462:
	global_load_ubyte v1, v[4:5], off
	s_movk_i32 s8, 0x7fff
	s_waitcnt vmcnt(0)
	v_cvt_f32_ubyte0_e32 v1, v1
	v_bfe_u32 v2, v1, 16, 1
	v_add3_u32 v1, v1, v2, s8
	v_lshrrev_b32_e32 v1, 16, v1
.LBB213_1463:
	s_or_b64 s[10:11], s[10:11], exec
.LBB213_1464:
	s_or_b64 exec, exec, s[6:7]
	s_mov_b64 s[12:13], 0
	s_mov_b64 s[8:9], 0
                                        ; implicit-def: $vgpr3
                                        ; implicit-def: $vgpr4_vgpr5
                                        ; implicit-def: $vgpr2
	s_and_saveexec_b64 s[36:37], s[10:11]
	s_cbranch_execz .LBB213_1482
; %bb.1465:
	s_mov_b64 s[38:39], s[4:5]
	s_getpc_b64 s[4:5]
	s_add_u32 s4, s4, _ZZZZN2at6native33launch_standard_gamma_grad_kernelERNS_18TensorIteratorBaseEENKUlvE_clEvENKUlvE2_clEvENKUlN3c108BFloat16ES6_E_clES6_S6_@rel32@lo+4
	s_addc_u32 s5, s5, _ZZZZN2at6native33launch_standard_gamma_grad_kernelERNS_18TensorIteratorBaseEENKUlvE_clEvENKUlvE2_clEvENKUlN3c108BFloat16ES6_E_clES6_S6_@rel32@hi+12
	s_swappc_b64 s[30:31], s[4:5]
	v_mov_b32_e32 v2, v0
	v_mov_b32_e32 v0, s25
	v_add_co_u32_e32 v4, vcc, s24, v30
	v_addc_co_u32_e32 v5, vcc, 0, v0, vcc
	v_and_b32_e32 v3, 0xff, v32
	v_cmp_gt_i16_e32 vcc, 11, v3
	s_cbranch_vccnz .LBB213_1485
; %bb.1466:
	v_cmp_lt_i16_e32 vcc, 25, v3
	s_mov_b64 s[10:11], -1
	s_mov_b64 s[6:7], s[56:57]
	s_mov_b64 s[4:5], s[38:39]
	s_cbranch_vccz .LBB213_1503
; %bb.1467:
	v_cmp_lt_i16_e32 vcc, 28, v3
	s_mov_b64 s[8:9], -1
	s_mov_b64 s[6:7], s[56:57]
	s_cbranch_vccz .LBB213_1487
; %bb.1468:
	v_cmp_lt_i16_e32 vcc, 43, v3
	s_mov_b64 s[6:7], s[56:57]
	s_cbranch_vccz .LBB213_1479
; %bb.1469:
	v_cmp_lt_i16_e32 vcc, 45, v3
	s_mov_b64 s[6:7], s[56:57]
	s_cbranch_vccz .LBB213_1473
; %bb.1470:
	v_cmp_eq_u16_e32 vcc, 46, v3
	s_mov_b64 s[6:7], -1
	s_cbranch_vccz .LBB213_1472
; %bb.1471:
	v_and_b32_e32 v0, 0xffff, v2
	global_store_dword v[4:5], v0, off
	s_mov_b64 s[6:7], 0
.LBB213_1472:
	s_mov_b64 s[8:9], 0
.LBB213_1473:
	s_and_b64 vcc, exec, s[8:9]
	s_cbranch_vccz .LBB213_1478
; %bb.1474:
	v_cmp_eq_u16_e32 vcc, 44, v3
	s_mov_b64 s[6:7], -1
	s_cbranch_vccz .LBB213_1478
; %bb.1475:
	v_and_b32_e32 v1, 0xffff, v2
	v_bfe_u32 v0, v1, 7, 8
	s_movk_i32 s6, 0xff
	v_cmp_ne_u32_e32 vcc, s6, v0
	v_mov_b32_e32 v6, 0xff
	s_and_saveexec_b64 s[8:9], vcc
; %bb.1476:
	v_lshlrev_b32_e32 v7, 16, v1
	s_mov_b32 s6, 0x3f0000
	v_lshrrev_b32_e32 v6, 7, v1
	v_and_b32_e32 v1, 64, v1
	v_and_or_b32 v0, v7, s6, v0
	v_cmp_ne_u32_e32 vcc, 0, v1
	v_cmp_ne_u32_e64 s[6:7], 0, v0
	s_and_b64 s[6:7], vcc, s[6:7]
	v_cndmask_b32_e64 v0, 0, 1, s[6:7]
	v_add_u32_e32 v6, v6, v0
; %bb.1477:
	s_or_b64 exec, exec, s[8:9]
	s_mov_b64 s[6:7], 0
	global_store_byte v[4:5], v6, off
.LBB213_1478:
	s_mov_b64 s[8:9], 0
.LBB213_1479:
	s_and_b64 vcc, exec, s[8:9]
	s_cbranch_vccz .LBB213_1486
; %bb.1480:
	v_cmp_eq_u16_e32 vcc, 29, v3
	s_mov_b64 s[6:7], -1
	s_cbranch_vccz .LBB213_1486
; %bb.1481:
	v_lshlrev_b32_e32 v0, 16, v2
	v_trunc_f32_e32 v0, v0
	v_mul_f32_e32 v1, 0x2f800000, v0
	v_floor_f32_e32 v6, v1
	v_fmac_f32_e32 v0, 0xcf800000, v6
	v_cvt_u32_f32_e32 v1, v6
	v_cvt_u32_f32_e32 v0, v0
	s_mov_b64 s[6:7], 0
	s_mov_b64 s[8:9], 0
	global_store_dwordx2 v[4:5], v[0:1], off
	s_branch .LBB213_1487
.LBB213_1482:
	s_or_b64 exec, exec, s[36:37]
	s_and_saveexec_b64 s[6:7], s[56:57]
	s_cbranch_execnz .LBB213_1545
.LBB213_1483:
	s_or_b64 exec, exec, s[6:7]
	s_and_saveexec_b64 s[6:7], s[12:13]
	s_xor_b64 s[6:7], exec, s[6:7]
	s_cbranch_execz .LBB213_1546
.LBB213_1484:
	s_waitcnt vmcnt(0)
	v_and_b32_e32 v0, 0x7fff, v2
	v_cmp_ne_u16_e32 vcc, 0, v0
	v_cndmask_b32_e64 v0, 0, 1, vcc
	global_store_byte v[4:5], v0, off
	s_or_b64 exec, exec, s[6:7]
	s_and_saveexec_b64 s[6:7], s[8:9]
	s_xor_b64 s[6:7], exec, s[6:7]
	s_cbranch_execz .LBB213_1584
	s_branch .LBB213_1547
.LBB213_1485:
	s_mov_b64 s[10:11], 0
	s_mov_b64 s[8:9], -1
	s_mov_b64 s[6:7], s[56:57]
	s_mov_b64 s[4:5], s[38:39]
	s_branch .LBB213_1544
.LBB213_1486:
	s_mov_b64 s[8:9], 0
.LBB213_1487:
	s_and_b64 vcc, exec, s[8:9]
	s_cbranch_vccz .LBB213_1502
; %bb.1488:
	v_cmp_gt_i16_e32 vcc, 27, v3
	s_mov_b64 s[8:9], -1
	s_cbranch_vccnz .LBB213_1494
; %bb.1489:
	v_cmp_lt_i16_e32 vcc, 27, v3
	s_cbranch_vccz .LBB213_1491
; %bb.1490:
	v_lshlrev_b32_e32 v0, 16, v2
	v_cvt_u32_f32_e32 v0, v0
	s_mov_b64 s[8:9], 0
	global_store_dword v[4:5], v0, off
.LBB213_1491:
	s_andn2_b64 vcc, exec, s[8:9]
	s_cbranch_vccnz .LBB213_1493
; %bb.1492:
	v_lshlrev_b32_e32 v0, 16, v2
	v_cvt_u32_f32_e32 v0, v0
	global_store_short v[4:5], v0, off
.LBB213_1493:
	s_mov_b64 s[8:9], 0
.LBB213_1494:
	s_andn2_b64 vcc, exec, s[8:9]
	s_cbranch_vccnz .LBB213_1502
; %bb.1495:
	v_lshlrev_b32_e32 v6, 16, v2
	v_and_b32_e32 v1, 0x7fffffff, v6
	s_mov_b32 s8, 0x43800000
	v_cmp_gt_u32_e32 vcc, s8, v1
	v_mov_b32_e32 v7, 0x80
	s_and_saveexec_b64 s[8:9], vcc
	s_cbranch_execz .LBB213_1501
; %bb.1496:
	s_mov_b32 s10, 0x3bffffff
	v_and_b32_e32 v0, 0xffff, v2
	v_cmp_lt_u32_e32 vcc, s10, v1
	s_mov_b64 s[10:11], 0
                                        ; implicit-def: $vgpr1
	s_and_saveexec_b64 s[12:13], vcc
	s_xor_b64 s[12:13], exec, s[12:13]
	s_cbranch_execz .LBB213_1639
; %bb.1497:
	v_bfe_u32 v1, v0, 4, 1
	s_mov_b32 s14, 0x487ffff
	v_add3_u32 v1, v6, v1, s14
	s_mov_b64 s[10:11], exec
	v_lshrrev_b32_e32 v1, 20, v1
                                        ; implicit-def: $vgpr6
	s_or_saveexec_b64 s[12:13], s[12:13]
                                        ; implicit-def: $sgpr14
	s_xor_b64 exec, exec, s[12:13]
	s_cbranch_execnz .LBB213_1640
.LBB213_1498:
	s_or_b64 exec, exec, s[12:13]
	v_mov_b32_e32 v7, s14
	s_and_saveexec_b64 s[12:13], s[10:11]
.LBB213_1499:
	v_lshrrev_b32_e32 v0, 8, v0
	s_movk_i32 s10, 0x80
	v_and_or_b32 v7, v0, s10, v1
.LBB213_1500:
	s_or_b64 exec, exec, s[12:13]
.LBB213_1501:
	s_or_b64 exec, exec, s[8:9]
	global_store_byte v[4:5], v7, off
.LBB213_1502:
	s_mov_b64 s[10:11], 0
.LBB213_1503:
	s_mov_b64 s[8:9], 0
	s_and_b64 vcc, exec, s[10:11]
	s_cbranch_vccz .LBB213_1543
; %bb.1504:
	v_cmp_lt_i16_e32 vcc, 22, v3
	s_mov_b64 s[10:11], -1
	s_cbranch_vccz .LBB213_1536
; %bb.1505:
	v_cmp_gt_i16_e32 vcc, 24, v3
	s_cbranch_vccnz .LBB213_1525
; %bb.1506:
	v_cmp_lt_i16_e32 vcc, 24, v3
	s_cbranch_vccz .LBB213_1514
; %bb.1507:
	v_lshlrev_b32_e32 v6, 16, v2
	v_and_b32_e32 v1, 0x7fffffff, v6
	s_mov_b32 s10, 0x47800000
	v_cmp_gt_u32_e32 vcc, s10, v1
	v_mov_b32_e32 v7, 0x80
	s_and_saveexec_b64 s[10:11], vcc
	s_cbranch_execz .LBB213_1513
; %bb.1508:
	s_mov_b32 s12, 0x37ffffff
	v_and_b32_e32 v0, 0xffff, v2
	v_cmp_lt_u32_e32 vcc, s12, v1
	s_mov_b64 s[12:13], 0
                                        ; implicit-def: $vgpr1
	s_and_saveexec_b64 s[14:15], vcc
	s_xor_b64 s[14:15], exec, s[14:15]
	s_cbranch_execz .LBB213_1764
; %bb.1509:
	v_bfe_u32 v1, v0, 5, 1
	s_mov_b32 s16, 0x88fffff
	v_add3_u32 v1, v6, v1, s16
	s_mov_b64 s[12:13], exec
	v_lshrrev_b32_e32 v1, 21, v1
                                        ; implicit-def: $vgpr6
	s_or_saveexec_b64 s[14:15], s[14:15]
                                        ; implicit-def: $sgpr16
	s_xor_b64 exec, exec, s[14:15]
	s_cbranch_execnz .LBB213_1765
.LBB213_1510:
	s_or_b64 exec, exec, s[14:15]
	v_mov_b32_e32 v7, s16
	s_and_saveexec_b64 s[14:15], s[12:13]
.LBB213_1511:
	v_lshrrev_b32_e32 v0, 8, v0
	s_movk_i32 s12, 0x80
	v_and_or_b32 v7, v0, s12, v1
.LBB213_1512:
	s_or_b64 exec, exec, s[14:15]
.LBB213_1513:
	s_or_b64 exec, exec, s[10:11]
	s_mov_b64 s[10:11], 0
	global_store_byte v[4:5], v7, off
.LBB213_1514:
	s_and_b64 vcc, exec, s[10:11]
	s_cbranch_vccz .LBB213_1524
; %bb.1515:
	v_lshlrev_b32_e32 v6, 16, v2
	v_and_b32_e32 v7, 0x7fffffff, v6
	s_mov_b32 s10, 0x43f00000
	v_and_b32_e32 v0, 0xffff, v2
	v_cmp_gt_u32_e32 vcc, s10, v7
                                        ; implicit-def: $vgpr1
	s_and_saveexec_b64 s[10:11], vcc
	s_xor_b64 s[10:11], exec, s[10:11]
	s_cbranch_execz .LBB213_1521
; %bb.1516:
	s_mov_b32 s12, 0x3c7fffff
	v_cmp_lt_u32_e32 vcc, s12, v7
                                        ; implicit-def: $vgpr1
	s_and_saveexec_b64 s[12:13], vcc
	s_xor_b64 s[12:13], exec, s[12:13]
; %bb.1517:
	v_bfe_u32 v1, v0, 4, 1
	s_mov_b32 s14, 0x407ffff
	v_add3_u32 v1, v6, v1, s14
	v_lshrrev_b32_e32 v6, 20, v1
	v_and_b32_e32 v1, 0xff00000, v1
	s_mov_b32 s14, 0x7f00000
	v_mov_b32_e32 v7, 0x7e
	v_cmp_ne_u32_e32 vcc, s14, v1
	v_cndmask_b32_e32 v1, v7, v6, vcc
                                        ; implicit-def: $vgpr6
; %bb.1518:
	s_andn2_saveexec_b64 s[12:13], s[12:13]
; %bb.1519:
	s_mov_b32 s14, 0x46800000
	v_add_f32_e64 v1, |v6|, s14
; %bb.1520:
	s_or_b64 exec, exec, s[12:13]
                                        ; implicit-def: $vgpr7
.LBB213_1521:
	s_andn2_saveexec_b64 s[10:11], s[10:11]
; %bb.1522:
	s_mov_b32 s12, 0x7f800000
	v_mov_b32_e32 v1, 0x7e
	v_mov_b32_e32 v6, 0x7f
	v_cmp_lt_u32_e32 vcc, s12, v7
	v_cndmask_b32_e32 v1, v1, v6, vcc
; %bb.1523:
	s_or_b64 exec, exec, s[10:11]
	v_lshrrev_b32_e32 v0, 8, v0
	s_movk_i32 s10, 0x80
	v_and_or_b32 v0, v0, s10, v1
	global_store_byte v[4:5], v0, off
.LBB213_1524:
	s_mov_b64 s[10:11], 0
.LBB213_1525:
	s_andn2_b64 vcc, exec, s[10:11]
	s_cbranch_vccnz .LBB213_1535
; %bb.1526:
	v_lshlrev_b32_e32 v6, 16, v2
	v_and_b32_e32 v7, 0x7fffffff, v6
	s_mov_b32 s10, 0x47800000
	v_and_b32_e32 v0, 0xffff, v2
	v_cmp_gt_u32_e32 vcc, s10, v7
                                        ; implicit-def: $vgpr1
	s_and_saveexec_b64 s[10:11], vcc
	s_xor_b64 s[10:11], exec, s[10:11]
	s_cbranch_execz .LBB213_1532
; %bb.1527:
	s_mov_b32 s12, 0x387fffff
	v_cmp_lt_u32_e32 vcc, s12, v7
                                        ; implicit-def: $vgpr1
	s_and_saveexec_b64 s[12:13], vcc
	s_xor_b64 s[12:13], exec, s[12:13]
; %bb.1528:
	v_bfe_u32 v1, v0, 5, 1
	s_mov_b32 s14, 0x80fffff
	v_add3_u32 v1, v6, v1, s14
	v_lshrrev_b32_e32 v1, 21, v1
                                        ; implicit-def: $vgpr6
; %bb.1529:
	s_andn2_saveexec_b64 s[12:13], s[12:13]
; %bb.1530:
	s_mov_b32 s14, 0x43000000
	v_add_f32_e64 v1, |v6|, s14
; %bb.1531:
	s_or_b64 exec, exec, s[12:13]
                                        ; implicit-def: $vgpr7
.LBB213_1532:
	s_andn2_saveexec_b64 s[10:11], s[10:11]
; %bb.1533:
	s_mov_b32 s12, 0x7f800000
	v_mov_b32_e32 v1, 0x7c
	v_mov_b32_e32 v6, 0x7f
	v_cmp_lt_u32_e32 vcc, s12, v7
	v_cndmask_b32_e32 v1, v1, v6, vcc
; %bb.1534:
	s_or_b64 exec, exec, s[10:11]
	v_lshrrev_b32_e32 v0, 8, v0
	s_movk_i32 s10, 0x80
	v_and_or_b32 v0, v0, s10, v1
	global_store_byte v[4:5], v0, off
.LBB213_1535:
	s_mov_b64 s[10:11], 0
.LBB213_1536:
	s_andn2_b64 vcc, exec, s[10:11]
	s_mov_b64 s[10:11], 0
	s_cbranch_vccnz .LBB213_1544
; %bb.1537:
	v_cmp_lt_i16_e32 vcc, 14, v3
	s_mov_b64 s[12:13], -1
	s_cbranch_vccz .LBB213_1541
; %bb.1538:
	v_cmp_eq_u16_e32 vcc, 15, v3
	s_mov_b64 s[6:7], -1
	s_cbranch_vccz .LBB213_1540
; %bb.1539:
	global_store_short v[4:5], v2, off
	s_mov_b64 s[6:7], 0
.LBB213_1540:
	s_mov_b64 s[12:13], 0
.LBB213_1541:
	s_and_b64 vcc, exec, s[12:13]
	s_cbranch_vccz .LBB213_1544
; %bb.1542:
	v_cmp_ne_u16_e32 vcc, 11, v3
	s_andn2_b64 s[6:7], s[6:7], exec
	s_and_b64 s[12:13], vcc, exec
	s_mov_b64 s[10:11], -1
	s_or_b64 s[6:7], s[6:7], s[12:13]
	s_branch .LBB213_1544
.LBB213_1543:
	s_mov_b64 s[10:11], 0
.LBB213_1544:
	s_and_b64 s[12:13], s[10:11], exec
	s_andn2_b64 s[10:11], s[56:57], exec
	s_and_b64 s[6:7], s[6:7], exec
	s_and_b64 s[8:9], s[8:9], exec
	s_or_b64 s[56:57], s[10:11], s[6:7]
	s_or_b64 exec, exec, s[36:37]
	s_and_saveexec_b64 s[6:7], s[56:57]
	s_cbranch_execz .LBB213_1483
.LBB213_1545:
	s_or_b64 s[26:27], s[26:27], exec
	s_andn2_b64 s[12:13], s[12:13], exec
	s_trap 2
	s_or_b64 exec, exec, s[6:7]
	s_and_saveexec_b64 s[6:7], s[12:13]
	s_xor_b64 s[6:7], exec, s[6:7]
	s_cbranch_execnz .LBB213_1484
.LBB213_1546:
	s_or_b64 exec, exec, s[6:7]
	s_and_saveexec_b64 s[6:7], s[8:9]
	s_xor_b64 s[6:7], exec, s[6:7]
	s_cbranch_execz .LBB213_1584
.LBB213_1547:
	v_cmp_gt_i16_e32 vcc, 5, v3
	s_mov_b64 s[8:9], -1
	s_cbranch_vccnz .LBB213_1568
; %bb.1548:
	v_cmp_gt_i16_e32 vcc, 8, v3
	s_cbranch_vccnz .LBB213_1558
; %bb.1549:
	v_cmp_gt_i16_e32 vcc, 9, v3
	s_cbranch_vccnz .LBB213_1555
; %bb.1550:
	v_cmp_lt_i16_e32 vcc, 9, v3
	s_cbranch_vccz .LBB213_1552
; %bb.1551:
	s_waitcnt vmcnt(0)
	v_lshlrev_b32_e32 v0, 16, v2
	v_mov_b32_e32 v8, 0
	v_cvt_f64_f32_e32 v[6:7], v0
	v_mov_b32_e32 v9, v8
	s_mov_b64 s[8:9], 0
	global_store_dwordx4 v[4:5], v[6:9], off
.LBB213_1552:
	s_andn2_b64 vcc, exec, s[8:9]
	s_cbranch_vccnz .LBB213_1554
; %bb.1553:
	s_waitcnt vmcnt(0)
	v_lshlrev_b32_e32 v0, 16, v2
	v_mov_b32_e32 v1, 0
	global_store_dwordx2 v[4:5], v[0:1], off
.LBB213_1554:
	s_mov_b64 s[8:9], 0
.LBB213_1555:
	s_andn2_b64 vcc, exec, s[8:9]
	s_cbranch_vccnz .LBB213_1557
; %bb.1556:
	s_waitcnt vmcnt(0)
	v_lshlrev_b32_e32 v0, 16, v2
	v_cvt_f16_f32_e32 v0, v0
	global_store_dword v[4:5], v0, off
.LBB213_1557:
	s_mov_b64 s[8:9], 0
.LBB213_1558:
	s_andn2_b64 vcc, exec, s[8:9]
	s_cbranch_vccnz .LBB213_1567
; %bb.1559:
	v_cmp_gt_i16_e32 vcc, 6, v3
	s_mov_b64 s[8:9], -1
	s_cbranch_vccnz .LBB213_1565
; %bb.1560:
	v_cmp_lt_i16_e32 vcc, 6, v3
	s_cbranch_vccz .LBB213_1562
; %bb.1561:
	s_waitcnt vmcnt(0)
	v_lshlrev_b32_e32 v0, 16, v2
	v_cvt_f64_f32_e32 v[0:1], v0
	s_mov_b64 s[8:9], 0
	global_store_dwordx2 v[4:5], v[0:1], off
.LBB213_1562:
	s_andn2_b64 vcc, exec, s[8:9]
	s_cbranch_vccnz .LBB213_1564
; %bb.1563:
	s_waitcnt vmcnt(0)
	v_lshlrev_b32_e32 v0, 16, v2
	global_store_dword v[4:5], v0, off
.LBB213_1564:
	s_mov_b64 s[8:9], 0
.LBB213_1565:
	s_andn2_b64 vcc, exec, s[8:9]
	s_cbranch_vccnz .LBB213_1567
; %bb.1566:
	s_waitcnt vmcnt(0)
	v_lshlrev_b32_e32 v0, 16, v2
	v_cvt_f16_f32_e32 v0, v0
	global_store_short v[4:5], v0, off
.LBB213_1567:
	s_mov_b64 s[8:9], 0
.LBB213_1568:
	s_andn2_b64 vcc, exec, s[8:9]
	s_cbranch_vccnz .LBB213_1584
; %bb.1569:
	v_cmp_gt_i16_e32 vcc, 2, v3
	s_mov_b64 s[8:9], -1
	s_cbranch_vccnz .LBB213_1579
; %bb.1570:
	v_cmp_gt_i16_e32 vcc, 3, v3
	s_cbranch_vccnz .LBB213_1576
; %bb.1571:
	v_cmp_lt_i16_e32 vcc, 3, v3
	s_cbranch_vccz .LBB213_1573
; %bb.1572:
	s_waitcnt vmcnt(0)
	v_lshlrev_b32_e32 v0, 16, v2
	v_trunc_f32_e32 v0, v0
	s_mov_b32 s8, 0x2f800000
	v_mul_f32_e64 v1, |v0|, s8
	v_floor_f32_e32 v1, v1
	s_mov_b32 s8, 0xcf800000
	v_cvt_u32_f32_e32 v6, v1
	v_fma_f32 v1, v1, s8, |v0|
	v_cvt_u32_f32_e32 v1, v1
	v_ashrrev_i32_e32 v7, 31, v0
	v_xor_b32_e32 v6, v6, v7
	s_mov_b64 s[8:9], 0
	v_xor_b32_e32 v0, v1, v7
	v_sub_co_u32_e32 v0, vcc, v0, v7
	v_subb_co_u32_e32 v1, vcc, v6, v7, vcc
	global_store_dwordx2 v[4:5], v[0:1], off
.LBB213_1573:
	s_andn2_b64 vcc, exec, s[8:9]
	s_cbranch_vccnz .LBB213_1575
; %bb.1574:
	s_waitcnt vmcnt(0)
	v_lshlrev_b32_e32 v0, 16, v2
	v_cvt_i32_f32_e32 v0, v0
	global_store_dword v[4:5], v0, off
.LBB213_1575:
	s_mov_b64 s[8:9], 0
.LBB213_1576:
	s_andn2_b64 vcc, exec, s[8:9]
	s_cbranch_vccnz .LBB213_1578
; %bb.1577:
	s_waitcnt vmcnt(0)
	v_lshlrev_b32_e32 v0, 16, v2
	v_cvt_i32_f32_e32 v0, v0
	global_store_short v[4:5], v0, off
.LBB213_1578:
	s_mov_b64 s[8:9], 0
.LBB213_1579:
	s_andn2_b64 vcc, exec, s[8:9]
	s_cbranch_vccnz .LBB213_1584
; %bb.1580:
	v_cmp_lt_i16_e32 vcc, 0, v3
	s_mov_b64 s[8:9], -1
	s_waitcnt vmcnt(0)
	v_lshlrev_b32_e32 v0, 16, v2
	s_cbranch_vccz .LBB213_1582
; %bb.1581:
	v_cvt_i32_f32_e32 v1, v0
	s_mov_b64 s[8:9], 0
	global_store_byte v[4:5], v1, off
.LBB213_1582:
	s_andn2_b64 vcc, exec, s[8:9]
	s_cbranch_vccnz .LBB213_1584
; %bb.1583:
	v_trunc_f32_e32 v0, v0
	s_mov_b32 s8, 0x2f800000
	v_mul_f32_e64 v1, |v0|, s8
	v_floor_f32_e32 v1, v1
	s_mov_b32 s8, 0xcf800000
	v_fma_f32 v1, v1, s8, |v0|
	v_cvt_u32_f32_e32 v1, v1
	v_ashrrev_i32_e32 v0, 31, v0
	v_xor_b32_e32 v1, v1, v0
	v_sub_u32_e32 v0, v1, v0
	global_store_byte v[4:5], v0, off
.LBB213_1584:
	s_or_b64 exec, exec, s[6:7]
	s_and_b64 s[36:37], s[26:27], exec
                                        ; implicit-def: $vgpr16
                                        ; implicit-def: $vgpr34
.LBB213_1585:
	s_or_saveexec_b64 s[38:39], s[44:45]
	s_mov_b64 s[8:9], 0
                                        ; implicit-def: $vgpr2_vgpr3
                                        ; implicit-def: $vgpr1
                                        ; implicit-def: $vgpr0
	s_xor_b64 exec, exec, s[38:39]
	s_cbranch_execz .LBB213_3115
; %bb.1586:
	s_waitcnt vmcnt(0)
	v_cndmask_b32_e64 v0, 0, 1, s[34:35]
	v_cmp_ne_u32_e64 s[6:7], 1, v0
	s_andn2_b64 vcc, exec, s[34:35]
	s_cbranch_vccnz .LBB213_1592
; %bb.1587:
	s_cmp_lg_u32 s33, 0
	v_mov_b32_e32 v14, 0
	v_mov_b32_e32 v0, 0
	;; [unrolled: 1-line block ×3, first 2 shown]
	s_cbranch_scc0 .LBB213_1593
; %bb.1588:
	s_min_u32 s10, s80, 15
	s_add_i32 s8, s10, 1
	s_and_b32 s11, s8, 30
	s_add_u32 s8, s22, 0xffffffec
	s_addc_u32 s9, s23, -1
	v_mov_b32_e32 v42, 0
	v_mov_b32_e32 v1, v34
	;; [unrolled: 1-line block ×4, first 2 shown]
.LBB213_1589:                           ; =>This Inner Loop Header: Depth=1
	s_mov_b64 s[20:21], s[8:9]
	s_load_dwordx4 s[12:15], s[20:21], 0x18
	s_load_dwordx2 s[24:25], s[20:21], 0x28
	s_load_dwordx2 s[26:27], s[20:21], 0xe8
	s_load_dwordx4 s[16:19], s[20:21], 0xd8
	s_add_u32 s8, s20, 24
	s_waitcnt lgkmcnt(0)
	v_mul_hi_u32 v2, s13, v1
	v_add_u32_e32 v2, v1, v2
	v_lshrrev_b32_e32 v2, s14, v2
	v_mul_lo_u32 v3, v2, s12
	v_mul_hi_u32 v4, s24, v2
	v_sub_u32_e32 v1, v1, v3
	v_add_u32_e32 v3, v2, v4
	v_mul_lo_u32 v4, v1, s16
	v_mul_lo_u32 v5, v1, s17
	;; [unrolled: 1-line block ×3, first 2 shown]
	v_lshrrev_b32_e32 v1, s25, v3
	v_mul_lo_u32 v3, v1, s15
	v_sub_u32_e32 v2, v2, v3
	s_addc_u32 s9, s21, 0
	s_add_i32 s11, s11, -2
	v_mul_lo_u32 v3, v2, s19
	v_mul_lo_u32 v7, v2, s26
	;; [unrolled: 1-line block ×3, first 2 shown]
	s_cmp_lg_u32 s11, 0
	v_add3_u32 v42, v4, v42, v3
	v_add3_u32 v14, v6, v14, v2
	;; [unrolled: 1-line block ×3, first 2 shown]
	s_cbranch_scc1 .LBB213_1589
; %bb.1590:
	s_bitcmp1_b32 s10, 0
	s_cselect_b64 s[10:11], -1, 0
	s_and_b64 vcc, exec, s[10:11]
	s_cbranch_vccnz .LBB213_1593
; %bb.1591:
	s_load_dwordx2 s[10:11], s[8:9], 0x18
	s_load_dword s14, s[8:9], 0x20
	s_load_dword s15, s[8:9], 0xe0
	s_load_dwordx2 s[12:13], s[8:9], 0xd8
	s_waitcnt lgkmcnt(0)
	v_mul_hi_u32 v2, s11, v1
	v_add_u32_e32 v2, v1, v2
	v_lshrrev_b32_e32 v2, s14, v2
	v_mul_lo_u32 v2, v2, s10
	v_sub_u32_e32 v2, v1, v2
	v_mad_u64_u32 v[42:43], s[8:9], v2, s12, v[42:43]
	v_mad_u64_u32 v[0:1], s[8:9], v2, s13, v[0:1]
	;; [unrolled: 1-line block ×3, first 2 shown]
	s_cbranch_execz .LBB213_1594
	s_branch .LBB213_1596
.LBB213_1592:
                                        ; implicit-def: $vgpr14
                                        ; implicit-def: $vgpr0
                                        ; implicit-def: $vgpr42
	s_branch .LBB213_1594
.LBB213_1593:
	s_cbranch_execnz .LBB213_1596
.LBB213_1594:
	s_load_dwordx4 s[8:11], s[22:23], 0x4
	s_load_dwordx4 s[12:15], s[22:23], 0xc4
	s_cmp_lt_u32 s33, 2
	s_waitcnt lgkmcnt(0)
	v_mul_hi_u32 v0, s9, v34
	v_add_u32_e32 v0, v34, v0
	v_lshrrev_b32_e32 v1, s10, v0
	v_mul_lo_u32 v0, v1, s8
	v_sub_u32_e32 v0, v34, v0
	v_mul_lo_u32 v42, v0, s12
	v_mul_lo_u32 v14, v0, s14
	;; [unrolled: 1-line block ×3, first 2 shown]
	s_cbranch_scc1 .LBB213_1596
; %bb.1595:
	s_load_dwordx4 s[8:11], s[22:23], 0x10
	s_load_dwordx4 s[12:15], s[22:23], 0xd0
	s_waitcnt lgkmcnt(0)
	v_mul_hi_u32 v2, s9, v1
	v_add_u32_e32 v2, v1, v2
	v_lshrrev_b32_e32 v2, s10, v2
	v_mul_lo_u32 v2, v2, s8
	v_sub_u32_e32 v2, v1, v2
	v_mad_u64_u32 v[42:43], s[8:9], v2, s12, v[42:43]
	v_mad_u64_u32 v[0:1], s[8:9], v2, s13, v[0:1]
	;; [unrolled: 1-line block ×3, first 2 shown]
.LBB213_1596:
	s_and_b64 vcc, exec, s[6:7]
	v_add_u32_e32 v1, 0x80, v34
	s_cbranch_vccnz .LBB213_1602
; %bb.1597:
	s_cmp_lg_u32 s33, 0
	v_mov_b32_e32 v10, 0
	v_mov_b32_e32 v12, 0
	;; [unrolled: 1-line block ×3, first 2 shown]
	s_cbranch_scc0 .LBB213_1603
; %bb.1598:
	s_min_u32 s10, s80, 15
	s_add_i32 s8, s10, 1
	s_and_b32 s11, s8, 30
	s_add_u32 s8, s22, 0xffffffec
	s_addc_u32 s9, s23, -1
	v_mov_b32_e32 v40, 0
	v_mov_b32_e32 v2, v1
	;; [unrolled: 1-line block ×4, first 2 shown]
.LBB213_1599:                           ; =>This Inner Loop Header: Depth=1
	s_mov_b64 s[20:21], s[8:9]
	s_load_dwordx4 s[12:15], s[20:21], 0x18
	s_load_dwordx2 s[24:25], s[20:21], 0x28
	s_load_dwordx2 s[26:27], s[20:21], 0xe8
	s_load_dwordx4 s[16:19], s[20:21], 0xd8
	s_add_u32 s8, s20, 24
	s_waitcnt lgkmcnt(0)
	v_mul_hi_u32 v3, s13, v2
	v_add_u32_e32 v3, v2, v3
	v_lshrrev_b32_e32 v3, s14, v3
	v_mul_lo_u32 v4, v3, s12
	v_mul_hi_u32 v5, s24, v3
	v_sub_u32_e32 v2, v2, v4
	v_add_u32_e32 v4, v3, v5
	v_mul_lo_u32 v5, v2, s16
	v_mul_lo_u32 v6, v2, s17
	;; [unrolled: 1-line block ×3, first 2 shown]
	v_lshrrev_b32_e32 v2, s25, v4
	v_mul_lo_u32 v4, v2, s15
	v_sub_u32_e32 v3, v3, v4
	s_addc_u32 s9, s21, 0
	s_add_i32 s11, s11, -2
	v_mul_lo_u32 v4, v3, s19
	v_mul_lo_u32 v8, v3, s26
	v_mul_lo_u32 v3, v3, s27
	s_cmp_lg_u32 s11, 0
	v_add3_u32 v40, v5, v40, v4
	v_add3_u32 v10, v7, v10, v3
	;; [unrolled: 1-line block ×3, first 2 shown]
	s_cbranch_scc1 .LBB213_1599
; %bb.1600:
	s_bitcmp1_b32 s10, 0
	s_cselect_b64 s[10:11], -1, 0
	s_and_b64 vcc, exec, s[10:11]
	s_cbranch_vccnz .LBB213_1603
; %bb.1601:
	s_load_dwordx2 s[10:11], s[8:9], 0x18
	s_load_dword s14, s[8:9], 0x20
	s_load_dword s15, s[8:9], 0xe0
	s_load_dwordx2 s[12:13], s[8:9], 0xd8
	s_waitcnt lgkmcnt(0)
	v_mul_hi_u32 v3, s11, v2
	v_add_u32_e32 v3, v2, v3
	v_lshrrev_b32_e32 v3, s14, v3
	v_mul_lo_u32 v3, v3, s10
	v_sub_u32_e32 v2, v2, v3
	v_mad_u64_u32 v[40:41], s[8:9], v2, s12, v[40:41]
	v_mad_u64_u32 v[12:13], s[8:9], v2, s13, v[12:13]
	;; [unrolled: 1-line block ×3, first 2 shown]
	s_cbranch_execz .LBB213_1604
	s_branch .LBB213_1606
.LBB213_1602:
                                        ; implicit-def: $vgpr10
                                        ; implicit-def: $vgpr12
                                        ; implicit-def: $vgpr40
	s_branch .LBB213_1604
.LBB213_1603:
	s_cbranch_execnz .LBB213_1606
.LBB213_1604:
	s_load_dwordx4 s[8:11], s[22:23], 0x4
	s_load_dwordx4 s[12:15], s[22:23], 0xc4
	s_cmp_lt_u32 s33, 2
	s_waitcnt lgkmcnt(0)
	v_mul_hi_u32 v2, s9, v1
	v_add_u32_e32 v2, v1, v2
	v_lshrrev_b32_e32 v2, s10, v2
	v_mul_lo_u32 v3, v2, s8
	v_sub_u32_e32 v1, v1, v3
	v_mul_lo_u32 v40, v1, s12
	v_mul_lo_u32 v10, v1, s14
	;; [unrolled: 1-line block ×3, first 2 shown]
	s_cbranch_scc1 .LBB213_1606
; %bb.1605:
	s_load_dwordx4 s[8:11], s[22:23], 0x10
	s_load_dwordx4 s[12:15], s[22:23], 0xd0
	s_waitcnt lgkmcnt(0)
	v_mul_hi_u32 v1, s9, v2
	v_add_u32_e32 v1, v2, v1
	v_lshrrev_b32_e32 v1, s10, v1
	v_mul_lo_u32 v1, v1, s8
	v_sub_u32_e32 v1, v2, v1
	v_mad_u64_u32 v[40:41], s[8:9], v1, s12, v[40:41]
	v_mad_u64_u32 v[12:13], s[8:9], v1, s13, v[12:13]
	;; [unrolled: 1-line block ×3, first 2 shown]
.LBB213_1606:
	s_and_b64 vcc, exec, s[6:7]
	v_add_u32_e32 v1, 0x100, v34
	s_cbranch_vccnz .LBB213_1612
; %bb.1607:
	s_cmp_lg_u32 s33, 0
	v_mov_b32_e32 v6, 0
	v_mov_b32_e32 v8, 0
	;; [unrolled: 1-line block ×3, first 2 shown]
	s_cbranch_scc0 .LBB213_1613
; %bb.1608:
	s_min_u32 s10, s80, 15
	s_add_i32 s8, s10, 1
	s_and_b32 s11, s8, 30
	s_add_u32 s8, s22, 0xffffffec
	s_addc_u32 s9, s23, -1
	v_mov_b32_e32 v38, 0
	v_mov_b32_e32 v2, v1
	;; [unrolled: 1-line block ×4, first 2 shown]
.LBB213_1609:                           ; =>This Inner Loop Header: Depth=1
	s_mov_b64 s[20:21], s[8:9]
	s_load_dwordx4 s[12:15], s[20:21], 0x18
	s_load_dwordx2 s[24:25], s[20:21], 0x28
	s_load_dwordx2 s[26:27], s[20:21], 0xe8
	s_load_dwordx4 s[16:19], s[20:21], 0xd8
	s_add_u32 s8, s20, 24
	s_waitcnt lgkmcnt(0)
	v_mul_hi_u32 v3, s13, v2
	v_add_u32_e32 v3, v2, v3
	v_lshrrev_b32_e32 v3, s14, v3
	v_mul_lo_u32 v4, v3, s12
	v_mul_hi_u32 v5, s24, v3
	v_sub_u32_e32 v2, v2, v4
	v_add_u32_e32 v4, v3, v5
	v_mul_lo_u32 v5, v2, s16
	v_mul_lo_u32 v7, v2, s17
	;; [unrolled: 1-line block ×3, first 2 shown]
	v_lshrrev_b32_e32 v2, s25, v4
	v_mul_lo_u32 v4, v2, s15
	v_sub_u32_e32 v3, v3, v4
	s_addc_u32 s9, s21, 0
	s_add_i32 s11, s11, -2
	v_mul_lo_u32 v4, v3, s19
	v_mul_lo_u32 v11, v3, s26
	;; [unrolled: 1-line block ×3, first 2 shown]
	s_cmp_lg_u32 s11, 0
	v_add3_u32 v38, v5, v38, v4
	v_add3_u32 v6, v9, v6, v3
	;; [unrolled: 1-line block ×3, first 2 shown]
	s_cbranch_scc1 .LBB213_1609
; %bb.1610:
	s_bitcmp1_b32 s10, 0
	s_cselect_b64 s[10:11], -1, 0
	s_and_b64 vcc, exec, s[10:11]
	s_cbranch_vccnz .LBB213_1613
; %bb.1611:
	s_load_dwordx2 s[10:11], s[8:9], 0x18
	s_load_dword s14, s[8:9], 0x20
	s_load_dword s15, s[8:9], 0xe0
	s_load_dwordx2 s[12:13], s[8:9], 0xd8
	s_waitcnt lgkmcnt(0)
	v_mul_hi_u32 v3, s11, v2
	v_add_u32_e32 v3, v2, v3
	v_lshrrev_b32_e32 v3, s14, v3
	v_mul_lo_u32 v3, v3, s10
	v_sub_u32_e32 v2, v2, v3
	v_mad_u64_u32 v[38:39], s[8:9], v2, s12, v[38:39]
	v_mad_u64_u32 v[8:9], s[8:9], v2, s13, v[8:9]
	;; [unrolled: 1-line block ×3, first 2 shown]
	s_cbranch_execz .LBB213_1614
	s_branch .LBB213_1616
.LBB213_1612:
                                        ; implicit-def: $vgpr6
                                        ; implicit-def: $vgpr8
                                        ; implicit-def: $vgpr38
	s_branch .LBB213_1614
.LBB213_1613:
	s_cbranch_execnz .LBB213_1616
.LBB213_1614:
	s_load_dwordx4 s[8:11], s[22:23], 0x4
	s_load_dwordx4 s[12:15], s[22:23], 0xc4
	s_cmp_lt_u32 s33, 2
	s_waitcnt lgkmcnt(0)
	v_mul_hi_u32 v2, s9, v1
	v_add_u32_e32 v2, v1, v2
	v_lshrrev_b32_e32 v2, s10, v2
	v_mul_lo_u32 v3, v2, s8
	v_sub_u32_e32 v1, v1, v3
	v_mul_lo_u32 v38, v1, s12
	v_mul_lo_u32 v6, v1, s14
	;; [unrolled: 1-line block ×3, first 2 shown]
	s_cbranch_scc1 .LBB213_1616
; %bb.1615:
	s_load_dwordx4 s[8:11], s[22:23], 0x10
	s_load_dwordx4 s[12:15], s[22:23], 0xd0
	s_waitcnt lgkmcnt(0)
	v_mul_hi_u32 v1, s9, v2
	v_add_u32_e32 v1, v2, v1
	v_lshrrev_b32_e32 v1, s10, v1
	v_mul_lo_u32 v1, v1, s8
	v_sub_u32_e32 v1, v2, v1
	v_mad_u64_u32 v[38:39], s[8:9], v1, s12, v[38:39]
	v_mad_u64_u32 v[8:9], s[8:9], v1, s13, v[8:9]
	;; [unrolled: 1-line block ×3, first 2 shown]
.LBB213_1616:
	s_and_b64 vcc, exec, s[6:7]
	s_cbranch_vccnz .LBB213_1622
; %bb.1617:
	s_cmp_lg_u32 s33, 0
	v_mov_b32_e32 v2, 0
	v_mov_b32_e32 v4, 0
	v_mov_b32_e32 v36, 0
	s_cbranch_scc0 .LBB213_1623
; %bb.1618:
	s_min_u32 s8, s80, 15
	s_add_i32 s6, s8, 1
	s_and_b32 s9, s6, 30
	s_add_u32 s6, s22, 0xffffffec
	s_addc_u32 s7, s23, -1
	v_mov_b32_e32 v36, 0
	v_mov_b32_e32 v1, v16
	;; [unrolled: 1-line block ×4, first 2 shown]
.LBB213_1619:                           ; =>This Inner Loop Header: Depth=1
	s_mov_b64 s[10:11], s[6:7]
	s_load_dwordx4 s[12:15], s[10:11], 0x18
	s_load_dwordx2 s[20:21], s[10:11], 0x28
	s_load_dwordx2 s[24:25], s[10:11], 0xe8
	s_load_dwordx4 s[16:19], s[10:11], 0xd8
	s_add_u32 s6, s10, 24
	s_waitcnt lgkmcnt(0)
	v_mul_hi_u32 v3, s13, v1
	v_add_u32_e32 v3, v1, v3
	v_lshrrev_b32_e32 v3, s14, v3
	v_mul_lo_u32 v5, v3, s12
	v_mul_hi_u32 v7, s20, v3
	v_sub_u32_e32 v1, v1, v5
	v_add_u32_e32 v5, v3, v7
	v_mul_lo_u32 v7, v1, s16
	v_mul_lo_u32 v9, v1, s17
	;; [unrolled: 1-line block ×3, first 2 shown]
	v_lshrrev_b32_e32 v1, s21, v5
	v_mul_lo_u32 v5, v1, s15
	v_sub_u32_e32 v3, v3, v5
	s_addc_u32 s7, s11, 0
	s_add_i32 s9, s9, -2
	v_mul_lo_u32 v5, v3, s19
	v_mul_lo_u32 v13, v3, s24
	v_mul_lo_u32 v3, v3, s25
	s_cmp_lg_u32 s9, 0
	v_add3_u32 v36, v7, v36, v5
	v_add3_u32 v2, v11, v2, v3
	;; [unrolled: 1-line block ×3, first 2 shown]
	s_cbranch_scc1 .LBB213_1619
; %bb.1620:
	s_bitcmp1_b32 s8, 0
	s_cselect_b64 s[8:9], -1, 0
	s_and_b64 vcc, exec, s[8:9]
	s_cbranch_vccnz .LBB213_1623
; %bb.1621:
	s_load_dwordx2 s[8:9], s[6:7], 0x18
	s_load_dword s12, s[6:7], 0x20
	s_load_dword s13, s[6:7], 0xe0
	s_load_dwordx2 s[10:11], s[6:7], 0xd8
	s_waitcnt lgkmcnt(0)
	v_mul_hi_u32 v3, s9, v1
	v_add_u32_e32 v3, v1, v3
	v_lshrrev_b32_e32 v3, s12, v3
	v_mul_lo_u32 v3, v3, s8
	v_sub_u32_e32 v1, v1, v3
	v_mad_u64_u32 v[36:37], s[6:7], v1, s10, v[36:37]
	v_mad_u64_u32 v[4:5], s[6:7], v1, s11, v[4:5]
	v_mad_u64_u32 v[2:3], s[6:7], v1, s13, v[2:3]
	s_cbranch_execz .LBB213_1624
	s_branch .LBB213_1626
.LBB213_1622:
                                        ; implicit-def: $vgpr2
                                        ; implicit-def: $vgpr4
                                        ; implicit-def: $vgpr36
	s_branch .LBB213_1624
.LBB213_1623:
	s_cbranch_execnz .LBB213_1626
.LBB213_1624:
	s_load_dwordx4 s[8:11], s[22:23], 0x4
	s_load_dwordx4 s[12:15], s[22:23], 0xc4
	s_cmp_lt_u32 s33, 2
	s_waitcnt lgkmcnt(0)
	v_mul_hi_u32 v1, s9, v16
	v_add_u32_e32 v1, v16, v1
	v_lshrrev_b32_e32 v1, s10, v1
	v_mul_lo_u32 v2, v1, s8
	v_sub_u32_e32 v3, v16, v2
	v_mul_lo_u32 v36, v3, s12
	v_mul_lo_u32 v2, v3, s14
	v_mul_lo_u32 v4, v3, s13
	s_cbranch_scc1 .LBB213_1626
; %bb.1625:
	s_load_dwordx4 s[8:11], s[22:23], 0x10
	s_load_dwordx4 s[12:15], s[22:23], 0xd0
	s_waitcnt lgkmcnt(0)
	v_mul_hi_u32 v3, s9, v1
	v_add_u32_e32 v3, v1, v3
	v_lshrrev_b32_e32 v3, s10, v3
	v_mul_lo_u32 v3, v3, s8
	v_sub_u32_e32 v1, v1, v3
	v_mad_u64_u32 v[36:37], s[6:7], v1, s12, v[36:37]
	v_mad_u64_u32 v[4:5], s[6:7], v1, s13, v[4:5]
	;; [unrolled: 1-line block ×3, first 2 shown]
.LBB213_1626:
	s_load_dword s18, s[4:5], 0x1a8
	s_load_dwordx4 s[24:27], s[22:23], 0x188
	s_waitcnt lgkmcnt(0)
	s_lshr_b32 s19, s18, 16
	v_mov_b32_e32 v1, s27
	v_add_co_u32_e32 v16, vcc, s26, v0
	v_mov_b32_e32 v0, 11
	v_addc_co_u32_e32 v17, vcc, 0, v1, vcc
	v_cmp_lt_i16_sdwa s[4:5], s19, v0 src0_sel:BYTE_0 src1_sel:DWORD
	s_and_b64 vcc, exec, s[4:5]
	s_cbranch_vccnz .LBB213_1633
; %bb.1627:
	v_mov_b32_e32 v0, 25
	v_cmp_gt_i16_sdwa s[4:5], s19, v0 src0_sel:BYTE_0 src1_sel:DWORD
	s_mov_b64 s[6:7], 0
	s_and_b64 vcc, exec, s[4:5]
	s_cbranch_vccz .LBB213_1635
; %bb.1628:
	v_mov_b32_e32 v0, 28
	v_cmp_gt_i16_sdwa s[4:5], s19, v0 src0_sel:BYTE_0 src1_sel:DWORD
	s_and_b64 vcc, exec, s[4:5]
	s_cbranch_vccz .LBB213_1636
; %bb.1629:
	v_mov_b32_e32 v0, 43
	v_cmp_gt_i16_sdwa s[4:5], s19, v0 src0_sel:BYTE_0 src1_sel:DWORD
	;; [unrolled: 5-line block ×3, first 2 shown]
	s_and_b64 vcc, exec, s[4:5]
	s_cbranch_vccz .LBB213_1638
; %bb.1631:
	v_mov_b32_e32 v0, 46
	v_cmp_eq_u16_sdwa s[4:5], s19, v0 src0_sel:BYTE_0 src1_sel:DWORD
	s_mov_b64 s[10:11], 0
	s_and_b64 vcc, exec, s[4:5]
	s_cbranch_vccz .LBB213_1641
; %bb.1632:
	global_load_dword v0, v[16:17], off
	s_mov_b64 s[4:5], 0
	s_mov_b64 s[8:9], -1
	s_branch .LBB213_1642
.LBB213_1633:
	s_mov_b64 s[8:9], 0
                                        ; implicit-def: $vgpr0
	s_mov_b64 s[34:35], s[36:37]
	s_cbranch_execnz .LBB213_1705
.LBB213_1634:
	s_andn2_b64 vcc, exec, s[8:9]
	s_cbranch_vccz .LBB213_1750
	s_branch .LBB213_3113
.LBB213_1635:
	s_mov_b64 s[8:9], 0
	s_mov_b64 s[4:5], 0
                                        ; implicit-def: $vgpr0
	s_cbranch_execnz .LBB213_1670
	s_branch .LBB213_1701
.LBB213_1636:
	s_mov_b64 s[10:11], -1
	s_mov_b64 s[8:9], 0
	s_mov_b64 s[4:5], 0
                                        ; implicit-def: $vgpr0
	s_branch .LBB213_1651
.LBB213_1637:
	s_mov_b64 s[8:9], 0
	s_mov_b64 s[4:5], 0
                                        ; implicit-def: $vgpr0
	s_cbranch_execnz .LBB213_1647
	s_branch .LBB213_1650
.LBB213_1638:
	s_mov_b64 s[10:11], -1
	s_mov_b64 s[8:9], 0
	s_mov_b64 s[4:5], 0
                                        ; implicit-def: $vgpr0
	s_branch .LBB213_1642
.LBB213_1639:
	s_or_saveexec_b64 s[12:13], s[12:13]
                                        ; implicit-def: $sgpr14
	s_xor_b64 exec, exec, s[12:13]
	s_cbranch_execz .LBB213_1498
.LBB213_1640:
	s_mov_b32 s14, 0x46000000
	v_add_f32_e64 v1, |v6|, s14
	v_and_b32_e32 v1, 0xff, v1
	v_cmp_ne_u32_e32 vcc, 0, v1
	s_andn2_b64 s[10:11], s[10:11], exec
	s_and_b64 s[16:17], vcc, exec
	s_mov_b32 s14, 0
	s_or_b64 s[10:11], s[10:11], s[16:17]
	s_or_b64 exec, exec, s[12:13]
	v_mov_b32_e32 v7, s14
	s_and_saveexec_b64 s[12:13], s[10:11]
	s_cbranch_execnz .LBB213_1499
	s_branch .LBB213_1500
.LBB213_1641:
	s_mov_b64 s[4:5], -1
                                        ; implicit-def: $vgpr0
	s_mov_b64 s[8:9], 0
.LBB213_1642:
	s_and_b64 vcc, exec, s[10:11]
	s_cbranch_vccz .LBB213_1645
; %bb.1643:
	s_waitcnt vmcnt(0)
	v_mov_b32_e32 v0, 44
	v_cmp_eq_u16_sdwa s[4:5], s19, v0 src0_sel:BYTE_0 src1_sel:DWORD
	s_and_b64 vcc, exec, s[4:5]
	s_cbranch_vccz .LBB213_1646
; %bb.1644:
	global_load_ubyte v0, v[16:17], off
	s_movk_i32 s8, 0xff
	v_mov_b32_e32 v1, 0x7f800001
	v_mov_b32_e32 v3, 0x400000
	;; [unrolled: 1-line block ×3, first 2 shown]
	s_mov_b64 s[4:5], 0
	s_waitcnt vmcnt(0)
	v_lshlrev_b32_e32 v7, 23, v0
	v_cmp_ne_u32_e32 vcc, s8, v0
	v_cndmask_b32_e32 v1, v1, v7, vcc
	v_cmp_ne_u32_e32 vcc, 0, v0
	v_cndmask_b32_e32 v0, v3, v1, vcc
	v_add_u32_e32 v1, 0x7fff, v0
	v_lshrrev_b32_e32 v1, 16, v1
	v_cmp_o_f32_e32 vcc, v0, v0
	v_cndmask_b32_e32 v0, v5, v1, vcc
	s_mov_b64 s[8:9], -1
.LBB213_1645:
	s_branch .LBB213_1650
.LBB213_1646:
	s_mov_b64 s[4:5], -1
                                        ; implicit-def: $vgpr0
	s_branch .LBB213_1650
.LBB213_1647:
	s_waitcnt vmcnt(0)
	v_mov_b32_e32 v0, 29
	v_cmp_eq_u16_sdwa s[4:5], s19, v0 src0_sel:BYTE_0 src1_sel:DWORD
	s_and_b64 vcc, exec, s[4:5]
	s_cbranch_vccz .LBB213_1649
; %bb.1648:
	global_load_dwordx2 v[0:1], v[16:17], off
	s_movk_i32 s8, 0x7fff
	s_mov_b64 s[4:5], 0
	s_mov_b64 s[10:11], 0
	s_waitcnt vmcnt(0)
	v_ffbh_u32_e32 v3, v1
	v_min_u32_e32 v3, 32, v3
	v_lshlrev_b64 v[0:1], v3, v[0:1]
	v_min_u32_e32 v0, 1, v0
	v_or_b32_e32 v0, v1, v0
	v_cvt_f32_u32_e32 v0, v0
	v_sub_u32_e32 v1, 32, v3
	v_ldexp_f32 v0, v0, v1
	v_bfe_u32 v1, v0, 16, 1
	v_add3_u32 v0, v0, v1, s8
	v_lshrrev_b32_e32 v0, 16, v0
	s_mov_b64 s[8:9], -1
	s_branch .LBB213_1651
.LBB213_1649:
	s_mov_b64 s[4:5], -1
                                        ; implicit-def: $vgpr0
.LBB213_1650:
	s_mov_b64 s[10:11], 0
.LBB213_1651:
	s_and_b64 vcc, exec, s[10:11]
	s_cbranch_vccz .LBB213_1669
; %bb.1652:
	s_waitcnt vmcnt(0)
	v_mov_b32_e32 v0, 27
	v_cmp_lt_i16_sdwa s[8:9], s19, v0 src0_sel:BYTE_0 src1_sel:DWORD
	s_and_b64 vcc, exec, s[8:9]
	s_cbranch_vccnz .LBB213_1655
; %bb.1653:
	v_cmp_gt_i16_sdwa s[8:9], s19, v0 src0_sel:BYTE_0 src1_sel:DWORD
	s_and_b64 vcc, exec, s[8:9]
	s_cbranch_vccz .LBB213_1656
; %bb.1654:
	global_load_dword v0, v[16:17], off
	s_movk_i32 s8, 0x7fff
	s_waitcnt vmcnt(0)
	v_cvt_f32_u32_e32 v0, v0
	v_bfe_u32 v1, v0, 16, 1
	v_add3_u32 v0, v0, v1, s8
	v_lshrrev_b32_e32 v0, 16, v0
	s_mov_b64 s[8:9], 0
	s_branch .LBB213_1657
.LBB213_1655:
	s_mov_b64 s[8:9], -1
                                        ; implicit-def: $vgpr0
	s_branch .LBB213_1660
.LBB213_1656:
	s_mov_b64 s[8:9], -1
                                        ; implicit-def: $vgpr0
.LBB213_1657:
	s_andn2_b64 vcc, exec, s[8:9]
	s_cbranch_vccnz .LBB213_1659
; %bb.1658:
	global_load_ushort v0, v[16:17], off
	s_movk_i32 s8, 0x7fff
	s_waitcnt vmcnt(0)
	v_cvt_f32_u32_e32 v0, v0
	v_bfe_u32 v1, v0, 16, 1
	v_add3_u32 v0, v0, v1, s8
	v_lshrrev_b32_e32 v0, 16, v0
.LBB213_1659:
	s_mov_b64 s[8:9], 0
.LBB213_1660:
	s_andn2_b64 vcc, exec, s[8:9]
	s_cbranch_vccnz .LBB213_1668
; %bb.1661:
	global_load_ubyte v0, v[16:17], off
	s_movk_i32 s8, 0x7f
                                        ; implicit-def: $sgpr14
	s_waitcnt vmcnt(0)
	v_cmp_lt_i16_e32 vcc, s8, v0
	s_mov_b64 s[8:9], 0
	s_and_saveexec_b64 s[10:11], vcc
	s_xor_b64 s[10:11], exec, s[10:11]
	s_cbranch_execz .LBB213_1681
; %bb.1662:
	s_movk_i32 s8, 0x80
	v_cmp_eq_u16_e32 vcc, s8, v0
	s_mov_b64 s[8:9], -1
                                        ; implicit-def: $sgpr14
	s_and_saveexec_b64 s[12:13], vcc
; %bb.1663:
	s_mov_b32 s14, 0x7f800001
	s_xor_b64 s[8:9], exec, -1
; %bb.1664:
	s_or_b64 exec, exec, s[12:13]
	s_and_b64 s[8:9], s[8:9], exec
	s_or_saveexec_b64 s[10:11], s[10:11]
	v_mov_b32_e32 v1, s14
	s_xor_b64 exec, exec, s[10:11]
	s_cbranch_execnz .LBB213_1682
.LBB213_1665:
	s_or_b64 exec, exec, s[10:11]
	s_and_saveexec_b64 s[10:11], s[8:9]
	s_cbranch_execz .LBB213_1667
.LBB213_1666:
	v_lshlrev_b32_e32 v1, 24, v0
	v_and_b32_e32 v0, 0xffff, v0
	v_and_b32_e32 v3, 7, v0
	v_ffbh_u32_e32 v7, v3
	v_min_u32_e32 v7, 32, v7
	v_subrev_u32_e32 v9, 28, v7
	v_bfe_u32 v5, v0, 3, 4
	v_lshlrev_b32_e32 v0, v9, v0
	v_sub_u32_e32 v7, 29, v7
	v_and_b32_e32 v0, 7, v0
	v_cmp_eq_u32_e32 vcc, 0, v5
	v_cndmask_b32_e32 v5, v5, v7, vcc
	v_cndmask_b32_e32 v0, v3, v0, vcc
	v_mov_b32_e32 v3, 0x3b800000
	v_lshlrev_b32_e32 v0, 20, v0
	v_and_b32_e32 v1, 0x80000000, v1
	v_lshl_add_u32 v3, v5, 23, v3
	v_or3_b32 v1, v1, v3, v0
.LBB213_1667:
	s_or_b64 exec, exec, s[10:11]
	v_bfe_u32 v0, v1, 16, 1
	s_movk_i32 s8, 0x7fff
	v_add3_u32 v0, v1, v0, s8
	v_lshrrev_b32_e32 v0, 16, v0
	v_mov_b32_e32 v3, 0x7fc0
	v_cmp_o_f32_e32 vcc, v1, v1
	v_cndmask_b32_e32 v0, v3, v0, vcc
.LBB213_1668:
	s_mov_b64 s[8:9], -1
.LBB213_1669:
	s_branch .LBB213_1701
.LBB213_1670:
	s_waitcnt vmcnt(0)
	v_mov_b32_e32 v0, 22
	v_cmp_gt_i16_sdwa s[6:7], s19, v0 src0_sel:BYTE_0 src1_sel:DWORD
	s_and_b64 vcc, exec, s[6:7]
	s_cbranch_vccz .LBB213_1680
; %bb.1671:
	v_mov_b32_e32 v0, 24
	v_cmp_lt_i16_sdwa s[6:7], s19, v0 src0_sel:BYTE_0 src1_sel:DWORD
	s_and_b64 vcc, exec, s[6:7]
	s_cbranch_vccnz .LBB213_1683
; %bb.1672:
	v_cmp_gt_i16_sdwa s[6:7], s19, v0 src0_sel:BYTE_0 src1_sel:DWORD
	s_and_b64 vcc, exec, s[6:7]
	s_cbranch_vccz .LBB213_1684
; %bb.1673:
	global_load_ubyte v0, v[16:17], off
	s_movk_i32 s6, 0x7f
                                        ; implicit-def: $sgpr12
	s_waitcnt vmcnt(0)
	v_cmp_lt_i16_e32 vcc, s6, v0
	s_mov_b64 s[6:7], 0
	s_and_saveexec_b64 s[8:9], vcc
	s_xor_b64 s[8:9], exec, s[8:9]
	s_cbranch_execz .LBB213_1695
; %bb.1674:
	s_movk_i32 s6, 0x80
	v_cmp_eq_u16_e32 vcc, s6, v0
	s_mov_b64 s[6:7], -1
                                        ; implicit-def: $sgpr12
	s_and_saveexec_b64 s[10:11], vcc
; %bb.1675:
	s_mov_b32 s12, 0x7f800001
	s_xor_b64 s[6:7], exec, -1
; %bb.1676:
	s_or_b64 exec, exec, s[10:11]
	s_and_b64 s[6:7], s[6:7], exec
	s_or_saveexec_b64 s[8:9], s[8:9]
	v_mov_b32_e32 v1, s12
	s_xor_b64 exec, exec, s[8:9]
	s_cbranch_execnz .LBB213_1696
.LBB213_1677:
	s_or_b64 exec, exec, s[8:9]
	s_and_saveexec_b64 s[8:9], s[6:7]
	s_cbranch_execz .LBB213_1679
.LBB213_1678:
	v_lshlrev_b32_e32 v1, 24, v0
	v_and_b32_e32 v0, 0xffff, v0
	v_and_b32_e32 v3, 3, v0
	v_ffbh_u32_e32 v7, v3
	v_min_u32_e32 v7, 32, v7
	v_subrev_u32_e32 v9, 29, v7
	v_bfe_u32 v5, v0, 2, 5
	v_lshlrev_b32_e32 v0, v9, v0
	v_sub_u32_e32 v7, 30, v7
	v_and_b32_e32 v0, 3, v0
	v_cmp_eq_u32_e32 vcc, 0, v5
	v_cndmask_b32_e32 v5, v5, v7, vcc
	v_cndmask_b32_e32 v0, v3, v0, vcc
	v_mov_b32_e32 v3, 0x37800000
	v_lshlrev_b32_e32 v0, 21, v0
	v_and_b32_e32 v1, 0x80000000, v1
	v_lshl_add_u32 v3, v5, 23, v3
	v_or3_b32 v1, v1, v3, v0
.LBB213_1679:
	s_or_b64 exec, exec, s[8:9]
	v_bfe_u32 v0, v1, 16, 1
	s_movk_i32 s6, 0x7fff
	v_add3_u32 v0, v1, v0, s6
	v_lshrrev_b32_e32 v0, 16, v0
	v_mov_b32_e32 v3, 0x7fc0
	v_cmp_o_f32_e32 vcc, v1, v1
	v_cndmask_b32_e32 v0, v3, v0, vcc
	s_mov_b64 s[6:7], 0
	s_branch .LBB213_1685
.LBB213_1680:
                                        ; implicit-def: $vgpr0
	s_mov_b64 s[6:7], 0
	s_branch .LBB213_1691
.LBB213_1681:
	s_or_saveexec_b64 s[10:11], s[10:11]
	v_mov_b32_e32 v1, s14
	s_xor_b64 exec, exec, s[10:11]
	s_cbranch_execz .LBB213_1665
.LBB213_1682:
	v_cmp_ne_u16_e32 vcc, 0, v0
	s_andn2_b64 s[8:9], s[8:9], exec
	s_and_b64 s[12:13], vcc, exec
	v_mov_b32_e32 v1, 0
	s_or_b64 s[8:9], s[8:9], s[12:13]
	s_or_b64 exec, exec, s[10:11]
	s_and_saveexec_b64 s[10:11], s[8:9]
	s_cbranch_execnz .LBB213_1666
	s_branch .LBB213_1667
.LBB213_1683:
	s_mov_b64 s[6:7], -1
                                        ; implicit-def: $vgpr0
	s_branch .LBB213_1688
.LBB213_1684:
	s_mov_b64 s[6:7], -1
                                        ; implicit-def: $vgpr0
.LBB213_1685:
	s_and_b64 vcc, exec, s[6:7]
	s_cbranch_vccz .LBB213_1687
; %bb.1686:
	global_load_ubyte v0, v[16:17], off
	s_mov_b32 s6, 0x7f800000
	s_brev_b32 s7, 1
	s_movk_i32 s8, 0x7fff
	v_mov_b32_e32 v1, 0x7fc0
	s_waitcnt vmcnt(0)
	v_lshlrev_b32_e32 v0, 24, v0
	v_and_b32_e32 v3, 0x7f000000, v0
	v_ffbh_u32_e32 v5, v3
	v_min_u32_e32 v5, 32, v5
	v_sub_u32_e64 v5, v5, 4 clamp
	v_lshlrev_b32_e32 v9, v5, v3
	v_lshlrev_b32_e32 v5, 23, v5
	v_lshrrev_b32_e32 v9, 4, v9
	v_add_u32_e32 v7, 0x1000000, v3
	v_sub_u32_e32 v5, v9, v5
	v_ashrrev_i32_e32 v7, 8, v7
	v_add_u32_e32 v5, 0x3c000000, v5
	v_and_or_b32 v5, v7, s6, v5
	v_cmp_ne_u32_e32 vcc, 0, v3
	v_cndmask_b32_e32 v3, 0, v5, vcc
	v_and_or_b32 v0, v0, s7, v3
	v_bfe_u32 v3, v3, 16, 1
	v_add3_u32 v3, v0, v3, s8
	v_lshrrev_b32_e32 v3, 16, v3
	v_cmp_o_f32_e32 vcc, v0, v0
	v_cndmask_b32_e32 v0, v1, v3, vcc
.LBB213_1687:
	s_mov_b64 s[6:7], 0
.LBB213_1688:
	s_andn2_b64 vcc, exec, s[6:7]
	s_cbranch_vccnz .LBB213_1690
; %bb.1689:
	global_load_ubyte v0, v[16:17], off
	s_movk_i32 s6, 0x7f00
	s_brev_b32 s7, 16
	s_brev_b32 s8, 1
	s_movk_i32 s9, 0x7fff
	v_mov_b32_e32 v1, 0x7fc0
	s_waitcnt vmcnt(0)
	v_lshlrev_b16_e32 v3, 8, v0
	v_lshlrev_b32_e32 v0, 25, v0
	v_lshrrev_b32_e32 v5, 4, v0
	v_and_or_b32 v7, v3, s6, 0.5
	v_or_b32_e32 v5, 0x70000000, v5
	v_add_f32_e32 v7, -0.5, v7
	v_mul_f32_e32 v5, 0x7800000, v5
	v_cmp_gt_u32_e32 vcc, s7, v0
	v_bfe_i32 v3, v3, 0, 16
	v_cndmask_b32_e32 v0, v5, v7, vcc
	v_and_or_b32 v3, v3, s8, v0
	v_bfe_u32 v0, v0, 16, 1
	v_add3_u32 v0, v3, v0, s9
	v_lshrrev_b32_e32 v0, 16, v0
	v_cmp_o_f32_e32 vcc, v3, v3
	v_cndmask_b32_e32 v0, v1, v0, vcc
.LBB213_1690:
	s_mov_b64 s[8:9], -1
	s_mov_b64 s[6:7], 0
	s_cbranch_execnz .LBB213_1701
.LBB213_1691:
	v_mov_b32_e32 v0, 14
	v_cmp_gt_i16_sdwa s[6:7], s19, v0 src0_sel:BYTE_0 src1_sel:DWORD
	s_and_b64 vcc, exec, s[6:7]
	s_cbranch_vccz .LBB213_1694
; %bb.1692:
	v_mov_b32_e32 v0, 15
	v_cmp_eq_u16_sdwa s[4:5], s19, v0 src0_sel:BYTE_0 src1_sel:DWORD
	s_and_b64 vcc, exec, s[4:5]
	s_cbranch_vccz .LBB213_1697
; %bb.1693:
	global_load_ushort v0, v[16:17], off
	s_mov_b64 s[4:5], 0
	s_mov_b64 s[8:9], -1
	s_branch .LBB213_1698
.LBB213_1694:
	s_mov_b64 s[10:11], -1
                                        ; implicit-def: $vgpr0
	s_branch .LBB213_1699
.LBB213_1695:
	s_or_saveexec_b64 s[8:9], s[8:9]
	v_mov_b32_e32 v1, s12
	s_xor_b64 exec, exec, s[8:9]
	s_cbranch_execz .LBB213_1677
.LBB213_1696:
	v_cmp_ne_u16_e32 vcc, 0, v0
	s_andn2_b64 s[6:7], s[6:7], exec
	s_and_b64 s[10:11], vcc, exec
	v_mov_b32_e32 v1, 0
	s_or_b64 s[6:7], s[6:7], s[10:11]
	s_or_b64 exec, exec, s[8:9]
	s_and_saveexec_b64 s[8:9], s[6:7]
	s_cbranch_execnz .LBB213_1678
	s_branch .LBB213_1679
.LBB213_1697:
	s_mov_b64 s[4:5], -1
                                        ; implicit-def: $vgpr0
.LBB213_1698:
	s_mov_b64 s[10:11], 0
.LBB213_1699:
	s_mov_b64 s[6:7], 0
	s_and_b64 vcc, exec, s[10:11]
	s_cbranch_vccz .LBB213_1701
; %bb.1700:
	s_waitcnt vmcnt(0)
	v_mov_b32_e32 v0, 11
	v_cmp_ne_u16_sdwa s[4:5], s19, v0 src0_sel:BYTE_0 src1_sel:DWORD
	s_mov_b64 s[6:7], -1
                                        ; implicit-def: $vgpr0
.LBB213_1701:
	s_and_b64 vcc, exec, s[4:5]
	s_mov_b64 s[34:35], s[36:37]
	s_cbranch_vccnz .LBB213_1762
; %bb.1702:
	s_andn2_b64 vcc, exec, s[6:7]
	s_cbranch_vccnz .LBB213_1704
.LBB213_1703:
	global_load_ubyte v0, v[16:17], off
	s_mov_b64 s[8:9], -1
	s_waitcnt vmcnt(0)
	v_cmp_ne_u16_e32 vcc, 0, v0
	v_cndmask_b32_e64 v0, 0, 1.0, vcc
	v_lshrrev_b32_e32 v0, 16, v0
.LBB213_1704:
	s_branch .LBB213_1634
.LBB213_1705:
	s_waitcnt vmcnt(0)
	v_mov_b32_e32 v0, 5
	v_cmp_lt_i16_sdwa s[4:5], s19, v0 src0_sel:BYTE_0 src1_sel:DWORD
	s_and_b64 vcc, exec, s[4:5]
	s_cbranch_vccnz .LBB213_1710
; %bb.1706:
	v_mov_b32_e32 v0, 8
	v_cmp_lt_i16_sdwa s[4:5], s19, v0 src0_sel:BYTE_0 src1_sel:DWORD
	s_and_b64 vcc, exec, s[4:5]
	s_cbranch_vccnz .LBB213_1711
; %bb.1707:
	;; [unrolled: 5-line block ×3, first 2 shown]
	v_cmp_gt_i16_sdwa s[4:5], s19, v0 src0_sel:BYTE_0 src1_sel:DWORD
	s_and_b64 vcc, exec, s[4:5]
	s_cbranch_vccz .LBB213_1713
; %bb.1709:
	global_load_dwordx2 v[0:1], v[16:17], off
	s_movk_i32 s4, 0x7fff
	v_mov_b32_e32 v3, 0x7fc0
	s_waitcnt vmcnt(0)
	v_cvt_f32_f64_e32 v0, v[0:1]
	v_bfe_u32 v1, v0, 16, 1
	v_add3_u32 v1, v0, v1, s4
	v_lshrrev_b32_e32 v1, 16, v1
	v_cmp_o_f32_e32 vcc, v0, v0
	v_cndmask_b32_e32 v0, v3, v1, vcc
	s_mov_b64 s[4:5], 0
	s_branch .LBB213_1714
.LBB213_1710:
                                        ; implicit-def: $vgpr0
	s_branch .LBB213_1731
.LBB213_1711:
                                        ; implicit-def: $vgpr0
	s_branch .LBB213_1720
.LBB213_1712:
	s_mov_b64 s[4:5], -1
                                        ; implicit-def: $vgpr0
	s_branch .LBB213_1717
.LBB213_1713:
	s_mov_b64 s[4:5], -1
                                        ; implicit-def: $vgpr0
.LBB213_1714:
	s_andn2_b64 vcc, exec, s[4:5]
	s_cbranch_vccnz .LBB213_1716
; %bb.1715:
	global_load_dword v0, v[16:17], off
	s_movk_i32 s4, 0x7fff
	v_mov_b32_e32 v1, 0x7fc0
	s_waitcnt vmcnt(0)
	v_bfe_u32 v3, v0, 16, 1
	v_add3_u32 v3, v0, v3, s4
	v_lshrrev_b32_e32 v3, 16, v3
	v_cmp_o_f32_e32 vcc, v0, v0
	v_cndmask_b32_e32 v0, v1, v3, vcc
.LBB213_1716:
	s_mov_b64 s[4:5], 0
.LBB213_1717:
	s_andn2_b64 vcc, exec, s[4:5]
	s_cbranch_vccnz .LBB213_1719
; %bb.1718:
	global_load_dword v0, v[16:17], off
	s_movk_i32 s4, 0x7fff
	v_mov_b32_e32 v3, 0x7fc0
	s_waitcnt vmcnt(0)
	v_cvt_f32_f16_e32 v1, v0
	v_cmp_o_f16_e32 vcc, v0, v0
	v_bfe_u32 v5, v1, 16, 1
	v_add3_u32 v1, v1, v5, s4
	v_lshrrev_b32_e32 v1, 16, v1
	v_cndmask_b32_e32 v0, v3, v1, vcc
.LBB213_1719:
	s_cbranch_execnz .LBB213_1730
.LBB213_1720:
	v_mov_b32_e32 v0, 6
	v_cmp_lt_i16_sdwa s[4:5], s19, v0 src0_sel:BYTE_0 src1_sel:DWORD
	s_and_b64 vcc, exec, s[4:5]
	s_cbranch_vccnz .LBB213_1723
; %bb.1721:
	v_cmp_gt_i16_sdwa s[4:5], s19, v0 src0_sel:BYTE_0 src1_sel:DWORD
	s_and_b64 vcc, exec, s[4:5]
	s_cbranch_vccz .LBB213_1724
; %bb.1722:
	global_load_dwordx2 v[0:1], v[16:17], off
	s_movk_i32 s4, 0x7fff
	v_mov_b32_e32 v3, 0x7fc0
	s_waitcnt vmcnt(0)
	v_cvt_f32_f64_e32 v0, v[0:1]
	v_bfe_u32 v1, v0, 16, 1
	v_add3_u32 v1, v0, v1, s4
	v_lshrrev_b32_e32 v1, 16, v1
	v_cmp_o_f32_e32 vcc, v0, v0
	v_cndmask_b32_e32 v0, v3, v1, vcc
	s_mov_b64 s[4:5], 0
	s_branch .LBB213_1725
.LBB213_1723:
	s_mov_b64 s[4:5], -1
                                        ; implicit-def: $vgpr0
	s_branch .LBB213_1728
.LBB213_1724:
	s_mov_b64 s[4:5], -1
                                        ; implicit-def: $vgpr0
.LBB213_1725:
	s_andn2_b64 vcc, exec, s[4:5]
	s_cbranch_vccnz .LBB213_1727
; %bb.1726:
	global_load_dword v0, v[16:17], off
	s_movk_i32 s4, 0x7fff
	v_mov_b32_e32 v1, 0x7fc0
	s_waitcnt vmcnt(0)
	v_bfe_u32 v3, v0, 16, 1
	v_add3_u32 v3, v0, v3, s4
	v_lshrrev_b32_e32 v3, 16, v3
	v_cmp_o_f32_e32 vcc, v0, v0
	v_cndmask_b32_e32 v0, v1, v3, vcc
.LBB213_1727:
	s_mov_b64 s[4:5], 0
.LBB213_1728:
	s_andn2_b64 vcc, exec, s[4:5]
	s_cbranch_vccnz .LBB213_1730
; %bb.1729:
	global_load_ushort v0, v[16:17], off
	s_movk_i32 s4, 0x7fff
	v_mov_b32_e32 v3, 0x7fc0
	s_waitcnt vmcnt(0)
	v_cvt_f32_f16_e32 v1, v0
	v_cmp_o_f16_e32 vcc, v0, v0
	v_bfe_u32 v5, v1, 16, 1
	v_add3_u32 v1, v1, v5, s4
	v_lshrrev_b32_e32 v1, 16, v1
	v_cndmask_b32_e32 v0, v3, v1, vcc
.LBB213_1730:
	s_cbranch_execnz .LBB213_1749
.LBB213_1731:
	v_mov_b32_e32 v0, 2
	v_cmp_lt_i16_sdwa s[4:5], s19, v0 src0_sel:BYTE_0 src1_sel:DWORD
	s_and_b64 vcc, exec, s[4:5]
	s_cbranch_vccnz .LBB213_1735
; %bb.1732:
	v_mov_b32_e32 v0, 3
	v_cmp_lt_i16_sdwa s[4:5], s19, v0 src0_sel:BYTE_0 src1_sel:DWORD
	s_and_b64 vcc, exec, s[4:5]
	s_cbranch_vccnz .LBB213_1736
; %bb.1733:
	v_cmp_gt_i16_sdwa s[4:5], s19, v0 src0_sel:BYTE_0 src1_sel:DWORD
	s_and_b64 vcc, exec, s[4:5]
	s_cbranch_vccz .LBB213_1737
; %bb.1734:
	global_load_dwordx2 v[0:1], v[16:17], off
	s_movk_i32 s4, 0x7fff
	s_waitcnt vmcnt(0)
	v_xor_b32_e32 v5, v0, v1
	v_ffbh_i32_e32 v3, v1
	v_ashrrev_i32_e32 v5, 31, v5
	v_add_u32_e32 v3, -1, v3
	v_add_u32_e32 v5, 32, v5
	v_min_u32_e32 v3, v3, v5
	v_lshlrev_b64 v[0:1], v3, v[0:1]
	v_min_u32_e32 v0, 1, v0
	v_or_b32_e32 v0, v1, v0
	v_cvt_f32_i32_e32 v0, v0
	v_sub_u32_e32 v1, 32, v3
	v_ldexp_f32 v0, v0, v1
	v_bfe_u32 v1, v0, 16, 1
	v_add3_u32 v0, v0, v1, s4
	v_lshrrev_b32_e32 v0, 16, v0
	s_mov_b64 s[4:5], 0
	s_branch .LBB213_1738
.LBB213_1735:
                                        ; implicit-def: $vgpr0
	s_branch .LBB213_1744
.LBB213_1736:
	s_mov_b64 s[4:5], -1
                                        ; implicit-def: $vgpr0
	s_branch .LBB213_1741
.LBB213_1737:
	s_mov_b64 s[4:5], -1
                                        ; implicit-def: $vgpr0
.LBB213_1738:
	s_andn2_b64 vcc, exec, s[4:5]
	s_cbranch_vccnz .LBB213_1740
; %bb.1739:
	global_load_dword v0, v[16:17], off
	s_movk_i32 s4, 0x7fff
	s_waitcnt vmcnt(0)
	v_cvt_f32_i32_e32 v0, v0
	v_bfe_u32 v1, v0, 16, 1
	v_add3_u32 v0, v0, v1, s4
	v_lshrrev_b32_e32 v0, 16, v0
.LBB213_1740:
	s_mov_b64 s[4:5], 0
.LBB213_1741:
	s_andn2_b64 vcc, exec, s[4:5]
	s_cbranch_vccnz .LBB213_1743
; %bb.1742:
	global_load_sshort v0, v[16:17], off
	s_movk_i32 s4, 0x7fff
	s_waitcnt vmcnt(0)
	v_cvt_f32_i32_e32 v0, v0
	v_bfe_u32 v1, v0, 16, 1
	v_add3_u32 v0, v0, v1, s4
	v_lshrrev_b32_e32 v0, 16, v0
.LBB213_1743:
	s_cbranch_execnz .LBB213_1749
.LBB213_1744:
	v_mov_b32_e32 v0, 0
	v_cmp_gt_i16_sdwa s[4:5], s19, v0 src0_sel:BYTE_0 src1_sel:DWORD
	s_and_b64 vcc, exec, s[4:5]
	s_cbranch_vccz .LBB213_1746
; %bb.1745:
	global_load_sbyte v0, v[16:17], off
	s_movk_i32 s4, 0x7fff
	s_waitcnt vmcnt(0)
	v_cvt_f32_i32_e32 v0, v0
	v_bfe_u32 v1, v0, 16, 1
	v_add3_u32 v0, v0, v1, s4
	v_lshrrev_b32_e32 v0, 16, v0
	s_mov_b64 s[4:5], 0
	s_branch .LBB213_1747
.LBB213_1746:
	s_mov_b64 s[4:5], -1
                                        ; implicit-def: $vgpr0
.LBB213_1747:
	s_andn2_b64 vcc, exec, s[4:5]
	s_cbranch_vccnz .LBB213_1749
; %bb.1748:
	global_load_ubyte v0, v[16:17], off
	s_movk_i32 s4, 0x7fff
	s_waitcnt vmcnt(0)
	v_cvt_f32_ubyte0_e32 v0, v0
	v_bfe_u32 v1, v0, 16, 1
	v_add3_u32 v0, v0, v1, s4
	v_lshrrev_b32_e32 v0, 16, v0
.LBB213_1749:
.LBB213_1750:
	s_load_dwordx2 s[4:5], s[22:23], 0x198
	s_lshr_b32 s20, s18, 24
	v_cmp_lt_i16_e64 s[6:7], s20, 11
	s_waitcnt lgkmcnt(0)
	v_mov_b32_e32 v1, s5
	v_add_co_u32_e32 v14, vcc, s4, v14
	v_addc_co_u32_e32 v15, vcc, 0, v1, vcc
	s_and_b64 vcc, exec, s[6:7]
	s_cbranch_vccnz .LBB213_1757
; %bb.1751:
	v_cmp_gt_i16_e64 s[8:9], s20, 25
	s_mov_b64 s[10:11], 0
	s_and_b64 vcc, exec, s[8:9]
	s_cbranch_vccz .LBB213_1759
; %bb.1752:
	v_cmp_gt_i16_e64 s[8:9], s20, 28
	s_and_b64 vcc, exec, s[8:9]
	s_cbranch_vccz .LBB213_1760
; %bb.1753:
	v_cmp_gt_i16_e64 s[8:9], s20, 43
	;; [unrolled: 4-line block ×3, first 2 shown]
	s_and_b64 vcc, exec, s[8:9]
	s_cbranch_vccz .LBB213_1763
; %bb.1755:
	v_cmp_eq_u16_e64 s[8:9], s20, 46
	s_mov_b64 s[14:15], 0
	s_and_b64 vcc, exec, s[8:9]
	s_cbranch_vccz .LBB213_1766
; %bb.1756:
	global_load_dword v1, v[14:15], off
	s_mov_b64 s[8:9], 0
	s_mov_b64 s[12:13], -1
	s_branch .LBB213_1767
.LBB213_1757:
	s_mov_b64 s[12:13], 0
                                        ; implicit-def: $vgpr1
	s_cbranch_execnz .LBB213_1832
.LBB213_1758:
	s_andn2_b64 vcc, exec, s[12:13]
	s_cbranch_vccnz .LBB213_3113
	s_branch .LBB213_1879
.LBB213_1759:
	s_mov_b64 s[12:13], 0
	s_mov_b64 s[8:9], 0
                                        ; implicit-def: $vgpr1
	s_cbranch_execnz .LBB213_1796
	s_branch .LBB213_1828
.LBB213_1760:
	s_mov_b64 s[14:15], -1
	s_mov_b64 s[12:13], 0
	s_mov_b64 s[8:9], 0
                                        ; implicit-def: $vgpr1
	s_branch .LBB213_1777
.LBB213_1761:
	s_mov_b64 s[14:15], -1
	s_mov_b64 s[12:13], 0
	s_mov_b64 s[8:9], 0
                                        ; implicit-def: $vgpr1
	s_branch .LBB213_1772
.LBB213_1762:
	s_or_b64 s[34:35], s[36:37], exec
	s_trap 2
                                        ; implicit-def: $vgpr0
	s_cbranch_execz .LBB213_1703
	s_branch .LBB213_1704
.LBB213_1763:
	s_mov_b64 s[14:15], -1
	s_mov_b64 s[12:13], 0
	s_mov_b64 s[8:9], 0
                                        ; implicit-def: $vgpr1
	s_branch .LBB213_1767
.LBB213_1764:
	s_or_saveexec_b64 s[14:15], s[14:15]
                                        ; implicit-def: $sgpr16
	s_xor_b64 exec, exec, s[14:15]
	s_cbranch_execz .LBB213_1510
.LBB213_1765:
	s_mov_b32 s16, 0x42800000
	v_add_f32_e64 v1, |v6|, s16
	v_and_b32_e32 v1, 0xff, v1
	v_cmp_ne_u32_e32 vcc, 0, v1
	s_andn2_b64 s[12:13], s[12:13], exec
	s_and_b64 s[18:19], vcc, exec
	s_mov_b32 s16, 0
	s_or_b64 s[12:13], s[12:13], s[18:19]
	s_or_b64 exec, exec, s[14:15]
	v_mov_b32_e32 v7, s16
	s_and_saveexec_b64 s[14:15], s[12:13]
	s_cbranch_execnz .LBB213_1511
	s_branch .LBB213_1512
.LBB213_1766:
	s_mov_b64 s[8:9], -1
                                        ; implicit-def: $vgpr1
	s_mov_b64 s[12:13], 0
.LBB213_1767:
	s_and_b64 vcc, exec, s[14:15]
	s_cbranch_vccz .LBB213_1771
; %bb.1768:
	v_cmp_eq_u16_e64 s[8:9], s20, 44
	s_and_b64 vcc, exec, s[8:9]
	s_cbranch_vccz .LBB213_1770
; %bb.1769:
	global_load_ubyte v1, v[14:15], off
	s_movk_i32 s12, 0xff
	v_mov_b32_e32 v3, 0x7f800001
	v_mov_b32_e32 v5, 0x400000
	;; [unrolled: 1-line block ×3, first 2 shown]
	s_mov_b64 s[8:9], 0
	s_waitcnt vmcnt(0)
	v_lshlrev_b32_e32 v9, 23, v1
	v_cmp_ne_u32_e32 vcc, s12, v1
	v_cndmask_b32_e32 v3, v3, v9, vcc
	v_cmp_ne_u32_e32 vcc, 0, v1
	v_cndmask_b32_e32 v1, v5, v3, vcc
	v_add_u32_e32 v3, 0x7fff, v1
	v_lshrrev_b32_e32 v3, 16, v3
	v_cmp_o_f32_e32 vcc, v1, v1
	v_cndmask_b32_e32 v1, v7, v3, vcc
	s_mov_b64 s[12:13], -1
	s_branch .LBB213_1771
.LBB213_1770:
	s_mov_b64 s[8:9], -1
                                        ; implicit-def: $vgpr1
.LBB213_1771:
	s_mov_b64 s[14:15], 0
.LBB213_1772:
	s_and_b64 vcc, exec, s[14:15]
	s_cbranch_vccz .LBB213_1776
; %bb.1773:
	v_cmp_eq_u16_e64 s[8:9], s20, 29
	s_and_b64 vcc, exec, s[8:9]
	s_cbranch_vccz .LBB213_1775
; %bb.1774:
	global_load_dwordx2 v[16:17], v[14:15], off
	s_movk_i32 s12, 0x7fff
	s_mov_b64 s[8:9], 0
	s_mov_b64 s[14:15], 0
	s_waitcnt vmcnt(0)
	v_ffbh_u32_e32 v1, v17
	v_min_u32_e32 v1, 32, v1
	v_lshlrev_b64 v[16:17], v1, v[16:17]
	v_min_u32_e32 v3, 1, v16
	v_or_b32_e32 v3, v17, v3
	v_cvt_f32_u32_e32 v3, v3
	v_sub_u32_e32 v1, 32, v1
	v_ldexp_f32 v1, v3, v1
	v_bfe_u32 v3, v1, 16, 1
	v_add3_u32 v1, v1, v3, s12
	v_lshrrev_b32_e32 v1, 16, v1
	s_mov_b64 s[12:13], -1
	s_branch .LBB213_1777
.LBB213_1775:
	s_mov_b64 s[8:9], -1
                                        ; implicit-def: $vgpr1
.LBB213_1776:
	s_mov_b64 s[14:15], 0
.LBB213_1777:
	s_and_b64 vcc, exec, s[14:15]
	s_cbranch_vccz .LBB213_1795
; %bb.1778:
	v_cmp_lt_i16_e64 s[12:13], s20, 27
	s_and_b64 vcc, exec, s[12:13]
	s_cbranch_vccnz .LBB213_1781
; %bb.1779:
	v_cmp_gt_i16_e64 s[12:13], s20, 27
	s_and_b64 vcc, exec, s[12:13]
	s_cbranch_vccz .LBB213_1782
; %bb.1780:
	global_load_dword v1, v[14:15], off
	s_movk_i32 s12, 0x7fff
	s_waitcnt vmcnt(0)
	v_cvt_f32_u32_e32 v1, v1
	v_bfe_u32 v3, v1, 16, 1
	v_add3_u32 v1, v1, v3, s12
	v_lshrrev_b32_e32 v1, 16, v1
	s_mov_b64 s[12:13], 0
	s_branch .LBB213_1783
.LBB213_1781:
	s_mov_b64 s[12:13], -1
                                        ; implicit-def: $vgpr1
	s_branch .LBB213_1786
.LBB213_1782:
	s_mov_b64 s[12:13], -1
                                        ; implicit-def: $vgpr1
.LBB213_1783:
	s_andn2_b64 vcc, exec, s[12:13]
	s_cbranch_vccnz .LBB213_1785
; %bb.1784:
	global_load_ushort v1, v[14:15], off
	s_movk_i32 s12, 0x7fff
	s_waitcnt vmcnt(0)
	v_cvt_f32_u32_e32 v1, v1
	v_bfe_u32 v3, v1, 16, 1
	v_add3_u32 v1, v1, v3, s12
	v_lshrrev_b32_e32 v1, 16, v1
.LBB213_1785:
	s_mov_b64 s[12:13], 0
.LBB213_1786:
	s_andn2_b64 vcc, exec, s[12:13]
	s_cbranch_vccnz .LBB213_1794
; %bb.1787:
	global_load_ubyte v1, v[14:15], off
	s_movk_i32 s12, 0x7f
                                        ; implicit-def: $sgpr21
	s_waitcnt vmcnt(0)
	v_cmp_lt_i16_e32 vcc, s12, v1
	s_mov_b64 s[12:13], 0
	s_and_saveexec_b64 s[14:15], vcc
	s_xor_b64 s[14:15], exec, s[14:15]
	s_cbranch_execz .LBB213_1807
; %bb.1788:
	s_movk_i32 s12, 0x80
	v_cmp_eq_u16_e32 vcc, s12, v1
	s_mov_b64 s[12:13], -1
                                        ; implicit-def: $sgpr21
	s_and_saveexec_b64 s[16:17], vcc
; %bb.1789:
	s_mov_b32 s21, 0x7f800001
	s_xor_b64 s[12:13], exec, -1
; %bb.1790:
	s_or_b64 exec, exec, s[16:17]
	s_and_b64 s[12:13], s[12:13], exec
	s_or_saveexec_b64 s[14:15], s[14:15]
	v_mov_b32_e32 v3, s21
	s_xor_b64 exec, exec, s[14:15]
	s_cbranch_execnz .LBB213_1808
.LBB213_1791:
	s_or_b64 exec, exec, s[14:15]
	s_and_saveexec_b64 s[14:15], s[12:13]
	s_cbranch_execz .LBB213_1793
.LBB213_1792:
	v_lshlrev_b32_e32 v3, 24, v1
	v_and_b32_e32 v1, 0xffff, v1
	v_and_b32_e32 v5, 7, v1
	v_ffbh_u32_e32 v9, v5
	v_min_u32_e32 v9, 32, v9
	v_subrev_u32_e32 v11, 28, v9
	v_bfe_u32 v7, v1, 3, 4
	v_lshlrev_b32_e32 v1, v11, v1
	v_sub_u32_e32 v9, 29, v9
	v_and_b32_e32 v1, 7, v1
	v_cmp_eq_u32_e32 vcc, 0, v7
	v_cndmask_b32_e32 v7, v7, v9, vcc
	v_cndmask_b32_e32 v1, v5, v1, vcc
	v_mov_b32_e32 v5, 0x3b800000
	v_lshlrev_b32_e32 v1, 20, v1
	v_and_b32_e32 v3, 0x80000000, v3
	v_lshl_add_u32 v5, v7, 23, v5
	v_or3_b32 v3, v3, v5, v1
.LBB213_1793:
	s_or_b64 exec, exec, s[14:15]
	v_bfe_u32 v1, v3, 16, 1
	s_movk_i32 s12, 0x7fff
	v_add3_u32 v1, v3, v1, s12
	v_lshrrev_b32_e32 v1, 16, v1
	v_mov_b32_e32 v5, 0x7fc0
	v_cmp_o_f32_e32 vcc, v3, v3
	v_cndmask_b32_e32 v1, v5, v1, vcc
.LBB213_1794:
	s_mov_b64 s[12:13], -1
.LBB213_1795:
	s_branch .LBB213_1828
.LBB213_1796:
	v_cmp_gt_i16_e64 s[10:11], s20, 22
	s_and_b64 vcc, exec, s[10:11]
	s_cbranch_vccz .LBB213_1806
; %bb.1797:
	v_cmp_lt_i16_e64 s[10:11], s20, 24
	s_and_b64 vcc, exec, s[10:11]
	s_cbranch_vccnz .LBB213_1809
; %bb.1798:
	v_cmp_gt_i16_e64 s[10:11], s20, 24
	s_and_b64 vcc, exec, s[10:11]
	s_cbranch_vccz .LBB213_1810
; %bb.1799:
	global_load_ubyte v1, v[14:15], off
	s_movk_i32 s10, 0x7f
                                        ; implicit-def: $sgpr16
	s_waitcnt vmcnt(0)
	v_cmp_lt_i16_e32 vcc, s10, v1
	s_mov_b64 s[10:11], 0
	s_and_saveexec_b64 s[12:13], vcc
	s_xor_b64 s[12:13], exec, s[12:13]
	s_cbranch_execz .LBB213_1822
; %bb.1800:
	s_movk_i32 s10, 0x80
	v_cmp_eq_u16_e32 vcc, s10, v1
	s_mov_b64 s[10:11], -1
                                        ; implicit-def: $sgpr16
	s_and_saveexec_b64 s[14:15], vcc
; %bb.1801:
	s_mov_b32 s16, 0x7f800001
	s_xor_b64 s[10:11], exec, -1
; %bb.1802:
	s_or_b64 exec, exec, s[14:15]
	s_and_b64 s[10:11], s[10:11], exec
	s_or_saveexec_b64 s[12:13], s[12:13]
	v_mov_b32_e32 v3, s16
	s_xor_b64 exec, exec, s[12:13]
	s_cbranch_execnz .LBB213_1823
.LBB213_1803:
	s_or_b64 exec, exec, s[12:13]
	s_and_saveexec_b64 s[12:13], s[10:11]
	s_cbranch_execz .LBB213_1805
.LBB213_1804:
	v_lshlrev_b32_e32 v3, 24, v1
	v_and_b32_e32 v1, 0xffff, v1
	v_and_b32_e32 v5, 3, v1
	v_ffbh_u32_e32 v9, v5
	v_min_u32_e32 v9, 32, v9
	v_subrev_u32_e32 v11, 29, v9
	v_bfe_u32 v7, v1, 2, 5
	v_lshlrev_b32_e32 v1, v11, v1
	v_sub_u32_e32 v9, 30, v9
	v_and_b32_e32 v1, 3, v1
	v_cmp_eq_u32_e32 vcc, 0, v7
	v_cndmask_b32_e32 v7, v7, v9, vcc
	v_cndmask_b32_e32 v1, v5, v1, vcc
	v_mov_b32_e32 v5, 0x37800000
	v_lshlrev_b32_e32 v1, 21, v1
	v_and_b32_e32 v3, 0x80000000, v3
	v_lshl_add_u32 v5, v7, 23, v5
	v_or3_b32 v3, v3, v5, v1
.LBB213_1805:
	s_or_b64 exec, exec, s[12:13]
	v_bfe_u32 v1, v3, 16, 1
	s_movk_i32 s10, 0x7fff
	v_add3_u32 v1, v3, v1, s10
	v_lshrrev_b32_e32 v1, 16, v1
	v_mov_b32_e32 v5, 0x7fc0
	v_cmp_o_f32_e32 vcc, v3, v3
	v_cndmask_b32_e32 v1, v5, v1, vcc
	s_mov_b64 s[10:11], 0
	s_branch .LBB213_1811
.LBB213_1806:
	s_mov_b64 s[10:11], -1
                                        ; implicit-def: $vgpr1
	s_branch .LBB213_1817
.LBB213_1807:
	s_or_saveexec_b64 s[14:15], s[14:15]
	v_mov_b32_e32 v3, s21
	s_xor_b64 exec, exec, s[14:15]
	s_cbranch_execz .LBB213_1791
.LBB213_1808:
	v_cmp_ne_u16_e32 vcc, 0, v1
	s_andn2_b64 s[12:13], s[12:13], exec
	s_and_b64 s[16:17], vcc, exec
	v_mov_b32_e32 v3, 0
	s_or_b64 s[12:13], s[12:13], s[16:17]
	s_or_b64 exec, exec, s[14:15]
	s_and_saveexec_b64 s[14:15], s[12:13]
	s_cbranch_execnz .LBB213_1792
	s_branch .LBB213_1793
.LBB213_1809:
	s_mov_b64 s[10:11], -1
                                        ; implicit-def: $vgpr1
	s_branch .LBB213_1814
.LBB213_1810:
	s_mov_b64 s[10:11], -1
                                        ; implicit-def: $vgpr1
.LBB213_1811:
	s_and_b64 vcc, exec, s[10:11]
	s_cbranch_vccz .LBB213_1813
; %bb.1812:
	global_load_ubyte v1, v[14:15], off
	s_mov_b32 s10, 0x7f800000
	s_brev_b32 s11, 1
	s_movk_i32 s12, 0x7fff
	v_mov_b32_e32 v3, 0x7fc0
	s_waitcnt vmcnt(0)
	v_lshlrev_b32_e32 v1, 24, v1
	v_and_b32_e32 v5, 0x7f000000, v1
	v_ffbh_u32_e32 v7, v5
	v_min_u32_e32 v7, 32, v7
	v_sub_u32_e64 v7, v7, 4 clamp
	v_lshlrev_b32_e32 v11, v7, v5
	v_lshlrev_b32_e32 v7, 23, v7
	v_lshrrev_b32_e32 v11, 4, v11
	v_add_u32_e32 v9, 0x1000000, v5
	v_sub_u32_e32 v7, v11, v7
	v_ashrrev_i32_e32 v9, 8, v9
	v_add_u32_e32 v7, 0x3c000000, v7
	v_and_or_b32 v7, v9, s10, v7
	v_cmp_ne_u32_e32 vcc, 0, v5
	v_cndmask_b32_e32 v5, 0, v7, vcc
	v_and_or_b32 v1, v1, s11, v5
	v_bfe_u32 v5, v5, 16, 1
	v_add3_u32 v5, v1, v5, s12
	v_lshrrev_b32_e32 v5, 16, v5
	v_cmp_o_f32_e32 vcc, v1, v1
	v_cndmask_b32_e32 v1, v3, v5, vcc
.LBB213_1813:
	s_mov_b64 s[10:11], 0
.LBB213_1814:
	s_andn2_b64 vcc, exec, s[10:11]
	s_cbranch_vccnz .LBB213_1816
; %bb.1815:
	global_load_ubyte v1, v[14:15], off
	s_movk_i32 s10, 0x7f00
	s_brev_b32 s11, 16
	s_brev_b32 s12, 1
	s_movk_i32 s13, 0x7fff
	v_mov_b32_e32 v3, 0x7fc0
	s_waitcnt vmcnt(0)
	v_lshlrev_b16_e32 v5, 8, v1
	v_lshlrev_b32_e32 v1, 25, v1
	v_lshrrev_b32_e32 v7, 4, v1
	v_and_or_b32 v9, v5, s10, 0.5
	v_or_b32_e32 v7, 0x70000000, v7
	v_add_f32_e32 v9, -0.5, v9
	v_mul_f32_e32 v7, 0x7800000, v7
	v_cmp_gt_u32_e32 vcc, s11, v1
	v_bfe_i32 v5, v5, 0, 16
	v_cndmask_b32_e32 v1, v7, v9, vcc
	v_and_or_b32 v5, v5, s12, v1
	v_bfe_u32 v1, v1, 16, 1
	v_add3_u32 v1, v5, v1, s13
	v_lshrrev_b32_e32 v1, 16, v1
	v_cmp_o_f32_e32 vcc, v5, v5
	v_cndmask_b32_e32 v1, v3, v1, vcc
.LBB213_1816:
	s_mov_b64 s[10:11], 0
	s_mov_b64 s[12:13], -1
.LBB213_1817:
	s_andn2_b64 vcc, exec, s[10:11]
	s_mov_b64 s[10:11], 0
	s_cbranch_vccnz .LBB213_1828
; %bb.1818:
	v_cmp_gt_i16_e64 s[10:11], s20, 14
	s_and_b64 vcc, exec, s[10:11]
	s_cbranch_vccz .LBB213_1821
; %bb.1819:
	v_cmp_eq_u16_e64 s[8:9], s20, 15
	s_and_b64 vcc, exec, s[8:9]
	s_cbranch_vccz .LBB213_1824
; %bb.1820:
	global_load_ushort v1, v[14:15], off
	s_mov_b64 s[8:9], 0
	s_mov_b64 s[12:13], -1
	s_branch .LBB213_1825
.LBB213_1821:
	s_mov_b64 s[14:15], -1
                                        ; implicit-def: $vgpr1
	s_branch .LBB213_1826
.LBB213_1822:
	s_or_saveexec_b64 s[12:13], s[12:13]
	v_mov_b32_e32 v3, s16
	s_xor_b64 exec, exec, s[12:13]
	s_cbranch_execz .LBB213_1803
.LBB213_1823:
	v_cmp_ne_u16_e32 vcc, 0, v1
	s_andn2_b64 s[10:11], s[10:11], exec
	s_and_b64 s[14:15], vcc, exec
	v_mov_b32_e32 v3, 0
	s_or_b64 s[10:11], s[10:11], s[14:15]
	s_or_b64 exec, exec, s[12:13]
	s_and_saveexec_b64 s[12:13], s[10:11]
	s_cbranch_execnz .LBB213_1804
	s_branch .LBB213_1805
.LBB213_1824:
	s_mov_b64 s[8:9], -1
                                        ; implicit-def: $vgpr1
.LBB213_1825:
	s_mov_b64 s[14:15], 0
.LBB213_1826:
	s_mov_b64 s[10:11], 0
	s_and_b64 vcc, exec, s[14:15]
	s_cbranch_vccz .LBB213_1828
; %bb.1827:
	v_cmp_ne_u16_e64 s[8:9], s20, 11
	s_mov_b64 s[10:11], -1
                                        ; implicit-def: $vgpr1
.LBB213_1828:
	s_and_b64 vcc, exec, s[8:9]
	s_cbranch_vccnz .LBB213_1891
; %bb.1829:
	s_andn2_b64 vcc, exec, s[10:11]
	s_cbranch_vccnz .LBB213_1831
.LBB213_1830:
	global_load_ubyte v1, v[14:15], off
	s_mov_b64 s[12:13], -1
	s_waitcnt vmcnt(0)
	v_cmp_ne_u16_e32 vcc, 0, v1
	v_cndmask_b32_e64 v1, 0, 1.0, vcc
	v_lshrrev_b32_e32 v1, 16, v1
.LBB213_1831:
	s_branch .LBB213_1758
.LBB213_1832:
	v_cmp_lt_i16_e64 s[8:9], s20, 5
	s_and_b64 vcc, exec, s[8:9]
	s_cbranch_vccnz .LBB213_1837
; %bb.1833:
	v_cmp_lt_i16_e64 s[8:9], s20, 8
	s_and_b64 vcc, exec, s[8:9]
	s_cbranch_vccnz .LBB213_1838
; %bb.1834:
	;; [unrolled: 4-line block ×3, first 2 shown]
	v_cmp_gt_i16_e64 s[8:9], s20, 9
	s_and_b64 vcc, exec, s[8:9]
	s_cbranch_vccz .LBB213_1840
; %bb.1836:
	global_load_dwordx2 v[16:17], v[14:15], off
	s_movk_i32 s8, 0x7fff
	s_waitcnt vmcnt(1)
	v_mov_b32_e32 v1, 0x7fc0
	s_waitcnt vmcnt(0)
	v_cvt_f32_f64_e32 v3, v[16:17]
	v_bfe_u32 v5, v3, 16, 1
	v_add3_u32 v5, v3, v5, s8
	v_lshrrev_b32_e32 v5, 16, v5
	v_cmp_o_f32_e32 vcc, v3, v3
	v_cndmask_b32_e32 v1, v1, v5, vcc
	s_mov_b64 s[8:9], 0
	s_branch .LBB213_1841
.LBB213_1837:
                                        ; implicit-def: $vgpr1
	s_branch .LBB213_1859
.LBB213_1838:
	s_mov_b64 s[8:9], -1
                                        ; implicit-def: $vgpr1
	s_branch .LBB213_1847
.LBB213_1839:
	s_mov_b64 s[8:9], -1
                                        ; implicit-def: $vgpr1
	s_branch .LBB213_1844
.LBB213_1840:
	s_mov_b64 s[8:9], -1
                                        ; implicit-def: $vgpr1
.LBB213_1841:
	s_andn2_b64 vcc, exec, s[8:9]
	s_cbranch_vccnz .LBB213_1843
; %bb.1842:
	global_load_dword v1, v[14:15], off
	s_movk_i32 s8, 0x7fff
	v_mov_b32_e32 v3, 0x7fc0
	s_waitcnt vmcnt(0)
	v_bfe_u32 v5, v1, 16, 1
	v_add3_u32 v5, v1, v5, s8
	v_lshrrev_b32_e32 v5, 16, v5
	v_cmp_o_f32_e32 vcc, v1, v1
	v_cndmask_b32_e32 v1, v3, v5, vcc
.LBB213_1843:
	s_mov_b64 s[8:9], 0
.LBB213_1844:
	s_andn2_b64 vcc, exec, s[8:9]
	s_cbranch_vccnz .LBB213_1846
; %bb.1845:
	global_load_dword v1, v[14:15], off
	s_movk_i32 s8, 0x7fff
	v_mov_b32_e32 v5, 0x7fc0
	s_waitcnt vmcnt(0)
	v_cvt_f32_f16_e32 v3, v1
	v_cmp_o_f16_e32 vcc, v1, v1
	v_bfe_u32 v7, v3, 16, 1
	v_add3_u32 v3, v3, v7, s8
	v_lshrrev_b32_e32 v3, 16, v3
	v_cndmask_b32_e32 v1, v5, v3, vcc
.LBB213_1846:
	s_mov_b64 s[8:9], 0
.LBB213_1847:
	s_andn2_b64 vcc, exec, s[8:9]
	s_cbranch_vccnz .LBB213_1858
; %bb.1848:
	v_cmp_lt_i16_e64 s[8:9], s20, 6
	s_and_b64 vcc, exec, s[8:9]
	s_cbranch_vccnz .LBB213_1851
; %bb.1849:
	v_cmp_gt_i16_e64 s[8:9], s20, 6
	s_and_b64 vcc, exec, s[8:9]
	s_cbranch_vccz .LBB213_1852
; %bb.1850:
	global_load_dwordx2 v[16:17], v[14:15], off
	s_movk_i32 s8, 0x7fff
	s_waitcnt vmcnt(1)
	v_mov_b32_e32 v1, 0x7fc0
	s_waitcnt vmcnt(0)
	v_cvt_f32_f64_e32 v3, v[16:17]
	v_bfe_u32 v5, v3, 16, 1
	v_add3_u32 v5, v3, v5, s8
	v_lshrrev_b32_e32 v5, 16, v5
	v_cmp_o_f32_e32 vcc, v3, v3
	v_cndmask_b32_e32 v1, v1, v5, vcc
	s_mov_b64 s[8:9], 0
	s_branch .LBB213_1853
.LBB213_1851:
	s_mov_b64 s[8:9], -1
                                        ; implicit-def: $vgpr1
	s_branch .LBB213_1856
.LBB213_1852:
	s_mov_b64 s[8:9], -1
                                        ; implicit-def: $vgpr1
.LBB213_1853:
	s_andn2_b64 vcc, exec, s[8:9]
	s_cbranch_vccnz .LBB213_1855
; %bb.1854:
	global_load_dword v1, v[14:15], off
	s_movk_i32 s8, 0x7fff
	v_mov_b32_e32 v3, 0x7fc0
	s_waitcnt vmcnt(0)
	v_bfe_u32 v5, v1, 16, 1
	v_add3_u32 v5, v1, v5, s8
	v_lshrrev_b32_e32 v5, 16, v5
	v_cmp_o_f32_e32 vcc, v1, v1
	v_cndmask_b32_e32 v1, v3, v5, vcc
.LBB213_1855:
	s_mov_b64 s[8:9], 0
.LBB213_1856:
	s_andn2_b64 vcc, exec, s[8:9]
	s_cbranch_vccnz .LBB213_1858
; %bb.1857:
	global_load_ushort v1, v[14:15], off
	s_movk_i32 s8, 0x7fff
	v_mov_b32_e32 v5, 0x7fc0
	s_waitcnt vmcnt(0)
	v_cvt_f32_f16_e32 v3, v1
	v_cmp_o_f16_e32 vcc, v1, v1
	v_bfe_u32 v7, v3, 16, 1
	v_add3_u32 v3, v3, v7, s8
	v_lshrrev_b32_e32 v3, 16, v3
	v_cndmask_b32_e32 v1, v5, v3, vcc
.LBB213_1858:
	s_cbranch_execnz .LBB213_1878
.LBB213_1859:
	v_cmp_lt_i16_e64 s[8:9], s20, 2
	s_and_b64 vcc, exec, s[8:9]
	s_cbranch_vccnz .LBB213_1863
; %bb.1860:
	v_cmp_lt_i16_e64 s[8:9], s20, 3
	s_and_b64 vcc, exec, s[8:9]
	s_cbranch_vccnz .LBB213_1864
; %bb.1861:
	v_cmp_gt_i16_e64 s[8:9], s20, 3
	s_and_b64 vcc, exec, s[8:9]
	s_cbranch_vccz .LBB213_1865
; %bb.1862:
	global_load_dwordx2 v[16:17], v[14:15], off
	s_movk_i32 s8, 0x7fff
	s_waitcnt vmcnt(0)
	v_xor_b32_e32 v3, v16, v17
	v_ffbh_i32_e32 v1, v17
	v_ashrrev_i32_e32 v3, 31, v3
	v_add_u32_e32 v1, -1, v1
	v_add_u32_e32 v3, 32, v3
	v_min_u32_e32 v1, v1, v3
	v_lshlrev_b64 v[16:17], v1, v[16:17]
	v_min_u32_e32 v3, 1, v16
	v_or_b32_e32 v3, v17, v3
	v_cvt_f32_i32_e32 v3, v3
	v_sub_u32_e32 v1, 32, v1
	v_ldexp_f32 v1, v3, v1
	v_bfe_u32 v3, v1, 16, 1
	v_add3_u32 v1, v1, v3, s8
	v_lshrrev_b32_e32 v1, 16, v1
	s_mov_b64 s[8:9], 0
	s_branch .LBB213_1866
.LBB213_1863:
	s_mov_b64 s[8:9], -1
                                        ; implicit-def: $vgpr1
	s_branch .LBB213_1872
.LBB213_1864:
	s_mov_b64 s[8:9], -1
                                        ; implicit-def: $vgpr1
	s_branch .LBB213_1869
.LBB213_1865:
	s_mov_b64 s[8:9], -1
                                        ; implicit-def: $vgpr1
.LBB213_1866:
	s_andn2_b64 vcc, exec, s[8:9]
	s_cbranch_vccnz .LBB213_1868
; %bb.1867:
	global_load_dword v1, v[14:15], off
	s_movk_i32 s8, 0x7fff
	s_waitcnt vmcnt(0)
	v_cvt_f32_i32_e32 v1, v1
	v_bfe_u32 v3, v1, 16, 1
	v_add3_u32 v1, v1, v3, s8
	v_lshrrev_b32_e32 v1, 16, v1
.LBB213_1868:
	s_mov_b64 s[8:9], 0
.LBB213_1869:
	s_andn2_b64 vcc, exec, s[8:9]
	s_cbranch_vccnz .LBB213_1871
; %bb.1870:
	global_load_sshort v1, v[14:15], off
	s_movk_i32 s8, 0x7fff
	s_waitcnt vmcnt(0)
	v_cvt_f32_i32_e32 v1, v1
	v_bfe_u32 v3, v1, 16, 1
	v_add3_u32 v1, v1, v3, s8
	v_lshrrev_b32_e32 v1, 16, v1
.LBB213_1871:
	s_mov_b64 s[8:9], 0
.LBB213_1872:
	s_andn2_b64 vcc, exec, s[8:9]
	s_cbranch_vccnz .LBB213_1878
; %bb.1873:
	v_cmp_gt_i16_e64 s[8:9], s20, 0
	s_and_b64 vcc, exec, s[8:9]
	s_cbranch_vccz .LBB213_1875
; %bb.1874:
	global_load_sbyte v1, v[14:15], off
	s_movk_i32 s8, 0x7fff
	s_waitcnt vmcnt(0)
	v_cvt_f32_i32_e32 v1, v1
	v_bfe_u32 v3, v1, 16, 1
	v_add3_u32 v1, v1, v3, s8
	v_lshrrev_b32_e32 v1, 16, v1
	s_mov_b64 s[8:9], 0
	s_branch .LBB213_1876
.LBB213_1875:
	s_mov_b64 s[8:9], -1
                                        ; implicit-def: $vgpr1
.LBB213_1876:
	s_andn2_b64 vcc, exec, s[8:9]
	s_cbranch_vccnz .LBB213_1878
; %bb.1877:
	global_load_ubyte v1, v[14:15], off
	s_movk_i32 s8, 0x7fff
	s_waitcnt vmcnt(0)
	v_cvt_f32_ubyte0_e32 v1, v1
	v_bfe_u32 v3, v1, 16, 1
	v_add3_u32 v1, v1, v3, s8
	v_lshrrev_b32_e32 v1, 16, v1
.LBB213_1878:
.LBB213_1879:
	v_mov_b32_e32 v3, s27
	v_add_co_u32_e32 v12, vcc, s26, v12
	v_addc_co_u32_e32 v13, vcc, 0, v3, vcc
	v_mov_b32_e32 v3, 11
	v_cmp_lt_i16_sdwa s[8:9], s19, v3 src0_sel:BYTE_0 src1_sel:DWORD
	s_and_b64 vcc, exec, s[8:9]
	s_cbranch_vccnz .LBB213_1886
; %bb.1880:
	v_mov_b32_e32 v3, 25
	v_cmp_gt_i16_sdwa s[8:9], s19, v3 src0_sel:BYTE_0 src1_sel:DWORD
	s_mov_b64 s[10:11], 0
	s_and_b64 vcc, exec, s[8:9]
	s_cbranch_vccz .LBB213_1888
; %bb.1881:
	v_mov_b32_e32 v3, 28
	v_cmp_gt_i16_sdwa s[8:9], s19, v3 src0_sel:BYTE_0 src1_sel:DWORD
	s_and_b64 vcc, exec, s[8:9]
	s_cbranch_vccz .LBB213_1889
; %bb.1882:
	v_mov_b32_e32 v3, 43
	v_cmp_gt_i16_sdwa s[8:9], s19, v3 src0_sel:BYTE_0 src1_sel:DWORD
	;; [unrolled: 5-line block ×3, first 2 shown]
	s_and_b64 vcc, exec, s[8:9]
	s_cbranch_vccz .LBB213_1892
; %bb.1884:
	v_mov_b32_e32 v3, 46
	v_cmp_eq_u16_sdwa s[8:9], s19, v3 src0_sel:BYTE_0 src1_sel:DWORD
	s_mov_b64 s[14:15], 0
	s_and_b64 vcc, exec, s[8:9]
	s_cbranch_vccz .LBB213_1893
; %bb.1885:
	global_load_dword v30, v[12:13], off
	s_mov_b64 s[8:9], 0
	s_mov_b64 s[12:13], -1
	s_branch .LBB213_1894
.LBB213_1886:
	s_mov_b64 s[12:13], 0
                                        ; implicit-def: $vgpr30
	s_cbranch_execnz .LBB213_1960
.LBB213_1887:
	s_andn2_b64 vcc, exec, s[12:13]
	s_cbranch_vccnz .LBB213_3113
	s_branch .LBB213_2008
.LBB213_1888:
	s_mov_b64 s[14:15], -1
	s_mov_b64 s[12:13], 0
	s_mov_b64 s[8:9], 0
                                        ; implicit-def: $vgpr30
	s_branch .LBB213_1923
.LBB213_1889:
	s_mov_b64 s[14:15], -1
	s_mov_b64 s[12:13], 0
	s_mov_b64 s[8:9], 0
                                        ; implicit-def: $vgpr30
	s_branch .LBB213_1904
.LBB213_1890:
	s_mov_b64 s[14:15], -1
	s_mov_b64 s[12:13], 0
	s_mov_b64 s[8:9], 0
                                        ; implicit-def: $vgpr30
	s_branch .LBB213_1899
.LBB213_1891:
	s_trap 2
	s_or_b64 s[34:35], s[34:35], exec
                                        ; implicit-def: $vgpr1
	s_cbranch_execz .LBB213_1830
	s_branch .LBB213_1831
.LBB213_1892:
	s_mov_b64 s[14:15], -1
	s_mov_b64 s[12:13], 0
	s_mov_b64 s[8:9], 0
                                        ; implicit-def: $vgpr30
	s_branch .LBB213_1894
.LBB213_1893:
	s_mov_b64 s[8:9], -1
                                        ; implicit-def: $vgpr30
	s_mov_b64 s[12:13], 0
.LBB213_1894:
	s_and_b64 vcc, exec, s[14:15]
	s_cbranch_vccz .LBB213_1898
; %bb.1895:
	v_mov_b32_e32 v3, 44
	v_cmp_eq_u16_sdwa s[8:9], s19, v3 src0_sel:BYTE_0 src1_sel:DWORD
	s_and_b64 vcc, exec, s[8:9]
	s_cbranch_vccz .LBB213_1897
; %bb.1896:
	global_load_ubyte v3, v[12:13], off
	s_movk_i32 s12, 0xff
	v_mov_b32_e32 v5, 0x7f800001
	v_mov_b32_e32 v7, 0x400000
	;; [unrolled: 1-line block ×3, first 2 shown]
	s_mov_b64 s[8:9], 0
	s_waitcnt vmcnt(0)
	v_lshlrev_b32_e32 v11, 23, v3
	v_cmp_ne_u32_e32 vcc, s12, v3
	v_cndmask_b32_e32 v5, v5, v11, vcc
	v_cmp_ne_u32_e32 vcc, 0, v3
	v_cndmask_b32_e32 v3, v7, v5, vcc
	v_add_u32_e32 v5, 0x7fff, v3
	v_lshrrev_b32_e32 v5, 16, v5
	v_cmp_o_f32_e32 vcc, v3, v3
	v_cndmask_b32_e32 v30, v9, v5, vcc
	s_mov_b64 s[12:13], -1
	s_branch .LBB213_1898
.LBB213_1897:
	s_mov_b64 s[8:9], -1
                                        ; implicit-def: $vgpr30
.LBB213_1898:
	s_mov_b64 s[14:15], 0
.LBB213_1899:
	s_and_b64 vcc, exec, s[14:15]
	s_cbranch_vccz .LBB213_1903
; %bb.1900:
	v_mov_b32_e32 v3, 29
	v_cmp_eq_u16_sdwa s[8:9], s19, v3 src0_sel:BYTE_0 src1_sel:DWORD
	s_and_b64 vcc, exec, s[8:9]
	s_cbranch_vccz .LBB213_1902
; %bb.1901:
	global_load_dwordx2 v[14:15], v[12:13], off
	s_movk_i32 s12, 0x7fff
	s_mov_b64 s[8:9], 0
	s_mov_b64 s[14:15], 0
	s_waitcnt vmcnt(0)
	v_ffbh_u32_e32 v3, v15
	v_min_u32_e32 v3, 32, v3
	v_lshlrev_b64 v[14:15], v3, v[14:15]
	v_min_u32_e32 v5, 1, v14
	v_or_b32_e32 v5, v15, v5
	v_cvt_f32_u32_e32 v5, v5
	v_sub_u32_e32 v3, 32, v3
	v_ldexp_f32 v3, v5, v3
	v_bfe_u32 v5, v3, 16, 1
	v_add3_u32 v3, v3, v5, s12
	v_lshrrev_b32_e32 v30, 16, v3
	s_mov_b64 s[12:13], -1
	s_branch .LBB213_1904
.LBB213_1902:
	s_mov_b64 s[8:9], -1
                                        ; implicit-def: $vgpr30
.LBB213_1903:
	s_mov_b64 s[14:15], 0
.LBB213_1904:
	s_and_b64 vcc, exec, s[14:15]
	s_cbranch_vccz .LBB213_1922
; %bb.1905:
	v_mov_b32_e32 v3, 27
	v_cmp_lt_i16_sdwa s[12:13], s19, v3 src0_sel:BYTE_0 src1_sel:DWORD
	s_and_b64 vcc, exec, s[12:13]
	s_cbranch_vccnz .LBB213_1908
; %bb.1906:
	v_cmp_gt_i16_sdwa s[12:13], s19, v3 src0_sel:BYTE_0 src1_sel:DWORD
	s_and_b64 vcc, exec, s[12:13]
	s_cbranch_vccz .LBB213_1909
; %bb.1907:
	global_load_dword v3, v[12:13], off
	s_movk_i32 s12, 0x7fff
	s_waitcnt vmcnt(0)
	v_cvt_f32_u32_e32 v3, v3
	v_bfe_u32 v5, v3, 16, 1
	v_add3_u32 v3, v3, v5, s12
	v_lshrrev_b32_e32 v30, 16, v3
	s_mov_b64 s[12:13], 0
	s_branch .LBB213_1910
.LBB213_1908:
	s_mov_b64 s[12:13], -1
                                        ; implicit-def: $vgpr30
	s_branch .LBB213_1913
.LBB213_1909:
	s_mov_b64 s[12:13], -1
                                        ; implicit-def: $vgpr30
.LBB213_1910:
	s_andn2_b64 vcc, exec, s[12:13]
	s_cbranch_vccnz .LBB213_1912
; %bb.1911:
	global_load_ushort v3, v[12:13], off
	s_movk_i32 s12, 0x7fff
	s_waitcnt vmcnt(0)
	v_cvt_f32_u32_e32 v3, v3
	v_bfe_u32 v5, v3, 16, 1
	v_add3_u32 v3, v3, v5, s12
	v_lshrrev_b32_e32 v30, 16, v3
.LBB213_1912:
	s_mov_b64 s[12:13], 0
.LBB213_1913:
	s_andn2_b64 vcc, exec, s[12:13]
	s_cbranch_vccnz .LBB213_1921
; %bb.1914:
	global_load_ubyte v3, v[12:13], off
	s_movk_i32 s12, 0x7f
                                        ; implicit-def: $sgpr21
	s_waitcnt vmcnt(0)
	v_cmp_lt_i16_e32 vcc, s12, v3
	s_mov_b64 s[12:13], 0
	s_and_saveexec_b64 s[14:15], vcc
	s_xor_b64 s[14:15], exec, s[14:15]
	s_cbranch_execz .LBB213_1935
; %bb.1915:
	s_movk_i32 s12, 0x80
	v_cmp_eq_u16_e32 vcc, s12, v3
	s_mov_b64 s[12:13], -1
                                        ; implicit-def: $sgpr21
	s_and_saveexec_b64 s[16:17], vcc
; %bb.1916:
	s_mov_b32 s21, 0x7f800001
	s_xor_b64 s[12:13], exec, -1
; %bb.1917:
	s_or_b64 exec, exec, s[16:17]
	s_and_b64 s[12:13], s[12:13], exec
	s_or_saveexec_b64 s[14:15], s[14:15]
	v_mov_b32_e32 v5, s21
	s_xor_b64 exec, exec, s[14:15]
	s_cbranch_execnz .LBB213_1936
.LBB213_1918:
	s_or_b64 exec, exec, s[14:15]
	s_and_saveexec_b64 s[14:15], s[12:13]
	s_cbranch_execz .LBB213_1920
.LBB213_1919:
	v_lshlrev_b32_e32 v5, 24, v3
	v_and_b32_e32 v3, 0xffff, v3
	v_and_b32_e32 v7, 7, v3
	v_ffbh_u32_e32 v11, v7
	v_min_u32_e32 v11, 32, v11
	v_subrev_u32_e32 v14, 28, v11
	v_bfe_u32 v9, v3, 3, 4
	v_lshlrev_b32_e32 v3, v14, v3
	v_sub_u32_e32 v11, 29, v11
	v_and_b32_e32 v3, 7, v3
	v_cmp_eq_u32_e32 vcc, 0, v9
	v_cndmask_b32_e32 v9, v9, v11, vcc
	v_cndmask_b32_e32 v3, v7, v3, vcc
	v_mov_b32_e32 v7, 0x3b800000
	v_lshlrev_b32_e32 v3, 20, v3
	v_and_b32_e32 v5, 0x80000000, v5
	v_lshl_add_u32 v7, v9, 23, v7
	v_or3_b32 v5, v5, v7, v3
.LBB213_1920:
	s_or_b64 exec, exec, s[14:15]
	v_bfe_u32 v3, v5, 16, 1
	s_movk_i32 s12, 0x7fff
	v_add3_u32 v3, v5, v3, s12
	v_lshrrev_b32_e32 v3, 16, v3
	v_mov_b32_e32 v7, 0x7fc0
	v_cmp_o_f32_e32 vcc, v5, v5
	v_cndmask_b32_e32 v30, v7, v3, vcc
.LBB213_1921:
	s_mov_b64 s[12:13], -1
.LBB213_1922:
	s_mov_b64 s[14:15], 0
.LBB213_1923:
	s_and_b64 vcc, exec, s[14:15]
	s_cbranch_vccz .LBB213_1956
; %bb.1924:
	v_mov_b32_e32 v3, 22
	v_cmp_gt_i16_sdwa s[10:11], s19, v3 src0_sel:BYTE_0 src1_sel:DWORD
	s_and_b64 vcc, exec, s[10:11]
	s_cbranch_vccz .LBB213_1934
; %bb.1925:
	v_mov_b32_e32 v3, 24
	v_cmp_lt_i16_sdwa s[10:11], s19, v3 src0_sel:BYTE_0 src1_sel:DWORD
	s_and_b64 vcc, exec, s[10:11]
	s_cbranch_vccnz .LBB213_1937
; %bb.1926:
	v_cmp_gt_i16_sdwa s[10:11], s19, v3 src0_sel:BYTE_0 src1_sel:DWORD
	s_and_b64 vcc, exec, s[10:11]
	s_cbranch_vccz .LBB213_1938
; %bb.1927:
	global_load_ubyte v3, v[12:13], off
	s_movk_i32 s10, 0x7f
                                        ; implicit-def: $sgpr16
	s_waitcnt vmcnt(0)
	v_cmp_lt_i16_e32 vcc, s10, v3
	s_mov_b64 s[10:11], 0
	s_and_saveexec_b64 s[12:13], vcc
	s_xor_b64 s[12:13], exec, s[12:13]
	s_cbranch_execz .LBB213_1950
; %bb.1928:
	s_movk_i32 s10, 0x80
	v_cmp_eq_u16_e32 vcc, s10, v3
	s_mov_b64 s[10:11], -1
                                        ; implicit-def: $sgpr16
	s_and_saveexec_b64 s[14:15], vcc
; %bb.1929:
	s_mov_b32 s16, 0x7f800001
	s_xor_b64 s[10:11], exec, -1
; %bb.1930:
	s_or_b64 exec, exec, s[14:15]
	s_and_b64 s[10:11], s[10:11], exec
	s_or_saveexec_b64 s[12:13], s[12:13]
	v_mov_b32_e32 v5, s16
	s_xor_b64 exec, exec, s[12:13]
	s_cbranch_execnz .LBB213_1951
.LBB213_1931:
	s_or_b64 exec, exec, s[12:13]
	s_and_saveexec_b64 s[12:13], s[10:11]
	s_cbranch_execz .LBB213_1933
.LBB213_1932:
	v_lshlrev_b32_e32 v5, 24, v3
	v_and_b32_e32 v3, 0xffff, v3
	v_and_b32_e32 v7, 3, v3
	v_ffbh_u32_e32 v11, v7
	v_min_u32_e32 v11, 32, v11
	v_subrev_u32_e32 v14, 29, v11
	v_bfe_u32 v9, v3, 2, 5
	v_lshlrev_b32_e32 v3, v14, v3
	v_sub_u32_e32 v11, 30, v11
	v_and_b32_e32 v3, 3, v3
	v_cmp_eq_u32_e32 vcc, 0, v9
	v_cndmask_b32_e32 v9, v9, v11, vcc
	v_cndmask_b32_e32 v3, v7, v3, vcc
	v_mov_b32_e32 v7, 0x37800000
	v_lshlrev_b32_e32 v3, 21, v3
	v_and_b32_e32 v5, 0x80000000, v5
	v_lshl_add_u32 v7, v9, 23, v7
	v_or3_b32 v5, v5, v7, v3
.LBB213_1933:
	s_or_b64 exec, exec, s[12:13]
	v_bfe_u32 v3, v5, 16, 1
	s_movk_i32 s10, 0x7fff
	v_add3_u32 v3, v5, v3, s10
	v_lshrrev_b32_e32 v3, 16, v3
	v_mov_b32_e32 v7, 0x7fc0
	v_cmp_o_f32_e32 vcc, v5, v5
	v_cndmask_b32_e32 v30, v7, v3, vcc
	s_mov_b64 s[10:11], 0
	s_branch .LBB213_1939
.LBB213_1934:
	s_mov_b64 s[10:11], -1
                                        ; implicit-def: $vgpr30
	s_branch .LBB213_1945
.LBB213_1935:
	s_or_saveexec_b64 s[14:15], s[14:15]
	v_mov_b32_e32 v5, s21
	s_xor_b64 exec, exec, s[14:15]
	s_cbranch_execz .LBB213_1918
.LBB213_1936:
	v_cmp_ne_u16_e32 vcc, 0, v3
	s_andn2_b64 s[12:13], s[12:13], exec
	s_and_b64 s[16:17], vcc, exec
	v_mov_b32_e32 v5, 0
	s_or_b64 s[12:13], s[12:13], s[16:17]
	s_or_b64 exec, exec, s[14:15]
	s_and_saveexec_b64 s[14:15], s[12:13]
	s_cbranch_execnz .LBB213_1919
	s_branch .LBB213_1920
.LBB213_1937:
	s_mov_b64 s[10:11], -1
                                        ; implicit-def: $vgpr30
	s_branch .LBB213_1942
.LBB213_1938:
	s_mov_b64 s[10:11], -1
                                        ; implicit-def: $vgpr30
.LBB213_1939:
	s_and_b64 vcc, exec, s[10:11]
	s_cbranch_vccz .LBB213_1941
; %bb.1940:
	global_load_ubyte v3, v[12:13], off
	s_mov_b32 s10, 0x7f800000
	s_brev_b32 s11, 1
	s_movk_i32 s12, 0x7fff
	v_mov_b32_e32 v5, 0x7fc0
	s_waitcnt vmcnt(0)
	v_lshlrev_b32_e32 v3, 24, v3
	v_and_b32_e32 v7, 0x7f000000, v3
	v_ffbh_u32_e32 v9, v7
	v_min_u32_e32 v9, 32, v9
	v_sub_u32_e64 v9, v9, 4 clamp
	v_lshlrev_b32_e32 v14, v9, v7
	v_lshlrev_b32_e32 v9, 23, v9
	v_lshrrev_b32_e32 v14, 4, v14
	v_add_u32_e32 v11, 0x1000000, v7
	v_sub_u32_e32 v9, v14, v9
	v_ashrrev_i32_e32 v11, 8, v11
	v_add_u32_e32 v9, 0x3c000000, v9
	v_and_or_b32 v9, v11, s10, v9
	v_cmp_ne_u32_e32 vcc, 0, v7
	v_cndmask_b32_e32 v7, 0, v9, vcc
	v_and_or_b32 v3, v3, s11, v7
	v_bfe_u32 v7, v7, 16, 1
	v_add3_u32 v7, v3, v7, s12
	v_lshrrev_b32_e32 v7, 16, v7
	v_cmp_o_f32_e32 vcc, v3, v3
	v_cndmask_b32_e32 v30, v5, v7, vcc
.LBB213_1941:
	s_mov_b64 s[10:11], 0
.LBB213_1942:
	s_andn2_b64 vcc, exec, s[10:11]
	s_cbranch_vccnz .LBB213_1944
; %bb.1943:
	global_load_ubyte v3, v[12:13], off
	s_movk_i32 s10, 0x7f00
	s_brev_b32 s11, 16
	s_brev_b32 s12, 1
	s_movk_i32 s13, 0x7fff
	v_mov_b32_e32 v5, 0x7fc0
	s_waitcnt vmcnt(0)
	v_lshlrev_b16_e32 v7, 8, v3
	v_lshlrev_b32_e32 v3, 25, v3
	v_lshrrev_b32_e32 v9, 4, v3
	v_and_or_b32 v11, v7, s10, 0.5
	v_or_b32_e32 v9, 0x70000000, v9
	v_add_f32_e32 v11, -0.5, v11
	v_mul_f32_e32 v9, 0x7800000, v9
	v_cmp_gt_u32_e32 vcc, s11, v3
	v_bfe_i32 v7, v7, 0, 16
	v_cndmask_b32_e32 v3, v9, v11, vcc
	v_and_or_b32 v7, v7, s12, v3
	v_bfe_u32 v3, v3, 16, 1
	v_add3_u32 v3, v7, v3, s13
	v_lshrrev_b32_e32 v3, 16, v3
	v_cmp_o_f32_e32 vcc, v7, v7
	v_cndmask_b32_e32 v30, v5, v3, vcc
.LBB213_1944:
	s_mov_b64 s[10:11], 0
	s_mov_b64 s[12:13], -1
.LBB213_1945:
	s_andn2_b64 vcc, exec, s[10:11]
	s_mov_b64 s[10:11], 0
	s_cbranch_vccnz .LBB213_1956
; %bb.1946:
	v_mov_b32_e32 v3, 14
	v_cmp_gt_i16_sdwa s[10:11], s19, v3 src0_sel:BYTE_0 src1_sel:DWORD
	s_and_b64 vcc, exec, s[10:11]
	s_cbranch_vccz .LBB213_1949
; %bb.1947:
	v_mov_b32_e32 v3, 15
	v_cmp_eq_u16_sdwa s[8:9], s19, v3 src0_sel:BYTE_0 src1_sel:DWORD
	s_and_b64 vcc, exec, s[8:9]
	s_cbranch_vccz .LBB213_1952
; %bb.1948:
	global_load_ushort v30, v[12:13], off
	s_mov_b64 s[8:9], 0
	s_mov_b64 s[12:13], -1
	s_branch .LBB213_1953
.LBB213_1949:
	s_mov_b64 s[14:15], -1
                                        ; implicit-def: $vgpr30
	s_branch .LBB213_1954
.LBB213_1950:
	s_or_saveexec_b64 s[12:13], s[12:13]
	v_mov_b32_e32 v5, s16
	s_xor_b64 exec, exec, s[12:13]
	s_cbranch_execz .LBB213_1931
.LBB213_1951:
	v_cmp_ne_u16_e32 vcc, 0, v3
	s_andn2_b64 s[10:11], s[10:11], exec
	s_and_b64 s[14:15], vcc, exec
	v_mov_b32_e32 v5, 0
	s_or_b64 s[10:11], s[10:11], s[14:15]
	s_or_b64 exec, exec, s[12:13]
	s_and_saveexec_b64 s[12:13], s[10:11]
	s_cbranch_execnz .LBB213_1932
	s_branch .LBB213_1933
.LBB213_1952:
	s_mov_b64 s[8:9], -1
                                        ; implicit-def: $vgpr30
.LBB213_1953:
	s_mov_b64 s[14:15], 0
.LBB213_1954:
	s_mov_b64 s[10:11], 0
	s_and_b64 vcc, exec, s[14:15]
	s_cbranch_vccz .LBB213_1956
; %bb.1955:
	v_mov_b32_e32 v3, 11
	v_cmp_ne_u16_sdwa s[8:9], s19, v3 src0_sel:BYTE_0 src1_sel:DWORD
	s_mov_b64 s[10:11], -1
                                        ; implicit-def: $vgpr30
.LBB213_1956:
	s_and_b64 vcc, exec, s[8:9]
	s_cbranch_vccnz .LBB213_2019
; %bb.1957:
	s_andn2_b64 vcc, exec, s[10:11]
	s_cbranch_vccnz .LBB213_1959
.LBB213_1958:
	global_load_ubyte v3, v[12:13], off
	s_mov_b64 s[12:13], -1
	s_waitcnt vmcnt(0)
	v_cmp_ne_u16_e32 vcc, 0, v3
	v_cndmask_b32_e64 v3, 0, 1.0, vcc
	v_lshrrev_b32_e32 v30, 16, v3
.LBB213_1959:
	s_branch .LBB213_1887
.LBB213_1960:
	v_mov_b32_e32 v3, 5
	v_cmp_lt_i16_sdwa s[8:9], s19, v3 src0_sel:BYTE_0 src1_sel:DWORD
	s_and_b64 vcc, exec, s[8:9]
	s_cbranch_vccnz .LBB213_1965
; %bb.1961:
	v_mov_b32_e32 v3, 8
	v_cmp_lt_i16_sdwa s[8:9], s19, v3 src0_sel:BYTE_0 src1_sel:DWORD
	s_and_b64 vcc, exec, s[8:9]
	s_cbranch_vccnz .LBB213_1966
; %bb.1962:
	;; [unrolled: 5-line block ×3, first 2 shown]
	v_cmp_gt_i16_sdwa s[8:9], s19, v3 src0_sel:BYTE_0 src1_sel:DWORD
	s_and_b64 vcc, exec, s[8:9]
	s_cbranch_vccz .LBB213_1968
; %bb.1964:
	global_load_dwordx2 v[14:15], v[12:13], off
	s_movk_i32 s8, 0x7fff
	v_mov_b32_e32 v3, 0x7fc0
	s_waitcnt vmcnt(0)
	v_cvt_f32_f64_e32 v5, v[14:15]
	v_bfe_u32 v7, v5, 16, 1
	v_add3_u32 v7, v5, v7, s8
	v_lshrrev_b32_e32 v7, 16, v7
	v_cmp_o_f32_e32 vcc, v5, v5
	v_cndmask_b32_e32 v30, v3, v7, vcc
	s_mov_b64 s[8:9], 0
	s_branch .LBB213_1969
.LBB213_1965:
	s_mov_b64 s[8:9], -1
                                        ; implicit-def: $vgpr30
	s_branch .LBB213_1987
.LBB213_1966:
	s_mov_b64 s[8:9], -1
                                        ; implicit-def: $vgpr30
	s_branch .LBB213_1975
.LBB213_1967:
	s_mov_b64 s[8:9], -1
                                        ; implicit-def: $vgpr30
	s_branch .LBB213_1972
.LBB213_1968:
	s_mov_b64 s[8:9], -1
                                        ; implicit-def: $vgpr30
.LBB213_1969:
	s_andn2_b64 vcc, exec, s[8:9]
	s_cbranch_vccnz .LBB213_1971
; %bb.1970:
	global_load_dword v3, v[12:13], off
	s_movk_i32 s8, 0x7fff
	v_mov_b32_e32 v5, 0x7fc0
	s_waitcnt vmcnt(0)
	v_bfe_u32 v7, v3, 16, 1
	v_add3_u32 v7, v3, v7, s8
	v_lshrrev_b32_e32 v7, 16, v7
	v_cmp_o_f32_e32 vcc, v3, v3
	v_cndmask_b32_e32 v30, v5, v7, vcc
.LBB213_1971:
	s_mov_b64 s[8:9], 0
.LBB213_1972:
	s_andn2_b64 vcc, exec, s[8:9]
	s_cbranch_vccnz .LBB213_1974
; %bb.1973:
	global_load_dword v3, v[12:13], off
	s_movk_i32 s8, 0x7fff
	v_mov_b32_e32 v7, 0x7fc0
	s_waitcnt vmcnt(0)
	v_cvt_f32_f16_e32 v5, v3
	v_cmp_o_f16_e32 vcc, v3, v3
	v_bfe_u32 v9, v5, 16, 1
	v_add3_u32 v5, v5, v9, s8
	v_lshrrev_b32_e32 v5, 16, v5
	v_cndmask_b32_e32 v30, v7, v5, vcc
.LBB213_1974:
	s_mov_b64 s[8:9], 0
.LBB213_1975:
	s_andn2_b64 vcc, exec, s[8:9]
	s_cbranch_vccnz .LBB213_1986
; %bb.1976:
	v_mov_b32_e32 v3, 6
	v_cmp_lt_i16_sdwa s[8:9], s19, v3 src0_sel:BYTE_0 src1_sel:DWORD
	s_and_b64 vcc, exec, s[8:9]
	s_cbranch_vccnz .LBB213_1979
; %bb.1977:
	v_cmp_gt_i16_sdwa s[8:9], s19, v3 src0_sel:BYTE_0 src1_sel:DWORD
	s_and_b64 vcc, exec, s[8:9]
	s_cbranch_vccz .LBB213_1980
; %bb.1978:
	global_load_dwordx2 v[14:15], v[12:13], off
	s_movk_i32 s8, 0x7fff
	v_mov_b32_e32 v3, 0x7fc0
	s_waitcnt vmcnt(0)
	v_cvt_f32_f64_e32 v5, v[14:15]
	v_bfe_u32 v7, v5, 16, 1
	v_add3_u32 v7, v5, v7, s8
	v_lshrrev_b32_e32 v7, 16, v7
	v_cmp_o_f32_e32 vcc, v5, v5
	v_cndmask_b32_e32 v30, v3, v7, vcc
	s_mov_b64 s[8:9], 0
	s_branch .LBB213_1981
.LBB213_1979:
	s_mov_b64 s[8:9], -1
                                        ; implicit-def: $vgpr30
	s_branch .LBB213_1984
.LBB213_1980:
	s_mov_b64 s[8:9], -1
                                        ; implicit-def: $vgpr30
.LBB213_1981:
	s_andn2_b64 vcc, exec, s[8:9]
	s_cbranch_vccnz .LBB213_1983
; %bb.1982:
	global_load_dword v3, v[12:13], off
	s_movk_i32 s8, 0x7fff
	v_mov_b32_e32 v5, 0x7fc0
	s_waitcnt vmcnt(0)
	v_bfe_u32 v7, v3, 16, 1
	v_add3_u32 v7, v3, v7, s8
	v_lshrrev_b32_e32 v7, 16, v7
	v_cmp_o_f32_e32 vcc, v3, v3
	v_cndmask_b32_e32 v30, v5, v7, vcc
.LBB213_1983:
	s_mov_b64 s[8:9], 0
.LBB213_1984:
	s_andn2_b64 vcc, exec, s[8:9]
	s_cbranch_vccnz .LBB213_1986
; %bb.1985:
	global_load_ushort v3, v[12:13], off
	s_movk_i32 s8, 0x7fff
	v_mov_b32_e32 v7, 0x7fc0
	s_waitcnt vmcnt(0)
	v_cvt_f32_f16_e32 v5, v3
	v_cmp_o_f16_e32 vcc, v3, v3
	v_bfe_u32 v9, v5, 16, 1
	v_add3_u32 v5, v5, v9, s8
	v_lshrrev_b32_e32 v5, 16, v5
	v_cndmask_b32_e32 v30, v7, v5, vcc
.LBB213_1986:
	s_mov_b64 s[8:9], 0
.LBB213_1987:
	s_andn2_b64 vcc, exec, s[8:9]
	s_cbranch_vccnz .LBB213_2007
; %bb.1988:
	v_mov_b32_e32 v3, 2
	v_cmp_lt_i16_sdwa s[8:9], s19, v3 src0_sel:BYTE_0 src1_sel:DWORD
	s_and_b64 vcc, exec, s[8:9]
	s_cbranch_vccnz .LBB213_1992
; %bb.1989:
	v_mov_b32_e32 v3, 3
	v_cmp_lt_i16_sdwa s[8:9], s19, v3 src0_sel:BYTE_0 src1_sel:DWORD
	s_and_b64 vcc, exec, s[8:9]
	s_cbranch_vccnz .LBB213_1993
; %bb.1990:
	v_cmp_gt_i16_sdwa s[8:9], s19, v3 src0_sel:BYTE_0 src1_sel:DWORD
	s_and_b64 vcc, exec, s[8:9]
	s_cbranch_vccz .LBB213_1994
; %bb.1991:
	global_load_dwordx2 v[14:15], v[12:13], off
	s_movk_i32 s8, 0x7fff
	s_waitcnt vmcnt(0)
	v_xor_b32_e32 v5, v14, v15
	v_ffbh_i32_e32 v3, v15
	v_ashrrev_i32_e32 v5, 31, v5
	v_add_u32_e32 v3, -1, v3
	v_add_u32_e32 v5, 32, v5
	v_min_u32_e32 v3, v3, v5
	v_lshlrev_b64 v[14:15], v3, v[14:15]
	v_min_u32_e32 v5, 1, v14
	v_or_b32_e32 v5, v15, v5
	v_cvt_f32_i32_e32 v5, v5
	v_sub_u32_e32 v3, 32, v3
	v_ldexp_f32 v3, v5, v3
	v_bfe_u32 v5, v3, 16, 1
	v_add3_u32 v3, v3, v5, s8
	v_lshrrev_b32_e32 v30, 16, v3
	s_mov_b64 s[8:9], 0
	s_branch .LBB213_1995
.LBB213_1992:
	s_mov_b64 s[8:9], -1
                                        ; implicit-def: $vgpr30
	s_branch .LBB213_2001
.LBB213_1993:
	s_mov_b64 s[8:9], -1
                                        ; implicit-def: $vgpr30
	s_branch .LBB213_1998
.LBB213_1994:
	s_mov_b64 s[8:9], -1
                                        ; implicit-def: $vgpr30
.LBB213_1995:
	s_andn2_b64 vcc, exec, s[8:9]
	s_cbranch_vccnz .LBB213_1997
; %bb.1996:
	global_load_dword v3, v[12:13], off
	s_movk_i32 s8, 0x7fff
	s_waitcnt vmcnt(0)
	v_cvt_f32_i32_e32 v3, v3
	v_bfe_u32 v5, v3, 16, 1
	v_add3_u32 v3, v3, v5, s8
	v_lshrrev_b32_e32 v30, 16, v3
.LBB213_1997:
	s_mov_b64 s[8:9], 0
.LBB213_1998:
	s_andn2_b64 vcc, exec, s[8:9]
	s_cbranch_vccnz .LBB213_2000
; %bb.1999:
	global_load_sshort v3, v[12:13], off
	s_movk_i32 s8, 0x7fff
	s_waitcnt vmcnt(0)
	v_cvt_f32_i32_e32 v3, v3
	v_bfe_u32 v5, v3, 16, 1
	v_add3_u32 v3, v3, v5, s8
	v_lshrrev_b32_e32 v30, 16, v3
.LBB213_2000:
	s_mov_b64 s[8:9], 0
.LBB213_2001:
	s_andn2_b64 vcc, exec, s[8:9]
	s_cbranch_vccnz .LBB213_2007
; %bb.2002:
	v_mov_b32_e32 v3, 0
	v_cmp_gt_i16_sdwa s[8:9], s19, v3 src0_sel:BYTE_0 src1_sel:DWORD
	s_and_b64 vcc, exec, s[8:9]
	s_cbranch_vccz .LBB213_2004
; %bb.2003:
	global_load_sbyte v3, v[12:13], off
	s_movk_i32 s8, 0x7fff
	s_waitcnt vmcnt(0)
	v_cvt_f32_i32_e32 v3, v3
	v_bfe_u32 v5, v3, 16, 1
	v_add3_u32 v3, v3, v5, s8
	v_lshrrev_b32_e32 v30, 16, v3
	s_mov_b64 s[8:9], 0
	s_branch .LBB213_2005
.LBB213_2004:
	s_mov_b64 s[8:9], -1
                                        ; implicit-def: $vgpr30
.LBB213_2005:
	s_andn2_b64 vcc, exec, s[8:9]
	s_cbranch_vccnz .LBB213_2007
; %bb.2006:
	global_load_ubyte v3, v[12:13], off
	s_movk_i32 s8, 0x7fff
	s_waitcnt vmcnt(0)
	v_cvt_f32_ubyte0_e32 v3, v3
	v_bfe_u32 v5, v3, 16, 1
	v_add3_u32 v3, v3, v5, s8
	v_lshrrev_b32_e32 v30, 16, v3
.LBB213_2007:
.LBB213_2008:
	v_mov_b32_e32 v3, s5
	v_add_co_u32_e32 v10, vcc, s4, v10
	v_addc_co_u32_e32 v11, vcc, 0, v3, vcc
	s_and_b64 vcc, exec, s[6:7]
	s_cbranch_vccnz .LBB213_2015
; %bb.2009:
	v_cmp_gt_i16_e64 s[8:9], s20, 25
	s_mov_b64 s[10:11], 0
	s_and_b64 vcc, exec, s[8:9]
	s_cbranch_vccz .LBB213_2016
; %bb.2010:
	v_cmp_gt_i16_e64 s[8:9], s20, 28
	s_and_b64 vcc, exec, s[8:9]
	s_cbranch_vccz .LBB213_2017
; %bb.2011:
	v_cmp_gt_i16_e64 s[8:9], s20, 43
	;; [unrolled: 4-line block ×3, first 2 shown]
	s_and_b64 vcc, exec, s[8:9]
	s_cbranch_vccz .LBB213_2020
; %bb.2013:
	v_cmp_eq_u16_e64 s[8:9], s20, 46
	s_mov_b64 s[14:15], 0
	s_and_b64 vcc, exec, s[8:9]
	s_cbranch_vccz .LBB213_2021
; %bb.2014:
	global_load_dword v31, v[10:11], off
	s_mov_b64 s[8:9], 0
	s_mov_b64 s[12:13], -1
	s_branch .LBB213_2022
.LBB213_2015:
	s_mov_b64 s[8:9], -1
	s_mov_b64 s[12:13], 0
                                        ; implicit-def: $vgpr31
	s_branch .LBB213_2088
.LBB213_2016:
	s_mov_b64 s[14:15], -1
	s_mov_b64 s[12:13], 0
	s_mov_b64 s[8:9], 0
                                        ; implicit-def: $vgpr31
	s_branch .LBB213_2051
.LBB213_2017:
	s_mov_b64 s[14:15], -1
	s_mov_b64 s[12:13], 0
	s_mov_b64 s[8:9], 0
                                        ; implicit-def: $vgpr31
	s_branch .LBB213_2032
.LBB213_2018:
	s_mov_b64 s[14:15], -1
	s_mov_b64 s[12:13], 0
	s_mov_b64 s[8:9], 0
                                        ; implicit-def: $vgpr31
	s_branch .LBB213_2027
.LBB213_2019:
	s_trap 2
	s_or_b64 s[34:35], s[34:35], exec
                                        ; implicit-def: $vgpr30
	s_cbranch_execz .LBB213_1958
	s_branch .LBB213_1959
.LBB213_2020:
	s_mov_b64 s[14:15], -1
	s_mov_b64 s[12:13], 0
	s_mov_b64 s[8:9], 0
                                        ; implicit-def: $vgpr31
	s_branch .LBB213_2022
.LBB213_2021:
	s_mov_b64 s[8:9], -1
                                        ; implicit-def: $vgpr31
	s_mov_b64 s[12:13], 0
.LBB213_2022:
	s_and_b64 vcc, exec, s[14:15]
	s_cbranch_vccz .LBB213_2026
; %bb.2023:
	v_cmp_eq_u16_e64 s[8:9], s20, 44
	s_and_b64 vcc, exec, s[8:9]
	s_cbranch_vccz .LBB213_2025
; %bb.2024:
	global_load_ubyte v3, v[10:11], off
	s_movk_i32 s12, 0xff
	v_mov_b32_e32 v5, 0x7f800001
	v_mov_b32_e32 v7, 0x400000
	;; [unrolled: 1-line block ×3, first 2 shown]
	s_mov_b64 s[8:9], 0
	s_waitcnt vmcnt(0)
	v_lshlrev_b32_e32 v12, 23, v3
	v_cmp_ne_u32_e32 vcc, s12, v3
	v_cndmask_b32_e32 v5, v5, v12, vcc
	v_cmp_ne_u32_e32 vcc, 0, v3
	v_cndmask_b32_e32 v3, v7, v5, vcc
	v_add_u32_e32 v5, 0x7fff, v3
	v_lshrrev_b32_e32 v5, 16, v5
	v_cmp_o_f32_e32 vcc, v3, v3
	v_cndmask_b32_e32 v31, v9, v5, vcc
	s_mov_b64 s[12:13], -1
	s_branch .LBB213_2026
.LBB213_2025:
	s_mov_b64 s[8:9], -1
                                        ; implicit-def: $vgpr31
.LBB213_2026:
	s_mov_b64 s[14:15], 0
.LBB213_2027:
	s_and_b64 vcc, exec, s[14:15]
	s_cbranch_vccz .LBB213_2031
; %bb.2028:
	v_cmp_eq_u16_e64 s[8:9], s20, 29
	s_and_b64 vcc, exec, s[8:9]
	s_cbranch_vccz .LBB213_2030
; %bb.2029:
	global_load_dwordx2 v[12:13], v[10:11], off
	s_movk_i32 s12, 0x7fff
	s_mov_b64 s[8:9], 0
	s_mov_b64 s[14:15], 0
	s_waitcnt vmcnt(0)
	v_ffbh_u32_e32 v3, v13
	v_min_u32_e32 v3, 32, v3
	v_lshlrev_b64 v[12:13], v3, v[12:13]
	v_min_u32_e32 v5, 1, v12
	v_or_b32_e32 v5, v13, v5
	v_cvt_f32_u32_e32 v5, v5
	v_sub_u32_e32 v3, 32, v3
	v_ldexp_f32 v3, v5, v3
	v_bfe_u32 v5, v3, 16, 1
	v_add3_u32 v3, v3, v5, s12
	v_lshrrev_b32_e32 v31, 16, v3
	s_mov_b64 s[12:13], -1
	s_branch .LBB213_2032
.LBB213_2030:
	s_mov_b64 s[8:9], -1
                                        ; implicit-def: $vgpr31
.LBB213_2031:
	s_mov_b64 s[14:15], 0
.LBB213_2032:
	s_and_b64 vcc, exec, s[14:15]
	s_cbranch_vccz .LBB213_2050
; %bb.2033:
	v_cmp_lt_i16_e64 s[12:13], s20, 27
	s_and_b64 vcc, exec, s[12:13]
	s_cbranch_vccnz .LBB213_2036
; %bb.2034:
	v_cmp_gt_i16_e64 s[12:13], s20, 27
	s_and_b64 vcc, exec, s[12:13]
	s_cbranch_vccz .LBB213_2037
; %bb.2035:
	global_load_dword v3, v[10:11], off
	s_movk_i32 s12, 0x7fff
	s_waitcnt vmcnt(0)
	v_cvt_f32_u32_e32 v3, v3
	v_bfe_u32 v5, v3, 16, 1
	v_add3_u32 v3, v3, v5, s12
	v_lshrrev_b32_e32 v31, 16, v3
	s_mov_b64 s[12:13], 0
	s_branch .LBB213_2038
.LBB213_2036:
	s_mov_b64 s[12:13], -1
                                        ; implicit-def: $vgpr31
	s_branch .LBB213_2041
.LBB213_2037:
	s_mov_b64 s[12:13], -1
                                        ; implicit-def: $vgpr31
.LBB213_2038:
	s_andn2_b64 vcc, exec, s[12:13]
	s_cbranch_vccnz .LBB213_2040
; %bb.2039:
	global_load_ushort v3, v[10:11], off
	s_movk_i32 s12, 0x7fff
	s_waitcnt vmcnt(0)
	v_cvt_f32_u32_e32 v3, v3
	v_bfe_u32 v5, v3, 16, 1
	v_add3_u32 v3, v3, v5, s12
	v_lshrrev_b32_e32 v31, 16, v3
.LBB213_2040:
	s_mov_b64 s[12:13], 0
.LBB213_2041:
	s_andn2_b64 vcc, exec, s[12:13]
	s_cbranch_vccnz .LBB213_2049
; %bb.2042:
	global_load_ubyte v3, v[10:11], off
	s_movk_i32 s12, 0x7f
                                        ; implicit-def: $sgpr21
	s_waitcnt vmcnt(0)
	v_cmp_lt_i16_e32 vcc, s12, v3
	s_mov_b64 s[12:13], 0
	s_and_saveexec_b64 s[14:15], vcc
	s_xor_b64 s[14:15], exec, s[14:15]
	s_cbranch_execz .LBB213_2063
; %bb.2043:
	s_movk_i32 s12, 0x80
	v_cmp_eq_u16_e32 vcc, s12, v3
	s_mov_b64 s[12:13], -1
                                        ; implicit-def: $sgpr21
	s_and_saveexec_b64 s[16:17], vcc
; %bb.2044:
	s_mov_b32 s21, 0x7f800001
	s_xor_b64 s[12:13], exec, -1
; %bb.2045:
	s_or_b64 exec, exec, s[16:17]
	s_and_b64 s[12:13], s[12:13], exec
	s_or_saveexec_b64 s[14:15], s[14:15]
	v_mov_b32_e32 v5, s21
	s_xor_b64 exec, exec, s[14:15]
	s_cbranch_execnz .LBB213_2064
.LBB213_2046:
	s_or_b64 exec, exec, s[14:15]
	s_and_saveexec_b64 s[14:15], s[12:13]
	s_cbranch_execz .LBB213_2048
.LBB213_2047:
	v_lshlrev_b32_e32 v5, 24, v3
	v_and_b32_e32 v3, 0xffff, v3
	v_and_b32_e32 v7, 7, v3
	v_ffbh_u32_e32 v12, v7
	v_min_u32_e32 v12, 32, v12
	v_subrev_u32_e32 v13, 28, v12
	v_bfe_u32 v9, v3, 3, 4
	v_lshlrev_b32_e32 v3, v13, v3
	v_sub_u32_e32 v12, 29, v12
	v_and_b32_e32 v3, 7, v3
	v_cmp_eq_u32_e32 vcc, 0, v9
	v_cndmask_b32_e32 v9, v9, v12, vcc
	v_cndmask_b32_e32 v3, v7, v3, vcc
	v_mov_b32_e32 v7, 0x3b800000
	v_lshlrev_b32_e32 v3, 20, v3
	v_and_b32_e32 v5, 0x80000000, v5
	v_lshl_add_u32 v7, v9, 23, v7
	v_or3_b32 v5, v5, v7, v3
.LBB213_2048:
	s_or_b64 exec, exec, s[14:15]
	v_bfe_u32 v3, v5, 16, 1
	s_movk_i32 s12, 0x7fff
	v_add3_u32 v3, v5, v3, s12
	v_lshrrev_b32_e32 v3, 16, v3
	v_mov_b32_e32 v7, 0x7fc0
	v_cmp_o_f32_e32 vcc, v5, v5
	v_cndmask_b32_e32 v31, v7, v3, vcc
.LBB213_2049:
	s_mov_b64 s[12:13], -1
.LBB213_2050:
	s_mov_b64 s[14:15], 0
.LBB213_2051:
	s_and_b64 vcc, exec, s[14:15]
	s_cbranch_vccz .LBB213_2084
; %bb.2052:
	v_cmp_gt_i16_e64 s[10:11], s20, 22
	s_and_b64 vcc, exec, s[10:11]
	s_cbranch_vccz .LBB213_2062
; %bb.2053:
	v_cmp_lt_i16_e64 s[10:11], s20, 24
	s_and_b64 vcc, exec, s[10:11]
	s_cbranch_vccnz .LBB213_2065
; %bb.2054:
	v_cmp_gt_i16_e64 s[10:11], s20, 24
	s_and_b64 vcc, exec, s[10:11]
	s_cbranch_vccz .LBB213_2066
; %bb.2055:
	global_load_ubyte v3, v[10:11], off
	s_movk_i32 s10, 0x7f
                                        ; implicit-def: $sgpr16
	s_waitcnt vmcnt(0)
	v_cmp_lt_i16_e32 vcc, s10, v3
	s_mov_b64 s[10:11], 0
	s_and_saveexec_b64 s[12:13], vcc
	s_xor_b64 s[12:13], exec, s[12:13]
	s_cbranch_execz .LBB213_2078
; %bb.2056:
	s_movk_i32 s10, 0x80
	v_cmp_eq_u16_e32 vcc, s10, v3
	s_mov_b64 s[10:11], -1
                                        ; implicit-def: $sgpr16
	s_and_saveexec_b64 s[14:15], vcc
; %bb.2057:
	s_mov_b32 s16, 0x7f800001
	s_xor_b64 s[10:11], exec, -1
; %bb.2058:
	s_or_b64 exec, exec, s[14:15]
	s_and_b64 s[10:11], s[10:11], exec
	s_or_saveexec_b64 s[12:13], s[12:13]
	v_mov_b32_e32 v5, s16
	s_xor_b64 exec, exec, s[12:13]
	s_cbranch_execnz .LBB213_2079
.LBB213_2059:
	s_or_b64 exec, exec, s[12:13]
	s_and_saveexec_b64 s[12:13], s[10:11]
	s_cbranch_execz .LBB213_2061
.LBB213_2060:
	v_lshlrev_b32_e32 v5, 24, v3
	v_and_b32_e32 v3, 0xffff, v3
	v_and_b32_e32 v7, 3, v3
	v_ffbh_u32_e32 v12, v7
	v_min_u32_e32 v12, 32, v12
	v_subrev_u32_e32 v13, 29, v12
	v_bfe_u32 v9, v3, 2, 5
	v_lshlrev_b32_e32 v3, v13, v3
	v_sub_u32_e32 v12, 30, v12
	v_and_b32_e32 v3, 3, v3
	v_cmp_eq_u32_e32 vcc, 0, v9
	v_cndmask_b32_e32 v9, v9, v12, vcc
	v_cndmask_b32_e32 v3, v7, v3, vcc
	v_mov_b32_e32 v7, 0x37800000
	v_lshlrev_b32_e32 v3, 21, v3
	v_and_b32_e32 v5, 0x80000000, v5
	v_lshl_add_u32 v7, v9, 23, v7
	v_or3_b32 v5, v5, v7, v3
.LBB213_2061:
	s_or_b64 exec, exec, s[12:13]
	v_bfe_u32 v3, v5, 16, 1
	s_movk_i32 s10, 0x7fff
	v_add3_u32 v3, v5, v3, s10
	v_lshrrev_b32_e32 v3, 16, v3
	v_mov_b32_e32 v7, 0x7fc0
	v_cmp_o_f32_e32 vcc, v5, v5
	v_cndmask_b32_e32 v31, v7, v3, vcc
	s_mov_b64 s[10:11], 0
	s_branch .LBB213_2067
.LBB213_2062:
	s_mov_b64 s[10:11], -1
                                        ; implicit-def: $vgpr31
	s_branch .LBB213_2073
.LBB213_2063:
	s_or_saveexec_b64 s[14:15], s[14:15]
	v_mov_b32_e32 v5, s21
	s_xor_b64 exec, exec, s[14:15]
	s_cbranch_execz .LBB213_2046
.LBB213_2064:
	v_cmp_ne_u16_e32 vcc, 0, v3
	s_andn2_b64 s[12:13], s[12:13], exec
	s_and_b64 s[16:17], vcc, exec
	v_mov_b32_e32 v5, 0
	s_or_b64 s[12:13], s[12:13], s[16:17]
	s_or_b64 exec, exec, s[14:15]
	s_and_saveexec_b64 s[14:15], s[12:13]
	s_cbranch_execnz .LBB213_2047
	s_branch .LBB213_2048
.LBB213_2065:
	s_mov_b64 s[10:11], -1
                                        ; implicit-def: $vgpr31
	s_branch .LBB213_2070
.LBB213_2066:
	s_mov_b64 s[10:11], -1
                                        ; implicit-def: $vgpr31
.LBB213_2067:
	s_and_b64 vcc, exec, s[10:11]
	s_cbranch_vccz .LBB213_2069
; %bb.2068:
	global_load_ubyte v3, v[10:11], off
	s_mov_b32 s10, 0x7f800000
	s_brev_b32 s11, 1
	s_movk_i32 s12, 0x7fff
	v_mov_b32_e32 v5, 0x7fc0
	s_waitcnt vmcnt(0)
	v_lshlrev_b32_e32 v3, 24, v3
	v_and_b32_e32 v7, 0x7f000000, v3
	v_ffbh_u32_e32 v9, v7
	v_min_u32_e32 v9, 32, v9
	v_sub_u32_e64 v9, v9, 4 clamp
	v_lshlrev_b32_e32 v13, v9, v7
	v_lshlrev_b32_e32 v9, 23, v9
	v_lshrrev_b32_e32 v13, 4, v13
	v_add_u32_e32 v12, 0x1000000, v7
	v_sub_u32_e32 v9, v13, v9
	v_ashrrev_i32_e32 v12, 8, v12
	v_add_u32_e32 v9, 0x3c000000, v9
	v_and_or_b32 v9, v12, s10, v9
	v_cmp_ne_u32_e32 vcc, 0, v7
	v_cndmask_b32_e32 v7, 0, v9, vcc
	v_and_or_b32 v3, v3, s11, v7
	v_bfe_u32 v7, v7, 16, 1
	v_add3_u32 v7, v3, v7, s12
	v_lshrrev_b32_e32 v7, 16, v7
	v_cmp_o_f32_e32 vcc, v3, v3
	v_cndmask_b32_e32 v31, v5, v7, vcc
.LBB213_2069:
	s_mov_b64 s[10:11], 0
.LBB213_2070:
	s_andn2_b64 vcc, exec, s[10:11]
	s_cbranch_vccnz .LBB213_2072
; %bb.2071:
	global_load_ubyte v3, v[10:11], off
	s_movk_i32 s10, 0x7f00
	s_brev_b32 s11, 16
	s_brev_b32 s12, 1
	s_movk_i32 s13, 0x7fff
	v_mov_b32_e32 v5, 0x7fc0
	s_waitcnt vmcnt(0)
	v_lshlrev_b16_e32 v7, 8, v3
	v_lshlrev_b32_e32 v3, 25, v3
	v_lshrrev_b32_e32 v9, 4, v3
	v_and_or_b32 v12, v7, s10, 0.5
	v_or_b32_e32 v9, 0x70000000, v9
	v_add_f32_e32 v12, -0.5, v12
	v_mul_f32_e32 v9, 0x7800000, v9
	v_cmp_gt_u32_e32 vcc, s11, v3
	v_bfe_i32 v7, v7, 0, 16
	v_cndmask_b32_e32 v3, v9, v12, vcc
	v_and_or_b32 v7, v7, s12, v3
	v_bfe_u32 v3, v3, 16, 1
	v_add3_u32 v3, v7, v3, s13
	v_lshrrev_b32_e32 v3, 16, v3
	v_cmp_o_f32_e32 vcc, v7, v7
	v_cndmask_b32_e32 v31, v5, v3, vcc
.LBB213_2072:
	s_mov_b64 s[10:11], 0
	s_mov_b64 s[12:13], -1
.LBB213_2073:
	s_andn2_b64 vcc, exec, s[10:11]
	s_mov_b64 s[10:11], 0
	s_cbranch_vccnz .LBB213_2084
; %bb.2074:
	v_cmp_gt_i16_e64 s[10:11], s20, 14
	s_and_b64 vcc, exec, s[10:11]
	s_cbranch_vccz .LBB213_2077
; %bb.2075:
	v_cmp_eq_u16_e64 s[8:9], s20, 15
	s_and_b64 vcc, exec, s[8:9]
	s_cbranch_vccz .LBB213_2080
; %bb.2076:
	global_load_ushort v31, v[10:11], off
	s_mov_b64 s[8:9], 0
	s_mov_b64 s[12:13], -1
	s_branch .LBB213_2081
.LBB213_2077:
	s_mov_b64 s[14:15], -1
                                        ; implicit-def: $vgpr31
	s_branch .LBB213_2082
.LBB213_2078:
	s_or_saveexec_b64 s[12:13], s[12:13]
	v_mov_b32_e32 v5, s16
	s_xor_b64 exec, exec, s[12:13]
	s_cbranch_execz .LBB213_2059
.LBB213_2079:
	v_cmp_ne_u16_e32 vcc, 0, v3
	s_andn2_b64 s[10:11], s[10:11], exec
	s_and_b64 s[14:15], vcc, exec
	v_mov_b32_e32 v5, 0
	s_or_b64 s[10:11], s[10:11], s[14:15]
	s_or_b64 exec, exec, s[12:13]
	s_and_saveexec_b64 s[12:13], s[10:11]
	s_cbranch_execnz .LBB213_2060
	s_branch .LBB213_2061
.LBB213_2080:
	s_mov_b64 s[8:9], -1
                                        ; implicit-def: $vgpr31
.LBB213_2081:
	s_mov_b64 s[14:15], 0
.LBB213_2082:
	s_mov_b64 s[10:11], 0
	s_and_b64 vcc, exec, s[14:15]
	s_cbranch_vccz .LBB213_2084
; %bb.2083:
	v_cmp_ne_u16_e64 s[8:9], s20, 11
	s_mov_b64 s[10:11], -1
                                        ; implicit-def: $vgpr31
.LBB213_2084:
	s_and_b64 vcc, exec, s[8:9]
	s_cbranch_vccnz .LBB213_2149
; %bb.2085:
	s_andn2_b64 vcc, exec, s[10:11]
	s_cbranch_vccnz .LBB213_2087
.LBB213_2086:
	global_load_ubyte v3, v[10:11], off
	s_mov_b64 s[12:13], -1
	s_waitcnt vmcnt(0)
	v_cmp_ne_u16_e32 vcc, 0, v3
	v_cndmask_b32_e64 v3, 0, 1.0, vcc
	v_lshrrev_b32_e32 v31, 16, v3
.LBB213_2087:
	s_mov_b64 s[8:9], 0
.LBB213_2088:
	s_and_b64 vcc, exec, s[8:9]
	s_cbranch_vccz .LBB213_2137
; %bb.2089:
	v_cmp_lt_i16_e64 s[8:9], s20, 5
	s_and_b64 vcc, exec, s[8:9]
	s_cbranch_vccnz .LBB213_2094
; %bb.2090:
	v_cmp_lt_i16_e64 s[8:9], s20, 8
	s_and_b64 vcc, exec, s[8:9]
	s_cbranch_vccnz .LBB213_2095
	;; [unrolled: 4-line block ×3, first 2 shown]
; %bb.2092:
	v_cmp_gt_i16_e64 s[8:9], s20, 9
	s_and_b64 vcc, exec, s[8:9]
	s_cbranch_vccz .LBB213_2097
; %bb.2093:
	global_load_dwordx2 v[12:13], v[10:11], off
	s_movk_i32 s8, 0x7fff
	v_mov_b32_e32 v3, 0x7fc0
	s_waitcnt vmcnt(0)
	v_cvt_f32_f64_e32 v5, v[12:13]
	v_bfe_u32 v7, v5, 16, 1
	v_add3_u32 v7, v5, v7, s8
	v_lshrrev_b32_e32 v7, 16, v7
	v_cmp_o_f32_e32 vcc, v5, v5
	v_cndmask_b32_e32 v31, v3, v7, vcc
	s_mov_b64 s[8:9], 0
	s_branch .LBB213_2098
.LBB213_2094:
	s_mov_b64 s[8:9], -1
                                        ; implicit-def: $vgpr31
	s_branch .LBB213_2116
.LBB213_2095:
	s_mov_b64 s[8:9], -1
                                        ; implicit-def: $vgpr31
	s_branch .LBB213_2104
.LBB213_2096:
	s_mov_b64 s[8:9], -1
                                        ; implicit-def: $vgpr31
	s_branch .LBB213_2101
.LBB213_2097:
	s_mov_b64 s[8:9], -1
                                        ; implicit-def: $vgpr31
.LBB213_2098:
	s_andn2_b64 vcc, exec, s[8:9]
	s_cbranch_vccnz .LBB213_2100
; %bb.2099:
	global_load_dword v3, v[10:11], off
	s_movk_i32 s8, 0x7fff
	v_mov_b32_e32 v5, 0x7fc0
	s_waitcnt vmcnt(0)
	v_bfe_u32 v7, v3, 16, 1
	v_add3_u32 v7, v3, v7, s8
	v_lshrrev_b32_e32 v7, 16, v7
	v_cmp_o_f32_e32 vcc, v3, v3
	v_cndmask_b32_e32 v31, v5, v7, vcc
.LBB213_2100:
	s_mov_b64 s[8:9], 0
.LBB213_2101:
	s_andn2_b64 vcc, exec, s[8:9]
	s_cbranch_vccnz .LBB213_2103
; %bb.2102:
	global_load_dword v3, v[10:11], off
	s_movk_i32 s8, 0x7fff
	v_mov_b32_e32 v7, 0x7fc0
	s_waitcnt vmcnt(0)
	v_cvt_f32_f16_e32 v5, v3
	v_cmp_o_f16_e32 vcc, v3, v3
	v_bfe_u32 v9, v5, 16, 1
	v_add3_u32 v5, v5, v9, s8
	v_lshrrev_b32_e32 v5, 16, v5
	v_cndmask_b32_e32 v31, v7, v5, vcc
.LBB213_2103:
	s_mov_b64 s[8:9], 0
.LBB213_2104:
	s_andn2_b64 vcc, exec, s[8:9]
	s_cbranch_vccnz .LBB213_2115
; %bb.2105:
	v_cmp_lt_i16_e64 s[8:9], s20, 6
	s_and_b64 vcc, exec, s[8:9]
	s_cbranch_vccnz .LBB213_2108
; %bb.2106:
	v_cmp_gt_i16_e64 s[8:9], s20, 6
	s_and_b64 vcc, exec, s[8:9]
	s_cbranch_vccz .LBB213_2109
; %bb.2107:
	global_load_dwordx2 v[12:13], v[10:11], off
	s_movk_i32 s8, 0x7fff
	v_mov_b32_e32 v3, 0x7fc0
	s_waitcnt vmcnt(0)
	v_cvt_f32_f64_e32 v5, v[12:13]
	v_bfe_u32 v7, v5, 16, 1
	v_add3_u32 v7, v5, v7, s8
	v_lshrrev_b32_e32 v7, 16, v7
	v_cmp_o_f32_e32 vcc, v5, v5
	v_cndmask_b32_e32 v31, v3, v7, vcc
	s_mov_b64 s[8:9], 0
	s_branch .LBB213_2110
.LBB213_2108:
	s_mov_b64 s[8:9], -1
                                        ; implicit-def: $vgpr31
	s_branch .LBB213_2113
.LBB213_2109:
	s_mov_b64 s[8:9], -1
                                        ; implicit-def: $vgpr31
.LBB213_2110:
	s_andn2_b64 vcc, exec, s[8:9]
	s_cbranch_vccnz .LBB213_2112
; %bb.2111:
	global_load_dword v3, v[10:11], off
	s_movk_i32 s8, 0x7fff
	v_mov_b32_e32 v5, 0x7fc0
	s_waitcnt vmcnt(0)
	v_bfe_u32 v7, v3, 16, 1
	v_add3_u32 v7, v3, v7, s8
	v_lshrrev_b32_e32 v7, 16, v7
	v_cmp_o_f32_e32 vcc, v3, v3
	v_cndmask_b32_e32 v31, v5, v7, vcc
.LBB213_2112:
	s_mov_b64 s[8:9], 0
.LBB213_2113:
	s_andn2_b64 vcc, exec, s[8:9]
	s_cbranch_vccnz .LBB213_2115
; %bb.2114:
	global_load_ushort v3, v[10:11], off
	s_movk_i32 s8, 0x7fff
	v_mov_b32_e32 v7, 0x7fc0
	s_waitcnt vmcnt(0)
	v_cvt_f32_f16_e32 v5, v3
	v_cmp_o_f16_e32 vcc, v3, v3
	v_bfe_u32 v9, v5, 16, 1
	v_add3_u32 v5, v5, v9, s8
	v_lshrrev_b32_e32 v5, 16, v5
	v_cndmask_b32_e32 v31, v7, v5, vcc
.LBB213_2115:
	s_mov_b64 s[8:9], 0
.LBB213_2116:
	s_andn2_b64 vcc, exec, s[8:9]
	s_cbranch_vccnz .LBB213_2136
; %bb.2117:
	v_cmp_lt_i16_e64 s[8:9], s20, 2
	s_and_b64 vcc, exec, s[8:9]
	s_cbranch_vccnz .LBB213_2121
; %bb.2118:
	v_cmp_lt_i16_e64 s[8:9], s20, 3
	s_and_b64 vcc, exec, s[8:9]
	s_cbranch_vccnz .LBB213_2122
; %bb.2119:
	v_cmp_gt_i16_e64 s[8:9], s20, 3
	s_and_b64 vcc, exec, s[8:9]
	s_cbranch_vccz .LBB213_2123
; %bb.2120:
	global_load_dwordx2 v[12:13], v[10:11], off
	s_movk_i32 s8, 0x7fff
	s_waitcnt vmcnt(0)
	v_xor_b32_e32 v5, v12, v13
	v_ffbh_i32_e32 v3, v13
	v_ashrrev_i32_e32 v5, 31, v5
	v_add_u32_e32 v3, -1, v3
	v_add_u32_e32 v5, 32, v5
	v_min_u32_e32 v3, v3, v5
	v_lshlrev_b64 v[12:13], v3, v[12:13]
	v_min_u32_e32 v5, 1, v12
	v_or_b32_e32 v5, v13, v5
	v_cvt_f32_i32_e32 v5, v5
	v_sub_u32_e32 v3, 32, v3
	v_ldexp_f32 v3, v5, v3
	v_bfe_u32 v5, v3, 16, 1
	v_add3_u32 v3, v3, v5, s8
	v_lshrrev_b32_e32 v31, 16, v3
	s_mov_b64 s[8:9], 0
	s_branch .LBB213_2124
.LBB213_2121:
	s_mov_b64 s[8:9], -1
                                        ; implicit-def: $vgpr31
	s_branch .LBB213_2130
.LBB213_2122:
	s_mov_b64 s[8:9], -1
                                        ; implicit-def: $vgpr31
	s_branch .LBB213_2127
.LBB213_2123:
	s_mov_b64 s[8:9], -1
                                        ; implicit-def: $vgpr31
.LBB213_2124:
	s_andn2_b64 vcc, exec, s[8:9]
	s_cbranch_vccnz .LBB213_2126
; %bb.2125:
	global_load_dword v3, v[10:11], off
	s_movk_i32 s8, 0x7fff
	s_waitcnt vmcnt(0)
	v_cvt_f32_i32_e32 v3, v3
	v_bfe_u32 v5, v3, 16, 1
	v_add3_u32 v3, v3, v5, s8
	v_lshrrev_b32_e32 v31, 16, v3
.LBB213_2126:
	s_mov_b64 s[8:9], 0
.LBB213_2127:
	s_andn2_b64 vcc, exec, s[8:9]
	s_cbranch_vccnz .LBB213_2129
; %bb.2128:
	global_load_sshort v3, v[10:11], off
	s_movk_i32 s8, 0x7fff
	s_waitcnt vmcnt(0)
	v_cvt_f32_i32_e32 v3, v3
	v_bfe_u32 v5, v3, 16, 1
	v_add3_u32 v3, v3, v5, s8
	v_lshrrev_b32_e32 v31, 16, v3
.LBB213_2129:
	s_mov_b64 s[8:9], 0
.LBB213_2130:
	s_andn2_b64 vcc, exec, s[8:9]
	s_cbranch_vccnz .LBB213_2136
; %bb.2131:
	v_cmp_gt_i16_e64 s[8:9], s20, 0
	s_and_b64 vcc, exec, s[8:9]
	s_cbranch_vccz .LBB213_2133
; %bb.2132:
	global_load_sbyte v3, v[10:11], off
	s_movk_i32 s8, 0x7fff
	s_waitcnt vmcnt(0)
	v_cvt_f32_i32_e32 v3, v3
	v_bfe_u32 v5, v3, 16, 1
	v_add3_u32 v3, v3, v5, s8
	v_lshrrev_b32_e32 v31, 16, v3
	s_mov_b64 s[8:9], 0
	s_branch .LBB213_2134
.LBB213_2133:
	s_mov_b64 s[8:9], -1
                                        ; implicit-def: $vgpr31
.LBB213_2134:
	s_andn2_b64 vcc, exec, s[8:9]
	s_cbranch_vccnz .LBB213_2136
; %bb.2135:
	global_load_ubyte v3, v[10:11], off
	s_movk_i32 s8, 0x7fff
	s_waitcnt vmcnt(0)
	v_cvt_f32_ubyte0_e32 v3, v3
	v_bfe_u32 v5, v3, 16, 1
	v_add3_u32 v3, v3, v5, s8
	v_lshrrev_b32_e32 v31, 16, v3
.LBB213_2136:
	s_mov_b64 s[12:13], -1
.LBB213_2137:
	s_andn2_b64 vcc, exec, s[12:13]
	s_cbranch_vccnz .LBB213_3113
; %bb.2138:
	v_mov_b32_e32 v3, s27
	v_add_co_u32_e32 v8, vcc, s26, v8
	v_addc_co_u32_e32 v9, vcc, 0, v3, vcc
	v_mov_b32_e32 v3, 11
	v_cmp_lt_i16_sdwa s[8:9], s19, v3 src0_sel:BYTE_0 src1_sel:DWORD
	s_and_b64 vcc, exec, s[8:9]
	s_cbranch_vccnz .LBB213_2145
; %bb.2139:
	v_mov_b32_e32 v3, 25
	v_cmp_gt_i16_sdwa s[8:9], s19, v3 src0_sel:BYTE_0 src1_sel:DWORD
	s_mov_b64 s[10:11], 0
	s_and_b64 vcc, exec, s[8:9]
	s_cbranch_vccz .LBB213_2146
; %bb.2140:
	v_mov_b32_e32 v3, 28
	v_cmp_gt_i16_sdwa s[8:9], s19, v3 src0_sel:BYTE_0 src1_sel:DWORD
	s_and_b64 vcc, exec, s[8:9]
	s_cbranch_vccz .LBB213_2147
; %bb.2141:
	v_mov_b32_e32 v3, 43
	v_cmp_gt_i16_sdwa s[8:9], s19, v3 src0_sel:BYTE_0 src1_sel:DWORD
	;; [unrolled: 5-line block ×3, first 2 shown]
	s_and_b64 vcc, exec, s[8:9]
	s_cbranch_vccz .LBB213_2150
; %bb.2143:
	v_mov_b32_e32 v3, 46
	v_cmp_eq_u16_sdwa s[8:9], s19, v3 src0_sel:BYTE_0 src1_sel:DWORD
	s_mov_b64 s[14:15], 0
	s_and_b64 vcc, exec, s[8:9]
	s_cbranch_vccz .LBB213_2151
; %bb.2144:
	global_load_dword v32, v[8:9], off
	s_mov_b64 s[8:9], 0
	s_mov_b64 s[12:13], -1
	s_branch .LBB213_2152
.LBB213_2145:
	s_mov_b64 s[8:9], -1
	s_mov_b64 s[12:13], 0
                                        ; implicit-def: $vgpr32
	s_branch .LBB213_2218
.LBB213_2146:
	s_mov_b64 s[14:15], -1
	s_mov_b64 s[12:13], 0
	s_mov_b64 s[8:9], 0
                                        ; implicit-def: $vgpr32
	s_branch .LBB213_2181
.LBB213_2147:
	s_mov_b64 s[14:15], -1
	s_mov_b64 s[12:13], 0
	s_mov_b64 s[8:9], 0
                                        ; implicit-def: $vgpr32
	s_branch .LBB213_2162
.LBB213_2148:
	s_mov_b64 s[14:15], -1
	s_mov_b64 s[12:13], 0
	s_mov_b64 s[8:9], 0
                                        ; implicit-def: $vgpr32
	s_branch .LBB213_2157
.LBB213_2149:
	s_trap 2
	s_or_b64 s[34:35], s[34:35], exec
                                        ; implicit-def: $vgpr31
	s_cbranch_execz .LBB213_2086
	s_branch .LBB213_2087
.LBB213_2150:
	s_mov_b64 s[14:15], -1
	s_mov_b64 s[12:13], 0
	s_mov_b64 s[8:9], 0
                                        ; implicit-def: $vgpr32
	s_branch .LBB213_2152
.LBB213_2151:
	s_mov_b64 s[8:9], -1
                                        ; implicit-def: $vgpr32
	s_mov_b64 s[12:13], 0
.LBB213_2152:
	s_and_b64 vcc, exec, s[14:15]
	s_cbranch_vccz .LBB213_2156
; %bb.2153:
	v_mov_b32_e32 v3, 44
	v_cmp_eq_u16_sdwa s[8:9], s19, v3 src0_sel:BYTE_0 src1_sel:DWORD
	s_and_b64 vcc, exec, s[8:9]
	s_cbranch_vccz .LBB213_2155
; %bb.2154:
	global_load_ubyte v3, v[8:9], off
	s_movk_i32 s12, 0xff
	v_mov_b32_e32 v5, 0x7f800001
	v_mov_b32_e32 v7, 0x400000
	;; [unrolled: 1-line block ×3, first 2 shown]
	s_mov_b64 s[8:9], 0
	s_waitcnt vmcnt(0)
	v_lshlrev_b32_e32 v11, 23, v3
	v_cmp_ne_u32_e32 vcc, s12, v3
	v_cndmask_b32_e32 v5, v5, v11, vcc
	v_cmp_ne_u32_e32 vcc, 0, v3
	v_cndmask_b32_e32 v3, v7, v5, vcc
	v_add_u32_e32 v5, 0x7fff, v3
	v_lshrrev_b32_e32 v5, 16, v5
	v_cmp_o_f32_e32 vcc, v3, v3
	v_cndmask_b32_e32 v32, v10, v5, vcc
	s_mov_b64 s[12:13], -1
	s_branch .LBB213_2156
.LBB213_2155:
	s_mov_b64 s[8:9], -1
                                        ; implicit-def: $vgpr32
.LBB213_2156:
	s_mov_b64 s[14:15], 0
.LBB213_2157:
	s_and_b64 vcc, exec, s[14:15]
	s_cbranch_vccz .LBB213_2161
; %bb.2158:
	v_mov_b32_e32 v3, 29
	v_cmp_eq_u16_sdwa s[8:9], s19, v3 src0_sel:BYTE_0 src1_sel:DWORD
	s_and_b64 vcc, exec, s[8:9]
	s_cbranch_vccz .LBB213_2160
; %bb.2159:
	global_load_dwordx2 v[10:11], v[8:9], off
	s_movk_i32 s12, 0x7fff
	s_mov_b64 s[8:9], 0
	s_mov_b64 s[14:15], 0
	s_waitcnt vmcnt(0)
	v_ffbh_u32_e32 v3, v11
	v_min_u32_e32 v3, 32, v3
	v_lshlrev_b64 v[10:11], v3, v[10:11]
	v_min_u32_e32 v5, 1, v10
	v_or_b32_e32 v5, v11, v5
	v_cvt_f32_u32_e32 v5, v5
	v_sub_u32_e32 v3, 32, v3
	v_ldexp_f32 v3, v5, v3
	v_bfe_u32 v5, v3, 16, 1
	v_add3_u32 v3, v3, v5, s12
	v_lshrrev_b32_e32 v32, 16, v3
	s_mov_b64 s[12:13], -1
	s_branch .LBB213_2162
.LBB213_2160:
	s_mov_b64 s[8:9], -1
                                        ; implicit-def: $vgpr32
.LBB213_2161:
	s_mov_b64 s[14:15], 0
.LBB213_2162:
	s_and_b64 vcc, exec, s[14:15]
	s_cbranch_vccz .LBB213_2180
; %bb.2163:
	v_mov_b32_e32 v3, 27
	v_cmp_lt_i16_sdwa s[12:13], s19, v3 src0_sel:BYTE_0 src1_sel:DWORD
	s_and_b64 vcc, exec, s[12:13]
	s_cbranch_vccnz .LBB213_2166
; %bb.2164:
	v_cmp_gt_i16_sdwa s[12:13], s19, v3 src0_sel:BYTE_0 src1_sel:DWORD
	s_and_b64 vcc, exec, s[12:13]
	s_cbranch_vccz .LBB213_2167
; %bb.2165:
	global_load_dword v3, v[8:9], off
	s_movk_i32 s12, 0x7fff
	s_waitcnt vmcnt(0)
	v_cvt_f32_u32_e32 v3, v3
	v_bfe_u32 v5, v3, 16, 1
	v_add3_u32 v3, v3, v5, s12
	v_lshrrev_b32_e32 v32, 16, v3
	s_mov_b64 s[12:13], 0
	s_branch .LBB213_2168
.LBB213_2166:
	s_mov_b64 s[12:13], -1
                                        ; implicit-def: $vgpr32
	s_branch .LBB213_2171
.LBB213_2167:
	s_mov_b64 s[12:13], -1
                                        ; implicit-def: $vgpr32
.LBB213_2168:
	s_andn2_b64 vcc, exec, s[12:13]
	s_cbranch_vccnz .LBB213_2170
; %bb.2169:
	global_load_ushort v3, v[8:9], off
	s_movk_i32 s12, 0x7fff
	s_waitcnt vmcnt(0)
	v_cvt_f32_u32_e32 v3, v3
	v_bfe_u32 v5, v3, 16, 1
	v_add3_u32 v3, v3, v5, s12
	v_lshrrev_b32_e32 v32, 16, v3
.LBB213_2170:
	s_mov_b64 s[12:13], 0
.LBB213_2171:
	s_andn2_b64 vcc, exec, s[12:13]
	s_cbranch_vccnz .LBB213_2179
; %bb.2172:
	global_load_ubyte v3, v[8:9], off
	s_movk_i32 s12, 0x7f
                                        ; implicit-def: $sgpr21
	s_waitcnt vmcnt(0)
	v_cmp_lt_i16_e32 vcc, s12, v3
	s_mov_b64 s[12:13], 0
	s_and_saveexec_b64 s[14:15], vcc
	s_xor_b64 s[14:15], exec, s[14:15]
	s_cbranch_execz .LBB213_2193
; %bb.2173:
	s_movk_i32 s12, 0x80
	v_cmp_eq_u16_e32 vcc, s12, v3
	s_mov_b64 s[12:13], -1
                                        ; implicit-def: $sgpr21
	s_and_saveexec_b64 s[16:17], vcc
; %bb.2174:
	s_mov_b32 s21, 0x7f800001
	s_xor_b64 s[12:13], exec, -1
; %bb.2175:
	s_or_b64 exec, exec, s[16:17]
	s_and_b64 s[12:13], s[12:13], exec
	s_or_saveexec_b64 s[14:15], s[14:15]
	v_mov_b32_e32 v5, s21
	s_xor_b64 exec, exec, s[14:15]
	s_cbranch_execnz .LBB213_2194
.LBB213_2176:
	s_or_b64 exec, exec, s[14:15]
	s_and_saveexec_b64 s[14:15], s[12:13]
	s_cbranch_execz .LBB213_2178
.LBB213_2177:
	v_lshlrev_b32_e32 v5, 24, v3
	v_and_b32_e32 v3, 0xffff, v3
	v_and_b32_e32 v7, 7, v3
	v_ffbh_u32_e32 v11, v7
	v_min_u32_e32 v11, 32, v11
	v_subrev_u32_e32 v12, 28, v11
	v_bfe_u32 v10, v3, 3, 4
	v_lshlrev_b32_e32 v3, v12, v3
	v_sub_u32_e32 v11, 29, v11
	v_and_b32_e32 v3, 7, v3
	v_cmp_eq_u32_e32 vcc, 0, v10
	v_cndmask_b32_e32 v10, v10, v11, vcc
	v_cndmask_b32_e32 v3, v7, v3, vcc
	v_mov_b32_e32 v7, 0x3b800000
	v_lshlrev_b32_e32 v3, 20, v3
	v_and_b32_e32 v5, 0x80000000, v5
	v_lshl_add_u32 v7, v10, 23, v7
	v_or3_b32 v5, v5, v7, v3
.LBB213_2178:
	s_or_b64 exec, exec, s[14:15]
	v_bfe_u32 v3, v5, 16, 1
	s_movk_i32 s12, 0x7fff
	v_add3_u32 v3, v5, v3, s12
	v_lshrrev_b32_e32 v3, 16, v3
	v_mov_b32_e32 v7, 0x7fc0
	v_cmp_o_f32_e32 vcc, v5, v5
	v_cndmask_b32_e32 v32, v7, v3, vcc
.LBB213_2179:
	s_mov_b64 s[12:13], -1
.LBB213_2180:
	s_mov_b64 s[14:15], 0
.LBB213_2181:
	s_and_b64 vcc, exec, s[14:15]
	s_cbranch_vccz .LBB213_2214
; %bb.2182:
	v_mov_b32_e32 v3, 22
	v_cmp_gt_i16_sdwa s[10:11], s19, v3 src0_sel:BYTE_0 src1_sel:DWORD
	s_and_b64 vcc, exec, s[10:11]
	s_cbranch_vccz .LBB213_2192
; %bb.2183:
	v_mov_b32_e32 v3, 24
	v_cmp_lt_i16_sdwa s[10:11], s19, v3 src0_sel:BYTE_0 src1_sel:DWORD
	s_and_b64 vcc, exec, s[10:11]
	s_cbranch_vccnz .LBB213_2195
; %bb.2184:
	v_cmp_gt_i16_sdwa s[10:11], s19, v3 src0_sel:BYTE_0 src1_sel:DWORD
	s_and_b64 vcc, exec, s[10:11]
	s_cbranch_vccz .LBB213_2196
; %bb.2185:
	global_load_ubyte v3, v[8:9], off
	s_movk_i32 s10, 0x7f
                                        ; implicit-def: $sgpr16
	s_waitcnt vmcnt(0)
	v_cmp_lt_i16_e32 vcc, s10, v3
	s_mov_b64 s[10:11], 0
	s_and_saveexec_b64 s[12:13], vcc
	s_xor_b64 s[12:13], exec, s[12:13]
	s_cbranch_execz .LBB213_2208
; %bb.2186:
	s_movk_i32 s10, 0x80
	v_cmp_eq_u16_e32 vcc, s10, v3
	s_mov_b64 s[10:11], -1
                                        ; implicit-def: $sgpr16
	s_and_saveexec_b64 s[14:15], vcc
; %bb.2187:
	s_mov_b32 s16, 0x7f800001
	s_xor_b64 s[10:11], exec, -1
; %bb.2188:
	s_or_b64 exec, exec, s[14:15]
	s_and_b64 s[10:11], s[10:11], exec
	s_or_saveexec_b64 s[12:13], s[12:13]
	v_mov_b32_e32 v5, s16
	s_xor_b64 exec, exec, s[12:13]
	s_cbranch_execnz .LBB213_2209
.LBB213_2189:
	s_or_b64 exec, exec, s[12:13]
	s_and_saveexec_b64 s[12:13], s[10:11]
	s_cbranch_execz .LBB213_2191
.LBB213_2190:
	v_lshlrev_b32_e32 v5, 24, v3
	v_and_b32_e32 v3, 0xffff, v3
	v_and_b32_e32 v7, 3, v3
	v_ffbh_u32_e32 v11, v7
	v_min_u32_e32 v11, 32, v11
	v_subrev_u32_e32 v12, 29, v11
	v_bfe_u32 v10, v3, 2, 5
	v_lshlrev_b32_e32 v3, v12, v3
	v_sub_u32_e32 v11, 30, v11
	v_and_b32_e32 v3, 3, v3
	v_cmp_eq_u32_e32 vcc, 0, v10
	v_cndmask_b32_e32 v10, v10, v11, vcc
	v_cndmask_b32_e32 v3, v7, v3, vcc
	v_mov_b32_e32 v7, 0x37800000
	v_lshlrev_b32_e32 v3, 21, v3
	v_and_b32_e32 v5, 0x80000000, v5
	v_lshl_add_u32 v7, v10, 23, v7
	v_or3_b32 v5, v5, v7, v3
.LBB213_2191:
	s_or_b64 exec, exec, s[12:13]
	v_bfe_u32 v3, v5, 16, 1
	s_movk_i32 s10, 0x7fff
	v_add3_u32 v3, v5, v3, s10
	v_lshrrev_b32_e32 v3, 16, v3
	v_mov_b32_e32 v7, 0x7fc0
	v_cmp_o_f32_e32 vcc, v5, v5
	v_cndmask_b32_e32 v32, v7, v3, vcc
	s_mov_b64 s[10:11], 0
	s_branch .LBB213_2197
.LBB213_2192:
	s_mov_b64 s[10:11], -1
                                        ; implicit-def: $vgpr32
	s_branch .LBB213_2203
.LBB213_2193:
	s_or_saveexec_b64 s[14:15], s[14:15]
	v_mov_b32_e32 v5, s21
	s_xor_b64 exec, exec, s[14:15]
	s_cbranch_execz .LBB213_2176
.LBB213_2194:
	v_cmp_ne_u16_e32 vcc, 0, v3
	s_andn2_b64 s[12:13], s[12:13], exec
	s_and_b64 s[16:17], vcc, exec
	v_mov_b32_e32 v5, 0
	s_or_b64 s[12:13], s[12:13], s[16:17]
	s_or_b64 exec, exec, s[14:15]
	s_and_saveexec_b64 s[14:15], s[12:13]
	s_cbranch_execnz .LBB213_2177
	s_branch .LBB213_2178
.LBB213_2195:
	s_mov_b64 s[10:11], -1
                                        ; implicit-def: $vgpr32
	s_branch .LBB213_2200
.LBB213_2196:
	s_mov_b64 s[10:11], -1
                                        ; implicit-def: $vgpr32
.LBB213_2197:
	s_and_b64 vcc, exec, s[10:11]
	s_cbranch_vccz .LBB213_2199
; %bb.2198:
	global_load_ubyte v3, v[8:9], off
	s_mov_b32 s10, 0x7f800000
	s_brev_b32 s11, 1
	s_movk_i32 s12, 0x7fff
	v_mov_b32_e32 v5, 0x7fc0
	s_waitcnt vmcnt(0)
	v_lshlrev_b32_e32 v3, 24, v3
	v_and_b32_e32 v7, 0x7f000000, v3
	v_ffbh_u32_e32 v10, v7
	v_min_u32_e32 v10, 32, v10
	v_sub_u32_e64 v10, v10, 4 clamp
	v_lshlrev_b32_e32 v12, v10, v7
	v_lshlrev_b32_e32 v10, 23, v10
	v_lshrrev_b32_e32 v12, 4, v12
	v_add_u32_e32 v11, 0x1000000, v7
	v_sub_u32_e32 v10, v12, v10
	v_ashrrev_i32_e32 v11, 8, v11
	v_add_u32_e32 v10, 0x3c000000, v10
	v_and_or_b32 v10, v11, s10, v10
	v_cmp_ne_u32_e32 vcc, 0, v7
	v_cndmask_b32_e32 v7, 0, v10, vcc
	v_and_or_b32 v3, v3, s11, v7
	v_bfe_u32 v7, v7, 16, 1
	v_add3_u32 v7, v3, v7, s12
	v_lshrrev_b32_e32 v7, 16, v7
	v_cmp_o_f32_e32 vcc, v3, v3
	v_cndmask_b32_e32 v32, v5, v7, vcc
.LBB213_2199:
	s_mov_b64 s[10:11], 0
.LBB213_2200:
	s_andn2_b64 vcc, exec, s[10:11]
	s_cbranch_vccnz .LBB213_2202
; %bb.2201:
	global_load_ubyte v3, v[8:9], off
	s_movk_i32 s10, 0x7f00
	s_brev_b32 s11, 16
	s_brev_b32 s12, 1
	s_movk_i32 s13, 0x7fff
	v_mov_b32_e32 v5, 0x7fc0
	s_waitcnt vmcnt(0)
	v_lshlrev_b16_e32 v7, 8, v3
	v_lshlrev_b32_e32 v3, 25, v3
	v_lshrrev_b32_e32 v10, 4, v3
	v_and_or_b32 v11, v7, s10, 0.5
	v_or_b32_e32 v10, 0x70000000, v10
	v_add_f32_e32 v11, -0.5, v11
	v_mul_f32_e32 v10, 0x7800000, v10
	v_cmp_gt_u32_e32 vcc, s11, v3
	v_bfe_i32 v7, v7, 0, 16
	v_cndmask_b32_e32 v3, v10, v11, vcc
	v_and_or_b32 v7, v7, s12, v3
	v_bfe_u32 v3, v3, 16, 1
	v_add3_u32 v3, v7, v3, s13
	v_lshrrev_b32_e32 v3, 16, v3
	v_cmp_o_f32_e32 vcc, v7, v7
	v_cndmask_b32_e32 v32, v5, v3, vcc
.LBB213_2202:
	s_mov_b64 s[10:11], 0
	s_mov_b64 s[12:13], -1
.LBB213_2203:
	s_andn2_b64 vcc, exec, s[10:11]
	s_mov_b64 s[10:11], 0
	s_cbranch_vccnz .LBB213_2214
; %bb.2204:
	v_mov_b32_e32 v3, 14
	v_cmp_gt_i16_sdwa s[10:11], s19, v3 src0_sel:BYTE_0 src1_sel:DWORD
	s_and_b64 vcc, exec, s[10:11]
	s_cbranch_vccz .LBB213_2207
; %bb.2205:
	v_mov_b32_e32 v3, 15
	v_cmp_eq_u16_sdwa s[8:9], s19, v3 src0_sel:BYTE_0 src1_sel:DWORD
	s_and_b64 vcc, exec, s[8:9]
	s_cbranch_vccz .LBB213_2210
; %bb.2206:
	global_load_ushort v32, v[8:9], off
	s_mov_b64 s[8:9], 0
	s_mov_b64 s[12:13], -1
	s_branch .LBB213_2211
.LBB213_2207:
	s_mov_b64 s[14:15], -1
                                        ; implicit-def: $vgpr32
	s_branch .LBB213_2212
.LBB213_2208:
	s_or_saveexec_b64 s[12:13], s[12:13]
	v_mov_b32_e32 v5, s16
	s_xor_b64 exec, exec, s[12:13]
	s_cbranch_execz .LBB213_2189
.LBB213_2209:
	v_cmp_ne_u16_e32 vcc, 0, v3
	s_andn2_b64 s[10:11], s[10:11], exec
	s_and_b64 s[14:15], vcc, exec
	v_mov_b32_e32 v5, 0
	s_or_b64 s[10:11], s[10:11], s[14:15]
	s_or_b64 exec, exec, s[12:13]
	s_and_saveexec_b64 s[12:13], s[10:11]
	s_cbranch_execnz .LBB213_2190
	s_branch .LBB213_2191
.LBB213_2210:
	s_mov_b64 s[8:9], -1
                                        ; implicit-def: $vgpr32
.LBB213_2211:
	s_mov_b64 s[14:15], 0
.LBB213_2212:
	s_mov_b64 s[10:11], 0
	s_and_b64 vcc, exec, s[14:15]
	s_cbranch_vccz .LBB213_2214
; %bb.2213:
	v_mov_b32_e32 v3, 11
	v_cmp_ne_u16_sdwa s[8:9], s19, v3 src0_sel:BYTE_0 src1_sel:DWORD
	s_mov_b64 s[10:11], -1
                                        ; implicit-def: $vgpr32
.LBB213_2214:
	s_and_b64 vcc, exec, s[8:9]
	s_cbranch_vccnz .LBB213_2279
; %bb.2215:
	s_andn2_b64 vcc, exec, s[10:11]
	s_cbranch_vccnz .LBB213_2217
.LBB213_2216:
	global_load_ubyte v3, v[8:9], off
	s_mov_b64 s[12:13], -1
	s_waitcnt vmcnt(0)
	v_cmp_ne_u16_e32 vcc, 0, v3
	v_cndmask_b32_e64 v3, 0, 1.0, vcc
	v_lshrrev_b32_e32 v32, 16, v3
.LBB213_2217:
	s_mov_b64 s[8:9], 0
.LBB213_2218:
	s_and_b64 vcc, exec, s[8:9]
	s_cbranch_vccz .LBB213_2267
; %bb.2219:
	v_mov_b32_e32 v3, 5
	v_cmp_lt_i16_sdwa s[8:9], s19, v3 src0_sel:BYTE_0 src1_sel:DWORD
	s_and_b64 vcc, exec, s[8:9]
	s_cbranch_vccnz .LBB213_2224
; %bb.2220:
	v_mov_b32_e32 v3, 8
	v_cmp_lt_i16_sdwa s[8:9], s19, v3 src0_sel:BYTE_0 src1_sel:DWORD
	s_and_b64 vcc, exec, s[8:9]
	s_cbranch_vccnz .LBB213_2225
	;; [unrolled: 5-line block ×3, first 2 shown]
; %bb.2222:
	v_cmp_gt_i16_sdwa s[8:9], s19, v3 src0_sel:BYTE_0 src1_sel:DWORD
	s_and_b64 vcc, exec, s[8:9]
	s_cbranch_vccz .LBB213_2227
; %bb.2223:
	global_load_dwordx2 v[10:11], v[8:9], off
	s_movk_i32 s8, 0x7fff
	v_mov_b32_e32 v3, 0x7fc0
	s_waitcnt vmcnt(0)
	v_cvt_f32_f64_e32 v5, v[10:11]
	v_bfe_u32 v7, v5, 16, 1
	v_add3_u32 v7, v5, v7, s8
	v_lshrrev_b32_e32 v7, 16, v7
	v_cmp_o_f32_e32 vcc, v5, v5
	v_cndmask_b32_e32 v32, v3, v7, vcc
	s_mov_b64 s[8:9], 0
	s_branch .LBB213_2228
.LBB213_2224:
	s_mov_b64 s[8:9], -1
                                        ; implicit-def: $vgpr32
	s_branch .LBB213_2246
.LBB213_2225:
	s_mov_b64 s[8:9], -1
                                        ; implicit-def: $vgpr32
	s_branch .LBB213_2234
.LBB213_2226:
	s_mov_b64 s[8:9], -1
                                        ; implicit-def: $vgpr32
	s_branch .LBB213_2231
.LBB213_2227:
	s_mov_b64 s[8:9], -1
                                        ; implicit-def: $vgpr32
.LBB213_2228:
	s_andn2_b64 vcc, exec, s[8:9]
	s_cbranch_vccnz .LBB213_2230
; %bb.2229:
	global_load_dword v3, v[8:9], off
	s_movk_i32 s8, 0x7fff
	v_mov_b32_e32 v5, 0x7fc0
	s_waitcnt vmcnt(0)
	v_bfe_u32 v7, v3, 16, 1
	v_add3_u32 v7, v3, v7, s8
	v_lshrrev_b32_e32 v7, 16, v7
	v_cmp_o_f32_e32 vcc, v3, v3
	v_cndmask_b32_e32 v32, v5, v7, vcc
.LBB213_2230:
	s_mov_b64 s[8:9], 0
.LBB213_2231:
	s_andn2_b64 vcc, exec, s[8:9]
	s_cbranch_vccnz .LBB213_2233
; %bb.2232:
	global_load_dword v3, v[8:9], off
	s_movk_i32 s8, 0x7fff
	v_mov_b32_e32 v7, 0x7fc0
	s_waitcnt vmcnt(0)
	v_cvt_f32_f16_e32 v5, v3
	v_cmp_o_f16_e32 vcc, v3, v3
	v_bfe_u32 v10, v5, 16, 1
	v_add3_u32 v5, v5, v10, s8
	v_lshrrev_b32_e32 v5, 16, v5
	v_cndmask_b32_e32 v32, v7, v5, vcc
.LBB213_2233:
	s_mov_b64 s[8:9], 0
.LBB213_2234:
	s_andn2_b64 vcc, exec, s[8:9]
	s_cbranch_vccnz .LBB213_2245
; %bb.2235:
	v_mov_b32_e32 v3, 6
	v_cmp_lt_i16_sdwa s[8:9], s19, v3 src0_sel:BYTE_0 src1_sel:DWORD
	s_and_b64 vcc, exec, s[8:9]
	s_cbranch_vccnz .LBB213_2238
; %bb.2236:
	v_cmp_gt_i16_sdwa s[8:9], s19, v3 src0_sel:BYTE_0 src1_sel:DWORD
	s_and_b64 vcc, exec, s[8:9]
	s_cbranch_vccz .LBB213_2239
; %bb.2237:
	global_load_dwordx2 v[10:11], v[8:9], off
	s_movk_i32 s8, 0x7fff
	v_mov_b32_e32 v3, 0x7fc0
	s_waitcnt vmcnt(0)
	v_cvt_f32_f64_e32 v5, v[10:11]
	v_bfe_u32 v7, v5, 16, 1
	v_add3_u32 v7, v5, v7, s8
	v_lshrrev_b32_e32 v7, 16, v7
	v_cmp_o_f32_e32 vcc, v5, v5
	v_cndmask_b32_e32 v32, v3, v7, vcc
	s_mov_b64 s[8:9], 0
	s_branch .LBB213_2240
.LBB213_2238:
	s_mov_b64 s[8:9], -1
                                        ; implicit-def: $vgpr32
	s_branch .LBB213_2243
.LBB213_2239:
	s_mov_b64 s[8:9], -1
                                        ; implicit-def: $vgpr32
.LBB213_2240:
	s_andn2_b64 vcc, exec, s[8:9]
	s_cbranch_vccnz .LBB213_2242
; %bb.2241:
	global_load_dword v3, v[8:9], off
	s_movk_i32 s8, 0x7fff
	v_mov_b32_e32 v5, 0x7fc0
	s_waitcnt vmcnt(0)
	v_bfe_u32 v7, v3, 16, 1
	v_add3_u32 v7, v3, v7, s8
	v_lshrrev_b32_e32 v7, 16, v7
	v_cmp_o_f32_e32 vcc, v3, v3
	v_cndmask_b32_e32 v32, v5, v7, vcc
.LBB213_2242:
	s_mov_b64 s[8:9], 0
.LBB213_2243:
	s_andn2_b64 vcc, exec, s[8:9]
	s_cbranch_vccnz .LBB213_2245
; %bb.2244:
	global_load_ushort v3, v[8:9], off
	s_movk_i32 s8, 0x7fff
	v_mov_b32_e32 v7, 0x7fc0
	s_waitcnt vmcnt(0)
	v_cvt_f32_f16_e32 v5, v3
	v_cmp_o_f16_e32 vcc, v3, v3
	v_bfe_u32 v10, v5, 16, 1
	v_add3_u32 v5, v5, v10, s8
	v_lshrrev_b32_e32 v5, 16, v5
	v_cndmask_b32_e32 v32, v7, v5, vcc
.LBB213_2245:
	s_mov_b64 s[8:9], 0
.LBB213_2246:
	s_andn2_b64 vcc, exec, s[8:9]
	s_cbranch_vccnz .LBB213_2266
; %bb.2247:
	v_mov_b32_e32 v3, 2
	v_cmp_lt_i16_sdwa s[8:9], s19, v3 src0_sel:BYTE_0 src1_sel:DWORD
	s_and_b64 vcc, exec, s[8:9]
	s_cbranch_vccnz .LBB213_2251
; %bb.2248:
	v_mov_b32_e32 v3, 3
	v_cmp_lt_i16_sdwa s[8:9], s19, v3 src0_sel:BYTE_0 src1_sel:DWORD
	s_and_b64 vcc, exec, s[8:9]
	s_cbranch_vccnz .LBB213_2252
; %bb.2249:
	v_cmp_gt_i16_sdwa s[8:9], s19, v3 src0_sel:BYTE_0 src1_sel:DWORD
	s_and_b64 vcc, exec, s[8:9]
	s_cbranch_vccz .LBB213_2253
; %bb.2250:
	global_load_dwordx2 v[10:11], v[8:9], off
	s_movk_i32 s8, 0x7fff
	s_waitcnt vmcnt(0)
	v_xor_b32_e32 v5, v10, v11
	v_ffbh_i32_e32 v3, v11
	v_ashrrev_i32_e32 v5, 31, v5
	v_add_u32_e32 v3, -1, v3
	v_add_u32_e32 v5, 32, v5
	v_min_u32_e32 v3, v3, v5
	v_lshlrev_b64 v[10:11], v3, v[10:11]
	v_min_u32_e32 v5, 1, v10
	v_or_b32_e32 v5, v11, v5
	v_cvt_f32_i32_e32 v5, v5
	v_sub_u32_e32 v3, 32, v3
	v_ldexp_f32 v3, v5, v3
	v_bfe_u32 v5, v3, 16, 1
	v_add3_u32 v3, v3, v5, s8
	v_lshrrev_b32_e32 v32, 16, v3
	s_mov_b64 s[8:9], 0
	s_branch .LBB213_2254
.LBB213_2251:
	s_mov_b64 s[8:9], -1
                                        ; implicit-def: $vgpr32
	s_branch .LBB213_2260
.LBB213_2252:
	s_mov_b64 s[8:9], -1
                                        ; implicit-def: $vgpr32
	s_branch .LBB213_2257
.LBB213_2253:
	s_mov_b64 s[8:9], -1
                                        ; implicit-def: $vgpr32
.LBB213_2254:
	s_andn2_b64 vcc, exec, s[8:9]
	s_cbranch_vccnz .LBB213_2256
; %bb.2255:
	global_load_dword v3, v[8:9], off
	s_movk_i32 s8, 0x7fff
	s_waitcnt vmcnt(0)
	v_cvt_f32_i32_e32 v3, v3
	v_bfe_u32 v5, v3, 16, 1
	v_add3_u32 v3, v3, v5, s8
	v_lshrrev_b32_e32 v32, 16, v3
.LBB213_2256:
	s_mov_b64 s[8:9], 0
.LBB213_2257:
	s_andn2_b64 vcc, exec, s[8:9]
	s_cbranch_vccnz .LBB213_2259
; %bb.2258:
	global_load_sshort v3, v[8:9], off
	s_movk_i32 s8, 0x7fff
	s_waitcnt vmcnt(0)
	v_cvt_f32_i32_e32 v3, v3
	v_bfe_u32 v5, v3, 16, 1
	v_add3_u32 v3, v3, v5, s8
	v_lshrrev_b32_e32 v32, 16, v3
.LBB213_2259:
	s_mov_b64 s[8:9], 0
.LBB213_2260:
	s_andn2_b64 vcc, exec, s[8:9]
	s_cbranch_vccnz .LBB213_2266
; %bb.2261:
	v_mov_b32_e32 v3, 0
	v_cmp_gt_i16_sdwa s[8:9], s19, v3 src0_sel:BYTE_0 src1_sel:DWORD
	s_and_b64 vcc, exec, s[8:9]
	s_cbranch_vccz .LBB213_2263
; %bb.2262:
	global_load_sbyte v3, v[8:9], off
	s_movk_i32 s8, 0x7fff
	s_waitcnt vmcnt(0)
	v_cvt_f32_i32_e32 v3, v3
	v_bfe_u32 v5, v3, 16, 1
	v_add3_u32 v3, v3, v5, s8
	v_lshrrev_b32_e32 v32, 16, v3
	s_mov_b64 s[8:9], 0
	s_branch .LBB213_2264
.LBB213_2263:
	s_mov_b64 s[8:9], -1
                                        ; implicit-def: $vgpr32
.LBB213_2264:
	s_andn2_b64 vcc, exec, s[8:9]
	s_cbranch_vccnz .LBB213_2266
; %bb.2265:
	global_load_ubyte v3, v[8:9], off
	s_movk_i32 s8, 0x7fff
	s_waitcnt vmcnt(0)
	v_cvt_f32_ubyte0_e32 v3, v3
	v_bfe_u32 v5, v3, 16, 1
	v_add3_u32 v3, v3, v5, s8
	v_lshrrev_b32_e32 v32, 16, v3
.LBB213_2266:
	s_mov_b64 s[12:13], -1
.LBB213_2267:
	s_andn2_b64 vcc, exec, s[12:13]
	s_cbranch_vccnz .LBB213_3113
; %bb.2268:
	v_mov_b32_e32 v3, s5
	v_add_co_u32_e32 v6, vcc, s4, v6
	v_addc_co_u32_e32 v7, vcc, 0, v3, vcc
	s_and_b64 vcc, exec, s[6:7]
	s_cbranch_vccnz .LBB213_2275
; %bb.2269:
	v_cmp_gt_i16_e64 s[8:9], s20, 25
	s_mov_b64 s[10:11], 0
	s_and_b64 vcc, exec, s[8:9]
	s_cbranch_vccz .LBB213_2276
; %bb.2270:
	v_cmp_gt_i16_e64 s[8:9], s20, 28
	s_and_b64 vcc, exec, s[8:9]
	s_cbranch_vccz .LBB213_2277
; %bb.2271:
	v_cmp_gt_i16_e64 s[8:9], s20, 43
	;; [unrolled: 4-line block ×3, first 2 shown]
	s_and_b64 vcc, exec, s[8:9]
	s_cbranch_vccz .LBB213_2280
; %bb.2273:
	v_cmp_eq_u16_e64 s[8:9], s20, 46
	s_mov_b64 s[14:15], 0
	s_and_b64 vcc, exec, s[8:9]
	s_cbranch_vccz .LBB213_2283
; %bb.2274:
	global_load_dword v33, v[6:7], off
	s_mov_b64 s[8:9], 0
	s_mov_b64 s[12:13], -1
	s_branch .LBB213_2284
.LBB213_2275:
	s_mov_b64 s[8:9], -1
	s_mov_b64 s[12:13], 0
                                        ; implicit-def: $vgpr33
	s_branch .LBB213_2350
.LBB213_2276:
	s_mov_b64 s[14:15], -1
	s_mov_b64 s[12:13], 0
	s_mov_b64 s[8:9], 0
                                        ; implicit-def: $vgpr33
	s_branch .LBB213_2313
.LBB213_2277:
	s_mov_b64 s[14:15], -1
	s_mov_b64 s[12:13], 0
	s_mov_b64 s[8:9], 0
                                        ; implicit-def: $vgpr33
	s_branch .LBB213_2294
.LBB213_2278:
	s_mov_b64 s[14:15], -1
	s_mov_b64 s[12:13], 0
	s_mov_b64 s[8:9], 0
                                        ; implicit-def: $vgpr33
	s_branch .LBB213_2289
.LBB213_2279:
	s_trap 2
	s_or_b64 s[34:35], s[34:35], exec
                                        ; implicit-def: $vgpr32
	s_cbranch_execz .LBB213_2216
	s_branch .LBB213_2217
.LBB213_2280:
	s_mov_b64 s[14:15], -1
	s_mov_b64 s[12:13], 0
	s_mov_b64 s[8:9], 0
                                        ; implicit-def: $vgpr33
	s_branch .LBB213_2284
.LBB213_2281:
	s_or_saveexec_b64 s[12:13], s[12:13]
                                        ; implicit-def: $sgpr14
	s_xor_b64 exec, exec, s[12:13]
	s_cbranch_execz .LBB213_1116
.LBB213_2282:
	s_mov_b32 s14, 0x42800000
	v_add_f32_e64 v4, |v5|, s14
	v_and_b32_e32 v4, 0xff, v4
	v_cmp_ne_u32_e32 vcc, 0, v4
	s_andn2_b64 s[10:11], s[10:11], exec
	s_and_b64 s[16:17], vcc, exec
	s_mov_b32 s14, 0
	s_or_b64 s[10:11], s[10:11], s[16:17]
	s_or_b64 exec, exec, s[12:13]
	v_mov_b32_e32 v6, s14
	s_and_saveexec_b64 s[12:13], s[10:11]
	s_cbranch_execnz .LBB213_1117
	s_branch .LBB213_1118
.LBB213_2283:
	s_mov_b64 s[8:9], -1
                                        ; implicit-def: $vgpr33
	s_mov_b64 s[12:13], 0
.LBB213_2284:
	s_and_b64 vcc, exec, s[14:15]
	s_cbranch_vccz .LBB213_2288
; %bb.2285:
	v_cmp_eq_u16_e64 s[8:9], s20, 44
	s_and_b64 vcc, exec, s[8:9]
	s_cbranch_vccz .LBB213_2287
; %bb.2286:
	global_load_ubyte v3, v[6:7], off
	s_movk_i32 s12, 0xff
	v_mov_b32_e32 v5, 0x7f800001
	v_mov_b32_e32 v8, 0x400000
	;; [unrolled: 1-line block ×3, first 2 shown]
	s_mov_b64 s[8:9], 0
	s_waitcnt vmcnt(0)
	v_lshlrev_b32_e32 v10, 23, v3
	v_cmp_ne_u32_e32 vcc, s12, v3
	v_cndmask_b32_e32 v5, v5, v10, vcc
	v_cmp_ne_u32_e32 vcc, 0, v3
	v_cndmask_b32_e32 v3, v8, v5, vcc
	v_add_u32_e32 v5, 0x7fff, v3
	v_lshrrev_b32_e32 v5, 16, v5
	v_cmp_o_f32_e32 vcc, v3, v3
	v_cndmask_b32_e32 v33, v9, v5, vcc
	s_mov_b64 s[12:13], -1
	s_branch .LBB213_2288
.LBB213_2287:
	s_mov_b64 s[8:9], -1
                                        ; implicit-def: $vgpr33
.LBB213_2288:
	s_mov_b64 s[14:15], 0
.LBB213_2289:
	s_and_b64 vcc, exec, s[14:15]
	s_cbranch_vccz .LBB213_2293
; %bb.2290:
	v_cmp_eq_u16_e64 s[8:9], s20, 29
	s_and_b64 vcc, exec, s[8:9]
	s_cbranch_vccz .LBB213_2292
; %bb.2291:
	global_load_dwordx2 v[8:9], v[6:7], off
	s_movk_i32 s12, 0x7fff
	s_mov_b64 s[8:9], 0
	s_mov_b64 s[14:15], 0
	s_waitcnt vmcnt(0)
	v_ffbh_u32_e32 v3, v9
	v_min_u32_e32 v3, 32, v3
	v_lshlrev_b64 v[8:9], v3, v[8:9]
	v_min_u32_e32 v5, 1, v8
	v_or_b32_e32 v5, v9, v5
	v_cvt_f32_u32_e32 v5, v5
	v_sub_u32_e32 v3, 32, v3
	v_ldexp_f32 v3, v5, v3
	v_bfe_u32 v5, v3, 16, 1
	v_add3_u32 v3, v3, v5, s12
	v_lshrrev_b32_e32 v33, 16, v3
	s_mov_b64 s[12:13], -1
	s_branch .LBB213_2294
.LBB213_2292:
	s_mov_b64 s[8:9], -1
                                        ; implicit-def: $vgpr33
.LBB213_2293:
	s_mov_b64 s[14:15], 0
.LBB213_2294:
	s_and_b64 vcc, exec, s[14:15]
	s_cbranch_vccz .LBB213_2312
; %bb.2295:
	v_cmp_lt_i16_e64 s[12:13], s20, 27
	s_and_b64 vcc, exec, s[12:13]
	s_cbranch_vccnz .LBB213_2298
; %bb.2296:
	v_cmp_gt_i16_e64 s[12:13], s20, 27
	s_and_b64 vcc, exec, s[12:13]
	s_cbranch_vccz .LBB213_2299
; %bb.2297:
	global_load_dword v3, v[6:7], off
	s_movk_i32 s12, 0x7fff
	s_waitcnt vmcnt(0)
	v_cvt_f32_u32_e32 v3, v3
	v_bfe_u32 v5, v3, 16, 1
	v_add3_u32 v3, v3, v5, s12
	v_lshrrev_b32_e32 v33, 16, v3
	s_mov_b64 s[12:13], 0
	s_branch .LBB213_2300
.LBB213_2298:
	s_mov_b64 s[12:13], -1
                                        ; implicit-def: $vgpr33
	s_branch .LBB213_2303
.LBB213_2299:
	s_mov_b64 s[12:13], -1
                                        ; implicit-def: $vgpr33
.LBB213_2300:
	s_andn2_b64 vcc, exec, s[12:13]
	s_cbranch_vccnz .LBB213_2302
; %bb.2301:
	global_load_ushort v3, v[6:7], off
	s_movk_i32 s12, 0x7fff
	s_waitcnt vmcnt(0)
	v_cvt_f32_u32_e32 v3, v3
	v_bfe_u32 v5, v3, 16, 1
	v_add3_u32 v3, v3, v5, s12
	v_lshrrev_b32_e32 v33, 16, v3
.LBB213_2302:
	s_mov_b64 s[12:13], 0
.LBB213_2303:
	s_andn2_b64 vcc, exec, s[12:13]
	s_cbranch_vccnz .LBB213_2311
; %bb.2304:
	global_load_ubyte v3, v[6:7], off
	s_movk_i32 s12, 0x7f
                                        ; implicit-def: $sgpr21
	s_waitcnt vmcnt(0)
	v_cmp_lt_i16_e32 vcc, s12, v3
	s_mov_b64 s[12:13], 0
	s_and_saveexec_b64 s[14:15], vcc
	s_xor_b64 s[14:15], exec, s[14:15]
	s_cbranch_execz .LBB213_2325
; %bb.2305:
	s_movk_i32 s12, 0x80
	v_cmp_eq_u16_e32 vcc, s12, v3
	s_mov_b64 s[12:13], -1
                                        ; implicit-def: $sgpr21
	s_and_saveexec_b64 s[16:17], vcc
; %bb.2306:
	s_mov_b32 s21, 0x7f800001
	s_xor_b64 s[12:13], exec, -1
; %bb.2307:
	s_or_b64 exec, exec, s[16:17]
	s_and_b64 s[12:13], s[12:13], exec
	s_or_saveexec_b64 s[14:15], s[14:15]
	v_mov_b32_e32 v5, s21
	s_xor_b64 exec, exec, s[14:15]
	s_cbranch_execnz .LBB213_2326
.LBB213_2308:
	s_or_b64 exec, exec, s[14:15]
	s_and_saveexec_b64 s[14:15], s[12:13]
	s_cbranch_execz .LBB213_2310
.LBB213_2309:
	v_lshlrev_b32_e32 v5, 24, v3
	v_and_b32_e32 v3, 0xffff, v3
	v_and_b32_e32 v8, 7, v3
	v_ffbh_u32_e32 v10, v8
	v_min_u32_e32 v10, 32, v10
	v_subrev_u32_e32 v11, 28, v10
	v_bfe_u32 v9, v3, 3, 4
	v_lshlrev_b32_e32 v3, v11, v3
	v_sub_u32_e32 v10, 29, v10
	v_and_b32_e32 v3, 7, v3
	v_cmp_eq_u32_e32 vcc, 0, v9
	v_cndmask_b32_e32 v9, v9, v10, vcc
	v_cndmask_b32_e32 v3, v8, v3, vcc
	v_mov_b32_e32 v8, 0x3b800000
	v_lshlrev_b32_e32 v3, 20, v3
	v_and_b32_e32 v5, 0x80000000, v5
	v_lshl_add_u32 v8, v9, 23, v8
	v_or3_b32 v5, v5, v8, v3
.LBB213_2310:
	s_or_b64 exec, exec, s[14:15]
	v_bfe_u32 v3, v5, 16, 1
	s_movk_i32 s12, 0x7fff
	v_add3_u32 v3, v5, v3, s12
	v_lshrrev_b32_e32 v3, 16, v3
	v_mov_b32_e32 v8, 0x7fc0
	v_cmp_o_f32_e32 vcc, v5, v5
	v_cndmask_b32_e32 v33, v8, v3, vcc
.LBB213_2311:
	s_mov_b64 s[12:13], -1
.LBB213_2312:
	s_mov_b64 s[14:15], 0
.LBB213_2313:
	s_and_b64 vcc, exec, s[14:15]
	s_cbranch_vccz .LBB213_2346
; %bb.2314:
	v_cmp_gt_i16_e64 s[10:11], s20, 22
	s_and_b64 vcc, exec, s[10:11]
	s_cbranch_vccz .LBB213_2324
; %bb.2315:
	v_cmp_lt_i16_e64 s[10:11], s20, 24
	s_and_b64 vcc, exec, s[10:11]
	s_cbranch_vccnz .LBB213_2327
; %bb.2316:
	v_cmp_gt_i16_e64 s[10:11], s20, 24
	s_and_b64 vcc, exec, s[10:11]
	s_cbranch_vccz .LBB213_2328
; %bb.2317:
	global_load_ubyte v3, v[6:7], off
	s_movk_i32 s10, 0x7f
                                        ; implicit-def: $sgpr16
	s_waitcnt vmcnt(0)
	v_cmp_lt_i16_e32 vcc, s10, v3
	s_mov_b64 s[10:11], 0
	s_and_saveexec_b64 s[12:13], vcc
	s_xor_b64 s[12:13], exec, s[12:13]
	s_cbranch_execz .LBB213_2340
; %bb.2318:
	s_movk_i32 s10, 0x80
	v_cmp_eq_u16_e32 vcc, s10, v3
	s_mov_b64 s[10:11], -1
                                        ; implicit-def: $sgpr16
	s_and_saveexec_b64 s[14:15], vcc
; %bb.2319:
	s_mov_b32 s16, 0x7f800001
	s_xor_b64 s[10:11], exec, -1
; %bb.2320:
	s_or_b64 exec, exec, s[14:15]
	s_and_b64 s[10:11], s[10:11], exec
	s_or_saveexec_b64 s[12:13], s[12:13]
	v_mov_b32_e32 v5, s16
	s_xor_b64 exec, exec, s[12:13]
	s_cbranch_execnz .LBB213_2341
.LBB213_2321:
	s_or_b64 exec, exec, s[12:13]
	s_and_saveexec_b64 s[12:13], s[10:11]
	s_cbranch_execz .LBB213_2323
.LBB213_2322:
	v_lshlrev_b32_e32 v5, 24, v3
	v_and_b32_e32 v3, 0xffff, v3
	v_and_b32_e32 v8, 3, v3
	v_ffbh_u32_e32 v10, v8
	v_min_u32_e32 v10, 32, v10
	v_subrev_u32_e32 v11, 29, v10
	v_bfe_u32 v9, v3, 2, 5
	v_lshlrev_b32_e32 v3, v11, v3
	v_sub_u32_e32 v10, 30, v10
	v_and_b32_e32 v3, 3, v3
	v_cmp_eq_u32_e32 vcc, 0, v9
	v_cndmask_b32_e32 v9, v9, v10, vcc
	v_cndmask_b32_e32 v3, v8, v3, vcc
	v_mov_b32_e32 v8, 0x37800000
	v_lshlrev_b32_e32 v3, 21, v3
	v_and_b32_e32 v5, 0x80000000, v5
	v_lshl_add_u32 v8, v9, 23, v8
	v_or3_b32 v5, v5, v8, v3
.LBB213_2323:
	s_or_b64 exec, exec, s[12:13]
	v_bfe_u32 v3, v5, 16, 1
	s_movk_i32 s10, 0x7fff
	v_add3_u32 v3, v5, v3, s10
	v_lshrrev_b32_e32 v3, 16, v3
	v_mov_b32_e32 v8, 0x7fc0
	v_cmp_o_f32_e32 vcc, v5, v5
	v_cndmask_b32_e32 v33, v8, v3, vcc
	s_mov_b64 s[10:11], 0
	s_branch .LBB213_2329
.LBB213_2324:
	s_mov_b64 s[10:11], -1
                                        ; implicit-def: $vgpr33
	s_branch .LBB213_2335
.LBB213_2325:
	s_or_saveexec_b64 s[14:15], s[14:15]
	v_mov_b32_e32 v5, s21
	s_xor_b64 exec, exec, s[14:15]
	s_cbranch_execz .LBB213_2308
.LBB213_2326:
	v_cmp_ne_u16_e32 vcc, 0, v3
	s_andn2_b64 s[12:13], s[12:13], exec
	s_and_b64 s[16:17], vcc, exec
	v_mov_b32_e32 v5, 0
	s_or_b64 s[12:13], s[12:13], s[16:17]
	s_or_b64 exec, exec, s[14:15]
	s_and_saveexec_b64 s[14:15], s[12:13]
	s_cbranch_execnz .LBB213_2309
	s_branch .LBB213_2310
.LBB213_2327:
	s_mov_b64 s[10:11], -1
                                        ; implicit-def: $vgpr33
	s_branch .LBB213_2332
.LBB213_2328:
	s_mov_b64 s[10:11], -1
                                        ; implicit-def: $vgpr33
.LBB213_2329:
	s_and_b64 vcc, exec, s[10:11]
	s_cbranch_vccz .LBB213_2331
; %bb.2330:
	global_load_ubyte v3, v[6:7], off
	s_mov_b32 s10, 0x7f800000
	s_brev_b32 s11, 1
	s_movk_i32 s12, 0x7fff
	v_mov_b32_e32 v5, 0x7fc0
	s_waitcnt vmcnt(0)
	v_lshlrev_b32_e32 v3, 24, v3
	v_and_b32_e32 v8, 0x7f000000, v3
	v_ffbh_u32_e32 v9, v8
	v_min_u32_e32 v9, 32, v9
	v_sub_u32_e64 v9, v9, 4 clamp
	v_lshlrev_b32_e32 v11, v9, v8
	v_lshlrev_b32_e32 v9, 23, v9
	v_lshrrev_b32_e32 v11, 4, v11
	v_add_u32_e32 v10, 0x1000000, v8
	v_sub_u32_e32 v9, v11, v9
	v_ashrrev_i32_e32 v10, 8, v10
	v_add_u32_e32 v9, 0x3c000000, v9
	v_and_or_b32 v9, v10, s10, v9
	v_cmp_ne_u32_e32 vcc, 0, v8
	v_cndmask_b32_e32 v8, 0, v9, vcc
	v_and_or_b32 v3, v3, s11, v8
	v_bfe_u32 v8, v8, 16, 1
	v_add3_u32 v8, v3, v8, s12
	v_lshrrev_b32_e32 v8, 16, v8
	v_cmp_o_f32_e32 vcc, v3, v3
	v_cndmask_b32_e32 v33, v5, v8, vcc
.LBB213_2331:
	s_mov_b64 s[10:11], 0
.LBB213_2332:
	s_andn2_b64 vcc, exec, s[10:11]
	s_cbranch_vccnz .LBB213_2334
; %bb.2333:
	global_load_ubyte v3, v[6:7], off
	s_movk_i32 s10, 0x7f00
	s_brev_b32 s11, 16
	s_brev_b32 s12, 1
	s_movk_i32 s13, 0x7fff
	v_mov_b32_e32 v5, 0x7fc0
	s_waitcnt vmcnt(0)
	v_lshlrev_b16_e32 v8, 8, v3
	v_lshlrev_b32_e32 v3, 25, v3
	v_lshrrev_b32_e32 v9, 4, v3
	v_and_or_b32 v10, v8, s10, 0.5
	v_or_b32_e32 v9, 0x70000000, v9
	v_add_f32_e32 v10, -0.5, v10
	v_mul_f32_e32 v9, 0x7800000, v9
	v_cmp_gt_u32_e32 vcc, s11, v3
	v_bfe_i32 v8, v8, 0, 16
	v_cndmask_b32_e32 v3, v9, v10, vcc
	v_and_or_b32 v8, v8, s12, v3
	v_bfe_u32 v3, v3, 16, 1
	v_add3_u32 v3, v8, v3, s13
	v_lshrrev_b32_e32 v3, 16, v3
	v_cmp_o_f32_e32 vcc, v8, v8
	v_cndmask_b32_e32 v33, v5, v3, vcc
.LBB213_2334:
	s_mov_b64 s[10:11], 0
	s_mov_b64 s[12:13], -1
.LBB213_2335:
	s_andn2_b64 vcc, exec, s[10:11]
	s_mov_b64 s[10:11], 0
	s_cbranch_vccnz .LBB213_2346
; %bb.2336:
	v_cmp_gt_i16_e64 s[10:11], s20, 14
	s_and_b64 vcc, exec, s[10:11]
	s_cbranch_vccz .LBB213_2339
; %bb.2337:
	v_cmp_eq_u16_e64 s[8:9], s20, 15
	s_and_b64 vcc, exec, s[8:9]
	s_cbranch_vccz .LBB213_2342
; %bb.2338:
	global_load_ushort v33, v[6:7], off
	s_mov_b64 s[8:9], 0
	s_mov_b64 s[12:13], -1
	s_branch .LBB213_2343
.LBB213_2339:
	s_mov_b64 s[14:15], -1
                                        ; implicit-def: $vgpr33
	s_branch .LBB213_2344
.LBB213_2340:
	s_or_saveexec_b64 s[12:13], s[12:13]
	v_mov_b32_e32 v5, s16
	s_xor_b64 exec, exec, s[12:13]
	s_cbranch_execz .LBB213_2321
.LBB213_2341:
	v_cmp_ne_u16_e32 vcc, 0, v3
	s_andn2_b64 s[10:11], s[10:11], exec
	s_and_b64 s[14:15], vcc, exec
	v_mov_b32_e32 v5, 0
	s_or_b64 s[10:11], s[10:11], s[14:15]
	s_or_b64 exec, exec, s[12:13]
	s_and_saveexec_b64 s[12:13], s[10:11]
	s_cbranch_execnz .LBB213_2322
	s_branch .LBB213_2323
.LBB213_2342:
	s_mov_b64 s[8:9], -1
                                        ; implicit-def: $vgpr33
.LBB213_2343:
	s_mov_b64 s[14:15], 0
.LBB213_2344:
	s_mov_b64 s[10:11], 0
	s_and_b64 vcc, exec, s[14:15]
	s_cbranch_vccz .LBB213_2346
; %bb.2345:
	v_cmp_ne_u16_e64 s[8:9], s20, 11
	s_mov_b64 s[10:11], -1
                                        ; implicit-def: $vgpr33
.LBB213_2346:
	s_and_b64 vcc, exec, s[8:9]
	s_cbranch_vccnz .LBB213_2411
; %bb.2347:
	s_andn2_b64 vcc, exec, s[10:11]
	s_cbranch_vccnz .LBB213_2349
.LBB213_2348:
	global_load_ubyte v3, v[6:7], off
	s_mov_b64 s[12:13], -1
	s_waitcnt vmcnt(0)
	v_cmp_ne_u16_e32 vcc, 0, v3
	v_cndmask_b32_e64 v3, 0, 1.0, vcc
	v_lshrrev_b32_e32 v33, 16, v3
.LBB213_2349:
	s_mov_b64 s[8:9], 0
.LBB213_2350:
	s_and_b64 vcc, exec, s[8:9]
	s_cbranch_vccz .LBB213_2399
; %bb.2351:
	v_cmp_lt_i16_e64 s[8:9], s20, 5
	s_and_b64 vcc, exec, s[8:9]
	s_cbranch_vccnz .LBB213_2356
; %bb.2352:
	v_cmp_lt_i16_e64 s[8:9], s20, 8
	s_and_b64 vcc, exec, s[8:9]
	s_cbranch_vccnz .LBB213_2357
	;; [unrolled: 4-line block ×3, first 2 shown]
; %bb.2354:
	v_cmp_gt_i16_e64 s[8:9], s20, 9
	s_and_b64 vcc, exec, s[8:9]
	s_cbranch_vccz .LBB213_2359
; %bb.2355:
	global_load_dwordx2 v[8:9], v[6:7], off
	s_movk_i32 s8, 0x7fff
	v_mov_b32_e32 v3, 0x7fc0
	s_waitcnt vmcnt(0)
	v_cvt_f32_f64_e32 v5, v[8:9]
	v_bfe_u32 v8, v5, 16, 1
	v_add3_u32 v8, v5, v8, s8
	v_lshrrev_b32_e32 v8, 16, v8
	v_cmp_o_f32_e32 vcc, v5, v5
	v_cndmask_b32_e32 v33, v3, v8, vcc
	s_mov_b64 s[8:9], 0
	s_branch .LBB213_2360
.LBB213_2356:
	s_mov_b64 s[8:9], -1
                                        ; implicit-def: $vgpr33
	s_branch .LBB213_2378
.LBB213_2357:
	s_mov_b64 s[8:9], -1
                                        ; implicit-def: $vgpr33
	s_branch .LBB213_2366
.LBB213_2358:
	s_mov_b64 s[8:9], -1
                                        ; implicit-def: $vgpr33
	s_branch .LBB213_2363
.LBB213_2359:
	s_mov_b64 s[8:9], -1
                                        ; implicit-def: $vgpr33
.LBB213_2360:
	s_andn2_b64 vcc, exec, s[8:9]
	s_cbranch_vccnz .LBB213_2362
; %bb.2361:
	global_load_dword v3, v[6:7], off
	s_movk_i32 s8, 0x7fff
	v_mov_b32_e32 v5, 0x7fc0
	s_waitcnt vmcnt(0)
	v_bfe_u32 v8, v3, 16, 1
	v_add3_u32 v8, v3, v8, s8
	v_lshrrev_b32_e32 v8, 16, v8
	v_cmp_o_f32_e32 vcc, v3, v3
	v_cndmask_b32_e32 v33, v5, v8, vcc
.LBB213_2362:
	s_mov_b64 s[8:9], 0
.LBB213_2363:
	s_andn2_b64 vcc, exec, s[8:9]
	s_cbranch_vccnz .LBB213_2365
; %bb.2364:
	global_load_dword v3, v[6:7], off
	s_movk_i32 s8, 0x7fff
	v_mov_b32_e32 v8, 0x7fc0
	s_waitcnt vmcnt(0)
	v_cvt_f32_f16_e32 v5, v3
	v_cmp_o_f16_e32 vcc, v3, v3
	v_bfe_u32 v9, v5, 16, 1
	v_add3_u32 v5, v5, v9, s8
	v_lshrrev_b32_e32 v5, 16, v5
	v_cndmask_b32_e32 v33, v8, v5, vcc
.LBB213_2365:
	s_mov_b64 s[8:9], 0
.LBB213_2366:
	s_andn2_b64 vcc, exec, s[8:9]
	s_cbranch_vccnz .LBB213_2377
; %bb.2367:
	v_cmp_lt_i16_e64 s[8:9], s20, 6
	s_and_b64 vcc, exec, s[8:9]
	s_cbranch_vccnz .LBB213_2370
; %bb.2368:
	v_cmp_gt_i16_e64 s[8:9], s20, 6
	s_and_b64 vcc, exec, s[8:9]
	s_cbranch_vccz .LBB213_2371
; %bb.2369:
	global_load_dwordx2 v[8:9], v[6:7], off
	s_movk_i32 s8, 0x7fff
	v_mov_b32_e32 v3, 0x7fc0
	s_waitcnt vmcnt(0)
	v_cvt_f32_f64_e32 v5, v[8:9]
	v_bfe_u32 v8, v5, 16, 1
	v_add3_u32 v8, v5, v8, s8
	v_lshrrev_b32_e32 v8, 16, v8
	v_cmp_o_f32_e32 vcc, v5, v5
	v_cndmask_b32_e32 v33, v3, v8, vcc
	s_mov_b64 s[8:9], 0
	s_branch .LBB213_2372
.LBB213_2370:
	s_mov_b64 s[8:9], -1
                                        ; implicit-def: $vgpr33
	s_branch .LBB213_2375
.LBB213_2371:
	s_mov_b64 s[8:9], -1
                                        ; implicit-def: $vgpr33
.LBB213_2372:
	s_andn2_b64 vcc, exec, s[8:9]
	s_cbranch_vccnz .LBB213_2374
; %bb.2373:
	global_load_dword v3, v[6:7], off
	s_movk_i32 s8, 0x7fff
	v_mov_b32_e32 v5, 0x7fc0
	s_waitcnt vmcnt(0)
	v_bfe_u32 v8, v3, 16, 1
	v_add3_u32 v8, v3, v8, s8
	v_lshrrev_b32_e32 v8, 16, v8
	v_cmp_o_f32_e32 vcc, v3, v3
	v_cndmask_b32_e32 v33, v5, v8, vcc
.LBB213_2374:
	s_mov_b64 s[8:9], 0
.LBB213_2375:
	s_andn2_b64 vcc, exec, s[8:9]
	s_cbranch_vccnz .LBB213_2377
; %bb.2376:
	global_load_ushort v3, v[6:7], off
	s_movk_i32 s8, 0x7fff
	v_mov_b32_e32 v8, 0x7fc0
	s_waitcnt vmcnt(0)
	v_cvt_f32_f16_e32 v5, v3
	v_cmp_o_f16_e32 vcc, v3, v3
	v_bfe_u32 v9, v5, 16, 1
	v_add3_u32 v5, v5, v9, s8
	v_lshrrev_b32_e32 v5, 16, v5
	v_cndmask_b32_e32 v33, v8, v5, vcc
.LBB213_2377:
	s_mov_b64 s[8:9], 0
.LBB213_2378:
	s_andn2_b64 vcc, exec, s[8:9]
	s_cbranch_vccnz .LBB213_2398
; %bb.2379:
	v_cmp_lt_i16_e64 s[8:9], s20, 2
	s_and_b64 vcc, exec, s[8:9]
	s_cbranch_vccnz .LBB213_2383
; %bb.2380:
	v_cmp_lt_i16_e64 s[8:9], s20, 3
	s_and_b64 vcc, exec, s[8:9]
	s_cbranch_vccnz .LBB213_2384
; %bb.2381:
	v_cmp_gt_i16_e64 s[8:9], s20, 3
	s_and_b64 vcc, exec, s[8:9]
	s_cbranch_vccz .LBB213_2385
; %bb.2382:
	global_load_dwordx2 v[8:9], v[6:7], off
	s_movk_i32 s8, 0x7fff
	s_waitcnt vmcnt(0)
	v_xor_b32_e32 v5, v8, v9
	v_ffbh_i32_e32 v3, v9
	v_ashrrev_i32_e32 v5, 31, v5
	v_add_u32_e32 v3, -1, v3
	v_add_u32_e32 v5, 32, v5
	v_min_u32_e32 v3, v3, v5
	v_lshlrev_b64 v[8:9], v3, v[8:9]
	v_min_u32_e32 v5, 1, v8
	v_or_b32_e32 v5, v9, v5
	v_cvt_f32_i32_e32 v5, v5
	v_sub_u32_e32 v3, 32, v3
	v_ldexp_f32 v3, v5, v3
	v_bfe_u32 v5, v3, 16, 1
	v_add3_u32 v3, v3, v5, s8
	v_lshrrev_b32_e32 v33, 16, v3
	s_mov_b64 s[8:9], 0
	s_branch .LBB213_2386
.LBB213_2383:
	s_mov_b64 s[8:9], -1
                                        ; implicit-def: $vgpr33
	s_branch .LBB213_2392
.LBB213_2384:
	s_mov_b64 s[8:9], -1
                                        ; implicit-def: $vgpr33
	s_branch .LBB213_2389
.LBB213_2385:
	s_mov_b64 s[8:9], -1
                                        ; implicit-def: $vgpr33
.LBB213_2386:
	s_andn2_b64 vcc, exec, s[8:9]
	s_cbranch_vccnz .LBB213_2388
; %bb.2387:
	global_load_dword v3, v[6:7], off
	s_movk_i32 s8, 0x7fff
	s_waitcnt vmcnt(0)
	v_cvt_f32_i32_e32 v3, v3
	v_bfe_u32 v5, v3, 16, 1
	v_add3_u32 v3, v3, v5, s8
	v_lshrrev_b32_e32 v33, 16, v3
.LBB213_2388:
	s_mov_b64 s[8:9], 0
.LBB213_2389:
	s_andn2_b64 vcc, exec, s[8:9]
	s_cbranch_vccnz .LBB213_2391
; %bb.2390:
	global_load_sshort v3, v[6:7], off
	s_movk_i32 s8, 0x7fff
	s_waitcnt vmcnt(0)
	v_cvt_f32_i32_e32 v3, v3
	v_bfe_u32 v5, v3, 16, 1
	v_add3_u32 v3, v3, v5, s8
	v_lshrrev_b32_e32 v33, 16, v3
.LBB213_2391:
	s_mov_b64 s[8:9], 0
.LBB213_2392:
	s_andn2_b64 vcc, exec, s[8:9]
	s_cbranch_vccnz .LBB213_2398
; %bb.2393:
	v_cmp_gt_i16_e64 s[8:9], s20, 0
	s_and_b64 vcc, exec, s[8:9]
	s_cbranch_vccz .LBB213_2395
; %bb.2394:
	global_load_sbyte v3, v[6:7], off
	s_movk_i32 s8, 0x7fff
	s_waitcnt vmcnt(0)
	v_cvt_f32_i32_e32 v3, v3
	v_bfe_u32 v5, v3, 16, 1
	v_add3_u32 v3, v3, v5, s8
	v_lshrrev_b32_e32 v33, 16, v3
	s_mov_b64 s[8:9], 0
	s_branch .LBB213_2396
.LBB213_2395:
	s_mov_b64 s[8:9], -1
                                        ; implicit-def: $vgpr33
.LBB213_2396:
	s_andn2_b64 vcc, exec, s[8:9]
	s_cbranch_vccnz .LBB213_2398
; %bb.2397:
	global_load_ubyte v3, v[6:7], off
	s_movk_i32 s8, 0x7fff
	s_waitcnt vmcnt(0)
	v_cvt_f32_ubyte0_e32 v3, v3
	v_bfe_u32 v5, v3, 16, 1
	v_add3_u32 v3, v3, v5, s8
	v_lshrrev_b32_e32 v33, 16, v3
.LBB213_2398:
	s_mov_b64 s[12:13], -1
.LBB213_2399:
	s_andn2_b64 vcc, exec, s[12:13]
	s_cbranch_vccnz .LBB213_3113
; %bb.2400:
	v_mov_b32_e32 v3, s27
	v_add_co_u32_e32 v4, vcc, s26, v4
	v_addc_co_u32_e32 v5, vcc, 0, v3, vcc
	v_mov_b32_e32 v3, 11
	v_cmp_lt_i16_sdwa s[8:9], s19, v3 src0_sel:BYTE_0 src1_sel:DWORD
	s_and_b64 vcc, exec, s[8:9]
	s_cbranch_vccnz .LBB213_2407
; %bb.2401:
	v_mov_b32_e32 v3, 25
	v_cmp_gt_i16_sdwa s[8:9], s19, v3 src0_sel:BYTE_0 src1_sel:DWORD
	s_mov_b64 s[10:11], 0
	s_and_b64 vcc, exec, s[8:9]
	s_cbranch_vccz .LBB213_2408
; %bb.2402:
	v_mov_b32_e32 v3, 28
	v_cmp_gt_i16_sdwa s[8:9], s19, v3 src0_sel:BYTE_0 src1_sel:DWORD
	s_and_b64 vcc, exec, s[8:9]
	s_cbranch_vccz .LBB213_2409
; %bb.2403:
	v_mov_b32_e32 v3, 43
	v_cmp_gt_i16_sdwa s[8:9], s19, v3 src0_sel:BYTE_0 src1_sel:DWORD
	;; [unrolled: 5-line block ×3, first 2 shown]
	s_and_b64 vcc, exec, s[8:9]
	s_cbranch_vccz .LBB213_2412
; %bb.2405:
	v_mov_b32_e32 v3, 46
	v_cmp_eq_u16_sdwa s[8:9], s19, v3 src0_sel:BYTE_0 src1_sel:DWORD
	s_mov_b64 s[14:15], 0
	s_and_b64 vcc, exec, s[8:9]
	s_cbranch_vccz .LBB213_2413
; %bb.2406:
	global_load_dword v34, v[4:5], off
	s_mov_b64 s[8:9], 0
	s_mov_b64 s[12:13], -1
	s_branch .LBB213_2414
.LBB213_2407:
	s_mov_b64 s[8:9], -1
	s_mov_b64 s[12:13], 0
                                        ; implicit-def: $vgpr34
	s_branch .LBB213_2480
.LBB213_2408:
	s_mov_b64 s[14:15], -1
	s_mov_b64 s[12:13], 0
	s_mov_b64 s[8:9], 0
                                        ; implicit-def: $vgpr34
	s_branch .LBB213_2443
.LBB213_2409:
	s_mov_b64 s[14:15], -1
	s_mov_b64 s[12:13], 0
	s_mov_b64 s[8:9], 0
                                        ; implicit-def: $vgpr34
	s_branch .LBB213_2424
.LBB213_2410:
	s_mov_b64 s[14:15], -1
	s_mov_b64 s[12:13], 0
	s_mov_b64 s[8:9], 0
                                        ; implicit-def: $vgpr34
	s_branch .LBB213_2419
.LBB213_2411:
	s_trap 2
	s_or_b64 s[34:35], s[34:35], exec
                                        ; implicit-def: $vgpr33
	s_cbranch_execz .LBB213_2348
	s_branch .LBB213_2349
.LBB213_2412:
	s_mov_b64 s[14:15], -1
	s_mov_b64 s[12:13], 0
	s_mov_b64 s[8:9], 0
                                        ; implicit-def: $vgpr34
	s_branch .LBB213_2414
.LBB213_2413:
	s_mov_b64 s[8:9], -1
                                        ; implicit-def: $vgpr34
	s_mov_b64 s[12:13], 0
.LBB213_2414:
	s_and_b64 vcc, exec, s[14:15]
	s_cbranch_vccz .LBB213_2418
; %bb.2415:
	v_mov_b32_e32 v3, 44
	v_cmp_eq_u16_sdwa s[8:9], s19, v3 src0_sel:BYTE_0 src1_sel:DWORD
	s_and_b64 vcc, exec, s[8:9]
	s_cbranch_vccz .LBB213_2417
; %bb.2416:
	global_load_ubyte v3, v[4:5], off
	s_movk_i32 s12, 0xff
	v_mov_b32_e32 v6, 0x7f800001
	v_mov_b32_e32 v7, 0x400000
	v_mov_b32_e32 v8, 0x7fc0
	s_mov_b64 s[8:9], 0
	s_waitcnt vmcnt(0)
	v_lshlrev_b32_e32 v9, 23, v3
	v_cmp_ne_u32_e32 vcc, s12, v3
	v_cndmask_b32_e32 v6, v6, v9, vcc
	v_cmp_ne_u32_e32 vcc, 0, v3
	v_cndmask_b32_e32 v3, v7, v6, vcc
	v_add_u32_e32 v6, 0x7fff, v3
	v_lshrrev_b32_e32 v6, 16, v6
	v_cmp_o_f32_e32 vcc, v3, v3
	v_cndmask_b32_e32 v34, v8, v6, vcc
	s_mov_b64 s[12:13], -1
	s_branch .LBB213_2418
.LBB213_2417:
	s_mov_b64 s[8:9], -1
                                        ; implicit-def: $vgpr34
.LBB213_2418:
	s_mov_b64 s[14:15], 0
.LBB213_2419:
	s_and_b64 vcc, exec, s[14:15]
	s_cbranch_vccz .LBB213_2423
; %bb.2420:
	v_mov_b32_e32 v3, 29
	v_cmp_eq_u16_sdwa s[8:9], s19, v3 src0_sel:BYTE_0 src1_sel:DWORD
	s_and_b64 vcc, exec, s[8:9]
	s_cbranch_vccz .LBB213_2422
; %bb.2421:
	global_load_dwordx2 v[6:7], v[4:5], off
	s_movk_i32 s12, 0x7fff
	s_mov_b64 s[8:9], 0
	s_mov_b64 s[14:15], 0
	s_waitcnt vmcnt(0)
	v_ffbh_u32_e32 v3, v7
	v_min_u32_e32 v3, 32, v3
	v_lshlrev_b64 v[6:7], v3, v[6:7]
	v_min_u32_e32 v6, 1, v6
	v_or_b32_e32 v6, v7, v6
	v_cvt_f32_u32_e32 v6, v6
	v_sub_u32_e32 v3, 32, v3
	v_ldexp_f32 v3, v6, v3
	v_bfe_u32 v6, v3, 16, 1
	v_add3_u32 v3, v3, v6, s12
	v_lshrrev_b32_e32 v34, 16, v3
	s_mov_b64 s[12:13], -1
	s_branch .LBB213_2424
.LBB213_2422:
	s_mov_b64 s[8:9], -1
                                        ; implicit-def: $vgpr34
.LBB213_2423:
	s_mov_b64 s[14:15], 0
.LBB213_2424:
	s_and_b64 vcc, exec, s[14:15]
	s_cbranch_vccz .LBB213_2442
; %bb.2425:
	v_mov_b32_e32 v3, 27
	v_cmp_lt_i16_sdwa s[12:13], s19, v3 src0_sel:BYTE_0 src1_sel:DWORD
	s_and_b64 vcc, exec, s[12:13]
	s_cbranch_vccnz .LBB213_2428
; %bb.2426:
	v_cmp_gt_i16_sdwa s[12:13], s19, v3 src0_sel:BYTE_0 src1_sel:DWORD
	s_and_b64 vcc, exec, s[12:13]
	s_cbranch_vccz .LBB213_2429
; %bb.2427:
	global_load_dword v3, v[4:5], off
	s_movk_i32 s12, 0x7fff
	s_waitcnt vmcnt(0)
	v_cvt_f32_u32_e32 v3, v3
	v_bfe_u32 v6, v3, 16, 1
	v_add3_u32 v3, v3, v6, s12
	v_lshrrev_b32_e32 v34, 16, v3
	s_mov_b64 s[12:13], 0
	s_branch .LBB213_2430
.LBB213_2428:
	s_mov_b64 s[12:13], -1
                                        ; implicit-def: $vgpr34
	s_branch .LBB213_2433
.LBB213_2429:
	s_mov_b64 s[12:13], -1
                                        ; implicit-def: $vgpr34
.LBB213_2430:
	s_andn2_b64 vcc, exec, s[12:13]
	s_cbranch_vccnz .LBB213_2432
; %bb.2431:
	global_load_ushort v3, v[4:5], off
	s_movk_i32 s12, 0x7fff
	s_waitcnt vmcnt(0)
	v_cvt_f32_u32_e32 v3, v3
	v_bfe_u32 v6, v3, 16, 1
	v_add3_u32 v3, v3, v6, s12
	v_lshrrev_b32_e32 v34, 16, v3
.LBB213_2432:
	s_mov_b64 s[12:13], 0
.LBB213_2433:
	s_andn2_b64 vcc, exec, s[12:13]
	s_cbranch_vccnz .LBB213_2441
; %bb.2434:
	global_load_ubyte v3, v[4:5], off
	s_movk_i32 s12, 0x7f
                                        ; implicit-def: $sgpr21
	s_waitcnt vmcnt(0)
	v_cmp_lt_i16_e32 vcc, s12, v3
	s_mov_b64 s[12:13], 0
	s_and_saveexec_b64 s[14:15], vcc
	s_xor_b64 s[14:15], exec, s[14:15]
	s_cbranch_execz .LBB213_2455
; %bb.2435:
	s_movk_i32 s12, 0x80
	v_cmp_eq_u16_e32 vcc, s12, v3
	s_mov_b64 s[12:13], -1
                                        ; implicit-def: $sgpr21
	s_and_saveexec_b64 s[16:17], vcc
; %bb.2436:
	s_mov_b32 s21, 0x7f800001
	s_xor_b64 s[12:13], exec, -1
; %bb.2437:
	s_or_b64 exec, exec, s[16:17]
	s_and_b64 s[12:13], s[12:13], exec
	s_or_saveexec_b64 s[14:15], s[14:15]
	v_mov_b32_e32 v6, s21
	s_xor_b64 exec, exec, s[14:15]
	s_cbranch_execnz .LBB213_2456
.LBB213_2438:
	s_or_b64 exec, exec, s[14:15]
	s_and_saveexec_b64 s[14:15], s[12:13]
	s_cbranch_execz .LBB213_2440
.LBB213_2439:
	v_lshlrev_b32_e32 v6, 24, v3
	v_and_b32_e32 v3, 0xffff, v3
	v_and_b32_e32 v7, 7, v3
	v_ffbh_u32_e32 v9, v7
	v_min_u32_e32 v9, 32, v9
	v_subrev_u32_e32 v10, 28, v9
	v_bfe_u32 v8, v3, 3, 4
	v_lshlrev_b32_e32 v3, v10, v3
	v_sub_u32_e32 v9, 29, v9
	v_and_b32_e32 v3, 7, v3
	v_cmp_eq_u32_e32 vcc, 0, v8
	v_cndmask_b32_e32 v8, v8, v9, vcc
	v_cndmask_b32_e32 v3, v7, v3, vcc
	v_mov_b32_e32 v7, 0x3b800000
	v_lshlrev_b32_e32 v3, 20, v3
	v_and_b32_e32 v6, 0x80000000, v6
	v_lshl_add_u32 v7, v8, 23, v7
	v_or3_b32 v6, v6, v7, v3
.LBB213_2440:
	s_or_b64 exec, exec, s[14:15]
	v_bfe_u32 v3, v6, 16, 1
	s_movk_i32 s12, 0x7fff
	v_add3_u32 v3, v6, v3, s12
	v_lshrrev_b32_e32 v3, 16, v3
	v_mov_b32_e32 v7, 0x7fc0
	v_cmp_o_f32_e32 vcc, v6, v6
	v_cndmask_b32_e32 v34, v7, v3, vcc
.LBB213_2441:
	s_mov_b64 s[12:13], -1
.LBB213_2442:
	s_mov_b64 s[14:15], 0
.LBB213_2443:
	s_and_b64 vcc, exec, s[14:15]
	s_cbranch_vccz .LBB213_2476
; %bb.2444:
	v_mov_b32_e32 v3, 22
	v_cmp_gt_i16_sdwa s[10:11], s19, v3 src0_sel:BYTE_0 src1_sel:DWORD
	s_and_b64 vcc, exec, s[10:11]
	s_cbranch_vccz .LBB213_2454
; %bb.2445:
	v_mov_b32_e32 v3, 24
	v_cmp_lt_i16_sdwa s[10:11], s19, v3 src0_sel:BYTE_0 src1_sel:DWORD
	s_and_b64 vcc, exec, s[10:11]
	s_cbranch_vccnz .LBB213_2457
; %bb.2446:
	v_cmp_gt_i16_sdwa s[10:11], s19, v3 src0_sel:BYTE_0 src1_sel:DWORD
	s_and_b64 vcc, exec, s[10:11]
	s_cbranch_vccz .LBB213_2458
; %bb.2447:
	global_load_ubyte v3, v[4:5], off
	s_movk_i32 s10, 0x7f
                                        ; implicit-def: $sgpr16
	s_waitcnt vmcnt(0)
	v_cmp_lt_i16_e32 vcc, s10, v3
	s_mov_b64 s[10:11], 0
	s_and_saveexec_b64 s[12:13], vcc
	s_xor_b64 s[12:13], exec, s[12:13]
	s_cbranch_execz .LBB213_2470
; %bb.2448:
	s_movk_i32 s10, 0x80
	v_cmp_eq_u16_e32 vcc, s10, v3
	s_mov_b64 s[10:11], -1
                                        ; implicit-def: $sgpr16
	s_and_saveexec_b64 s[14:15], vcc
; %bb.2449:
	s_mov_b32 s16, 0x7f800001
	s_xor_b64 s[10:11], exec, -1
; %bb.2450:
	s_or_b64 exec, exec, s[14:15]
	s_and_b64 s[10:11], s[10:11], exec
	s_or_saveexec_b64 s[12:13], s[12:13]
	v_mov_b32_e32 v6, s16
	s_xor_b64 exec, exec, s[12:13]
	s_cbranch_execnz .LBB213_2471
.LBB213_2451:
	s_or_b64 exec, exec, s[12:13]
	s_and_saveexec_b64 s[12:13], s[10:11]
	s_cbranch_execz .LBB213_2453
.LBB213_2452:
	v_lshlrev_b32_e32 v6, 24, v3
	v_and_b32_e32 v3, 0xffff, v3
	v_and_b32_e32 v7, 3, v3
	v_ffbh_u32_e32 v9, v7
	v_min_u32_e32 v9, 32, v9
	v_subrev_u32_e32 v10, 29, v9
	v_bfe_u32 v8, v3, 2, 5
	v_lshlrev_b32_e32 v3, v10, v3
	v_sub_u32_e32 v9, 30, v9
	v_and_b32_e32 v3, 3, v3
	v_cmp_eq_u32_e32 vcc, 0, v8
	v_cndmask_b32_e32 v8, v8, v9, vcc
	v_cndmask_b32_e32 v3, v7, v3, vcc
	v_mov_b32_e32 v7, 0x37800000
	v_lshlrev_b32_e32 v3, 21, v3
	v_and_b32_e32 v6, 0x80000000, v6
	v_lshl_add_u32 v7, v8, 23, v7
	v_or3_b32 v6, v6, v7, v3
.LBB213_2453:
	s_or_b64 exec, exec, s[12:13]
	v_bfe_u32 v3, v6, 16, 1
	s_movk_i32 s10, 0x7fff
	v_add3_u32 v3, v6, v3, s10
	v_lshrrev_b32_e32 v3, 16, v3
	v_mov_b32_e32 v7, 0x7fc0
	v_cmp_o_f32_e32 vcc, v6, v6
	v_cndmask_b32_e32 v34, v7, v3, vcc
	s_mov_b64 s[10:11], 0
	s_branch .LBB213_2459
.LBB213_2454:
	s_mov_b64 s[10:11], -1
                                        ; implicit-def: $vgpr34
	s_branch .LBB213_2465
.LBB213_2455:
	s_or_saveexec_b64 s[14:15], s[14:15]
	v_mov_b32_e32 v6, s21
	s_xor_b64 exec, exec, s[14:15]
	s_cbranch_execz .LBB213_2438
.LBB213_2456:
	v_cmp_ne_u16_e32 vcc, 0, v3
	s_andn2_b64 s[12:13], s[12:13], exec
	s_and_b64 s[16:17], vcc, exec
	v_mov_b32_e32 v6, 0
	s_or_b64 s[12:13], s[12:13], s[16:17]
	s_or_b64 exec, exec, s[14:15]
	s_and_saveexec_b64 s[14:15], s[12:13]
	s_cbranch_execnz .LBB213_2439
	s_branch .LBB213_2440
.LBB213_2457:
	s_mov_b64 s[10:11], -1
                                        ; implicit-def: $vgpr34
	s_branch .LBB213_2462
.LBB213_2458:
	s_mov_b64 s[10:11], -1
                                        ; implicit-def: $vgpr34
.LBB213_2459:
	s_and_b64 vcc, exec, s[10:11]
	s_cbranch_vccz .LBB213_2461
; %bb.2460:
	global_load_ubyte v3, v[4:5], off
	s_mov_b32 s10, 0x7f800000
	s_brev_b32 s11, 1
	s_movk_i32 s12, 0x7fff
	v_mov_b32_e32 v6, 0x7fc0
	s_waitcnt vmcnt(0)
	v_lshlrev_b32_e32 v3, 24, v3
	v_and_b32_e32 v7, 0x7f000000, v3
	v_ffbh_u32_e32 v8, v7
	v_min_u32_e32 v8, 32, v8
	v_sub_u32_e64 v8, v8, 4 clamp
	v_lshlrev_b32_e32 v10, v8, v7
	v_lshlrev_b32_e32 v8, 23, v8
	v_lshrrev_b32_e32 v10, 4, v10
	v_add_u32_e32 v9, 0x1000000, v7
	v_sub_u32_e32 v8, v10, v8
	v_ashrrev_i32_e32 v9, 8, v9
	v_add_u32_e32 v8, 0x3c000000, v8
	v_and_or_b32 v8, v9, s10, v8
	v_cmp_ne_u32_e32 vcc, 0, v7
	v_cndmask_b32_e32 v7, 0, v8, vcc
	v_and_or_b32 v3, v3, s11, v7
	v_bfe_u32 v7, v7, 16, 1
	v_add3_u32 v7, v3, v7, s12
	v_lshrrev_b32_e32 v7, 16, v7
	v_cmp_o_f32_e32 vcc, v3, v3
	v_cndmask_b32_e32 v34, v6, v7, vcc
.LBB213_2461:
	s_mov_b64 s[10:11], 0
.LBB213_2462:
	s_andn2_b64 vcc, exec, s[10:11]
	s_cbranch_vccnz .LBB213_2464
; %bb.2463:
	global_load_ubyte v3, v[4:5], off
	s_movk_i32 s10, 0x7f00
	s_brev_b32 s11, 16
	s_brev_b32 s12, 1
	s_movk_i32 s13, 0x7fff
	v_mov_b32_e32 v6, 0x7fc0
	s_waitcnt vmcnt(0)
	v_lshlrev_b16_e32 v7, 8, v3
	v_lshlrev_b32_e32 v3, 25, v3
	v_lshrrev_b32_e32 v8, 4, v3
	v_and_or_b32 v9, v7, s10, 0.5
	v_or_b32_e32 v8, 0x70000000, v8
	v_add_f32_e32 v9, -0.5, v9
	v_mul_f32_e32 v8, 0x7800000, v8
	v_cmp_gt_u32_e32 vcc, s11, v3
	v_bfe_i32 v7, v7, 0, 16
	v_cndmask_b32_e32 v3, v8, v9, vcc
	v_and_or_b32 v7, v7, s12, v3
	v_bfe_u32 v3, v3, 16, 1
	v_add3_u32 v3, v7, v3, s13
	v_lshrrev_b32_e32 v3, 16, v3
	v_cmp_o_f32_e32 vcc, v7, v7
	v_cndmask_b32_e32 v34, v6, v3, vcc
.LBB213_2464:
	s_mov_b64 s[10:11], 0
	s_mov_b64 s[12:13], -1
.LBB213_2465:
	s_andn2_b64 vcc, exec, s[10:11]
	s_mov_b64 s[10:11], 0
	s_cbranch_vccnz .LBB213_2476
; %bb.2466:
	v_mov_b32_e32 v3, 14
	v_cmp_gt_i16_sdwa s[10:11], s19, v3 src0_sel:BYTE_0 src1_sel:DWORD
	s_and_b64 vcc, exec, s[10:11]
	s_cbranch_vccz .LBB213_2469
; %bb.2467:
	v_mov_b32_e32 v3, 15
	v_cmp_eq_u16_sdwa s[8:9], s19, v3 src0_sel:BYTE_0 src1_sel:DWORD
	s_and_b64 vcc, exec, s[8:9]
	s_cbranch_vccz .LBB213_2472
; %bb.2468:
	global_load_ushort v34, v[4:5], off
	s_mov_b64 s[8:9], 0
	s_mov_b64 s[12:13], -1
	s_branch .LBB213_2473
.LBB213_2469:
	s_mov_b64 s[14:15], -1
                                        ; implicit-def: $vgpr34
	s_branch .LBB213_2474
.LBB213_2470:
	s_or_saveexec_b64 s[12:13], s[12:13]
	v_mov_b32_e32 v6, s16
	s_xor_b64 exec, exec, s[12:13]
	s_cbranch_execz .LBB213_2451
.LBB213_2471:
	v_cmp_ne_u16_e32 vcc, 0, v3
	s_andn2_b64 s[10:11], s[10:11], exec
	s_and_b64 s[14:15], vcc, exec
	v_mov_b32_e32 v6, 0
	s_or_b64 s[10:11], s[10:11], s[14:15]
	s_or_b64 exec, exec, s[12:13]
	s_and_saveexec_b64 s[12:13], s[10:11]
	s_cbranch_execnz .LBB213_2452
	s_branch .LBB213_2453
.LBB213_2472:
	s_mov_b64 s[8:9], -1
                                        ; implicit-def: $vgpr34
.LBB213_2473:
	s_mov_b64 s[14:15], 0
.LBB213_2474:
	s_mov_b64 s[10:11], 0
	s_and_b64 vcc, exec, s[14:15]
	s_cbranch_vccz .LBB213_2476
; %bb.2475:
	v_mov_b32_e32 v3, 11
	v_cmp_ne_u16_sdwa s[8:9], s19, v3 src0_sel:BYTE_0 src1_sel:DWORD
	s_mov_b64 s[10:11], -1
                                        ; implicit-def: $vgpr34
.LBB213_2476:
	s_and_b64 vcc, exec, s[8:9]
	s_cbranch_vccnz .LBB213_2541
; %bb.2477:
	s_andn2_b64 vcc, exec, s[10:11]
	s_cbranch_vccnz .LBB213_2479
.LBB213_2478:
	global_load_ubyte v3, v[4:5], off
	s_mov_b64 s[12:13], -1
	s_waitcnt vmcnt(0)
	v_cmp_ne_u16_e32 vcc, 0, v3
	v_cndmask_b32_e64 v3, 0, 1.0, vcc
	v_lshrrev_b32_e32 v34, 16, v3
.LBB213_2479:
	s_mov_b64 s[8:9], 0
.LBB213_2480:
	s_and_b64 vcc, exec, s[8:9]
	s_cbranch_vccz .LBB213_2529
; %bb.2481:
	v_mov_b32_e32 v3, 5
	v_cmp_lt_i16_sdwa s[8:9], s19, v3 src0_sel:BYTE_0 src1_sel:DWORD
	s_and_b64 vcc, exec, s[8:9]
	s_cbranch_vccnz .LBB213_2486
; %bb.2482:
	v_mov_b32_e32 v3, 8
	v_cmp_lt_i16_sdwa s[8:9], s19, v3 src0_sel:BYTE_0 src1_sel:DWORD
	s_and_b64 vcc, exec, s[8:9]
	s_cbranch_vccnz .LBB213_2487
	;; [unrolled: 5-line block ×3, first 2 shown]
; %bb.2484:
	v_cmp_gt_i16_sdwa s[8:9], s19, v3 src0_sel:BYTE_0 src1_sel:DWORD
	s_and_b64 vcc, exec, s[8:9]
	s_cbranch_vccz .LBB213_2489
; %bb.2485:
	global_load_dwordx2 v[6:7], v[4:5], off
	s_movk_i32 s8, 0x7fff
	v_mov_b32_e32 v3, 0x7fc0
	s_waitcnt vmcnt(0)
	v_cvt_f32_f64_e32 v6, v[6:7]
	v_bfe_u32 v7, v6, 16, 1
	v_add3_u32 v7, v6, v7, s8
	v_lshrrev_b32_e32 v7, 16, v7
	v_cmp_o_f32_e32 vcc, v6, v6
	v_cndmask_b32_e32 v34, v3, v7, vcc
	s_mov_b64 s[8:9], 0
	s_branch .LBB213_2490
.LBB213_2486:
	s_mov_b64 s[8:9], -1
                                        ; implicit-def: $vgpr34
	s_branch .LBB213_2508
.LBB213_2487:
	s_mov_b64 s[8:9], -1
                                        ; implicit-def: $vgpr34
	s_branch .LBB213_2496
.LBB213_2488:
	s_mov_b64 s[8:9], -1
                                        ; implicit-def: $vgpr34
	s_branch .LBB213_2493
.LBB213_2489:
	s_mov_b64 s[8:9], -1
                                        ; implicit-def: $vgpr34
.LBB213_2490:
	s_andn2_b64 vcc, exec, s[8:9]
	s_cbranch_vccnz .LBB213_2492
; %bb.2491:
	global_load_dword v3, v[4:5], off
	s_movk_i32 s8, 0x7fff
	v_mov_b32_e32 v6, 0x7fc0
	s_waitcnt vmcnt(0)
	v_bfe_u32 v7, v3, 16, 1
	v_add3_u32 v7, v3, v7, s8
	v_lshrrev_b32_e32 v7, 16, v7
	v_cmp_o_f32_e32 vcc, v3, v3
	v_cndmask_b32_e32 v34, v6, v7, vcc
.LBB213_2492:
	s_mov_b64 s[8:9], 0
.LBB213_2493:
	s_andn2_b64 vcc, exec, s[8:9]
	s_cbranch_vccnz .LBB213_2495
; %bb.2494:
	global_load_dword v3, v[4:5], off
	s_movk_i32 s8, 0x7fff
	v_mov_b32_e32 v7, 0x7fc0
	s_waitcnt vmcnt(0)
	v_cvt_f32_f16_e32 v6, v3
	v_cmp_o_f16_e32 vcc, v3, v3
	v_bfe_u32 v8, v6, 16, 1
	v_add3_u32 v6, v6, v8, s8
	v_lshrrev_b32_e32 v6, 16, v6
	v_cndmask_b32_e32 v34, v7, v6, vcc
.LBB213_2495:
	s_mov_b64 s[8:9], 0
.LBB213_2496:
	s_andn2_b64 vcc, exec, s[8:9]
	s_cbranch_vccnz .LBB213_2507
; %bb.2497:
	v_mov_b32_e32 v3, 6
	v_cmp_lt_i16_sdwa s[8:9], s19, v3 src0_sel:BYTE_0 src1_sel:DWORD
	s_and_b64 vcc, exec, s[8:9]
	s_cbranch_vccnz .LBB213_2500
; %bb.2498:
	v_cmp_gt_i16_sdwa s[8:9], s19, v3 src0_sel:BYTE_0 src1_sel:DWORD
	s_and_b64 vcc, exec, s[8:9]
	s_cbranch_vccz .LBB213_2501
; %bb.2499:
	global_load_dwordx2 v[6:7], v[4:5], off
	s_movk_i32 s8, 0x7fff
	v_mov_b32_e32 v3, 0x7fc0
	s_waitcnt vmcnt(0)
	v_cvt_f32_f64_e32 v6, v[6:7]
	v_bfe_u32 v7, v6, 16, 1
	v_add3_u32 v7, v6, v7, s8
	v_lshrrev_b32_e32 v7, 16, v7
	v_cmp_o_f32_e32 vcc, v6, v6
	v_cndmask_b32_e32 v34, v3, v7, vcc
	s_mov_b64 s[8:9], 0
	s_branch .LBB213_2502
.LBB213_2500:
	s_mov_b64 s[8:9], -1
                                        ; implicit-def: $vgpr34
	s_branch .LBB213_2505
.LBB213_2501:
	s_mov_b64 s[8:9], -1
                                        ; implicit-def: $vgpr34
.LBB213_2502:
	s_andn2_b64 vcc, exec, s[8:9]
	s_cbranch_vccnz .LBB213_2504
; %bb.2503:
	global_load_dword v3, v[4:5], off
	s_movk_i32 s8, 0x7fff
	v_mov_b32_e32 v6, 0x7fc0
	s_waitcnt vmcnt(0)
	v_bfe_u32 v7, v3, 16, 1
	v_add3_u32 v7, v3, v7, s8
	v_lshrrev_b32_e32 v7, 16, v7
	v_cmp_o_f32_e32 vcc, v3, v3
	v_cndmask_b32_e32 v34, v6, v7, vcc
.LBB213_2504:
	s_mov_b64 s[8:9], 0
.LBB213_2505:
	s_andn2_b64 vcc, exec, s[8:9]
	s_cbranch_vccnz .LBB213_2507
; %bb.2506:
	global_load_ushort v3, v[4:5], off
	s_movk_i32 s8, 0x7fff
	v_mov_b32_e32 v7, 0x7fc0
	s_waitcnt vmcnt(0)
	v_cvt_f32_f16_e32 v6, v3
	v_cmp_o_f16_e32 vcc, v3, v3
	v_bfe_u32 v8, v6, 16, 1
	v_add3_u32 v6, v6, v8, s8
	v_lshrrev_b32_e32 v6, 16, v6
	v_cndmask_b32_e32 v34, v7, v6, vcc
.LBB213_2507:
	s_mov_b64 s[8:9], 0
.LBB213_2508:
	s_andn2_b64 vcc, exec, s[8:9]
	s_cbranch_vccnz .LBB213_2528
; %bb.2509:
	v_mov_b32_e32 v3, 2
	v_cmp_lt_i16_sdwa s[8:9], s19, v3 src0_sel:BYTE_0 src1_sel:DWORD
	s_and_b64 vcc, exec, s[8:9]
	s_cbranch_vccnz .LBB213_2513
; %bb.2510:
	v_mov_b32_e32 v3, 3
	v_cmp_lt_i16_sdwa s[8:9], s19, v3 src0_sel:BYTE_0 src1_sel:DWORD
	s_and_b64 vcc, exec, s[8:9]
	s_cbranch_vccnz .LBB213_2514
; %bb.2511:
	v_cmp_gt_i16_sdwa s[8:9], s19, v3 src0_sel:BYTE_0 src1_sel:DWORD
	s_and_b64 vcc, exec, s[8:9]
	s_cbranch_vccz .LBB213_2515
; %bb.2512:
	global_load_dwordx2 v[6:7], v[4:5], off
	s_movk_i32 s8, 0x7fff
	s_waitcnt vmcnt(0)
	v_xor_b32_e32 v8, v6, v7
	v_ffbh_i32_e32 v3, v7
	v_ashrrev_i32_e32 v8, 31, v8
	v_add_u32_e32 v3, -1, v3
	v_add_u32_e32 v8, 32, v8
	v_min_u32_e32 v3, v3, v8
	v_lshlrev_b64 v[6:7], v3, v[6:7]
	v_min_u32_e32 v6, 1, v6
	v_or_b32_e32 v6, v7, v6
	v_cvt_f32_i32_e32 v6, v6
	v_sub_u32_e32 v3, 32, v3
	v_ldexp_f32 v3, v6, v3
	v_bfe_u32 v6, v3, 16, 1
	v_add3_u32 v3, v3, v6, s8
	v_lshrrev_b32_e32 v34, 16, v3
	s_mov_b64 s[8:9], 0
	s_branch .LBB213_2516
.LBB213_2513:
	s_mov_b64 s[8:9], -1
                                        ; implicit-def: $vgpr34
	s_branch .LBB213_2522
.LBB213_2514:
	s_mov_b64 s[8:9], -1
                                        ; implicit-def: $vgpr34
	s_branch .LBB213_2519
.LBB213_2515:
	s_mov_b64 s[8:9], -1
                                        ; implicit-def: $vgpr34
.LBB213_2516:
	s_andn2_b64 vcc, exec, s[8:9]
	s_cbranch_vccnz .LBB213_2518
; %bb.2517:
	global_load_dword v3, v[4:5], off
	s_movk_i32 s8, 0x7fff
	s_waitcnt vmcnt(0)
	v_cvt_f32_i32_e32 v3, v3
	v_bfe_u32 v6, v3, 16, 1
	v_add3_u32 v3, v3, v6, s8
	v_lshrrev_b32_e32 v34, 16, v3
.LBB213_2518:
	s_mov_b64 s[8:9], 0
.LBB213_2519:
	s_andn2_b64 vcc, exec, s[8:9]
	s_cbranch_vccnz .LBB213_2521
; %bb.2520:
	global_load_sshort v3, v[4:5], off
	s_movk_i32 s8, 0x7fff
	s_waitcnt vmcnt(0)
	v_cvt_f32_i32_e32 v3, v3
	v_bfe_u32 v6, v3, 16, 1
	v_add3_u32 v3, v3, v6, s8
	v_lshrrev_b32_e32 v34, 16, v3
.LBB213_2521:
	s_mov_b64 s[8:9], 0
.LBB213_2522:
	s_andn2_b64 vcc, exec, s[8:9]
	s_cbranch_vccnz .LBB213_2528
; %bb.2523:
	v_mov_b32_e32 v3, 0
	v_cmp_gt_i16_sdwa s[8:9], s19, v3 src0_sel:BYTE_0 src1_sel:DWORD
	s_and_b64 vcc, exec, s[8:9]
	s_cbranch_vccz .LBB213_2525
; %bb.2524:
	global_load_sbyte v3, v[4:5], off
	s_movk_i32 s8, 0x7fff
	s_waitcnt vmcnt(0)
	v_cvt_f32_i32_e32 v3, v3
	v_bfe_u32 v6, v3, 16, 1
	v_add3_u32 v3, v3, v6, s8
	v_lshrrev_b32_e32 v34, 16, v3
	s_mov_b64 s[8:9], 0
	s_branch .LBB213_2526
.LBB213_2525:
	s_mov_b64 s[8:9], -1
                                        ; implicit-def: $vgpr34
.LBB213_2526:
	s_andn2_b64 vcc, exec, s[8:9]
	s_cbranch_vccnz .LBB213_2528
; %bb.2527:
	global_load_ubyte v3, v[4:5], off
	s_movk_i32 s8, 0x7fff
	s_waitcnt vmcnt(0)
	v_cvt_f32_ubyte0_e32 v3, v3
	v_bfe_u32 v4, v3, 16, 1
	v_add3_u32 v3, v3, v4, s8
	v_lshrrev_b32_e32 v34, 16, v3
.LBB213_2528:
	s_mov_b64 s[12:13], -1
.LBB213_2529:
	s_andn2_b64 vcc, exec, s[12:13]
	s_cbranch_vccnz .LBB213_3113
; %bb.2530:
	v_mov_b32_e32 v3, s5
	v_add_co_u32_e32 v2, vcc, s4, v2
	v_addc_co_u32_e32 v3, vcc, 0, v3, vcc
	s_and_b64 vcc, exec, s[6:7]
	s_cbranch_vccnz .LBB213_2537
; %bb.2531:
	v_cmp_gt_i16_e64 s[4:5], s20, 25
	s_mov_b64 s[6:7], 0
	s_and_b64 vcc, exec, s[4:5]
	s_cbranch_vccz .LBB213_2538
; %bb.2532:
	v_cmp_gt_i16_e64 s[4:5], s20, 28
	s_and_b64 vcc, exec, s[4:5]
	s_cbranch_vccz .LBB213_2539
; %bb.2533:
	v_cmp_gt_i16_e64 s[4:5], s20, 43
	;; [unrolled: 4-line block ×3, first 2 shown]
	s_and_b64 vcc, exec, s[4:5]
	s_cbranch_vccz .LBB213_2542
; %bb.2535:
	v_cmp_eq_u16_e64 s[4:5], s20, 46
	s_mov_b64 s[10:11], 0
	s_and_b64 vcc, exec, s[4:5]
	s_cbranch_vccz .LBB213_2543
; %bb.2536:
	global_load_dword v35, v[2:3], off
	s_mov_b64 s[4:5], 0
	s_mov_b64 s[8:9], -1
	s_branch .LBB213_2544
.LBB213_2537:
	s_mov_b64 s[4:5], -1
	s_mov_b64 s[8:9], 0
                                        ; implicit-def: $vgpr35
	s_branch .LBB213_2610
.LBB213_2538:
	s_mov_b64 s[10:11], -1
	s_mov_b64 s[8:9], 0
	s_mov_b64 s[4:5], 0
                                        ; implicit-def: $vgpr35
	s_branch .LBB213_2573
.LBB213_2539:
	s_mov_b64 s[10:11], -1
	s_mov_b64 s[8:9], 0
	s_mov_b64 s[4:5], 0
                                        ; implicit-def: $vgpr35
	s_branch .LBB213_2554
.LBB213_2540:
	s_mov_b64 s[10:11], -1
	s_mov_b64 s[8:9], 0
	s_mov_b64 s[4:5], 0
                                        ; implicit-def: $vgpr35
	s_branch .LBB213_2549
.LBB213_2541:
	s_trap 2
	s_or_b64 s[34:35], s[34:35], exec
                                        ; implicit-def: $vgpr34
	s_cbranch_execz .LBB213_2478
	s_branch .LBB213_2479
.LBB213_2542:
	s_mov_b64 s[10:11], -1
	s_mov_b64 s[8:9], 0
	s_mov_b64 s[4:5], 0
                                        ; implicit-def: $vgpr35
	s_branch .LBB213_2544
.LBB213_2543:
	s_mov_b64 s[4:5], -1
                                        ; implicit-def: $vgpr35
	s_mov_b64 s[8:9], 0
.LBB213_2544:
	s_and_b64 vcc, exec, s[10:11]
	s_cbranch_vccz .LBB213_2548
; %bb.2545:
	v_cmp_eq_u16_e64 s[4:5], s20, 44
	s_and_b64 vcc, exec, s[4:5]
	s_cbranch_vccz .LBB213_2547
; %bb.2546:
	global_load_ubyte v4, v[2:3], off
	s_movk_i32 s8, 0xff
	v_mov_b32_e32 v5, 0x7f800001
	v_mov_b32_e32 v6, 0x400000
	;; [unrolled: 1-line block ×3, first 2 shown]
	s_mov_b64 s[4:5], 0
	s_waitcnt vmcnt(0)
	v_lshlrev_b32_e32 v8, 23, v4
	v_cmp_ne_u32_e32 vcc, s8, v4
	v_cndmask_b32_e32 v5, v5, v8, vcc
	v_cmp_ne_u32_e32 vcc, 0, v4
	v_cndmask_b32_e32 v4, v6, v5, vcc
	v_add_u32_e32 v5, 0x7fff, v4
	v_lshrrev_b32_e32 v5, 16, v5
	v_cmp_o_f32_e32 vcc, v4, v4
	v_cndmask_b32_e32 v35, v7, v5, vcc
	s_mov_b64 s[8:9], -1
	s_branch .LBB213_2548
.LBB213_2547:
	s_mov_b64 s[4:5], -1
                                        ; implicit-def: $vgpr35
.LBB213_2548:
	s_mov_b64 s[10:11], 0
.LBB213_2549:
	s_and_b64 vcc, exec, s[10:11]
	s_cbranch_vccz .LBB213_2553
; %bb.2550:
	v_cmp_eq_u16_e64 s[4:5], s20, 29
	s_and_b64 vcc, exec, s[4:5]
	s_cbranch_vccz .LBB213_2552
; %bb.2551:
	global_load_dwordx2 v[4:5], v[2:3], off
	s_movk_i32 s8, 0x7fff
	s_mov_b64 s[4:5], 0
	s_mov_b64 s[10:11], 0
	s_waitcnt vmcnt(0)
	v_ffbh_u32_e32 v6, v5
	v_min_u32_e32 v6, 32, v6
	v_lshlrev_b64 v[4:5], v6, v[4:5]
	v_min_u32_e32 v4, 1, v4
	v_or_b32_e32 v4, v5, v4
	v_cvt_f32_u32_e32 v4, v4
	v_sub_u32_e32 v5, 32, v6
	v_ldexp_f32 v4, v4, v5
	v_bfe_u32 v5, v4, 16, 1
	v_add3_u32 v4, v4, v5, s8
	v_lshrrev_b32_e32 v35, 16, v4
	s_mov_b64 s[8:9], -1
	s_branch .LBB213_2554
.LBB213_2552:
	s_mov_b64 s[4:5], -1
                                        ; implicit-def: $vgpr35
.LBB213_2553:
	s_mov_b64 s[10:11], 0
.LBB213_2554:
	s_and_b64 vcc, exec, s[10:11]
	s_cbranch_vccz .LBB213_2572
; %bb.2555:
	v_cmp_lt_i16_e64 s[8:9], s20, 27
	s_and_b64 vcc, exec, s[8:9]
	s_cbranch_vccnz .LBB213_2558
; %bb.2556:
	v_cmp_gt_i16_e64 s[8:9], s20, 27
	s_and_b64 vcc, exec, s[8:9]
	s_cbranch_vccz .LBB213_2559
; %bb.2557:
	global_load_dword v4, v[2:3], off
	s_movk_i32 s8, 0x7fff
	s_waitcnt vmcnt(0)
	v_cvt_f32_u32_e32 v4, v4
	v_bfe_u32 v5, v4, 16, 1
	v_add3_u32 v4, v4, v5, s8
	v_lshrrev_b32_e32 v35, 16, v4
	s_mov_b64 s[8:9], 0
	s_branch .LBB213_2560
.LBB213_2558:
	s_mov_b64 s[8:9], -1
                                        ; implicit-def: $vgpr35
	s_branch .LBB213_2563
.LBB213_2559:
	s_mov_b64 s[8:9], -1
                                        ; implicit-def: $vgpr35
.LBB213_2560:
	s_andn2_b64 vcc, exec, s[8:9]
	s_cbranch_vccnz .LBB213_2562
; %bb.2561:
	global_load_ushort v4, v[2:3], off
	s_movk_i32 s8, 0x7fff
	s_waitcnt vmcnt(0)
	v_cvt_f32_u32_e32 v4, v4
	v_bfe_u32 v5, v4, 16, 1
	v_add3_u32 v4, v4, v5, s8
	v_lshrrev_b32_e32 v35, 16, v4
.LBB213_2562:
	s_mov_b64 s[8:9], 0
.LBB213_2563:
	s_andn2_b64 vcc, exec, s[8:9]
	s_cbranch_vccnz .LBB213_2571
; %bb.2564:
	global_load_ubyte v4, v[2:3], off
	s_movk_i32 s8, 0x7f
                                        ; implicit-def: $sgpr14
	s_waitcnt vmcnt(0)
	v_cmp_lt_i16_e32 vcc, s8, v4
	s_mov_b64 s[8:9], 0
	s_and_saveexec_b64 s[10:11], vcc
	s_xor_b64 s[10:11], exec, s[10:11]
	s_cbranch_execz .LBB213_2585
; %bb.2565:
	s_movk_i32 s8, 0x80
	v_cmp_eq_u16_e32 vcc, s8, v4
	s_mov_b64 s[8:9], -1
                                        ; implicit-def: $sgpr14
	s_and_saveexec_b64 s[12:13], vcc
; %bb.2566:
	s_mov_b32 s14, 0x7f800001
	s_xor_b64 s[8:9], exec, -1
; %bb.2567:
	s_or_b64 exec, exec, s[12:13]
	s_and_b64 s[8:9], s[8:9], exec
	s_or_saveexec_b64 s[10:11], s[10:11]
	v_mov_b32_e32 v5, s14
	s_xor_b64 exec, exec, s[10:11]
	s_cbranch_execnz .LBB213_2586
.LBB213_2568:
	s_or_b64 exec, exec, s[10:11]
	s_and_saveexec_b64 s[10:11], s[8:9]
	s_cbranch_execz .LBB213_2570
.LBB213_2569:
	v_lshlrev_b32_e32 v5, 24, v4
	v_and_b32_e32 v4, 0xffff, v4
	v_and_b32_e32 v6, 7, v4
	v_ffbh_u32_e32 v8, v6
	v_min_u32_e32 v8, 32, v8
	v_subrev_u32_e32 v9, 28, v8
	v_bfe_u32 v7, v4, 3, 4
	v_lshlrev_b32_e32 v4, v9, v4
	v_sub_u32_e32 v8, 29, v8
	v_and_b32_e32 v4, 7, v4
	v_cmp_eq_u32_e32 vcc, 0, v7
	v_cndmask_b32_e32 v7, v7, v8, vcc
	v_cndmask_b32_e32 v4, v6, v4, vcc
	v_mov_b32_e32 v6, 0x3b800000
	v_lshlrev_b32_e32 v4, 20, v4
	v_and_b32_e32 v5, 0x80000000, v5
	v_lshl_add_u32 v6, v7, 23, v6
	v_or3_b32 v5, v5, v6, v4
.LBB213_2570:
	s_or_b64 exec, exec, s[10:11]
	v_bfe_u32 v4, v5, 16, 1
	s_movk_i32 s8, 0x7fff
	v_add3_u32 v4, v5, v4, s8
	v_lshrrev_b32_e32 v4, 16, v4
	v_mov_b32_e32 v6, 0x7fc0
	v_cmp_o_f32_e32 vcc, v5, v5
	v_cndmask_b32_e32 v35, v6, v4, vcc
.LBB213_2571:
	s_mov_b64 s[8:9], -1
.LBB213_2572:
	s_mov_b64 s[10:11], 0
.LBB213_2573:
	s_and_b64 vcc, exec, s[10:11]
	s_cbranch_vccz .LBB213_2606
; %bb.2574:
	v_cmp_gt_i16_e64 s[6:7], s20, 22
	s_and_b64 vcc, exec, s[6:7]
	s_cbranch_vccz .LBB213_2584
; %bb.2575:
	v_cmp_lt_i16_e64 s[6:7], s20, 24
	s_and_b64 vcc, exec, s[6:7]
	s_cbranch_vccnz .LBB213_2587
; %bb.2576:
	v_cmp_gt_i16_e64 s[6:7], s20, 24
	s_and_b64 vcc, exec, s[6:7]
	s_cbranch_vccz .LBB213_2588
; %bb.2577:
	global_load_ubyte v4, v[2:3], off
	s_movk_i32 s6, 0x7f
                                        ; implicit-def: $sgpr12
	s_waitcnt vmcnt(0)
	v_cmp_lt_i16_e32 vcc, s6, v4
	s_mov_b64 s[6:7], 0
	s_and_saveexec_b64 s[8:9], vcc
	s_xor_b64 s[8:9], exec, s[8:9]
	s_cbranch_execz .LBB213_2600
; %bb.2578:
	s_movk_i32 s6, 0x80
	v_cmp_eq_u16_e32 vcc, s6, v4
	s_mov_b64 s[6:7], -1
                                        ; implicit-def: $sgpr12
	s_and_saveexec_b64 s[10:11], vcc
; %bb.2579:
	s_mov_b32 s12, 0x7f800001
	s_xor_b64 s[6:7], exec, -1
; %bb.2580:
	s_or_b64 exec, exec, s[10:11]
	s_and_b64 s[6:7], s[6:7], exec
	s_or_saveexec_b64 s[8:9], s[8:9]
	v_mov_b32_e32 v5, s12
	s_xor_b64 exec, exec, s[8:9]
	s_cbranch_execnz .LBB213_2601
.LBB213_2581:
	s_or_b64 exec, exec, s[8:9]
	s_and_saveexec_b64 s[8:9], s[6:7]
	s_cbranch_execz .LBB213_2583
.LBB213_2582:
	v_lshlrev_b32_e32 v5, 24, v4
	v_and_b32_e32 v4, 0xffff, v4
	v_and_b32_e32 v6, 3, v4
	v_ffbh_u32_e32 v8, v6
	v_min_u32_e32 v8, 32, v8
	v_subrev_u32_e32 v9, 29, v8
	v_bfe_u32 v7, v4, 2, 5
	v_lshlrev_b32_e32 v4, v9, v4
	v_sub_u32_e32 v8, 30, v8
	v_and_b32_e32 v4, 3, v4
	v_cmp_eq_u32_e32 vcc, 0, v7
	v_cndmask_b32_e32 v7, v7, v8, vcc
	v_cndmask_b32_e32 v4, v6, v4, vcc
	v_mov_b32_e32 v6, 0x37800000
	v_lshlrev_b32_e32 v4, 21, v4
	v_and_b32_e32 v5, 0x80000000, v5
	v_lshl_add_u32 v6, v7, 23, v6
	v_or3_b32 v5, v5, v6, v4
.LBB213_2583:
	s_or_b64 exec, exec, s[8:9]
	v_bfe_u32 v4, v5, 16, 1
	s_movk_i32 s6, 0x7fff
	v_add3_u32 v4, v5, v4, s6
	v_lshrrev_b32_e32 v4, 16, v4
	v_mov_b32_e32 v6, 0x7fc0
	v_cmp_o_f32_e32 vcc, v5, v5
	v_cndmask_b32_e32 v35, v6, v4, vcc
	s_mov_b64 s[6:7], 0
	s_branch .LBB213_2589
.LBB213_2584:
	s_mov_b64 s[6:7], -1
                                        ; implicit-def: $vgpr35
	s_branch .LBB213_2595
.LBB213_2585:
	s_or_saveexec_b64 s[10:11], s[10:11]
	v_mov_b32_e32 v5, s14
	s_xor_b64 exec, exec, s[10:11]
	s_cbranch_execz .LBB213_2568
.LBB213_2586:
	v_cmp_ne_u16_e32 vcc, 0, v4
	s_andn2_b64 s[8:9], s[8:9], exec
	s_and_b64 s[12:13], vcc, exec
	v_mov_b32_e32 v5, 0
	s_or_b64 s[8:9], s[8:9], s[12:13]
	s_or_b64 exec, exec, s[10:11]
	s_and_saveexec_b64 s[10:11], s[8:9]
	s_cbranch_execnz .LBB213_2569
	s_branch .LBB213_2570
.LBB213_2587:
	s_mov_b64 s[6:7], -1
                                        ; implicit-def: $vgpr35
	s_branch .LBB213_2592
.LBB213_2588:
	s_mov_b64 s[6:7], -1
                                        ; implicit-def: $vgpr35
.LBB213_2589:
	s_and_b64 vcc, exec, s[6:7]
	s_cbranch_vccz .LBB213_2591
; %bb.2590:
	global_load_ubyte v4, v[2:3], off
	s_mov_b32 s6, 0x7f800000
	s_brev_b32 s7, 1
	s_movk_i32 s8, 0x7fff
	v_mov_b32_e32 v5, 0x7fc0
	s_waitcnt vmcnt(0)
	v_lshlrev_b32_e32 v4, 24, v4
	v_and_b32_e32 v6, 0x7f000000, v4
	v_ffbh_u32_e32 v7, v6
	v_min_u32_e32 v7, 32, v7
	v_sub_u32_e64 v7, v7, 4 clamp
	v_lshlrev_b32_e32 v9, v7, v6
	v_lshlrev_b32_e32 v7, 23, v7
	v_lshrrev_b32_e32 v9, 4, v9
	v_add_u32_e32 v8, 0x1000000, v6
	v_sub_u32_e32 v7, v9, v7
	v_ashrrev_i32_e32 v8, 8, v8
	v_add_u32_e32 v7, 0x3c000000, v7
	v_and_or_b32 v7, v8, s6, v7
	v_cmp_ne_u32_e32 vcc, 0, v6
	v_cndmask_b32_e32 v6, 0, v7, vcc
	v_and_or_b32 v4, v4, s7, v6
	v_bfe_u32 v6, v6, 16, 1
	v_add3_u32 v6, v4, v6, s8
	v_lshrrev_b32_e32 v6, 16, v6
	v_cmp_o_f32_e32 vcc, v4, v4
	v_cndmask_b32_e32 v35, v5, v6, vcc
.LBB213_2591:
	s_mov_b64 s[6:7], 0
.LBB213_2592:
	s_andn2_b64 vcc, exec, s[6:7]
	s_cbranch_vccnz .LBB213_2594
; %bb.2593:
	global_load_ubyte v4, v[2:3], off
	s_movk_i32 s6, 0x7f00
	s_brev_b32 s7, 16
	s_brev_b32 s8, 1
	s_movk_i32 s9, 0x7fff
	v_mov_b32_e32 v5, 0x7fc0
	s_waitcnt vmcnt(0)
	v_lshlrev_b16_e32 v6, 8, v4
	v_lshlrev_b32_e32 v4, 25, v4
	v_lshrrev_b32_e32 v7, 4, v4
	v_and_or_b32 v8, v6, s6, 0.5
	v_or_b32_e32 v7, 0x70000000, v7
	v_add_f32_e32 v8, -0.5, v8
	v_mul_f32_e32 v7, 0x7800000, v7
	v_cmp_gt_u32_e32 vcc, s7, v4
	v_bfe_i32 v6, v6, 0, 16
	v_cndmask_b32_e32 v4, v7, v8, vcc
	v_and_or_b32 v6, v6, s8, v4
	v_bfe_u32 v4, v4, 16, 1
	v_add3_u32 v4, v6, v4, s9
	v_lshrrev_b32_e32 v4, 16, v4
	v_cmp_o_f32_e32 vcc, v6, v6
	v_cndmask_b32_e32 v35, v5, v4, vcc
.LBB213_2594:
	s_mov_b64 s[6:7], 0
	s_mov_b64 s[8:9], -1
.LBB213_2595:
	s_andn2_b64 vcc, exec, s[6:7]
	s_mov_b64 s[6:7], 0
	s_cbranch_vccnz .LBB213_2606
; %bb.2596:
	v_cmp_gt_i16_e64 s[6:7], s20, 14
	s_and_b64 vcc, exec, s[6:7]
	s_cbranch_vccz .LBB213_2599
; %bb.2597:
	v_cmp_eq_u16_e64 s[4:5], s20, 15
	s_and_b64 vcc, exec, s[4:5]
	s_cbranch_vccz .LBB213_2602
; %bb.2598:
	global_load_ushort v35, v[2:3], off
	s_mov_b64 s[4:5], 0
	s_mov_b64 s[8:9], -1
	s_branch .LBB213_2603
.LBB213_2599:
	s_mov_b64 s[10:11], -1
                                        ; implicit-def: $vgpr35
	s_branch .LBB213_2604
.LBB213_2600:
	s_or_saveexec_b64 s[8:9], s[8:9]
	v_mov_b32_e32 v5, s12
	s_xor_b64 exec, exec, s[8:9]
	s_cbranch_execz .LBB213_2581
.LBB213_2601:
	v_cmp_ne_u16_e32 vcc, 0, v4
	s_andn2_b64 s[6:7], s[6:7], exec
	s_and_b64 s[10:11], vcc, exec
	v_mov_b32_e32 v5, 0
	s_or_b64 s[6:7], s[6:7], s[10:11]
	s_or_b64 exec, exec, s[8:9]
	s_and_saveexec_b64 s[8:9], s[6:7]
	s_cbranch_execnz .LBB213_2582
	s_branch .LBB213_2583
.LBB213_2602:
	s_mov_b64 s[4:5], -1
                                        ; implicit-def: $vgpr35
.LBB213_2603:
	s_mov_b64 s[10:11], 0
.LBB213_2604:
	s_mov_b64 s[6:7], 0
	s_and_b64 vcc, exec, s[10:11]
	s_cbranch_vccz .LBB213_2606
; %bb.2605:
	v_cmp_ne_u16_e64 s[4:5], s20, 11
	s_mov_b64 s[6:7], -1
                                        ; implicit-def: $vgpr35
.LBB213_2606:
	s_and_b64 vcc, exec, s[4:5]
	s_cbranch_vccnz .LBB213_2670
; %bb.2607:
	s_andn2_b64 vcc, exec, s[6:7]
	s_cbranch_vccnz .LBB213_2609
.LBB213_2608:
	global_load_ubyte v4, v[2:3], off
	s_mov_b64 s[8:9], -1
	s_waitcnt vmcnt(0)
	v_cmp_ne_u16_e32 vcc, 0, v4
	v_cndmask_b32_e64 v4, 0, 1.0, vcc
	v_lshrrev_b32_e32 v35, 16, v4
.LBB213_2609:
	s_mov_b64 s[4:5], 0
.LBB213_2610:
	s_and_b64 vcc, exec, s[4:5]
	s_cbranch_vccz .LBB213_2659
; %bb.2611:
	v_cmp_lt_i16_e64 s[4:5], s20, 5
	s_and_b64 vcc, exec, s[4:5]
	s_cbranch_vccnz .LBB213_2616
; %bb.2612:
	v_cmp_lt_i16_e64 s[4:5], s20, 8
	s_and_b64 vcc, exec, s[4:5]
	s_cbranch_vccnz .LBB213_2617
	;; [unrolled: 4-line block ×3, first 2 shown]
; %bb.2614:
	v_cmp_gt_i16_e64 s[4:5], s20, 9
	s_and_b64 vcc, exec, s[4:5]
	s_cbranch_vccz .LBB213_2619
; %bb.2615:
	global_load_dwordx2 v[4:5], v[2:3], off
	s_movk_i32 s4, 0x7fff
	v_mov_b32_e32 v6, 0x7fc0
	s_waitcnt vmcnt(0)
	v_cvt_f32_f64_e32 v4, v[4:5]
	v_bfe_u32 v5, v4, 16, 1
	v_add3_u32 v5, v4, v5, s4
	v_lshrrev_b32_e32 v5, 16, v5
	v_cmp_o_f32_e32 vcc, v4, v4
	v_cndmask_b32_e32 v35, v6, v5, vcc
	s_mov_b64 s[4:5], 0
	s_branch .LBB213_2620
.LBB213_2616:
	s_mov_b64 s[4:5], -1
                                        ; implicit-def: $vgpr35
	s_branch .LBB213_2638
.LBB213_2617:
	s_mov_b64 s[4:5], -1
                                        ; implicit-def: $vgpr35
	s_branch .LBB213_2626
.LBB213_2618:
	s_mov_b64 s[4:5], -1
                                        ; implicit-def: $vgpr35
	s_branch .LBB213_2623
.LBB213_2619:
	s_mov_b64 s[4:5], -1
                                        ; implicit-def: $vgpr35
.LBB213_2620:
	s_andn2_b64 vcc, exec, s[4:5]
	s_cbranch_vccnz .LBB213_2622
; %bb.2621:
	global_load_dword v4, v[2:3], off
	s_movk_i32 s4, 0x7fff
	v_mov_b32_e32 v5, 0x7fc0
	s_waitcnt vmcnt(0)
	v_bfe_u32 v6, v4, 16, 1
	v_add3_u32 v6, v4, v6, s4
	v_lshrrev_b32_e32 v6, 16, v6
	v_cmp_o_f32_e32 vcc, v4, v4
	v_cndmask_b32_e32 v35, v5, v6, vcc
.LBB213_2622:
	s_mov_b64 s[4:5], 0
.LBB213_2623:
	s_andn2_b64 vcc, exec, s[4:5]
	s_cbranch_vccnz .LBB213_2625
; %bb.2624:
	global_load_dword v4, v[2:3], off
	s_movk_i32 s4, 0x7fff
	v_mov_b32_e32 v6, 0x7fc0
	s_waitcnt vmcnt(0)
	v_cvt_f32_f16_e32 v5, v4
	v_cmp_o_f16_e32 vcc, v4, v4
	v_bfe_u32 v7, v5, 16, 1
	v_add3_u32 v5, v5, v7, s4
	v_lshrrev_b32_e32 v5, 16, v5
	v_cndmask_b32_e32 v35, v6, v5, vcc
.LBB213_2625:
	s_mov_b64 s[4:5], 0
.LBB213_2626:
	s_andn2_b64 vcc, exec, s[4:5]
	s_cbranch_vccnz .LBB213_2637
; %bb.2627:
	v_cmp_lt_i16_e64 s[4:5], s20, 6
	s_and_b64 vcc, exec, s[4:5]
	s_cbranch_vccnz .LBB213_2630
; %bb.2628:
	v_cmp_gt_i16_e64 s[4:5], s20, 6
	s_and_b64 vcc, exec, s[4:5]
	s_cbranch_vccz .LBB213_2631
; %bb.2629:
	global_load_dwordx2 v[4:5], v[2:3], off
	s_movk_i32 s4, 0x7fff
	v_mov_b32_e32 v6, 0x7fc0
	s_waitcnt vmcnt(0)
	v_cvt_f32_f64_e32 v4, v[4:5]
	v_bfe_u32 v5, v4, 16, 1
	v_add3_u32 v5, v4, v5, s4
	v_lshrrev_b32_e32 v5, 16, v5
	v_cmp_o_f32_e32 vcc, v4, v4
	v_cndmask_b32_e32 v35, v6, v5, vcc
	s_mov_b64 s[4:5], 0
	s_branch .LBB213_2632
.LBB213_2630:
	s_mov_b64 s[4:5], -1
                                        ; implicit-def: $vgpr35
	s_branch .LBB213_2635
.LBB213_2631:
	s_mov_b64 s[4:5], -1
                                        ; implicit-def: $vgpr35
.LBB213_2632:
	s_andn2_b64 vcc, exec, s[4:5]
	s_cbranch_vccnz .LBB213_2634
; %bb.2633:
	global_load_dword v4, v[2:3], off
	s_movk_i32 s4, 0x7fff
	v_mov_b32_e32 v5, 0x7fc0
	s_waitcnt vmcnt(0)
	v_bfe_u32 v6, v4, 16, 1
	v_add3_u32 v6, v4, v6, s4
	v_lshrrev_b32_e32 v6, 16, v6
	v_cmp_o_f32_e32 vcc, v4, v4
	v_cndmask_b32_e32 v35, v5, v6, vcc
.LBB213_2634:
	s_mov_b64 s[4:5], 0
.LBB213_2635:
	s_andn2_b64 vcc, exec, s[4:5]
	s_cbranch_vccnz .LBB213_2637
; %bb.2636:
	global_load_ushort v4, v[2:3], off
	s_movk_i32 s4, 0x7fff
	v_mov_b32_e32 v6, 0x7fc0
	s_waitcnt vmcnt(0)
	v_cvt_f32_f16_e32 v5, v4
	v_cmp_o_f16_e32 vcc, v4, v4
	v_bfe_u32 v7, v5, 16, 1
	v_add3_u32 v5, v5, v7, s4
	v_lshrrev_b32_e32 v5, 16, v5
	v_cndmask_b32_e32 v35, v6, v5, vcc
.LBB213_2637:
	s_mov_b64 s[4:5], 0
.LBB213_2638:
	s_andn2_b64 vcc, exec, s[4:5]
	s_cbranch_vccnz .LBB213_2658
; %bb.2639:
	v_cmp_lt_i16_e64 s[4:5], s20, 2
	s_and_b64 vcc, exec, s[4:5]
	s_cbranch_vccnz .LBB213_2643
; %bb.2640:
	v_cmp_lt_i16_e64 s[4:5], s20, 3
	s_and_b64 vcc, exec, s[4:5]
	s_cbranch_vccnz .LBB213_2644
; %bb.2641:
	v_cmp_gt_i16_e64 s[4:5], s20, 3
	s_and_b64 vcc, exec, s[4:5]
	s_cbranch_vccz .LBB213_2645
; %bb.2642:
	global_load_dwordx2 v[4:5], v[2:3], off
	s_movk_i32 s4, 0x7fff
	s_waitcnt vmcnt(0)
	v_xor_b32_e32 v7, v4, v5
	v_ffbh_i32_e32 v6, v5
	v_ashrrev_i32_e32 v7, 31, v7
	v_add_u32_e32 v6, -1, v6
	v_add_u32_e32 v7, 32, v7
	v_min_u32_e32 v6, v6, v7
	v_lshlrev_b64 v[4:5], v6, v[4:5]
	v_min_u32_e32 v4, 1, v4
	v_or_b32_e32 v4, v5, v4
	v_cvt_f32_i32_e32 v4, v4
	v_sub_u32_e32 v5, 32, v6
	v_ldexp_f32 v4, v4, v5
	v_bfe_u32 v5, v4, 16, 1
	v_add3_u32 v4, v4, v5, s4
	v_lshrrev_b32_e32 v35, 16, v4
	s_mov_b64 s[4:5], 0
	s_branch .LBB213_2646
.LBB213_2643:
	s_mov_b64 s[4:5], -1
                                        ; implicit-def: $vgpr35
	s_branch .LBB213_2652
.LBB213_2644:
	s_mov_b64 s[4:5], -1
                                        ; implicit-def: $vgpr35
	s_branch .LBB213_2649
.LBB213_2645:
	s_mov_b64 s[4:5], -1
                                        ; implicit-def: $vgpr35
.LBB213_2646:
	s_andn2_b64 vcc, exec, s[4:5]
	s_cbranch_vccnz .LBB213_2648
; %bb.2647:
	global_load_dword v4, v[2:3], off
	s_movk_i32 s4, 0x7fff
	s_waitcnt vmcnt(0)
	v_cvt_f32_i32_e32 v4, v4
	v_bfe_u32 v5, v4, 16, 1
	v_add3_u32 v4, v4, v5, s4
	v_lshrrev_b32_e32 v35, 16, v4
.LBB213_2648:
	s_mov_b64 s[4:5], 0
.LBB213_2649:
	s_andn2_b64 vcc, exec, s[4:5]
	s_cbranch_vccnz .LBB213_2651
; %bb.2650:
	global_load_sshort v4, v[2:3], off
	s_movk_i32 s4, 0x7fff
	s_waitcnt vmcnt(0)
	v_cvt_f32_i32_e32 v4, v4
	v_bfe_u32 v5, v4, 16, 1
	v_add3_u32 v4, v4, v5, s4
	v_lshrrev_b32_e32 v35, 16, v4
.LBB213_2651:
	s_mov_b64 s[4:5], 0
.LBB213_2652:
	s_andn2_b64 vcc, exec, s[4:5]
	s_cbranch_vccnz .LBB213_2658
; %bb.2653:
	v_cmp_gt_i16_e64 s[4:5], s20, 0
	s_and_b64 vcc, exec, s[4:5]
	s_cbranch_vccz .LBB213_2655
; %bb.2654:
	global_load_sbyte v4, v[2:3], off
	s_movk_i32 s4, 0x7fff
	s_waitcnt vmcnt(0)
	v_cvt_f32_i32_e32 v4, v4
	v_bfe_u32 v5, v4, 16, 1
	v_add3_u32 v4, v4, v5, s4
	v_lshrrev_b32_e32 v35, 16, v4
	s_mov_b64 s[4:5], 0
	s_branch .LBB213_2656
.LBB213_2655:
	s_mov_b64 s[4:5], -1
                                        ; implicit-def: $vgpr35
.LBB213_2656:
	s_andn2_b64 vcc, exec, s[4:5]
	s_cbranch_vccnz .LBB213_2658
; %bb.2657:
	global_load_ubyte v2, v[2:3], off
	s_movk_i32 s4, 0x7fff
	s_waitcnt vmcnt(0)
	v_cvt_f32_ubyte0_e32 v2, v2
	v_bfe_u32 v3, v2, 16, 1
	v_add3_u32 v2, v2, v3, s4
	v_lshrrev_b32_e32 v35, 16, v2
.LBB213_2658:
	s_mov_b64 s[8:9], -1
.LBB213_2659:
	s_andn2_b64 vcc, exec, s[8:9]
	s_cbranch_vccnz .LBB213_3113
; %bb.2660:
	s_lshr_b32 s22, s18, 8
	s_getpc_b64 s[4:5]
	s_add_u32 s4, s4, _ZZZZN2at6native33launch_standard_gamma_grad_kernelERNS_18TensorIteratorBaseEENKUlvE_clEvENKUlvE2_clEvENKUlN3c108BFloat16ES6_E_clES6_S6_@rel32@lo+4
	s_addc_u32 s5, s5, _ZZZZN2at6native33launch_standard_gamma_grad_kernelERNS_18TensorIteratorBaseEENKUlvE_clEvENKUlvE2_clEvENKUlN3c108BFloat16ES6_E_clES6_S6_@rel32@hi+12
	s_swappc_b64 s[30:31], s[4:5]
	v_mov_b32_e32 v1, s25
	v_add_co_u32_e32 v2, vcc, s24, v42
	v_addc_co_u32_e32 v3, vcc, 0, v1, vcc
	v_mov_b32_e32 v1, 11
	v_cmp_lt_i16_sdwa s[4:5], s22, v1 src0_sel:BYTE_0 src1_sel:DWORD
	s_and_b64 vcc, exec, s[4:5]
	s_cbranch_vccnz .LBB213_2667
; %bb.2661:
	v_mov_b32_e32 v1, 25
	v_cmp_gt_i16_sdwa s[4:5], s22, v1 src0_sel:BYTE_0 src1_sel:DWORD
	s_mov_b64 s[10:11], -1
	s_mov_b64 s[6:7], 0
	s_and_b64 vcc, exec, s[4:5]
	s_mov_b64 s[8:9], 0
	s_mov_b64 s[4:5], 0
	s_cbranch_vccz .LBB213_2699
; %bb.2662:
	v_mov_b32_e32 v1, 28
	v_cmp_gt_i16_sdwa s[4:5], s22, v1 src0_sel:BYTE_0 src1_sel:DWORD
	s_and_b64 vcc, exec, s[4:5]
	s_cbranch_vccz .LBB213_2668
; %bb.2663:
	v_mov_b32_e32 v1, 43
	v_cmp_gt_i16_sdwa s[4:5], s22, v1 src0_sel:BYTE_0 src1_sel:DWORD
	s_and_b64 vcc, exec, s[4:5]
	s_cbranch_vccz .LBB213_2669
; %bb.2664:
	v_mov_b32_e32 v1, 45
	v_cmp_gt_i16_sdwa s[4:5], s22, v1 src0_sel:BYTE_0 src1_sel:DWORD
	s_and_b64 vcc, exec, s[4:5]
	s_cbranch_vccz .LBB213_2671
; %bb.2665:
	v_mov_b32_e32 v1, 46
	v_cmp_eq_u16_sdwa s[8:9], s22, v1 src0_sel:BYTE_0 src1_sel:DWORD
	s_mov_b64 s[4:5], -1
	s_mov_b64 s[10:11], 0
	s_and_b64 vcc, exec, s[8:9]
	s_mov_b64 s[8:9], 0
	s_cbranch_vccz .LBB213_2672
; %bb.2666:
	v_and_b32_e32 v1, 0xffff, v0
	global_store_dword v[2:3], v1, off
	s_mov_b64 s[4:5], 0
	s_mov_b64 s[8:9], -1
	s_branch .LBB213_2672
.LBB213_2667:
	s_mov_b64 s[4:5], -1
	s_mov_b64 s[8:9], 0
	s_branch .LBB213_2743
.LBB213_2668:
	s_mov_b64 s[4:5], 0
	s_branch .LBB213_2682
.LBB213_2669:
	s_mov_b64 s[4:5], 0
	s_branch .LBB213_2678
.LBB213_2670:
	s_trap 2
	s_or_b64 s[34:35], s[34:35], exec
                                        ; implicit-def: $vgpr35
	s_cbranch_execz .LBB213_2608
	s_branch .LBB213_2609
.LBB213_2671:
	s_mov_b64 s[4:5], 0
.LBB213_2672:
	s_and_b64 vcc, exec, s[10:11]
	s_cbranch_vccz .LBB213_2677
; %bb.2673:
	v_mov_b32_e32 v1, 44
	v_cmp_eq_u16_sdwa s[10:11], s22, v1 src0_sel:BYTE_0 src1_sel:DWORD
	s_mov_b64 s[4:5], -1
	s_and_b64 vcc, exec, s[10:11]
	s_cbranch_vccz .LBB213_2677
; %bb.2674:
	v_and_b32_e32 v4, 0xffff, v0
	v_bfe_u32 v1, v4, 7, 8
	s_movk_i32 s4, 0xff
	v_cmp_ne_u32_e32 vcc, s4, v1
	v_mov_b32_e32 v5, 0xff
	s_and_saveexec_b64 s[8:9], vcc
; %bb.2675:
	v_lshlrev_b32_e32 v6, 16, v4
	s_mov_b32 s4, 0x3f0000
	v_lshrrev_b32_e32 v5, 7, v4
	v_and_b32_e32 v4, 64, v4
	v_and_or_b32 v1, v6, s4, v1
	v_cmp_ne_u32_e32 vcc, 0, v4
	v_cmp_ne_u32_e64 s[4:5], 0, v1
	s_and_b64 s[4:5], vcc, s[4:5]
	v_cndmask_b32_e64 v1, 0, 1, s[4:5]
	v_add_u32_e32 v5, v5, v1
; %bb.2676:
	s_or_b64 exec, exec, s[8:9]
	s_mov_b64 s[4:5], 0
	s_mov_b64 s[8:9], -1
	global_store_byte v[2:3], v5, off
.LBB213_2677:
	s_mov_b64 s[10:11], 0
.LBB213_2678:
	s_and_b64 vcc, exec, s[10:11]
	s_cbranch_vccz .LBB213_2681
; %bb.2679:
	v_mov_b32_e32 v1, 29
	v_cmp_eq_u16_sdwa s[10:11], s22, v1 src0_sel:BYTE_0 src1_sel:DWORD
	s_mov_b64 s[4:5], -1
	s_and_b64 vcc, exec, s[10:11]
	s_cbranch_vccz .LBB213_2681
; %bb.2680:
	v_lshlrev_b32_e32 v1, 16, v0
	v_trunc_f32_e32 v1, v1
	v_mul_f32_e32 v4, 0x2f800000, v1
	v_floor_f32_e32 v4, v4
	v_fmac_f32_e32 v1, 0xcf800000, v4
	v_cvt_u32_f32_e32 v5, v4
	v_cvt_u32_f32_e32 v4, v1
	s_mov_b64 s[4:5], 0
	s_mov_b64 s[8:9], -1
	s_mov_b64 s[10:11], 0
	global_store_dwordx2 v[2:3], v[4:5], off
	s_branch .LBB213_2682
.LBB213_2681:
	s_mov_b64 s[10:11], 0
.LBB213_2682:
	s_and_b64 vcc, exec, s[10:11]
	s_cbranch_vccz .LBB213_2698
; %bb.2683:
	v_mov_b32_e32 v1, 27
	v_cmp_lt_i16_sdwa s[10:11], s22, v1 src0_sel:BYTE_0 src1_sel:DWORD
	s_mov_b64 s[8:9], -1
	s_and_b64 vcc, exec, s[10:11]
	s_cbranch_vccnz .LBB213_2689
; %bb.2684:
	v_cmp_gt_i16_sdwa s[10:11], s22, v1 src0_sel:BYTE_0 src1_sel:DWORD
	s_and_b64 vcc, exec, s[10:11]
	s_cbranch_vccz .LBB213_2686
; %bb.2685:
	v_lshlrev_b32_e32 v1, 16, v0
	v_cvt_u32_f32_e32 v1, v1
	s_mov_b64 s[8:9], 0
	global_store_dword v[2:3], v1, off
.LBB213_2686:
	s_andn2_b64 vcc, exec, s[8:9]
	s_cbranch_vccnz .LBB213_2688
; %bb.2687:
	v_lshlrev_b32_e32 v1, 16, v0
	v_cvt_u32_f32_e32 v1, v1
	global_store_short v[2:3], v1, off
.LBB213_2688:
	s_mov_b64 s[8:9], 0
.LBB213_2689:
	s_andn2_b64 vcc, exec, s[8:9]
	s_cbranch_vccnz .LBB213_2697
; %bb.2690:
	v_lshlrev_b32_e32 v5, 16, v0
	v_and_b32_e32 v4, 0x7fffffff, v5
	s_mov_b32 s8, 0x43800000
	v_cmp_gt_u32_e32 vcc, s8, v4
	v_mov_b32_e32 v6, 0x80
	s_and_saveexec_b64 s[8:9], vcc
	s_cbranch_execz .LBB213_2696
; %bb.2691:
	s_mov_b32 s10, 0x3bffffff
	v_and_b32_e32 v1, 0xffff, v0
	v_cmp_lt_u32_e32 vcc, s10, v4
	s_mov_b64 s[10:11], 0
                                        ; implicit-def: $vgpr4
	s_and_saveexec_b64 s[12:13], vcc
	s_xor_b64 s[12:13], exec, s[12:13]
	s_cbranch_execz .LBB213_2792
; %bb.2692:
	v_bfe_u32 v4, v1, 4, 1
	s_mov_b32 s14, 0x487ffff
	v_add3_u32 v4, v5, v4, s14
	s_mov_b64 s[10:11], exec
	v_lshrrev_b32_e32 v4, 20, v4
                                        ; implicit-def: $vgpr5
	s_or_saveexec_b64 s[12:13], s[12:13]
                                        ; implicit-def: $sgpr14
	s_xor_b64 exec, exec, s[12:13]
	s_cbranch_execnz .LBB213_2793
.LBB213_2693:
	s_or_b64 exec, exec, s[12:13]
	v_mov_b32_e32 v6, s14
	s_and_saveexec_b64 s[12:13], s[10:11]
.LBB213_2694:
	v_lshrrev_b32_e32 v1, 8, v1
	s_movk_i32 s10, 0x80
	v_and_or_b32 v6, v1, s10, v4
.LBB213_2695:
	s_or_b64 exec, exec, s[12:13]
.LBB213_2696:
	s_or_b64 exec, exec, s[8:9]
	global_store_byte v[2:3], v6, off
.LBB213_2697:
	s_mov_b64 s[8:9], -1
.LBB213_2698:
	s_mov_b64 s[10:11], 0
.LBB213_2699:
	s_and_b64 vcc, exec, s[10:11]
	s_cbranch_vccz .LBB213_2739
; %bb.2700:
	v_mov_b32_e32 v1, 22
	v_cmp_gt_i16_sdwa s[10:11], s22, v1 src0_sel:BYTE_0 src1_sel:DWORD
	s_mov_b64 s[6:7], -1
	s_and_b64 vcc, exec, s[10:11]
	s_cbranch_vccz .LBB213_2732
; %bb.2701:
	v_mov_b32_e32 v1, 24
	v_cmp_lt_i16_sdwa s[8:9], s22, v1 src0_sel:BYTE_0 src1_sel:DWORD
	s_and_b64 vcc, exec, s[8:9]
	s_cbranch_vccnz .LBB213_2721
; %bb.2702:
	v_cmp_gt_i16_sdwa s[8:9], s22, v1 src0_sel:BYTE_0 src1_sel:DWORD
	s_and_b64 vcc, exec, s[8:9]
	s_cbranch_vccz .LBB213_2710
; %bb.2703:
	v_lshlrev_b32_e32 v5, 16, v0
	v_and_b32_e32 v4, 0x7fffffff, v5
	s_mov_b32 s6, 0x47800000
	v_cmp_gt_u32_e32 vcc, s6, v4
	v_mov_b32_e32 v6, 0x80
	s_and_saveexec_b64 s[6:7], vcc
	s_cbranch_execz .LBB213_2709
; %bb.2704:
	s_mov_b32 s8, 0x37ffffff
	v_and_b32_e32 v1, 0xffff, v0
	v_cmp_lt_u32_e32 vcc, s8, v4
	s_mov_b64 s[8:9], 0
                                        ; implicit-def: $vgpr4
	s_and_saveexec_b64 s[10:11], vcc
	s_xor_b64 s[10:11], exec, s[10:11]
	s_cbranch_execz .LBB213_2796
; %bb.2705:
	v_bfe_u32 v4, v1, 5, 1
	s_mov_b32 s12, 0x88fffff
	v_add3_u32 v4, v5, v4, s12
	s_mov_b64 s[8:9], exec
	v_lshrrev_b32_e32 v4, 21, v4
                                        ; implicit-def: $vgpr5
	s_or_saveexec_b64 s[10:11], s[10:11]
                                        ; implicit-def: $sgpr12
	s_xor_b64 exec, exec, s[10:11]
	s_cbranch_execnz .LBB213_2797
.LBB213_2706:
	s_or_b64 exec, exec, s[10:11]
	v_mov_b32_e32 v6, s12
	s_and_saveexec_b64 s[10:11], s[8:9]
.LBB213_2707:
	v_lshrrev_b32_e32 v1, 8, v1
	s_movk_i32 s8, 0x80
	v_and_or_b32 v6, v1, s8, v4
.LBB213_2708:
	s_or_b64 exec, exec, s[10:11]
.LBB213_2709:
	s_or_b64 exec, exec, s[6:7]
	s_mov_b64 s[6:7], 0
	global_store_byte v[2:3], v6, off
.LBB213_2710:
	s_and_b64 vcc, exec, s[6:7]
	s_cbranch_vccz .LBB213_2720
; %bb.2711:
	v_lshlrev_b32_e32 v5, 16, v0
	v_and_b32_e32 v6, 0x7fffffff, v5
	s_mov_b32 s6, 0x43f00000
	v_and_b32_e32 v1, 0xffff, v0
	v_cmp_gt_u32_e32 vcc, s6, v6
                                        ; implicit-def: $vgpr4
	s_and_saveexec_b64 s[6:7], vcc
	s_xor_b64 s[6:7], exec, s[6:7]
	s_cbranch_execz .LBB213_2717
; %bb.2712:
	s_mov_b32 s8, 0x3c7fffff
	v_cmp_lt_u32_e32 vcc, s8, v6
                                        ; implicit-def: $vgpr4
	s_and_saveexec_b64 s[8:9], vcc
	s_xor_b64 s[8:9], exec, s[8:9]
; %bb.2713:
	v_bfe_u32 v4, v1, 4, 1
	s_mov_b32 s10, 0x407ffff
	v_add3_u32 v4, v5, v4, s10
	v_lshrrev_b32_e32 v5, 20, v4
	v_and_b32_e32 v4, 0xff00000, v4
	s_mov_b32 s10, 0x7f00000
	v_mov_b32_e32 v6, 0x7e
	v_cmp_ne_u32_e32 vcc, s10, v4
	v_cndmask_b32_e32 v4, v6, v5, vcc
                                        ; implicit-def: $vgpr5
; %bb.2714:
	s_andn2_saveexec_b64 s[8:9], s[8:9]
; %bb.2715:
	s_mov_b32 s10, 0x46800000
	v_add_f32_e64 v4, |v5|, s10
; %bb.2716:
	s_or_b64 exec, exec, s[8:9]
                                        ; implicit-def: $vgpr6
.LBB213_2717:
	s_andn2_saveexec_b64 s[6:7], s[6:7]
; %bb.2718:
	s_mov_b32 s8, 0x7f800000
	v_mov_b32_e32 v4, 0x7e
	v_mov_b32_e32 v5, 0x7f
	v_cmp_lt_u32_e32 vcc, s8, v6
	v_cndmask_b32_e32 v4, v4, v5, vcc
; %bb.2719:
	s_or_b64 exec, exec, s[6:7]
	v_lshrrev_b32_e32 v1, 8, v1
	s_movk_i32 s6, 0x80
	v_and_or_b32 v1, v1, s6, v4
	global_store_byte v[2:3], v1, off
.LBB213_2720:
	s_mov_b64 s[6:7], 0
.LBB213_2721:
	s_andn2_b64 vcc, exec, s[6:7]
	s_cbranch_vccnz .LBB213_2731
; %bb.2722:
	v_lshlrev_b32_e32 v5, 16, v0
	v_and_b32_e32 v6, 0x7fffffff, v5
	s_mov_b32 s6, 0x47800000
	v_and_b32_e32 v1, 0xffff, v0
	v_cmp_gt_u32_e32 vcc, s6, v6
                                        ; implicit-def: $vgpr4
	s_and_saveexec_b64 s[6:7], vcc
	s_xor_b64 s[6:7], exec, s[6:7]
	s_cbranch_execz .LBB213_2728
; %bb.2723:
	s_mov_b32 s8, 0x387fffff
	v_cmp_lt_u32_e32 vcc, s8, v6
                                        ; implicit-def: $vgpr4
	s_and_saveexec_b64 s[8:9], vcc
	s_xor_b64 s[8:9], exec, s[8:9]
; %bb.2724:
	v_bfe_u32 v4, v1, 5, 1
	s_mov_b32 s10, 0x80fffff
	v_add3_u32 v4, v5, v4, s10
	v_lshrrev_b32_e32 v4, 21, v4
                                        ; implicit-def: $vgpr5
; %bb.2725:
	s_andn2_saveexec_b64 s[8:9], s[8:9]
; %bb.2726:
	s_mov_b32 s10, 0x43000000
	v_add_f32_e64 v4, |v5|, s10
; %bb.2727:
	s_or_b64 exec, exec, s[8:9]
                                        ; implicit-def: $vgpr6
.LBB213_2728:
	s_andn2_saveexec_b64 s[6:7], s[6:7]
; %bb.2729:
	s_mov_b32 s8, 0x7f800000
	v_mov_b32_e32 v4, 0x7c
	v_mov_b32_e32 v5, 0x7f
	v_cmp_lt_u32_e32 vcc, s8, v6
	v_cndmask_b32_e32 v4, v4, v5, vcc
; %bb.2730:
	s_or_b64 exec, exec, s[6:7]
	v_lshrrev_b32_e32 v1, 8, v1
	s_movk_i32 s6, 0x80
	v_and_or_b32 v1, v1, s6, v4
	global_store_byte v[2:3], v1, off
.LBB213_2731:
	s_mov_b64 s[6:7], 0
	s_mov_b64 s[8:9], -1
.LBB213_2732:
	s_andn2_b64 vcc, exec, s[6:7]
	s_mov_b64 s[6:7], 0
	s_cbranch_vccnz .LBB213_2739
; %bb.2733:
	v_mov_b32_e32 v1, 14
	v_cmp_gt_i16_sdwa s[6:7], s22, v1 src0_sel:BYTE_0 src1_sel:DWORD
	s_mov_b64 s[10:11], -1
	s_and_b64 vcc, exec, s[6:7]
	s_cbranch_vccz .LBB213_2737
; %bb.2734:
	v_mov_b32_e32 v1, 15
	v_cmp_eq_u16_sdwa s[6:7], s22, v1 src0_sel:BYTE_0 src1_sel:DWORD
	s_mov_b64 s[4:5], -1
	s_and_b64 vcc, exec, s[6:7]
	s_cbranch_vccz .LBB213_2736
; %bb.2735:
	global_store_short v[2:3], v0, off
	s_mov_b64 s[4:5], 0
	s_mov_b64 s[8:9], -1
.LBB213_2736:
	s_mov_b64 s[10:11], 0
.LBB213_2737:
	s_mov_b64 s[6:7], 0
	s_and_b64 vcc, exec, s[10:11]
	s_cbranch_vccz .LBB213_2739
; %bb.2738:
	v_mov_b32_e32 v1, 11
	v_cmp_ne_u16_sdwa s[4:5], s22, v1 src0_sel:BYTE_0 src1_sel:DWORD
	s_mov_b64 s[6:7], -1
.LBB213_2739:
	s_and_b64 vcc, exec, s[4:5]
	s_cbranch_vccnz .LBB213_2795
; %bb.2740:
	s_andn2_b64 vcc, exec, s[6:7]
	s_cbranch_vccnz .LBB213_2742
.LBB213_2741:
	v_and_b32_e32 v1, 0x7fff, v0
	v_cmp_ne_u16_e32 vcc, 0, v1
	v_cndmask_b32_e64 v1, 0, 1, vcc
	s_mov_b64 s[8:9], -1
	global_store_byte v[2:3], v1, off
.LBB213_2742:
	s_mov_b64 s[4:5], 0
.LBB213_2743:
	s_and_b64 vcc, exec, s[4:5]
	s_cbranch_vccz .LBB213_2782
; %bb.2744:
	v_mov_b32_e32 v1, 5
	v_cmp_lt_i16_sdwa s[6:7], s22, v1 src0_sel:BYTE_0 src1_sel:DWORD
	s_mov_b64 s[4:5], -1
	s_and_b64 vcc, exec, s[6:7]
	s_cbranch_vccnz .LBB213_2765
; %bb.2745:
	v_mov_b32_e32 v1, 8
	v_cmp_lt_i16_sdwa s[6:7], s22, v1 src0_sel:BYTE_0 src1_sel:DWORD
	s_and_b64 vcc, exec, s[6:7]
	s_cbranch_vccnz .LBB213_2755
; %bb.2746:
	v_mov_b32_e32 v1, 9
	v_cmp_lt_i16_sdwa s[6:7], s22, v1 src0_sel:BYTE_0 src1_sel:DWORD
	s_and_b64 vcc, exec, s[6:7]
	s_cbranch_vccnz .LBB213_2752
; %bb.2747:
	v_cmp_gt_i16_sdwa s[6:7], s22, v1 src0_sel:BYTE_0 src1_sel:DWORD
	s_and_b64 vcc, exec, s[6:7]
	s_cbranch_vccz .LBB213_2749
; %bb.2748:
	v_lshlrev_b32_e32 v1, 16, v0
	v_mov_b32_e32 v6, 0
	v_cvt_f64_f32_e32 v[4:5], v1
	v_mov_b32_e32 v7, v6
	global_store_dwordx4 v[2:3], v[4:7], off
	s_mov_b64 s[4:5], 0
.LBB213_2749:
	s_andn2_b64 vcc, exec, s[4:5]
	s_cbranch_vccnz .LBB213_2751
; %bb.2750:
	v_lshlrev_b32_e32 v4, 16, v0
	v_mov_b32_e32 v5, 0
	global_store_dwordx2 v[2:3], v[4:5], off
.LBB213_2751:
	s_mov_b64 s[4:5], 0
.LBB213_2752:
	s_andn2_b64 vcc, exec, s[4:5]
	s_cbranch_vccnz .LBB213_2754
; %bb.2753:
	v_lshlrev_b32_e32 v1, 16, v0
	v_cvt_f16_f32_e32 v1, v1
	global_store_dword v[2:3], v1, off
.LBB213_2754:
	s_mov_b64 s[4:5], 0
.LBB213_2755:
	s_andn2_b64 vcc, exec, s[4:5]
	s_cbranch_vccnz .LBB213_2764
; %bb.2756:
	v_mov_b32_e32 v1, 6
	v_cmp_lt_i16_sdwa s[6:7], s22, v1 src0_sel:BYTE_0 src1_sel:DWORD
	s_mov_b64 s[4:5], -1
	s_and_b64 vcc, exec, s[6:7]
	s_cbranch_vccnz .LBB213_2762
; %bb.2757:
	v_cmp_gt_i16_sdwa s[6:7], s22, v1 src0_sel:BYTE_0 src1_sel:DWORD
	s_and_b64 vcc, exec, s[6:7]
	s_cbranch_vccz .LBB213_2759
; %bb.2758:
	v_lshlrev_b32_e32 v1, 16, v0
	v_cvt_f64_f32_e32 v[4:5], v1
	global_store_dwordx2 v[2:3], v[4:5], off
	s_mov_b64 s[4:5], 0
.LBB213_2759:
	s_andn2_b64 vcc, exec, s[4:5]
	s_cbranch_vccnz .LBB213_2761
; %bb.2760:
	v_lshlrev_b32_e32 v1, 16, v0
	global_store_dword v[2:3], v1, off
.LBB213_2761:
	s_mov_b64 s[4:5], 0
.LBB213_2762:
	s_andn2_b64 vcc, exec, s[4:5]
	s_cbranch_vccnz .LBB213_2764
; %bb.2763:
	v_lshlrev_b32_e32 v1, 16, v0
	v_cvt_f16_f32_e32 v1, v1
	global_store_short v[2:3], v1, off
.LBB213_2764:
	s_mov_b64 s[4:5], 0
.LBB213_2765:
	s_andn2_b64 vcc, exec, s[4:5]
	s_cbranch_vccnz .LBB213_2781
; %bb.2766:
	v_mov_b32_e32 v1, 2
	v_cmp_lt_i16_sdwa s[6:7], s22, v1 src0_sel:BYTE_0 src1_sel:DWORD
	s_mov_b64 s[4:5], -1
	s_and_b64 vcc, exec, s[6:7]
	s_cbranch_vccnz .LBB213_2776
; %bb.2767:
	v_mov_b32_e32 v1, 3
	v_cmp_lt_i16_sdwa s[6:7], s22, v1 src0_sel:BYTE_0 src1_sel:DWORD
	s_and_b64 vcc, exec, s[6:7]
	s_cbranch_vccnz .LBB213_2773
; %bb.2768:
	v_cmp_gt_i16_sdwa s[6:7], s22, v1 src0_sel:BYTE_0 src1_sel:DWORD
	s_and_b64 vcc, exec, s[6:7]
	s_cbranch_vccz .LBB213_2770
; %bb.2769:
	v_lshlrev_b32_e32 v1, 16, v0
	v_trunc_f32_e32 v1, v1
	s_mov_b32 s4, 0x2f800000
	v_mul_f32_e64 v4, |v1|, s4
	v_floor_f32_e32 v4, v4
	s_mov_b32 s4, 0xcf800000
	v_cvt_u32_f32_e32 v5, v4
	v_fma_f32 v4, v4, s4, |v1|
	v_cvt_u32_f32_e32 v4, v4
	v_ashrrev_i32_e32 v1, 31, v1
	v_xor_b32_e32 v5, v5, v1
	s_mov_b64 s[4:5], 0
	v_xor_b32_e32 v4, v4, v1
	v_sub_co_u32_e32 v4, vcc, v4, v1
	v_subb_co_u32_e32 v5, vcc, v5, v1, vcc
	global_store_dwordx2 v[2:3], v[4:5], off
.LBB213_2770:
	s_andn2_b64 vcc, exec, s[4:5]
	s_cbranch_vccnz .LBB213_2772
; %bb.2771:
	v_lshlrev_b32_e32 v1, 16, v0
	v_cvt_i32_f32_e32 v1, v1
	global_store_dword v[2:3], v1, off
.LBB213_2772:
	s_mov_b64 s[4:5], 0
.LBB213_2773:
	s_andn2_b64 vcc, exec, s[4:5]
	s_cbranch_vccnz .LBB213_2775
; %bb.2774:
	v_lshlrev_b32_e32 v1, 16, v0
	v_cvt_i32_f32_e32 v1, v1
	global_store_short v[2:3], v1, off
.LBB213_2775:
	s_mov_b64 s[4:5], 0
.LBB213_2776:
	s_andn2_b64 vcc, exec, s[4:5]
	s_cbranch_vccnz .LBB213_2781
; %bb.2777:
	v_mov_b32_e32 v1, 0
	v_cmp_gt_i16_sdwa s[6:7], s22, v1 src0_sel:BYTE_0 src1_sel:DWORD
	s_mov_b64 s[4:5], -1
	s_and_b64 vcc, exec, s[6:7]
	v_lshlrev_b32_e32 v0, 16, v0
	s_cbranch_vccz .LBB213_2779
; %bb.2778:
	v_cvt_i32_f32_e32 v1, v0
	s_mov_b64 s[4:5], 0
	global_store_byte v[2:3], v1, off
.LBB213_2779:
	s_andn2_b64 vcc, exec, s[4:5]
	s_cbranch_vccnz .LBB213_2781
; %bb.2780:
	v_trunc_f32_e32 v0, v0
	s_mov_b32 s4, 0x2f800000
	v_mul_f32_e64 v1, |v0|, s4
	v_floor_f32_e32 v1, v1
	s_mov_b32 s4, 0xcf800000
	v_fma_f32 v1, v1, s4, |v0|
	v_cvt_u32_f32_e32 v1, v1
	v_ashrrev_i32_e32 v0, 31, v0
	v_xor_b32_e32 v1, v1, v0
	v_sub_u32_e32 v0, v1, v0
	global_store_byte v[2:3], v0, off
.LBB213_2781:
	s_mov_b64 s[8:9], -1
.LBB213_2782:
	s_andn2_b64 vcc, exec, s[8:9]
	s_cbranch_vccnz .LBB213_3113
; %bb.2783:
	v_mov_b32_e32 v0, v30
	v_mov_b32_e32 v1, v31
	s_getpc_b64 s[4:5]
	s_add_u32 s4, s4, _ZZZZN2at6native33launch_standard_gamma_grad_kernelERNS_18TensorIteratorBaseEENKUlvE_clEvENKUlvE2_clEvENKUlN3c108BFloat16ES6_E_clES6_S6_@rel32@lo+4
	s_addc_u32 s5, s5, _ZZZZN2at6native33launch_standard_gamma_grad_kernelERNS_18TensorIteratorBaseEENKUlvE_clEvENKUlvE2_clEvENKUlN3c108BFloat16ES6_E_clES6_S6_@rel32@hi+12
	s_swappc_b64 s[30:31], s[4:5]
	v_mov_b32_e32 v1, s25
	v_add_co_u32_e32 v2, vcc, s24, v40
	v_addc_co_u32_e32 v3, vcc, 0, v1, vcc
	v_mov_b32_e32 v1, 11
	v_cmp_lt_i16_sdwa s[4:5], s22, v1 src0_sel:BYTE_0 src1_sel:DWORD
	s_and_b64 vcc, exec, s[4:5]
	s_cbranch_vccnz .LBB213_2790
; %bb.2784:
	v_mov_b32_e32 v1, 25
	v_cmp_gt_i16_sdwa s[4:5], s22, v1 src0_sel:BYTE_0 src1_sel:DWORD
	s_mov_b64 s[10:11], -1
	s_mov_b64 s[6:7], 0
	s_and_b64 vcc, exec, s[4:5]
	s_mov_b64 s[8:9], 0
	s_mov_b64 s[4:5], 0
	s_cbranch_vccz .LBB213_2826
; %bb.2785:
	v_mov_b32_e32 v1, 28
	v_cmp_gt_i16_sdwa s[4:5], s22, v1 src0_sel:BYTE_0 src1_sel:DWORD
	s_and_b64 vcc, exec, s[4:5]
	s_cbranch_vccz .LBB213_2791
; %bb.2786:
	v_mov_b32_e32 v1, 43
	v_cmp_gt_i16_sdwa s[4:5], s22, v1 src0_sel:BYTE_0 src1_sel:DWORD
	s_and_b64 vcc, exec, s[4:5]
	;; [unrolled: 5-line block ×3, first 2 shown]
	s_cbranch_vccz .LBB213_2798
; %bb.2788:
	v_mov_b32_e32 v1, 46
	v_cmp_eq_u16_sdwa s[8:9], s22, v1 src0_sel:BYTE_0 src1_sel:DWORD
	s_mov_b64 s[4:5], -1
	s_mov_b64 s[10:11], 0
	s_and_b64 vcc, exec, s[8:9]
	s_mov_b64 s[8:9], 0
	s_cbranch_vccz .LBB213_2799
; %bb.2789:
	v_and_b32_e32 v1, 0xffff, v0
	global_store_dword v[2:3], v1, off
	s_mov_b64 s[4:5], 0
	s_mov_b64 s[8:9], -1
	s_branch .LBB213_2799
.LBB213_2790:
	s_mov_b64 s[4:5], -1
	s_mov_b64 s[8:9], 0
	s_branch .LBB213_2870
.LBB213_2791:
	s_mov_b64 s[4:5], 0
	s_branch .LBB213_2809
.LBB213_2792:
	s_or_saveexec_b64 s[12:13], s[12:13]
                                        ; implicit-def: $sgpr14
	s_xor_b64 exec, exec, s[12:13]
	s_cbranch_execz .LBB213_2693
.LBB213_2793:
	s_mov_b32 s14, 0x46000000
	v_add_f32_e64 v4, |v5|, s14
	v_and_b32_e32 v4, 0xff, v4
	v_cmp_ne_u32_e32 vcc, 0, v4
	s_andn2_b64 s[10:11], s[10:11], exec
	s_and_b64 s[16:17], vcc, exec
	s_mov_b32 s14, 0
	s_or_b64 s[10:11], s[10:11], s[16:17]
	s_or_b64 exec, exec, s[12:13]
	v_mov_b32_e32 v6, s14
	s_and_saveexec_b64 s[12:13], s[10:11]
	s_cbranch_execnz .LBB213_2694
	s_branch .LBB213_2695
.LBB213_2794:
	s_mov_b64 s[4:5], 0
	s_branch .LBB213_2805
.LBB213_2795:
	s_trap 2
	s_or_b64 s[34:35], s[34:35], exec
	s_cbranch_execz .LBB213_2741
	s_branch .LBB213_2742
.LBB213_2796:
	s_or_saveexec_b64 s[10:11], s[10:11]
                                        ; implicit-def: $sgpr12
	s_xor_b64 exec, exec, s[10:11]
	s_cbranch_execz .LBB213_2706
.LBB213_2797:
	s_mov_b32 s12, 0x42800000
	v_add_f32_e64 v4, |v5|, s12
	v_and_b32_e32 v4, 0xff, v4
	v_cmp_ne_u32_e32 vcc, 0, v4
	s_andn2_b64 s[8:9], s[8:9], exec
	s_and_b64 s[14:15], vcc, exec
	s_mov_b32 s12, 0
	s_or_b64 s[8:9], s[8:9], s[14:15]
	s_or_b64 exec, exec, s[10:11]
	v_mov_b32_e32 v6, s12
	s_and_saveexec_b64 s[10:11], s[8:9]
	s_cbranch_execnz .LBB213_2707
	s_branch .LBB213_2708
.LBB213_2798:
	s_mov_b64 s[4:5], 0
.LBB213_2799:
	s_and_b64 vcc, exec, s[10:11]
	s_cbranch_vccz .LBB213_2804
; %bb.2800:
	v_mov_b32_e32 v1, 44
	v_cmp_eq_u16_sdwa s[10:11], s22, v1 src0_sel:BYTE_0 src1_sel:DWORD
	s_mov_b64 s[4:5], -1
	s_and_b64 vcc, exec, s[10:11]
	s_cbranch_vccz .LBB213_2804
; %bb.2801:
	v_and_b32_e32 v4, 0xffff, v0
	v_bfe_u32 v1, v4, 7, 8
	s_movk_i32 s4, 0xff
	v_cmp_ne_u32_e32 vcc, s4, v1
	v_mov_b32_e32 v5, 0xff
	s_and_saveexec_b64 s[8:9], vcc
; %bb.2802:
	v_lshlrev_b32_e32 v6, 16, v4
	s_mov_b32 s4, 0x3f0000
	v_lshrrev_b32_e32 v5, 7, v4
	v_and_b32_e32 v4, 64, v4
	v_and_or_b32 v1, v6, s4, v1
	v_cmp_ne_u32_e32 vcc, 0, v4
	v_cmp_ne_u32_e64 s[4:5], 0, v1
	s_and_b64 s[4:5], vcc, s[4:5]
	v_cndmask_b32_e64 v1, 0, 1, s[4:5]
	v_add_u32_e32 v5, v5, v1
; %bb.2803:
	s_or_b64 exec, exec, s[8:9]
	s_mov_b64 s[4:5], 0
	s_mov_b64 s[8:9], -1
	global_store_byte v[2:3], v5, off
.LBB213_2804:
	s_mov_b64 s[10:11], 0
.LBB213_2805:
	s_and_b64 vcc, exec, s[10:11]
	s_cbranch_vccz .LBB213_2808
; %bb.2806:
	v_mov_b32_e32 v1, 29
	v_cmp_eq_u16_sdwa s[10:11], s22, v1 src0_sel:BYTE_0 src1_sel:DWORD
	s_mov_b64 s[4:5], -1
	s_and_b64 vcc, exec, s[10:11]
	s_cbranch_vccz .LBB213_2808
; %bb.2807:
	v_lshlrev_b32_e32 v1, 16, v0
	v_trunc_f32_e32 v1, v1
	v_mul_f32_e32 v4, 0x2f800000, v1
	v_floor_f32_e32 v4, v4
	v_fmac_f32_e32 v1, 0xcf800000, v4
	v_cvt_u32_f32_e32 v5, v4
	v_cvt_u32_f32_e32 v4, v1
	s_mov_b64 s[4:5], 0
	s_mov_b64 s[8:9], -1
	s_mov_b64 s[10:11], 0
	global_store_dwordx2 v[2:3], v[4:5], off
	s_branch .LBB213_2809
.LBB213_2808:
	s_mov_b64 s[10:11], 0
.LBB213_2809:
	s_and_b64 vcc, exec, s[10:11]
	s_cbranch_vccz .LBB213_2825
; %bb.2810:
	v_mov_b32_e32 v1, 27
	v_cmp_lt_i16_sdwa s[10:11], s22, v1 src0_sel:BYTE_0 src1_sel:DWORD
	s_mov_b64 s[8:9], -1
	s_and_b64 vcc, exec, s[10:11]
	s_cbranch_vccnz .LBB213_2816
; %bb.2811:
	v_cmp_gt_i16_sdwa s[10:11], s22, v1 src0_sel:BYTE_0 src1_sel:DWORD
	s_and_b64 vcc, exec, s[10:11]
	s_cbranch_vccz .LBB213_2813
; %bb.2812:
	v_lshlrev_b32_e32 v1, 16, v0
	v_cvt_u32_f32_e32 v1, v1
	s_mov_b64 s[8:9], 0
	global_store_dword v[2:3], v1, off
.LBB213_2813:
	s_andn2_b64 vcc, exec, s[8:9]
	s_cbranch_vccnz .LBB213_2815
; %bb.2814:
	v_lshlrev_b32_e32 v1, 16, v0
	v_cvt_u32_f32_e32 v1, v1
	global_store_short v[2:3], v1, off
.LBB213_2815:
	s_mov_b64 s[8:9], 0
.LBB213_2816:
	s_andn2_b64 vcc, exec, s[8:9]
	s_cbranch_vccnz .LBB213_2824
; %bb.2817:
	v_lshlrev_b32_e32 v5, 16, v0
	v_and_b32_e32 v4, 0x7fffffff, v5
	s_mov_b32 s8, 0x43800000
	v_cmp_gt_u32_e32 vcc, s8, v4
	v_mov_b32_e32 v6, 0x80
	s_and_saveexec_b64 s[8:9], vcc
	s_cbranch_execz .LBB213_2823
; %bb.2818:
	s_mov_b32 s10, 0x3bffffff
	v_and_b32_e32 v1, 0xffff, v0
	v_cmp_lt_u32_e32 vcc, s10, v4
	s_mov_b64 s[10:11], 0
                                        ; implicit-def: $vgpr4
	s_and_saveexec_b64 s[12:13], vcc
	s_xor_b64 s[12:13], exec, s[12:13]
	s_cbranch_execz .LBB213_2919
; %bb.2819:
	v_bfe_u32 v4, v1, 4, 1
	s_mov_b32 s14, 0x487ffff
	v_add3_u32 v4, v5, v4, s14
	s_mov_b64 s[10:11], exec
	v_lshrrev_b32_e32 v4, 20, v4
                                        ; implicit-def: $vgpr5
	s_or_saveexec_b64 s[12:13], s[12:13]
                                        ; implicit-def: $sgpr14
	s_xor_b64 exec, exec, s[12:13]
	s_cbranch_execnz .LBB213_2920
.LBB213_2820:
	s_or_b64 exec, exec, s[12:13]
	v_mov_b32_e32 v6, s14
	s_and_saveexec_b64 s[12:13], s[10:11]
.LBB213_2821:
	v_lshrrev_b32_e32 v1, 8, v1
	s_movk_i32 s10, 0x80
	v_and_or_b32 v6, v1, s10, v4
.LBB213_2822:
	s_or_b64 exec, exec, s[12:13]
.LBB213_2823:
	s_or_b64 exec, exec, s[8:9]
	global_store_byte v[2:3], v6, off
.LBB213_2824:
	s_mov_b64 s[8:9], -1
.LBB213_2825:
	s_mov_b64 s[10:11], 0
.LBB213_2826:
	s_and_b64 vcc, exec, s[10:11]
	s_cbranch_vccz .LBB213_2866
; %bb.2827:
	v_mov_b32_e32 v1, 22
	v_cmp_gt_i16_sdwa s[10:11], s22, v1 src0_sel:BYTE_0 src1_sel:DWORD
	s_mov_b64 s[6:7], -1
	s_and_b64 vcc, exec, s[10:11]
	s_cbranch_vccz .LBB213_2859
; %bb.2828:
	v_mov_b32_e32 v1, 24
	v_cmp_lt_i16_sdwa s[8:9], s22, v1 src0_sel:BYTE_0 src1_sel:DWORD
	s_and_b64 vcc, exec, s[8:9]
	s_cbranch_vccnz .LBB213_2848
; %bb.2829:
	v_cmp_gt_i16_sdwa s[8:9], s22, v1 src0_sel:BYTE_0 src1_sel:DWORD
	s_and_b64 vcc, exec, s[8:9]
	s_cbranch_vccz .LBB213_2837
; %bb.2830:
	v_lshlrev_b32_e32 v5, 16, v0
	v_and_b32_e32 v4, 0x7fffffff, v5
	s_mov_b32 s6, 0x47800000
	v_cmp_gt_u32_e32 vcc, s6, v4
	v_mov_b32_e32 v6, 0x80
	s_and_saveexec_b64 s[6:7], vcc
	s_cbranch_execz .LBB213_2836
; %bb.2831:
	s_mov_b32 s8, 0x37ffffff
	v_and_b32_e32 v1, 0xffff, v0
	v_cmp_lt_u32_e32 vcc, s8, v4
	s_mov_b64 s[8:9], 0
                                        ; implicit-def: $vgpr4
	s_and_saveexec_b64 s[10:11], vcc
	s_xor_b64 s[10:11], exec, s[10:11]
	s_cbranch_execz .LBB213_2923
; %bb.2832:
	v_bfe_u32 v4, v1, 5, 1
	s_mov_b32 s12, 0x88fffff
	v_add3_u32 v4, v5, v4, s12
	s_mov_b64 s[8:9], exec
	v_lshrrev_b32_e32 v4, 21, v4
                                        ; implicit-def: $vgpr5
	s_or_saveexec_b64 s[10:11], s[10:11]
                                        ; implicit-def: $sgpr12
	s_xor_b64 exec, exec, s[10:11]
	s_cbranch_execnz .LBB213_2924
.LBB213_2833:
	s_or_b64 exec, exec, s[10:11]
	v_mov_b32_e32 v6, s12
	s_and_saveexec_b64 s[10:11], s[8:9]
.LBB213_2834:
	v_lshrrev_b32_e32 v1, 8, v1
	s_movk_i32 s8, 0x80
	v_and_or_b32 v6, v1, s8, v4
.LBB213_2835:
	s_or_b64 exec, exec, s[10:11]
.LBB213_2836:
	s_or_b64 exec, exec, s[6:7]
	s_mov_b64 s[6:7], 0
	global_store_byte v[2:3], v6, off
.LBB213_2837:
	s_and_b64 vcc, exec, s[6:7]
	s_cbranch_vccz .LBB213_2847
; %bb.2838:
	v_lshlrev_b32_e32 v5, 16, v0
	v_and_b32_e32 v6, 0x7fffffff, v5
	s_mov_b32 s6, 0x43f00000
	v_and_b32_e32 v1, 0xffff, v0
	v_cmp_gt_u32_e32 vcc, s6, v6
                                        ; implicit-def: $vgpr4
	s_and_saveexec_b64 s[6:7], vcc
	s_xor_b64 s[6:7], exec, s[6:7]
	s_cbranch_execz .LBB213_2844
; %bb.2839:
	s_mov_b32 s8, 0x3c7fffff
	v_cmp_lt_u32_e32 vcc, s8, v6
                                        ; implicit-def: $vgpr4
	s_and_saveexec_b64 s[8:9], vcc
	s_xor_b64 s[8:9], exec, s[8:9]
; %bb.2840:
	v_bfe_u32 v4, v1, 4, 1
	s_mov_b32 s10, 0x407ffff
	v_add3_u32 v4, v5, v4, s10
	v_lshrrev_b32_e32 v5, 20, v4
	v_and_b32_e32 v4, 0xff00000, v4
	s_mov_b32 s10, 0x7f00000
	v_mov_b32_e32 v6, 0x7e
	v_cmp_ne_u32_e32 vcc, s10, v4
	v_cndmask_b32_e32 v4, v6, v5, vcc
                                        ; implicit-def: $vgpr5
; %bb.2841:
	s_andn2_saveexec_b64 s[8:9], s[8:9]
; %bb.2842:
	s_mov_b32 s10, 0x46800000
	v_add_f32_e64 v4, |v5|, s10
; %bb.2843:
	s_or_b64 exec, exec, s[8:9]
                                        ; implicit-def: $vgpr6
.LBB213_2844:
	s_andn2_saveexec_b64 s[6:7], s[6:7]
; %bb.2845:
	s_mov_b32 s8, 0x7f800000
	v_mov_b32_e32 v4, 0x7e
	v_mov_b32_e32 v5, 0x7f
	v_cmp_lt_u32_e32 vcc, s8, v6
	v_cndmask_b32_e32 v4, v4, v5, vcc
; %bb.2846:
	s_or_b64 exec, exec, s[6:7]
	v_lshrrev_b32_e32 v1, 8, v1
	s_movk_i32 s6, 0x80
	v_and_or_b32 v1, v1, s6, v4
	global_store_byte v[2:3], v1, off
.LBB213_2847:
	s_mov_b64 s[6:7], 0
.LBB213_2848:
	s_andn2_b64 vcc, exec, s[6:7]
	s_cbranch_vccnz .LBB213_2858
; %bb.2849:
	v_lshlrev_b32_e32 v5, 16, v0
	v_and_b32_e32 v6, 0x7fffffff, v5
	s_mov_b32 s6, 0x47800000
	v_and_b32_e32 v1, 0xffff, v0
	v_cmp_gt_u32_e32 vcc, s6, v6
                                        ; implicit-def: $vgpr4
	s_and_saveexec_b64 s[6:7], vcc
	s_xor_b64 s[6:7], exec, s[6:7]
	s_cbranch_execz .LBB213_2855
; %bb.2850:
	s_mov_b32 s8, 0x387fffff
	v_cmp_lt_u32_e32 vcc, s8, v6
                                        ; implicit-def: $vgpr4
	s_and_saveexec_b64 s[8:9], vcc
	s_xor_b64 s[8:9], exec, s[8:9]
; %bb.2851:
	v_bfe_u32 v4, v1, 5, 1
	s_mov_b32 s10, 0x80fffff
	v_add3_u32 v4, v5, v4, s10
	v_lshrrev_b32_e32 v4, 21, v4
                                        ; implicit-def: $vgpr5
; %bb.2852:
	s_andn2_saveexec_b64 s[8:9], s[8:9]
; %bb.2853:
	s_mov_b32 s10, 0x43000000
	v_add_f32_e64 v4, |v5|, s10
; %bb.2854:
	s_or_b64 exec, exec, s[8:9]
                                        ; implicit-def: $vgpr6
.LBB213_2855:
	s_andn2_saveexec_b64 s[6:7], s[6:7]
; %bb.2856:
	s_mov_b32 s8, 0x7f800000
	v_mov_b32_e32 v4, 0x7c
	v_mov_b32_e32 v5, 0x7f
	v_cmp_lt_u32_e32 vcc, s8, v6
	v_cndmask_b32_e32 v4, v4, v5, vcc
; %bb.2857:
	s_or_b64 exec, exec, s[6:7]
	v_lshrrev_b32_e32 v1, 8, v1
	s_movk_i32 s6, 0x80
	v_and_or_b32 v1, v1, s6, v4
	global_store_byte v[2:3], v1, off
.LBB213_2858:
	s_mov_b64 s[6:7], 0
	s_mov_b64 s[8:9], -1
.LBB213_2859:
	s_andn2_b64 vcc, exec, s[6:7]
	s_mov_b64 s[6:7], 0
	s_cbranch_vccnz .LBB213_2866
; %bb.2860:
	v_mov_b32_e32 v1, 14
	v_cmp_gt_i16_sdwa s[6:7], s22, v1 src0_sel:BYTE_0 src1_sel:DWORD
	s_mov_b64 s[10:11], -1
	s_and_b64 vcc, exec, s[6:7]
	s_cbranch_vccz .LBB213_2864
; %bb.2861:
	v_mov_b32_e32 v1, 15
	v_cmp_eq_u16_sdwa s[6:7], s22, v1 src0_sel:BYTE_0 src1_sel:DWORD
	s_mov_b64 s[4:5], -1
	s_and_b64 vcc, exec, s[6:7]
	s_cbranch_vccz .LBB213_2863
; %bb.2862:
	global_store_short v[2:3], v0, off
	s_mov_b64 s[4:5], 0
	s_mov_b64 s[8:9], -1
.LBB213_2863:
	s_mov_b64 s[10:11], 0
.LBB213_2864:
	s_mov_b64 s[6:7], 0
	s_and_b64 vcc, exec, s[10:11]
	s_cbranch_vccz .LBB213_2866
; %bb.2865:
	v_mov_b32_e32 v1, 11
	v_cmp_ne_u16_sdwa s[4:5], s22, v1 src0_sel:BYTE_0 src1_sel:DWORD
	s_mov_b64 s[6:7], -1
.LBB213_2866:
	s_and_b64 vcc, exec, s[4:5]
	s_cbranch_vccnz .LBB213_2922
; %bb.2867:
	s_andn2_b64 vcc, exec, s[6:7]
	s_cbranch_vccnz .LBB213_2869
.LBB213_2868:
	v_and_b32_e32 v1, 0x7fff, v0
	v_cmp_ne_u16_e32 vcc, 0, v1
	v_cndmask_b32_e64 v1, 0, 1, vcc
	s_mov_b64 s[8:9], -1
	global_store_byte v[2:3], v1, off
.LBB213_2869:
	s_mov_b64 s[4:5], 0
.LBB213_2870:
	s_and_b64 vcc, exec, s[4:5]
	s_cbranch_vccz .LBB213_2909
; %bb.2871:
	v_mov_b32_e32 v1, 5
	v_cmp_lt_i16_sdwa s[6:7], s22, v1 src0_sel:BYTE_0 src1_sel:DWORD
	s_mov_b64 s[4:5], -1
	s_and_b64 vcc, exec, s[6:7]
	s_cbranch_vccnz .LBB213_2892
; %bb.2872:
	v_mov_b32_e32 v1, 8
	v_cmp_lt_i16_sdwa s[6:7], s22, v1 src0_sel:BYTE_0 src1_sel:DWORD
	s_and_b64 vcc, exec, s[6:7]
	s_cbranch_vccnz .LBB213_2882
; %bb.2873:
	v_mov_b32_e32 v1, 9
	v_cmp_lt_i16_sdwa s[6:7], s22, v1 src0_sel:BYTE_0 src1_sel:DWORD
	s_and_b64 vcc, exec, s[6:7]
	s_cbranch_vccnz .LBB213_2879
; %bb.2874:
	v_cmp_gt_i16_sdwa s[6:7], s22, v1 src0_sel:BYTE_0 src1_sel:DWORD
	s_and_b64 vcc, exec, s[6:7]
	s_cbranch_vccz .LBB213_2876
; %bb.2875:
	v_lshlrev_b32_e32 v1, 16, v0
	v_mov_b32_e32 v6, 0
	v_cvt_f64_f32_e32 v[4:5], v1
	v_mov_b32_e32 v7, v6
	global_store_dwordx4 v[2:3], v[4:7], off
	s_mov_b64 s[4:5], 0
.LBB213_2876:
	s_andn2_b64 vcc, exec, s[4:5]
	s_cbranch_vccnz .LBB213_2878
; %bb.2877:
	v_lshlrev_b32_e32 v4, 16, v0
	v_mov_b32_e32 v5, 0
	global_store_dwordx2 v[2:3], v[4:5], off
.LBB213_2878:
	s_mov_b64 s[4:5], 0
.LBB213_2879:
	s_andn2_b64 vcc, exec, s[4:5]
	s_cbranch_vccnz .LBB213_2881
; %bb.2880:
	v_lshlrev_b32_e32 v1, 16, v0
	v_cvt_f16_f32_e32 v1, v1
	global_store_dword v[2:3], v1, off
.LBB213_2881:
	s_mov_b64 s[4:5], 0
.LBB213_2882:
	s_andn2_b64 vcc, exec, s[4:5]
	s_cbranch_vccnz .LBB213_2891
; %bb.2883:
	v_mov_b32_e32 v1, 6
	v_cmp_lt_i16_sdwa s[6:7], s22, v1 src0_sel:BYTE_0 src1_sel:DWORD
	s_mov_b64 s[4:5], -1
	s_and_b64 vcc, exec, s[6:7]
	s_cbranch_vccnz .LBB213_2889
; %bb.2884:
	v_cmp_gt_i16_sdwa s[6:7], s22, v1 src0_sel:BYTE_0 src1_sel:DWORD
	s_and_b64 vcc, exec, s[6:7]
	s_cbranch_vccz .LBB213_2886
; %bb.2885:
	v_lshlrev_b32_e32 v1, 16, v0
	v_cvt_f64_f32_e32 v[4:5], v1
	global_store_dwordx2 v[2:3], v[4:5], off
	s_mov_b64 s[4:5], 0
.LBB213_2886:
	s_andn2_b64 vcc, exec, s[4:5]
	s_cbranch_vccnz .LBB213_2888
; %bb.2887:
	v_lshlrev_b32_e32 v1, 16, v0
	global_store_dword v[2:3], v1, off
.LBB213_2888:
	s_mov_b64 s[4:5], 0
.LBB213_2889:
	s_andn2_b64 vcc, exec, s[4:5]
	s_cbranch_vccnz .LBB213_2891
; %bb.2890:
	v_lshlrev_b32_e32 v1, 16, v0
	v_cvt_f16_f32_e32 v1, v1
	global_store_short v[2:3], v1, off
.LBB213_2891:
	s_mov_b64 s[4:5], 0
.LBB213_2892:
	s_andn2_b64 vcc, exec, s[4:5]
	s_cbranch_vccnz .LBB213_2908
; %bb.2893:
	v_mov_b32_e32 v1, 2
	v_cmp_lt_i16_sdwa s[6:7], s22, v1 src0_sel:BYTE_0 src1_sel:DWORD
	s_mov_b64 s[4:5], -1
	s_and_b64 vcc, exec, s[6:7]
	s_cbranch_vccnz .LBB213_2903
; %bb.2894:
	v_mov_b32_e32 v1, 3
	v_cmp_lt_i16_sdwa s[6:7], s22, v1 src0_sel:BYTE_0 src1_sel:DWORD
	s_and_b64 vcc, exec, s[6:7]
	s_cbranch_vccnz .LBB213_2900
; %bb.2895:
	v_cmp_gt_i16_sdwa s[6:7], s22, v1 src0_sel:BYTE_0 src1_sel:DWORD
	s_and_b64 vcc, exec, s[6:7]
	s_cbranch_vccz .LBB213_2897
; %bb.2896:
	v_lshlrev_b32_e32 v1, 16, v0
	v_trunc_f32_e32 v1, v1
	s_mov_b32 s4, 0x2f800000
	v_mul_f32_e64 v4, |v1|, s4
	v_floor_f32_e32 v4, v4
	s_mov_b32 s4, 0xcf800000
	v_cvt_u32_f32_e32 v5, v4
	v_fma_f32 v4, v4, s4, |v1|
	v_cvt_u32_f32_e32 v4, v4
	v_ashrrev_i32_e32 v1, 31, v1
	v_xor_b32_e32 v5, v5, v1
	s_mov_b64 s[4:5], 0
	v_xor_b32_e32 v4, v4, v1
	v_sub_co_u32_e32 v4, vcc, v4, v1
	v_subb_co_u32_e32 v5, vcc, v5, v1, vcc
	global_store_dwordx2 v[2:3], v[4:5], off
.LBB213_2897:
	s_andn2_b64 vcc, exec, s[4:5]
	s_cbranch_vccnz .LBB213_2899
; %bb.2898:
	v_lshlrev_b32_e32 v1, 16, v0
	v_cvt_i32_f32_e32 v1, v1
	global_store_dword v[2:3], v1, off
.LBB213_2899:
	s_mov_b64 s[4:5], 0
.LBB213_2900:
	s_andn2_b64 vcc, exec, s[4:5]
	s_cbranch_vccnz .LBB213_2902
; %bb.2901:
	v_lshlrev_b32_e32 v1, 16, v0
	v_cvt_i32_f32_e32 v1, v1
	global_store_short v[2:3], v1, off
.LBB213_2902:
	s_mov_b64 s[4:5], 0
.LBB213_2903:
	s_andn2_b64 vcc, exec, s[4:5]
	s_cbranch_vccnz .LBB213_2908
; %bb.2904:
	v_mov_b32_e32 v1, 0
	v_cmp_gt_i16_sdwa s[6:7], s22, v1 src0_sel:BYTE_0 src1_sel:DWORD
	s_mov_b64 s[4:5], -1
	s_and_b64 vcc, exec, s[6:7]
	v_lshlrev_b32_e32 v0, 16, v0
	s_cbranch_vccz .LBB213_2906
; %bb.2905:
	v_cvt_i32_f32_e32 v1, v0
	s_mov_b64 s[4:5], 0
	global_store_byte v[2:3], v1, off
.LBB213_2906:
	s_andn2_b64 vcc, exec, s[4:5]
	s_cbranch_vccnz .LBB213_2908
; %bb.2907:
	v_trunc_f32_e32 v0, v0
	s_mov_b32 s4, 0x2f800000
	v_mul_f32_e64 v1, |v0|, s4
	v_floor_f32_e32 v1, v1
	s_mov_b32 s4, 0xcf800000
	v_fma_f32 v1, v1, s4, |v0|
	v_cvt_u32_f32_e32 v1, v1
	v_ashrrev_i32_e32 v0, 31, v0
	v_xor_b32_e32 v1, v1, v0
	v_sub_u32_e32 v0, v1, v0
	global_store_byte v[2:3], v0, off
.LBB213_2908:
	s_mov_b64 s[8:9], -1
.LBB213_2909:
	s_andn2_b64 vcc, exec, s[8:9]
	s_cbranch_vccnz .LBB213_3113
; %bb.2910:
	v_mov_b32_e32 v0, v32
	v_mov_b32_e32 v1, v33
	s_getpc_b64 s[4:5]
	s_add_u32 s4, s4, _ZZZZN2at6native33launch_standard_gamma_grad_kernelERNS_18TensorIteratorBaseEENKUlvE_clEvENKUlvE2_clEvENKUlN3c108BFloat16ES6_E_clES6_S6_@rel32@lo+4
	s_addc_u32 s5, s5, _ZZZZN2at6native33launch_standard_gamma_grad_kernelERNS_18TensorIteratorBaseEENKUlvE_clEvENKUlvE2_clEvENKUlN3c108BFloat16ES6_E_clES6_S6_@rel32@hi+12
	s_swappc_b64 s[30:31], s[4:5]
	v_mov_b32_e32 v1, s25
	v_add_co_u32_e32 v2, vcc, s24, v38
	v_addc_co_u32_e32 v3, vcc, 0, v1, vcc
	v_mov_b32_e32 v1, 11
	v_cmp_lt_i16_sdwa s[4:5], s22, v1 src0_sel:BYTE_0 src1_sel:DWORD
	s_and_b64 vcc, exec, s[4:5]
	s_cbranch_vccnz .LBB213_2917
; %bb.2911:
	v_mov_b32_e32 v1, 25
	v_cmp_gt_i16_sdwa s[4:5], s22, v1 src0_sel:BYTE_0 src1_sel:DWORD
	s_mov_b64 s[10:11], -1
	s_mov_b64 s[6:7], 0
	s_and_b64 vcc, exec, s[4:5]
	s_mov_b64 s[8:9], 0
	s_mov_b64 s[4:5], 0
	s_cbranch_vccz .LBB213_2953
; %bb.2912:
	v_mov_b32_e32 v1, 28
	v_cmp_gt_i16_sdwa s[4:5], s22, v1 src0_sel:BYTE_0 src1_sel:DWORD
	s_and_b64 vcc, exec, s[4:5]
	s_cbranch_vccz .LBB213_2918
; %bb.2913:
	v_mov_b32_e32 v1, 43
	v_cmp_gt_i16_sdwa s[4:5], s22, v1 src0_sel:BYTE_0 src1_sel:DWORD
	s_and_b64 vcc, exec, s[4:5]
	;; [unrolled: 5-line block ×3, first 2 shown]
	s_cbranch_vccz .LBB213_2925
; %bb.2915:
	v_mov_b32_e32 v1, 46
	v_cmp_eq_u16_sdwa s[8:9], s22, v1 src0_sel:BYTE_0 src1_sel:DWORD
	s_mov_b64 s[4:5], -1
	s_mov_b64 s[10:11], 0
	s_and_b64 vcc, exec, s[8:9]
	s_mov_b64 s[8:9], 0
	s_cbranch_vccz .LBB213_2926
; %bb.2916:
	v_and_b32_e32 v1, 0xffff, v0
	global_store_dword v[2:3], v1, off
	s_mov_b64 s[4:5], 0
	s_mov_b64 s[8:9], -1
	s_branch .LBB213_2926
.LBB213_2917:
	s_mov_b64 s[4:5], -1
	s_mov_b64 s[8:9], 0
	s_branch .LBB213_2997
.LBB213_2918:
	s_mov_b64 s[4:5], 0
	s_branch .LBB213_2936
.LBB213_2919:
	s_or_saveexec_b64 s[12:13], s[12:13]
                                        ; implicit-def: $sgpr14
	s_xor_b64 exec, exec, s[12:13]
	s_cbranch_execz .LBB213_2820
.LBB213_2920:
	s_mov_b32 s14, 0x46000000
	v_add_f32_e64 v4, |v5|, s14
	v_and_b32_e32 v4, 0xff, v4
	v_cmp_ne_u32_e32 vcc, 0, v4
	s_andn2_b64 s[10:11], s[10:11], exec
	s_and_b64 s[16:17], vcc, exec
	s_mov_b32 s14, 0
	s_or_b64 s[10:11], s[10:11], s[16:17]
	s_or_b64 exec, exec, s[12:13]
	v_mov_b32_e32 v6, s14
	s_and_saveexec_b64 s[12:13], s[10:11]
	s_cbranch_execnz .LBB213_2821
	s_branch .LBB213_2822
.LBB213_2921:
	s_mov_b64 s[4:5], 0
	s_branch .LBB213_2932
.LBB213_2922:
	s_trap 2
	s_or_b64 s[34:35], s[34:35], exec
	s_cbranch_execz .LBB213_2868
	s_branch .LBB213_2869
.LBB213_2923:
	s_or_saveexec_b64 s[10:11], s[10:11]
                                        ; implicit-def: $sgpr12
	s_xor_b64 exec, exec, s[10:11]
	s_cbranch_execz .LBB213_2833
.LBB213_2924:
	s_mov_b32 s12, 0x42800000
	v_add_f32_e64 v4, |v5|, s12
	v_and_b32_e32 v4, 0xff, v4
	v_cmp_ne_u32_e32 vcc, 0, v4
	s_andn2_b64 s[8:9], s[8:9], exec
	s_and_b64 s[14:15], vcc, exec
	s_mov_b32 s12, 0
	s_or_b64 s[8:9], s[8:9], s[14:15]
	s_or_b64 exec, exec, s[10:11]
	v_mov_b32_e32 v6, s12
	s_and_saveexec_b64 s[10:11], s[8:9]
	s_cbranch_execnz .LBB213_2834
	s_branch .LBB213_2835
.LBB213_2925:
	s_mov_b64 s[4:5], 0
.LBB213_2926:
	s_and_b64 vcc, exec, s[10:11]
	s_cbranch_vccz .LBB213_2931
; %bb.2927:
	v_mov_b32_e32 v1, 44
	v_cmp_eq_u16_sdwa s[10:11], s22, v1 src0_sel:BYTE_0 src1_sel:DWORD
	s_mov_b64 s[4:5], -1
	s_and_b64 vcc, exec, s[10:11]
	s_cbranch_vccz .LBB213_2931
; %bb.2928:
	v_and_b32_e32 v4, 0xffff, v0
	v_bfe_u32 v1, v4, 7, 8
	s_movk_i32 s4, 0xff
	v_cmp_ne_u32_e32 vcc, s4, v1
	v_mov_b32_e32 v5, 0xff
	s_and_saveexec_b64 s[8:9], vcc
; %bb.2929:
	v_lshlrev_b32_e32 v6, 16, v4
	s_mov_b32 s4, 0x3f0000
	v_lshrrev_b32_e32 v5, 7, v4
	v_and_b32_e32 v4, 64, v4
	v_and_or_b32 v1, v6, s4, v1
	v_cmp_ne_u32_e32 vcc, 0, v4
	v_cmp_ne_u32_e64 s[4:5], 0, v1
	s_and_b64 s[4:5], vcc, s[4:5]
	v_cndmask_b32_e64 v1, 0, 1, s[4:5]
	v_add_u32_e32 v5, v5, v1
; %bb.2930:
	s_or_b64 exec, exec, s[8:9]
	s_mov_b64 s[4:5], 0
	s_mov_b64 s[8:9], -1
	global_store_byte v[2:3], v5, off
.LBB213_2931:
	s_mov_b64 s[10:11], 0
.LBB213_2932:
	s_and_b64 vcc, exec, s[10:11]
	s_cbranch_vccz .LBB213_2935
; %bb.2933:
	v_mov_b32_e32 v1, 29
	v_cmp_eq_u16_sdwa s[10:11], s22, v1 src0_sel:BYTE_0 src1_sel:DWORD
	s_mov_b64 s[4:5], -1
	s_and_b64 vcc, exec, s[10:11]
	s_cbranch_vccz .LBB213_2935
; %bb.2934:
	v_lshlrev_b32_e32 v1, 16, v0
	v_trunc_f32_e32 v1, v1
	v_mul_f32_e32 v4, 0x2f800000, v1
	v_floor_f32_e32 v4, v4
	v_fmac_f32_e32 v1, 0xcf800000, v4
	v_cvt_u32_f32_e32 v5, v4
	v_cvt_u32_f32_e32 v4, v1
	s_mov_b64 s[4:5], 0
	s_mov_b64 s[8:9], -1
	s_mov_b64 s[10:11], 0
	global_store_dwordx2 v[2:3], v[4:5], off
	s_branch .LBB213_2936
.LBB213_2935:
	s_mov_b64 s[10:11], 0
.LBB213_2936:
	s_and_b64 vcc, exec, s[10:11]
	s_cbranch_vccz .LBB213_2952
; %bb.2937:
	v_mov_b32_e32 v1, 27
	v_cmp_lt_i16_sdwa s[10:11], s22, v1 src0_sel:BYTE_0 src1_sel:DWORD
	s_mov_b64 s[8:9], -1
	s_and_b64 vcc, exec, s[10:11]
	s_cbranch_vccnz .LBB213_2943
; %bb.2938:
	v_cmp_gt_i16_sdwa s[10:11], s22, v1 src0_sel:BYTE_0 src1_sel:DWORD
	s_and_b64 vcc, exec, s[10:11]
	s_cbranch_vccz .LBB213_2940
; %bb.2939:
	v_lshlrev_b32_e32 v1, 16, v0
	v_cvt_u32_f32_e32 v1, v1
	s_mov_b64 s[8:9], 0
	global_store_dword v[2:3], v1, off
.LBB213_2940:
	s_andn2_b64 vcc, exec, s[8:9]
	s_cbranch_vccnz .LBB213_2942
; %bb.2941:
	v_lshlrev_b32_e32 v1, 16, v0
	v_cvt_u32_f32_e32 v1, v1
	global_store_short v[2:3], v1, off
.LBB213_2942:
	s_mov_b64 s[8:9], 0
.LBB213_2943:
	s_andn2_b64 vcc, exec, s[8:9]
	s_cbranch_vccnz .LBB213_2951
; %bb.2944:
	v_lshlrev_b32_e32 v5, 16, v0
	v_and_b32_e32 v4, 0x7fffffff, v5
	s_mov_b32 s8, 0x43800000
	v_cmp_gt_u32_e32 vcc, s8, v4
	v_mov_b32_e32 v6, 0x80
	s_and_saveexec_b64 s[8:9], vcc
	s_cbranch_execz .LBB213_2950
; %bb.2945:
	s_mov_b32 s10, 0x3bffffff
	v_and_b32_e32 v1, 0xffff, v0
	v_cmp_lt_u32_e32 vcc, s10, v4
	s_mov_b64 s[10:11], 0
                                        ; implicit-def: $vgpr4
	s_and_saveexec_b64 s[12:13], vcc
	s_xor_b64 s[12:13], exec, s[12:13]
	s_cbranch_execz .LBB213_3159
; %bb.2946:
	v_bfe_u32 v4, v1, 4, 1
	s_mov_b32 s14, 0x487ffff
	v_add3_u32 v4, v5, v4, s14
	s_mov_b64 s[10:11], exec
	v_lshrrev_b32_e32 v4, 20, v4
                                        ; implicit-def: $vgpr5
	s_or_saveexec_b64 s[12:13], s[12:13]
                                        ; implicit-def: $sgpr14
	s_xor_b64 exec, exec, s[12:13]
	s_cbranch_execnz .LBB213_3160
.LBB213_2947:
	s_or_b64 exec, exec, s[12:13]
	v_mov_b32_e32 v6, s14
	s_and_saveexec_b64 s[12:13], s[10:11]
.LBB213_2948:
	v_lshrrev_b32_e32 v1, 8, v1
	s_movk_i32 s10, 0x80
	v_and_or_b32 v6, v1, s10, v4
.LBB213_2949:
	s_or_b64 exec, exec, s[12:13]
.LBB213_2950:
	s_or_b64 exec, exec, s[8:9]
	global_store_byte v[2:3], v6, off
.LBB213_2951:
	s_mov_b64 s[8:9], -1
.LBB213_2952:
	s_mov_b64 s[10:11], 0
.LBB213_2953:
	s_and_b64 vcc, exec, s[10:11]
	s_cbranch_vccz .LBB213_2993
; %bb.2954:
	v_mov_b32_e32 v1, 22
	v_cmp_gt_i16_sdwa s[10:11], s22, v1 src0_sel:BYTE_0 src1_sel:DWORD
	s_mov_b64 s[6:7], -1
	s_and_b64 vcc, exec, s[10:11]
	s_cbranch_vccz .LBB213_2986
; %bb.2955:
	v_mov_b32_e32 v1, 24
	v_cmp_lt_i16_sdwa s[8:9], s22, v1 src0_sel:BYTE_0 src1_sel:DWORD
	s_and_b64 vcc, exec, s[8:9]
	s_cbranch_vccnz .LBB213_2975
; %bb.2956:
	v_cmp_gt_i16_sdwa s[8:9], s22, v1 src0_sel:BYTE_0 src1_sel:DWORD
	s_and_b64 vcc, exec, s[8:9]
	s_cbranch_vccz .LBB213_2964
; %bb.2957:
	v_lshlrev_b32_e32 v5, 16, v0
	v_and_b32_e32 v4, 0x7fffffff, v5
	s_mov_b32 s6, 0x47800000
	v_cmp_gt_u32_e32 vcc, s6, v4
	v_mov_b32_e32 v6, 0x80
	s_and_saveexec_b64 s[6:7], vcc
	s_cbranch_execz .LBB213_2963
; %bb.2958:
	s_mov_b32 s8, 0x37ffffff
	v_and_b32_e32 v1, 0xffff, v0
	v_cmp_lt_u32_e32 vcc, s8, v4
	s_mov_b64 s[8:9], 0
                                        ; implicit-def: $vgpr4
	s_and_saveexec_b64 s[10:11], vcc
	s_xor_b64 s[10:11], exec, s[10:11]
	s_cbranch_execz .LBB213_3162
; %bb.2959:
	v_bfe_u32 v4, v1, 5, 1
	s_mov_b32 s12, 0x88fffff
	v_add3_u32 v4, v5, v4, s12
	s_mov_b64 s[8:9], exec
	v_lshrrev_b32_e32 v4, 21, v4
                                        ; implicit-def: $vgpr5
	s_or_saveexec_b64 s[10:11], s[10:11]
                                        ; implicit-def: $sgpr12
	s_xor_b64 exec, exec, s[10:11]
	s_cbranch_execnz .LBB213_3163
.LBB213_2960:
	s_or_b64 exec, exec, s[10:11]
	v_mov_b32_e32 v6, s12
	s_and_saveexec_b64 s[10:11], s[8:9]
.LBB213_2961:
	v_lshrrev_b32_e32 v1, 8, v1
	s_movk_i32 s8, 0x80
	v_and_or_b32 v6, v1, s8, v4
.LBB213_2962:
	s_or_b64 exec, exec, s[10:11]
.LBB213_2963:
	s_or_b64 exec, exec, s[6:7]
	s_mov_b64 s[6:7], 0
	global_store_byte v[2:3], v6, off
.LBB213_2964:
	s_and_b64 vcc, exec, s[6:7]
	s_cbranch_vccz .LBB213_2974
; %bb.2965:
	v_lshlrev_b32_e32 v5, 16, v0
	v_and_b32_e32 v6, 0x7fffffff, v5
	s_mov_b32 s6, 0x43f00000
	v_and_b32_e32 v1, 0xffff, v0
	v_cmp_gt_u32_e32 vcc, s6, v6
                                        ; implicit-def: $vgpr4
	s_and_saveexec_b64 s[6:7], vcc
	s_xor_b64 s[6:7], exec, s[6:7]
	s_cbranch_execz .LBB213_2971
; %bb.2966:
	s_mov_b32 s8, 0x3c7fffff
	v_cmp_lt_u32_e32 vcc, s8, v6
                                        ; implicit-def: $vgpr4
	s_and_saveexec_b64 s[8:9], vcc
	s_xor_b64 s[8:9], exec, s[8:9]
; %bb.2967:
	v_bfe_u32 v4, v1, 4, 1
	s_mov_b32 s10, 0x407ffff
	v_add3_u32 v4, v5, v4, s10
	v_lshrrev_b32_e32 v5, 20, v4
	v_and_b32_e32 v4, 0xff00000, v4
	s_mov_b32 s10, 0x7f00000
	v_mov_b32_e32 v6, 0x7e
	v_cmp_ne_u32_e32 vcc, s10, v4
	v_cndmask_b32_e32 v4, v6, v5, vcc
                                        ; implicit-def: $vgpr5
; %bb.2968:
	s_andn2_saveexec_b64 s[8:9], s[8:9]
; %bb.2969:
	s_mov_b32 s10, 0x46800000
	v_add_f32_e64 v4, |v5|, s10
; %bb.2970:
	s_or_b64 exec, exec, s[8:9]
                                        ; implicit-def: $vgpr6
.LBB213_2971:
	s_andn2_saveexec_b64 s[6:7], s[6:7]
; %bb.2972:
	s_mov_b32 s8, 0x7f800000
	v_mov_b32_e32 v4, 0x7e
	v_mov_b32_e32 v5, 0x7f
	v_cmp_lt_u32_e32 vcc, s8, v6
	v_cndmask_b32_e32 v4, v4, v5, vcc
; %bb.2973:
	s_or_b64 exec, exec, s[6:7]
	v_lshrrev_b32_e32 v1, 8, v1
	s_movk_i32 s6, 0x80
	v_and_or_b32 v1, v1, s6, v4
	global_store_byte v[2:3], v1, off
.LBB213_2974:
	s_mov_b64 s[6:7], 0
.LBB213_2975:
	s_andn2_b64 vcc, exec, s[6:7]
	s_cbranch_vccnz .LBB213_2985
; %bb.2976:
	v_lshlrev_b32_e32 v5, 16, v0
	v_and_b32_e32 v6, 0x7fffffff, v5
	s_mov_b32 s6, 0x47800000
	v_and_b32_e32 v1, 0xffff, v0
	v_cmp_gt_u32_e32 vcc, s6, v6
                                        ; implicit-def: $vgpr4
	s_and_saveexec_b64 s[6:7], vcc
	s_xor_b64 s[6:7], exec, s[6:7]
	s_cbranch_execz .LBB213_2982
; %bb.2977:
	s_mov_b32 s8, 0x387fffff
	v_cmp_lt_u32_e32 vcc, s8, v6
                                        ; implicit-def: $vgpr4
	s_and_saveexec_b64 s[8:9], vcc
	s_xor_b64 s[8:9], exec, s[8:9]
; %bb.2978:
	v_bfe_u32 v4, v1, 5, 1
	s_mov_b32 s10, 0x80fffff
	v_add3_u32 v4, v5, v4, s10
	v_lshrrev_b32_e32 v4, 21, v4
                                        ; implicit-def: $vgpr5
; %bb.2979:
	s_andn2_saveexec_b64 s[8:9], s[8:9]
; %bb.2980:
	s_mov_b32 s10, 0x43000000
	v_add_f32_e64 v4, |v5|, s10
; %bb.2981:
	s_or_b64 exec, exec, s[8:9]
                                        ; implicit-def: $vgpr6
.LBB213_2982:
	s_andn2_saveexec_b64 s[6:7], s[6:7]
; %bb.2983:
	s_mov_b32 s8, 0x7f800000
	v_mov_b32_e32 v4, 0x7c
	v_mov_b32_e32 v5, 0x7f
	v_cmp_lt_u32_e32 vcc, s8, v6
	v_cndmask_b32_e32 v4, v4, v5, vcc
; %bb.2984:
	s_or_b64 exec, exec, s[6:7]
	v_lshrrev_b32_e32 v1, 8, v1
	s_movk_i32 s6, 0x80
	v_and_or_b32 v1, v1, s6, v4
	global_store_byte v[2:3], v1, off
.LBB213_2985:
	s_mov_b64 s[6:7], 0
	s_mov_b64 s[8:9], -1
.LBB213_2986:
	s_andn2_b64 vcc, exec, s[6:7]
	s_mov_b64 s[6:7], 0
	s_cbranch_vccnz .LBB213_2993
; %bb.2987:
	v_mov_b32_e32 v1, 14
	v_cmp_gt_i16_sdwa s[6:7], s22, v1 src0_sel:BYTE_0 src1_sel:DWORD
	s_mov_b64 s[10:11], -1
	s_and_b64 vcc, exec, s[6:7]
	s_cbranch_vccz .LBB213_2991
; %bb.2988:
	v_mov_b32_e32 v1, 15
	v_cmp_eq_u16_sdwa s[6:7], s22, v1 src0_sel:BYTE_0 src1_sel:DWORD
	s_mov_b64 s[4:5], -1
	s_and_b64 vcc, exec, s[6:7]
	s_cbranch_vccz .LBB213_2990
; %bb.2989:
	global_store_short v[2:3], v0, off
	s_mov_b64 s[4:5], 0
	s_mov_b64 s[8:9], -1
.LBB213_2990:
	s_mov_b64 s[10:11], 0
.LBB213_2991:
	s_mov_b64 s[6:7], 0
	s_and_b64 vcc, exec, s[10:11]
	s_cbranch_vccz .LBB213_2993
; %bb.2992:
	v_mov_b32_e32 v1, 11
	v_cmp_ne_u16_sdwa s[4:5], s22, v1 src0_sel:BYTE_0 src1_sel:DWORD
	s_mov_b64 s[6:7], -1
.LBB213_2993:
	s_and_b64 vcc, exec, s[4:5]
	s_cbranch_vccnz .LBB213_3161
; %bb.2994:
	s_andn2_b64 vcc, exec, s[6:7]
	s_cbranch_vccnz .LBB213_2996
.LBB213_2995:
	v_and_b32_e32 v1, 0x7fff, v0
	v_cmp_ne_u16_e32 vcc, 0, v1
	v_cndmask_b32_e64 v1, 0, 1, vcc
	s_mov_b64 s[8:9], -1
	global_store_byte v[2:3], v1, off
.LBB213_2996:
	s_mov_b64 s[4:5], 0
.LBB213_2997:
	s_and_b64 vcc, exec, s[4:5]
	s_cbranch_vccz .LBB213_3036
; %bb.2998:
	v_mov_b32_e32 v1, 5
	v_cmp_lt_i16_sdwa s[6:7], s22, v1 src0_sel:BYTE_0 src1_sel:DWORD
	s_mov_b64 s[4:5], -1
	s_and_b64 vcc, exec, s[6:7]
	s_cbranch_vccnz .LBB213_3019
; %bb.2999:
	v_mov_b32_e32 v1, 8
	v_cmp_lt_i16_sdwa s[6:7], s22, v1 src0_sel:BYTE_0 src1_sel:DWORD
	s_and_b64 vcc, exec, s[6:7]
	s_cbranch_vccnz .LBB213_3009
; %bb.3000:
	v_mov_b32_e32 v1, 9
	v_cmp_lt_i16_sdwa s[6:7], s22, v1 src0_sel:BYTE_0 src1_sel:DWORD
	s_and_b64 vcc, exec, s[6:7]
	s_cbranch_vccnz .LBB213_3006
; %bb.3001:
	v_cmp_gt_i16_sdwa s[6:7], s22, v1 src0_sel:BYTE_0 src1_sel:DWORD
	s_and_b64 vcc, exec, s[6:7]
	s_cbranch_vccz .LBB213_3003
; %bb.3002:
	v_lshlrev_b32_e32 v1, 16, v0
	v_mov_b32_e32 v6, 0
	v_cvt_f64_f32_e32 v[4:5], v1
	v_mov_b32_e32 v7, v6
	global_store_dwordx4 v[2:3], v[4:7], off
	s_mov_b64 s[4:5], 0
.LBB213_3003:
	s_andn2_b64 vcc, exec, s[4:5]
	s_cbranch_vccnz .LBB213_3005
; %bb.3004:
	v_lshlrev_b32_e32 v4, 16, v0
	v_mov_b32_e32 v5, 0
	global_store_dwordx2 v[2:3], v[4:5], off
.LBB213_3005:
	s_mov_b64 s[4:5], 0
.LBB213_3006:
	s_andn2_b64 vcc, exec, s[4:5]
	s_cbranch_vccnz .LBB213_3008
; %bb.3007:
	v_lshlrev_b32_e32 v1, 16, v0
	v_cvt_f16_f32_e32 v1, v1
	global_store_dword v[2:3], v1, off
.LBB213_3008:
	s_mov_b64 s[4:5], 0
.LBB213_3009:
	s_andn2_b64 vcc, exec, s[4:5]
	s_cbranch_vccnz .LBB213_3018
; %bb.3010:
	v_mov_b32_e32 v1, 6
	v_cmp_lt_i16_sdwa s[6:7], s22, v1 src0_sel:BYTE_0 src1_sel:DWORD
	s_mov_b64 s[4:5], -1
	s_and_b64 vcc, exec, s[6:7]
	s_cbranch_vccnz .LBB213_3016
; %bb.3011:
	v_cmp_gt_i16_sdwa s[6:7], s22, v1 src0_sel:BYTE_0 src1_sel:DWORD
	s_and_b64 vcc, exec, s[6:7]
	s_cbranch_vccz .LBB213_3013
; %bb.3012:
	v_lshlrev_b32_e32 v1, 16, v0
	v_cvt_f64_f32_e32 v[4:5], v1
	global_store_dwordx2 v[2:3], v[4:5], off
	s_mov_b64 s[4:5], 0
.LBB213_3013:
	s_andn2_b64 vcc, exec, s[4:5]
	s_cbranch_vccnz .LBB213_3015
; %bb.3014:
	v_lshlrev_b32_e32 v1, 16, v0
	global_store_dword v[2:3], v1, off
.LBB213_3015:
	s_mov_b64 s[4:5], 0
.LBB213_3016:
	s_andn2_b64 vcc, exec, s[4:5]
	s_cbranch_vccnz .LBB213_3018
; %bb.3017:
	v_lshlrev_b32_e32 v1, 16, v0
	v_cvt_f16_f32_e32 v1, v1
	global_store_short v[2:3], v1, off
.LBB213_3018:
	s_mov_b64 s[4:5], 0
.LBB213_3019:
	s_andn2_b64 vcc, exec, s[4:5]
	s_cbranch_vccnz .LBB213_3035
; %bb.3020:
	v_mov_b32_e32 v1, 2
	v_cmp_lt_i16_sdwa s[6:7], s22, v1 src0_sel:BYTE_0 src1_sel:DWORD
	s_mov_b64 s[4:5], -1
	s_and_b64 vcc, exec, s[6:7]
	s_cbranch_vccnz .LBB213_3030
; %bb.3021:
	v_mov_b32_e32 v1, 3
	v_cmp_lt_i16_sdwa s[6:7], s22, v1 src0_sel:BYTE_0 src1_sel:DWORD
	s_and_b64 vcc, exec, s[6:7]
	s_cbranch_vccnz .LBB213_3027
; %bb.3022:
	v_cmp_gt_i16_sdwa s[6:7], s22, v1 src0_sel:BYTE_0 src1_sel:DWORD
	s_and_b64 vcc, exec, s[6:7]
	s_cbranch_vccz .LBB213_3024
; %bb.3023:
	v_lshlrev_b32_e32 v1, 16, v0
	v_trunc_f32_e32 v1, v1
	s_mov_b32 s4, 0x2f800000
	v_mul_f32_e64 v4, |v1|, s4
	v_floor_f32_e32 v4, v4
	s_mov_b32 s4, 0xcf800000
	v_cvt_u32_f32_e32 v5, v4
	v_fma_f32 v4, v4, s4, |v1|
	v_cvt_u32_f32_e32 v4, v4
	v_ashrrev_i32_e32 v1, 31, v1
	v_xor_b32_e32 v5, v5, v1
	s_mov_b64 s[4:5], 0
	v_xor_b32_e32 v4, v4, v1
	v_sub_co_u32_e32 v4, vcc, v4, v1
	v_subb_co_u32_e32 v5, vcc, v5, v1, vcc
	global_store_dwordx2 v[2:3], v[4:5], off
.LBB213_3024:
	s_andn2_b64 vcc, exec, s[4:5]
	s_cbranch_vccnz .LBB213_3026
; %bb.3025:
	v_lshlrev_b32_e32 v1, 16, v0
	v_cvt_i32_f32_e32 v1, v1
	global_store_dword v[2:3], v1, off
.LBB213_3026:
	s_mov_b64 s[4:5], 0
.LBB213_3027:
	s_andn2_b64 vcc, exec, s[4:5]
	s_cbranch_vccnz .LBB213_3029
; %bb.3028:
	v_lshlrev_b32_e32 v1, 16, v0
	v_cvt_i32_f32_e32 v1, v1
	global_store_short v[2:3], v1, off
.LBB213_3029:
	s_mov_b64 s[4:5], 0
.LBB213_3030:
	s_andn2_b64 vcc, exec, s[4:5]
	s_cbranch_vccnz .LBB213_3035
; %bb.3031:
	v_mov_b32_e32 v1, 0
	v_cmp_gt_i16_sdwa s[6:7], s22, v1 src0_sel:BYTE_0 src1_sel:DWORD
	s_mov_b64 s[4:5], -1
	s_and_b64 vcc, exec, s[6:7]
	s_cbranch_vccz .LBB213_3033
; %bb.3032:
	v_lshlrev_b32_e32 v1, 16, v0
	v_cvt_i32_f32_e32 v1, v1
	s_mov_b64 s[4:5], 0
	global_store_byte v[2:3], v1, off
.LBB213_3033:
	s_andn2_b64 vcc, exec, s[4:5]
	s_cbranch_vccnz .LBB213_3035
; %bb.3034:
	v_lshlrev_b32_e32 v0, 16, v0
	v_trunc_f32_e32 v0, v0
	s_mov_b32 s4, 0x2f800000
	v_mul_f32_e64 v1, |v0|, s4
	v_floor_f32_e32 v1, v1
	s_mov_b32 s4, 0xcf800000
	v_fma_f32 v1, v1, s4, |v0|
	v_cvt_u32_f32_e32 v1, v1
	v_ashrrev_i32_e32 v0, 31, v0
	v_xor_b32_e32 v1, v1, v0
	v_sub_u32_e32 v0, v1, v0
	global_store_byte v[2:3], v0, off
.LBB213_3035:
	s_mov_b64 s[8:9], -1
.LBB213_3036:
	s_andn2_b64 vcc, exec, s[8:9]
	s_cbranch_vccnz .LBB213_3113
; %bb.3037:
	v_mov_b32_e32 v0, v34
	v_mov_b32_e32 v1, v35
	s_getpc_b64 s[4:5]
	s_add_u32 s4, s4, _ZZZZN2at6native33launch_standard_gamma_grad_kernelERNS_18TensorIteratorBaseEENKUlvE_clEvENKUlvE2_clEvENKUlN3c108BFloat16ES6_E_clES6_S6_@rel32@lo+4
	s_addc_u32 s5, s5, _ZZZZN2at6native33launch_standard_gamma_grad_kernelERNS_18TensorIteratorBaseEENKUlvE_clEvENKUlvE2_clEvENKUlN3c108BFloat16ES6_E_clES6_S6_@rel32@hi+12
	s_swappc_b64 s[30:31], s[4:5]
	v_mov_b32_e32 v1, 0xff
	v_mov_b32_e32 v3, s25
	v_add_co_u32_e32 v2, vcc, s24, v36
	v_and_b32_e32 v1, s22, v1
	v_addc_co_u32_e32 v3, vcc, 0, v3, vcc
	v_cmp_gt_i16_e32 vcc, 11, v1
	s_cbranch_vccnz .LBB213_3158
; %bb.3038:
	v_cmp_lt_i16_e32 vcc, 25, v1
	s_mov_b64 s[8:9], -1
	s_mov_b64 s[6:7], 0
	s_mov_b64 s[4:5], 0
	s_cbranch_vccz .LBB213_3071
; %bb.3039:
	v_cmp_lt_i16_e32 vcc, 28, v1
	s_cbranch_vccz .LBB213_3055
; %bb.3040:
	v_cmp_lt_i16_e32 vcc, 43, v1
	;; [unrolled: 3-line block ×3, first 2 shown]
	s_cbranch_vccz .LBB213_3045
; %bb.3042:
	v_cmp_eq_u16_e32 vcc, 46, v1
	s_mov_b64 s[4:5], -1
	s_cbranch_vccz .LBB213_3044
; %bb.3043:
	v_and_b32_e32 v4, 0xffff, v0
	global_store_dword v[2:3], v4, off
	s_mov_b64 s[4:5], 0
.LBB213_3044:
	s_mov_b64 s[8:9], 0
.LBB213_3045:
	s_and_b64 vcc, exec, s[8:9]
	s_cbranch_vccz .LBB213_3050
; %bb.3046:
	v_cmp_eq_u16_e32 vcc, 44, v1
	s_mov_b64 s[4:5], -1
	s_cbranch_vccz .LBB213_3050
; %bb.3047:
	v_and_b32_e32 v5, 0xffff, v0
	v_bfe_u32 v4, v5, 7, 8
	s_movk_i32 s4, 0xff
	v_cmp_ne_u32_e32 vcc, s4, v4
	v_mov_b32_e32 v6, 0xff
	s_and_saveexec_b64 s[8:9], vcc
; %bb.3048:
	v_lshlrev_b32_e32 v7, 16, v5
	s_mov_b32 s4, 0x3f0000
	v_lshrrev_b32_e32 v6, 7, v5
	v_and_b32_e32 v5, 64, v5
	v_and_or_b32 v4, v7, s4, v4
	v_cmp_ne_u32_e32 vcc, 0, v5
	v_cmp_ne_u32_e64 s[4:5], 0, v4
	s_and_b64 s[4:5], vcc, s[4:5]
	v_cndmask_b32_e64 v4, 0, 1, s[4:5]
	v_add_u32_e32 v6, v6, v4
; %bb.3049:
	s_or_b64 exec, exec, s[8:9]
	s_mov_b64 s[4:5], 0
	global_store_byte v[2:3], v6, off
.LBB213_3050:
	s_mov_b64 s[8:9], 0
.LBB213_3051:
	s_and_b64 vcc, exec, s[8:9]
	s_cbranch_vccz .LBB213_3054
; %bb.3052:
	v_cmp_eq_u16_e32 vcc, 29, v1
	s_mov_b64 s[4:5], -1
	s_cbranch_vccz .LBB213_3054
; %bb.3053:
	v_lshlrev_b32_e32 v4, 16, v0
	v_trunc_f32_e32 v4, v4
	v_mul_f32_e32 v5, 0x2f800000, v4
	v_floor_f32_e32 v6, v5
	v_fmac_f32_e32 v4, 0xcf800000, v6
	v_cvt_u32_f32_e32 v5, v6
	v_cvt_u32_f32_e32 v4, v4
	s_mov_b64 s[4:5], 0
	global_store_dwordx2 v[2:3], v[4:5], off
.LBB213_3054:
	s_mov_b64 s[8:9], 0
.LBB213_3055:
	s_and_b64 vcc, exec, s[8:9]
	s_cbranch_vccz .LBB213_3070
; %bb.3056:
	v_cmp_gt_i16_e32 vcc, 27, v1
	s_mov_b64 s[8:9], -1
	s_cbranch_vccnz .LBB213_3062
; %bb.3057:
	v_cmp_lt_i16_e32 vcc, 27, v1
	s_cbranch_vccz .LBB213_3059
; %bb.3058:
	v_lshlrev_b32_e32 v4, 16, v0
	v_cvt_u32_f32_e32 v4, v4
	s_mov_b64 s[8:9], 0
	global_store_dword v[2:3], v4, off
.LBB213_3059:
	s_andn2_b64 vcc, exec, s[8:9]
	s_cbranch_vccnz .LBB213_3061
; %bb.3060:
	v_lshlrev_b32_e32 v4, 16, v0
	v_cvt_u32_f32_e32 v4, v4
	global_store_short v[2:3], v4, off
.LBB213_3061:
	s_mov_b64 s[8:9], 0
.LBB213_3062:
	s_andn2_b64 vcc, exec, s[8:9]
	s_cbranch_vccnz .LBB213_3070
; %bb.3063:
	v_lshlrev_b32_e32 v6, 16, v0
	v_and_b32_e32 v5, 0x7fffffff, v6
	s_mov_b32 s8, 0x43800000
	v_cmp_gt_u32_e32 vcc, s8, v5
	v_mov_b32_e32 v7, 0x80
	s_and_saveexec_b64 s[8:9], vcc
	s_cbranch_execz .LBB213_3069
; %bb.3064:
	s_mov_b32 s10, 0x3bffffff
	v_and_b32_e32 v4, 0xffff, v0
	v_cmp_lt_u32_e32 vcc, s10, v5
	s_mov_b64 s[10:11], 0
                                        ; implicit-def: $vgpr5
	s_and_saveexec_b64 s[12:13], vcc
	s_xor_b64 s[12:13], exec, s[12:13]
	s_cbranch_execz .LBB213_3164
; %bb.3065:
	v_bfe_u32 v5, v4, 4, 1
	s_mov_b32 s14, 0x487ffff
	v_add3_u32 v5, v6, v5, s14
	s_mov_b64 s[10:11], exec
	v_lshrrev_b32_e32 v5, 20, v5
                                        ; implicit-def: $vgpr6
	s_or_saveexec_b64 s[12:13], s[12:13]
                                        ; implicit-def: $sgpr14
	s_xor_b64 exec, exec, s[12:13]
	s_cbranch_execnz .LBB213_3165
.LBB213_3066:
	s_or_b64 exec, exec, s[12:13]
	v_mov_b32_e32 v7, s14
	s_and_saveexec_b64 s[12:13], s[10:11]
.LBB213_3067:
	v_lshrrev_b32_e32 v4, 8, v4
	s_movk_i32 s10, 0x80
	v_and_or_b32 v7, v4, s10, v5
.LBB213_3068:
	s_or_b64 exec, exec, s[12:13]
.LBB213_3069:
	s_or_b64 exec, exec, s[8:9]
	global_store_byte v[2:3], v7, off
.LBB213_3070:
	s_mov_b64 s[8:9], 0
.LBB213_3071:
	s_and_b64 vcc, exec, s[8:9]
	s_cbranch_vccz .LBB213_3111
; %bb.3072:
	v_cmp_lt_i16_e32 vcc, 22, v1
	s_mov_b64 s[6:7], -1
	s_cbranch_vccz .LBB213_3104
; %bb.3073:
	v_cmp_gt_i16_e32 vcc, 24, v1
	s_cbranch_vccnz .LBB213_3093
; %bb.3074:
	v_cmp_lt_i16_e32 vcc, 24, v1
	s_cbranch_vccz .LBB213_3082
; %bb.3075:
	v_lshlrev_b32_e32 v6, 16, v0
	v_and_b32_e32 v5, 0x7fffffff, v6
	s_mov_b32 s6, 0x47800000
	v_cmp_gt_u32_e32 vcc, s6, v5
	v_mov_b32_e32 v7, 0x80
	s_and_saveexec_b64 s[6:7], vcc
	s_cbranch_execz .LBB213_3081
; %bb.3076:
	s_mov_b32 s8, 0x37ffffff
	v_and_b32_e32 v4, 0xffff, v0
	v_cmp_lt_u32_e32 vcc, s8, v5
	s_mov_b64 s[8:9], 0
                                        ; implicit-def: $vgpr5
	s_and_saveexec_b64 s[10:11], vcc
	s_xor_b64 s[10:11], exec, s[10:11]
	s_cbranch_execz .LBB213_3167
; %bb.3077:
	v_bfe_u32 v5, v4, 5, 1
	s_mov_b32 s12, 0x88fffff
	v_add3_u32 v5, v6, v5, s12
	s_mov_b64 s[8:9], exec
	v_lshrrev_b32_e32 v5, 21, v5
                                        ; implicit-def: $vgpr6
	s_or_saveexec_b64 s[10:11], s[10:11]
                                        ; implicit-def: $sgpr12
	s_xor_b64 exec, exec, s[10:11]
	s_cbranch_execnz .LBB213_3168
.LBB213_3078:
	s_or_b64 exec, exec, s[10:11]
	v_mov_b32_e32 v7, s12
	s_and_saveexec_b64 s[10:11], s[8:9]
.LBB213_3079:
	v_lshrrev_b32_e32 v4, 8, v4
	s_movk_i32 s8, 0x80
	v_and_or_b32 v7, v4, s8, v5
.LBB213_3080:
	s_or_b64 exec, exec, s[10:11]
.LBB213_3081:
	s_or_b64 exec, exec, s[6:7]
	s_mov_b64 s[6:7], 0
	global_store_byte v[2:3], v7, off
.LBB213_3082:
	s_and_b64 vcc, exec, s[6:7]
	s_cbranch_vccz .LBB213_3092
; %bb.3083:
	v_lshlrev_b32_e32 v6, 16, v0
	v_and_b32_e32 v7, 0x7fffffff, v6
	s_mov_b32 s6, 0x43f00000
	v_and_b32_e32 v4, 0xffff, v0
	v_cmp_gt_u32_e32 vcc, s6, v7
                                        ; implicit-def: $vgpr5
	s_and_saveexec_b64 s[6:7], vcc
	s_xor_b64 s[6:7], exec, s[6:7]
	s_cbranch_execz .LBB213_3089
; %bb.3084:
	s_mov_b32 s8, 0x3c7fffff
	v_cmp_lt_u32_e32 vcc, s8, v7
                                        ; implicit-def: $vgpr5
	s_and_saveexec_b64 s[8:9], vcc
	s_xor_b64 s[8:9], exec, s[8:9]
; %bb.3085:
	v_bfe_u32 v5, v4, 4, 1
	s_mov_b32 s10, 0x407ffff
	v_add3_u32 v5, v6, v5, s10
	v_lshrrev_b32_e32 v6, 20, v5
	v_and_b32_e32 v5, 0xff00000, v5
	s_mov_b32 s10, 0x7f00000
	v_mov_b32_e32 v7, 0x7e
	v_cmp_ne_u32_e32 vcc, s10, v5
	v_cndmask_b32_e32 v5, v7, v6, vcc
                                        ; implicit-def: $vgpr6
; %bb.3086:
	s_andn2_saveexec_b64 s[8:9], s[8:9]
; %bb.3087:
	s_mov_b32 s10, 0x46800000
	v_add_f32_e64 v5, |v6|, s10
; %bb.3088:
	s_or_b64 exec, exec, s[8:9]
                                        ; implicit-def: $vgpr7
.LBB213_3089:
	s_andn2_saveexec_b64 s[6:7], s[6:7]
; %bb.3090:
	s_mov_b32 s8, 0x7f800000
	v_mov_b32_e32 v5, 0x7e
	v_mov_b32_e32 v6, 0x7f
	v_cmp_lt_u32_e32 vcc, s8, v7
	v_cndmask_b32_e32 v5, v5, v6, vcc
; %bb.3091:
	s_or_b64 exec, exec, s[6:7]
	v_lshrrev_b32_e32 v4, 8, v4
	s_movk_i32 s6, 0x80
	v_and_or_b32 v4, v4, s6, v5
	global_store_byte v[2:3], v4, off
.LBB213_3092:
	s_mov_b64 s[6:7], 0
.LBB213_3093:
	s_andn2_b64 vcc, exec, s[6:7]
	s_cbranch_vccnz .LBB213_3103
; %bb.3094:
	v_lshlrev_b32_e32 v6, 16, v0
	v_and_b32_e32 v7, 0x7fffffff, v6
	s_mov_b32 s6, 0x47800000
	v_and_b32_e32 v4, 0xffff, v0
	v_cmp_gt_u32_e32 vcc, s6, v7
                                        ; implicit-def: $vgpr5
	s_and_saveexec_b64 s[6:7], vcc
	s_xor_b64 s[6:7], exec, s[6:7]
	s_cbranch_execz .LBB213_3100
; %bb.3095:
	s_mov_b32 s8, 0x387fffff
	v_cmp_lt_u32_e32 vcc, s8, v7
                                        ; implicit-def: $vgpr5
	s_and_saveexec_b64 s[8:9], vcc
	s_xor_b64 s[8:9], exec, s[8:9]
; %bb.3096:
	v_bfe_u32 v5, v4, 5, 1
	s_mov_b32 s10, 0x80fffff
	v_add3_u32 v5, v6, v5, s10
	v_lshrrev_b32_e32 v5, 21, v5
                                        ; implicit-def: $vgpr6
; %bb.3097:
	s_andn2_saveexec_b64 s[8:9], s[8:9]
; %bb.3098:
	s_mov_b32 s10, 0x43000000
	v_add_f32_e64 v5, |v6|, s10
; %bb.3099:
	s_or_b64 exec, exec, s[8:9]
                                        ; implicit-def: $vgpr7
.LBB213_3100:
	s_andn2_saveexec_b64 s[6:7], s[6:7]
; %bb.3101:
	s_mov_b32 s8, 0x7f800000
	v_mov_b32_e32 v5, 0x7c
	v_mov_b32_e32 v6, 0x7f
	v_cmp_lt_u32_e32 vcc, s8, v7
	v_cndmask_b32_e32 v5, v5, v6, vcc
; %bb.3102:
	s_or_b64 exec, exec, s[6:7]
	v_lshrrev_b32_e32 v4, 8, v4
	s_movk_i32 s6, 0x80
	v_and_or_b32 v4, v4, s6, v5
	global_store_byte v[2:3], v4, off
.LBB213_3103:
	s_mov_b64 s[6:7], 0
.LBB213_3104:
	s_andn2_b64 vcc, exec, s[6:7]
	s_mov_b64 s[6:7], 0
	s_cbranch_vccnz .LBB213_3111
; %bb.3105:
	v_cmp_lt_i16_e32 vcc, 14, v1
	s_mov_b64 s[8:9], -1
	s_cbranch_vccz .LBB213_3109
; %bb.3106:
	v_cmp_eq_u16_e32 vcc, 15, v1
	s_mov_b64 s[4:5], -1
	s_cbranch_vccz .LBB213_3108
; %bb.3107:
	global_store_short v[2:3], v0, off
	s_mov_b64 s[4:5], 0
.LBB213_3108:
	s_mov_b64 s[8:9], 0
.LBB213_3109:
	s_and_b64 vcc, exec, s[8:9]
	s_cbranch_vccz .LBB213_3111
; %bb.3110:
	v_cmp_ne_u16_e64 s[4:5], 11, v1
	s_mov_b64 s[6:7], -1
.LBB213_3111:
	s_and_b64 vcc, exec, s[4:5]
	s_cbranch_vccnz .LBB213_3166
.LBB213_3112:
	s_mov_b64 s[4:5], 0
	s_branch .LBB213_3114
.LBB213_3113:
	s_mov_b64 s[4:5], 0
	s_mov_b64 s[6:7], 0
                                        ; implicit-def: $vgpr2_vgpr3
                                        ; implicit-def: $vgpr1
                                        ; implicit-def: $vgpr0
.LBB213_3114:
	s_and_b64 s[8:9], s[4:5], exec
	s_and_b64 s[28:29], s[6:7], exec
	s_andn2_b64 s[4:5], s[36:37], exec
	s_and_b64 s[6:7], s[34:35], exec
	s_or_b64 s[36:37], s[4:5], s[6:7]
.LBB213_3115:
	s_or_b64 exec, exec, s[38:39]
	s_and_saveexec_b64 s[4:5], s[36:37]
	s_cbranch_execz .LBB213_3118
; %bb.3116:
	; divergent unreachable
	s_or_b64 exec, exec, s[4:5]
	s_and_saveexec_b64 s[4:5], s[28:29]
	s_xor_b64 s[4:5], exec, s[4:5]
	s_cbranch_execnz .LBB213_3119
.LBB213_3117:
	s_or_b64 exec, exec, s[4:5]
	s_and_saveexec_b64 s[4:5], s[8:9]
	s_cbranch_execnz .LBB213_3120
	s_branch .LBB213_3157
.LBB213_3118:
	s_or_b64 exec, exec, s[4:5]
	s_and_saveexec_b64 s[4:5], s[28:29]
	s_xor_b64 s[4:5], exec, s[4:5]
	s_cbranch_execz .LBB213_3117
.LBB213_3119:
	s_waitcnt vmcnt(0)
	v_and_b32_e32 v4, 0x7fff, v0
	v_cmp_ne_u16_e32 vcc, 0, v4
	v_cndmask_b32_e64 v4, 0, 1, vcc
	global_store_byte v[2:3], v4, off
	s_or_b64 exec, exec, s[4:5]
	s_and_saveexec_b64 s[4:5], s[8:9]
	s_cbranch_execz .LBB213_3157
.LBB213_3120:
	s_waitcnt vmcnt(0)
	v_cmp_gt_i16_e32 vcc, 5, v1
	s_mov_b64 s[4:5], -1
	s_cbranch_vccnz .LBB213_3141
; %bb.3121:
	v_cmp_gt_i16_e32 vcc, 8, v1
	s_cbranch_vccnz .LBB213_3131
; %bb.3122:
	v_cmp_gt_i16_e32 vcc, 9, v1
	s_cbranch_vccnz .LBB213_3128
; %bb.3123:
	v_cmp_lt_i16_e32 vcc, 9, v1
	s_cbranch_vccz .LBB213_3125
; %bb.3124:
	v_lshlrev_b32_e32 v4, 16, v0
	v_mov_b32_e32 v6, 0
	v_cvt_f64_f32_e32 v[4:5], v4
	v_mov_b32_e32 v7, v6
	global_store_dwordx4 v[2:3], v[4:7], off
	s_mov_b64 s[4:5], 0
.LBB213_3125:
	s_andn2_b64 vcc, exec, s[4:5]
	s_cbranch_vccnz .LBB213_3127
; %bb.3126:
	v_lshlrev_b32_e32 v4, 16, v0
	v_mov_b32_e32 v5, 0
	global_store_dwordx2 v[2:3], v[4:5], off
.LBB213_3127:
	s_mov_b64 s[4:5], 0
.LBB213_3128:
	s_andn2_b64 vcc, exec, s[4:5]
	s_cbranch_vccnz .LBB213_3130
; %bb.3129:
	v_lshlrev_b32_e32 v4, 16, v0
	v_cvt_f16_f32_e32 v4, v4
	global_store_dword v[2:3], v4, off
.LBB213_3130:
	s_mov_b64 s[4:5], 0
.LBB213_3131:
	s_andn2_b64 vcc, exec, s[4:5]
	s_cbranch_vccnz .LBB213_3140
; %bb.3132:
	v_cmp_gt_i16_e32 vcc, 6, v1
	s_mov_b64 s[4:5], -1
	s_cbranch_vccnz .LBB213_3138
; %bb.3133:
	v_cmp_lt_i16_e32 vcc, 6, v1
	s_cbranch_vccz .LBB213_3135
; %bb.3134:
	v_lshlrev_b32_e32 v4, 16, v0
	v_cvt_f64_f32_e32 v[4:5], v4
	global_store_dwordx2 v[2:3], v[4:5], off
	s_mov_b64 s[4:5], 0
.LBB213_3135:
	s_andn2_b64 vcc, exec, s[4:5]
	s_cbranch_vccnz .LBB213_3137
; %bb.3136:
	v_lshlrev_b32_e32 v4, 16, v0
	global_store_dword v[2:3], v4, off
.LBB213_3137:
	s_mov_b64 s[4:5], 0
.LBB213_3138:
	s_andn2_b64 vcc, exec, s[4:5]
	s_cbranch_vccnz .LBB213_3140
; %bb.3139:
	v_lshlrev_b32_e32 v4, 16, v0
	v_cvt_f16_f32_e32 v4, v4
	global_store_short v[2:3], v4, off
.LBB213_3140:
	s_mov_b64 s[4:5], 0
.LBB213_3141:
	s_andn2_b64 vcc, exec, s[4:5]
	s_cbranch_vccnz .LBB213_3157
; %bb.3142:
	v_cmp_gt_i16_e32 vcc, 2, v1
	s_mov_b64 s[4:5], -1
	s_cbranch_vccnz .LBB213_3152
; %bb.3143:
	v_cmp_gt_i16_e32 vcc, 3, v1
	s_cbranch_vccnz .LBB213_3149
; %bb.3144:
	v_cmp_lt_i16_e32 vcc, 3, v1
	s_cbranch_vccz .LBB213_3146
; %bb.3145:
	v_lshlrev_b32_e32 v4, 16, v0
	v_trunc_f32_e32 v4, v4
	s_mov_b32 s4, 0x2f800000
	v_mul_f32_e64 v5, |v4|, s4
	v_floor_f32_e32 v5, v5
	s_mov_b32 s4, 0xcf800000
	v_cvt_u32_f32_e32 v6, v5
	v_fma_f32 v5, v5, s4, |v4|
	v_cvt_u32_f32_e32 v5, v5
	v_ashrrev_i32_e32 v7, 31, v4
	v_xor_b32_e32 v6, v6, v7
	s_mov_b64 s[4:5], 0
	v_xor_b32_e32 v4, v5, v7
	v_sub_co_u32_e32 v4, vcc, v4, v7
	v_subb_co_u32_e32 v5, vcc, v6, v7, vcc
	global_store_dwordx2 v[2:3], v[4:5], off
.LBB213_3146:
	s_andn2_b64 vcc, exec, s[4:5]
	s_cbranch_vccnz .LBB213_3148
; %bb.3147:
	v_lshlrev_b32_e32 v4, 16, v0
	v_cvt_i32_f32_e32 v4, v4
	global_store_dword v[2:3], v4, off
.LBB213_3148:
	s_mov_b64 s[4:5], 0
.LBB213_3149:
	s_andn2_b64 vcc, exec, s[4:5]
	s_cbranch_vccnz .LBB213_3151
; %bb.3150:
	v_lshlrev_b32_e32 v4, 16, v0
	v_cvt_i32_f32_e32 v4, v4
	global_store_short v[2:3], v4, off
.LBB213_3151:
	s_mov_b64 s[4:5], 0
.LBB213_3152:
	s_andn2_b64 vcc, exec, s[4:5]
	s_cbranch_vccnz .LBB213_3157
; %bb.3153:
	v_cmp_lt_i16_e32 vcc, 0, v1
	s_mov_b64 s[4:5], -1
	s_cbranch_vccz .LBB213_3155
; %bb.3154:
	v_lshlrev_b32_e32 v1, 16, v0
	v_cvt_i32_f32_e32 v1, v1
	s_mov_b64 s[4:5], 0
	global_store_byte v[2:3], v1, off
.LBB213_3155:
	s_andn2_b64 vcc, exec, s[4:5]
	s_cbranch_vccnz .LBB213_3157
; %bb.3156:
	v_lshlrev_b32_e32 v0, 16, v0
	v_trunc_f32_e32 v0, v0
	s_mov_b32 s4, 0x2f800000
	v_mul_f32_e64 v1, |v0|, s4
	v_floor_f32_e32 v1, v1
	s_mov_b32 s4, 0xcf800000
	v_fma_f32 v1, v1, s4, |v0|
	v_cvt_u32_f32_e32 v1, v1
	v_ashrrev_i32_e32 v0, 31, v0
	v_xor_b32_e32 v1, v1, v0
	v_sub_u32_e32 v0, v1, v0
	global_store_byte v[2:3], v0, off
	s_endpgm
.LBB213_3157:
	s_endpgm
.LBB213_3158:
	s_mov_b64 s[6:7], 0
	s_mov_b64 s[4:5], -1
	s_branch .LBB213_3114
.LBB213_3159:
	s_or_saveexec_b64 s[12:13], s[12:13]
                                        ; implicit-def: $sgpr14
	s_xor_b64 exec, exec, s[12:13]
	s_cbranch_execz .LBB213_2947
.LBB213_3160:
	s_mov_b32 s14, 0x46000000
	v_add_f32_e64 v4, |v5|, s14
	v_and_b32_e32 v4, 0xff, v4
	v_cmp_ne_u32_e32 vcc, 0, v4
	s_andn2_b64 s[10:11], s[10:11], exec
	s_and_b64 s[16:17], vcc, exec
	s_mov_b32 s14, 0
	s_or_b64 s[10:11], s[10:11], s[16:17]
	s_or_b64 exec, exec, s[12:13]
	v_mov_b32_e32 v6, s14
	s_and_saveexec_b64 s[12:13], s[10:11]
	s_cbranch_execnz .LBB213_2948
	s_branch .LBB213_2949
.LBB213_3161:
	s_trap 2
	s_or_b64 s[34:35], s[34:35], exec
	s_cbranch_execz .LBB213_2995
	s_branch .LBB213_2996
.LBB213_3162:
	s_or_saveexec_b64 s[10:11], s[10:11]
                                        ; implicit-def: $sgpr12
	s_xor_b64 exec, exec, s[10:11]
	s_cbranch_execz .LBB213_2960
.LBB213_3163:
	s_mov_b32 s12, 0x42800000
	v_add_f32_e64 v4, |v5|, s12
	v_and_b32_e32 v4, 0xff, v4
	v_cmp_ne_u32_e32 vcc, 0, v4
	s_andn2_b64 s[8:9], s[8:9], exec
	s_and_b64 s[14:15], vcc, exec
	s_mov_b32 s12, 0
	s_or_b64 s[8:9], s[8:9], s[14:15]
	s_or_b64 exec, exec, s[10:11]
	v_mov_b32_e32 v6, s12
	s_and_saveexec_b64 s[10:11], s[8:9]
	s_cbranch_execnz .LBB213_2961
	s_branch .LBB213_2962
.LBB213_3164:
	s_or_saveexec_b64 s[12:13], s[12:13]
                                        ; implicit-def: $sgpr14
	s_xor_b64 exec, exec, s[12:13]
	s_cbranch_execz .LBB213_3066
.LBB213_3165:
	s_mov_b32 s14, 0x46000000
	v_add_f32_e64 v5, |v6|, s14
	v_and_b32_e32 v5, 0xff, v5
	v_cmp_ne_u32_e32 vcc, 0, v5
	s_andn2_b64 s[10:11], s[10:11], exec
	s_and_b64 s[16:17], vcc, exec
	s_mov_b32 s14, 0
	s_or_b64 s[10:11], s[10:11], s[16:17]
	s_or_b64 exec, exec, s[12:13]
	v_mov_b32_e32 v7, s14
	s_and_saveexec_b64 s[12:13], s[10:11]
	s_cbranch_execnz .LBB213_3067
	s_branch .LBB213_3068
.LBB213_3166:
	s_mov_b64 s[6:7], 0
	s_or_b64 s[34:35], s[34:35], exec
	s_trap 2
	s_branch .LBB213_3112
.LBB213_3167:
	s_or_saveexec_b64 s[10:11], s[10:11]
                                        ; implicit-def: $sgpr12
	s_xor_b64 exec, exec, s[10:11]
	s_cbranch_execz .LBB213_3078
.LBB213_3168:
	s_mov_b32 s12, 0x42800000
	v_add_f32_e64 v5, |v6|, s12
	v_and_b32_e32 v5, 0xff, v5
	v_cmp_ne_u32_e32 vcc, 0, v5
	s_andn2_b64 s[8:9], s[8:9], exec
	s_and_b64 s[14:15], vcc, exec
	s_mov_b32 s12, 0
	s_or_b64 s[8:9], s[8:9], s[14:15]
	s_or_b64 exec, exec, s[10:11]
	v_mov_b32_e32 v7, s12
	s_and_saveexec_b64 s[10:11], s[8:9]
	s_cbranch_execnz .LBB213_3079
	s_branch .LBB213_3080
	.section	.rodata,"a",@progbits
	.p2align	6, 0x0
	.amdhsa_kernel _ZN2at6native32elementwise_kernel_manual_unrollILi128ELi4EZNS0_15gpu_kernel_implIZZZNS0_33launch_standard_gamma_grad_kernelERNS_18TensorIteratorBaseEENKUlvE_clEvENKUlvE2_clEvEUlN3c108BFloat16ES8_E_EEvS4_RKT_EUlibE0_EEviT1_
		.amdhsa_group_segment_fixed_size 0
		.amdhsa_private_segment_fixed_size 0
		.amdhsa_kernarg_size 432
		.amdhsa_user_sgpr_count 8
		.amdhsa_user_sgpr_private_segment_buffer 1
		.amdhsa_user_sgpr_dispatch_ptr 0
		.amdhsa_user_sgpr_queue_ptr 0
		.amdhsa_user_sgpr_kernarg_segment_ptr 1
		.amdhsa_user_sgpr_dispatch_id 0
		.amdhsa_user_sgpr_flat_scratch_init 1
		.amdhsa_user_sgpr_kernarg_preload_length 0
		.amdhsa_user_sgpr_kernarg_preload_offset 0
		.amdhsa_user_sgpr_private_segment_size 0
		.amdhsa_uses_dynamic_stack 0
		.amdhsa_system_sgpr_private_segment_wavefront_offset 0
		.amdhsa_system_sgpr_workgroup_id_x 1
		.amdhsa_system_sgpr_workgroup_id_y 0
		.amdhsa_system_sgpr_workgroup_id_z 0
		.amdhsa_system_sgpr_workgroup_info 0
		.amdhsa_system_vgpr_workitem_id 0
		.amdhsa_next_free_vgpr 44
		.amdhsa_next_free_sgpr 83
		.amdhsa_accum_offset 44
		.amdhsa_reserve_vcc 1
		.amdhsa_reserve_flat_scratch 1
		.amdhsa_float_round_mode_32 0
		.amdhsa_float_round_mode_16_64 0
		.amdhsa_float_denorm_mode_32 3
		.amdhsa_float_denorm_mode_16_64 3
		.amdhsa_dx10_clamp 1
		.amdhsa_ieee_mode 1
		.amdhsa_fp16_overflow 0
		.amdhsa_tg_split 0
		.amdhsa_exception_fp_ieee_invalid_op 0
		.amdhsa_exception_fp_denorm_src 0
		.amdhsa_exception_fp_ieee_div_zero 0
		.amdhsa_exception_fp_ieee_overflow 0
		.amdhsa_exception_fp_ieee_underflow 0
		.amdhsa_exception_fp_ieee_inexact 0
		.amdhsa_exception_int_div_zero 0
	.end_amdhsa_kernel
	.section	.text._ZN2at6native32elementwise_kernel_manual_unrollILi128ELi4EZNS0_15gpu_kernel_implIZZZNS0_33launch_standard_gamma_grad_kernelERNS_18TensorIteratorBaseEENKUlvE_clEvENKUlvE2_clEvEUlN3c108BFloat16ES8_E_EEvS4_RKT_EUlibE0_EEviT1_,"axG",@progbits,_ZN2at6native32elementwise_kernel_manual_unrollILi128ELi4EZNS0_15gpu_kernel_implIZZZNS0_33launch_standard_gamma_grad_kernelERNS_18TensorIteratorBaseEENKUlvE_clEvENKUlvE2_clEvEUlN3c108BFloat16ES8_E_EEvS4_RKT_EUlibE0_EEviT1_,comdat
.Lfunc_end213:
	.size	_ZN2at6native32elementwise_kernel_manual_unrollILi128ELi4EZNS0_15gpu_kernel_implIZZZNS0_33launch_standard_gamma_grad_kernelERNS_18TensorIteratorBaseEENKUlvE_clEvENKUlvE2_clEvEUlN3c108BFloat16ES8_E_EEvS4_RKT_EUlibE0_EEviT1_, .Lfunc_end213-_ZN2at6native32elementwise_kernel_manual_unrollILi128ELi4EZNS0_15gpu_kernel_implIZZZNS0_33launch_standard_gamma_grad_kernelERNS_18TensorIteratorBaseEENKUlvE_clEvENKUlvE2_clEvEUlN3c108BFloat16ES8_E_EEvS4_RKT_EUlibE0_EEviT1_
                                        ; -- End function
	.section	.AMDGPU.csdata,"",@progbits
; Kernel info:
; codeLenInByte = 68012
; NumSgprs: 89
; NumVgprs: 44
; NumAgprs: 0
; TotalNumVgprs: 44
; ScratchSize: 0
; MemoryBound: 0
; FloatMode: 240
; IeeeMode: 1
; LDSByteSize: 0 bytes/workgroup (compile time only)
; SGPRBlocks: 11
; VGPRBlocks: 5
; NumSGPRsForWavesPerEU: 89
; NumVGPRsForWavesPerEU: 44
; AccumOffset: 44
; Occupancy: 8
; WaveLimiterHint : 1
; COMPUTE_PGM_RSRC2:SCRATCH_EN: 0
; COMPUTE_PGM_RSRC2:USER_SGPR: 8
; COMPUTE_PGM_RSRC2:TRAP_HANDLER: 0
; COMPUTE_PGM_RSRC2:TGID_X_EN: 1
; COMPUTE_PGM_RSRC2:TGID_Y_EN: 0
; COMPUTE_PGM_RSRC2:TGID_Z_EN: 0
; COMPUTE_PGM_RSRC2:TIDIG_COMP_CNT: 0
; COMPUTE_PGM_RSRC3_GFX90A:ACCUM_OFFSET: 10
; COMPUTE_PGM_RSRC3_GFX90A:TG_SPLIT: 0
	.text
	.p2align	2                               ; -- Begin function _ZZZZN2at6native28launch_dirichlet_grad_kernelERNS_18TensorIteratorBaseEENKUlvE_clEvENKUlvE_clEvENKUldddE_clEddd
	.type	_ZZZZN2at6native28launch_dirichlet_grad_kernelERNS_18TensorIteratorBaseEENKUlvE_clEvENKUlvE_clEvENKUldddE_clEddd,@function
_ZZZZN2at6native28launch_dirichlet_grad_kernelERNS_18TensorIteratorBaseEENKUlvE_clEvENKUlvE_clEvENKUldddE_clEddd: ; @_ZZZZN2at6native28launch_dirichlet_grad_kernelERNS_18TensorIteratorBaseEENKUlvE_clEvENKUlvE_clEvENKUldddE_clEddd
; %bb.0:
	s_waitcnt vmcnt(0) expcnt(0) lgkmcnt(0)
	s_or_saveexec_b64 s[4:5], -1
	buffer_store_dword v40, off, s[0:3], s32 ; 4-byte Folded Spill
	s_mov_b64 exec, s[4:5]
	v_writelane_b32 v40, s34, 0
	v_writelane_b32 v40, s35, 1
	;; [unrolled: 1-line block ×56, first 2 shown]
	v_mul_f64 v[6:7], v[0:1], v[4:5]
	v_add_f64 v[10:11], -v[0:1], 1.0
	s_mov_b32 s4, 0
	v_mul_f64 v[14:15], v[10:11], v[6:7]
	s_mov_b32 s5, 0x40040000
	v_cmp_nge_f64_e32 vcc, 0.5, v[0:1]
	v_cmp_ngt_f64_e64 s[4:5], s[4:5], v[14:15]
	v_pk_mov_b32 v[12:13], v[2:3], v[2:3] op_sel:[0,1]
	v_add_f64 v[8:9], v[4:5], -v[2:3]
	s_or_b64 s[4:5], vcc, s[4:5]
                                        ; implicit-def: $vgpr6_vgpr7
	s_and_saveexec_b64 s[6:7], s[4:5]
	s_xor_b64 s[14:15], exec, s[6:7]
	s_cbranch_execz .LBB214_101
; %bb.1:
	s_mov_b32 s4, 0
	s_mov_b32 s5, 0x3fe80000
	v_cmp_nle_f64_e32 vcc, 0.5, v[0:1]
	v_cmp_ngt_f64_e64 s[4:5], s[4:5], v[14:15]
	s_or_b64 s[4:5], vcc, s[4:5]
                                        ; implicit-def: $vgpr6_vgpr7
	s_and_saveexec_b64 s[6:7], s[4:5]
	s_xor_b64 s[16:17], exec, s[6:7]
	s_cbranch_execz .LBB214_54
; %bb.2:
	s_mov_b32 s4, 0
	s_mov_b32 s5, 0x40180000
	v_cmp_nlt_f64_e32 vcc, s[4:5], v[2:3]
	v_cmp_nlt_f64_e64 s[4:5], s[4:5], v[8:9]
	s_or_b64 s[4:5], vcc, s[4:5]
                                        ; implicit-def: $vgpr6_vgpr7
	s_and_saveexec_b64 s[6:7], s[4:5]
	s_xor_b64 s[18:19], exec, s[6:7]
	s_cbranch_execz .LBB214_48
; %bb.3:
	v_mov_b32_e32 v6, 0
	v_mov_b32_e32 v7, 0x7ff00000
	v_cmp_gt_f64_e64 s[6:7], 0, v[4:5]
	v_cmp_eq_f64_e64 s[4:5], 0, v[4:5]
	v_cmp_neq_f64_e32 vcc, 0, v[4:5]
	v_pk_mov_b32 v[10:11], v[6:7], v[6:7] op_sel:[0,1]
	s_and_saveexec_b64 s[10:11], vcc
	s_cbranch_execz .LBB214_25
; %bb.4:
	s_mov_b64 s[20:21], -1
	v_pk_mov_b32 v[14:15], 0, 0
	v_pk_mov_b32 v[16:17], v[4:5], v[4:5] op_sel:[0,1]
                                        ; implicit-def: $sgpr22_sgpr23
	s_and_saveexec_b64 s[12:13], s[6:7]
	s_cbranch_execz .LBB214_12
; %bb.5:
	v_floor_f64_e32 v[10:11], v[4:5]
	v_cmp_neq_f64_e32 vcc, v[10:11], v[4:5]
	s_mov_b64 s[8:9], 0
	v_pk_mov_b32 v[14:15], 0, 0
                                        ; implicit-def: $vgpr16_vgpr17
	s_and_saveexec_b64 s[20:21], vcc
	s_cbranch_execz .LBB214_11
; %bb.6:
	s_mov_b32 s23, 0x400921fb
	s_mov_b32 s22, 0x54442d18
	s_mov_b32 s8, 0
	v_mul_f64 v[10:11], v[4:5], s[22:23]
	s_mov_b32 s9, 0x41d00000
	v_cmp_nlt_f64_e64 s[8:9], |v[10:11]|, s[8:9]
                                        ; implicit-def: $vgpr18
                                        ; implicit-def: $vgpr14_vgpr15
                                        ; implicit-def: $vgpr16_vgpr17
	s_and_saveexec_b64 s[24:25], s[8:9]
	s_xor_b64 s[24:25], exec, s[24:25]
	s_cbranch_execz .LBB214_8
; %bb.7:
	s_mov_b32 s8, 0
	s_mov_b32 s9, 0x7b000000
	s_movk_i32 s23, 0xff80
	v_and_b32_e32 v20, 0x7fffffff, v11
	v_ldexp_f64 v[18:19], |v[10:11]|, s23
	v_cmp_ge_f64_e64 vcc, |v[10:11]|, s[8:9]
	v_trig_preop_f64 v[14:15], |v[10:11]|, 0
	v_cndmask_b32_e32 v19, v20, v19, vcc
	v_cndmask_b32_e32 v18, v10, v18, vcc
	v_trig_preop_f64 v[16:17], |v[10:11]|, 1
	v_mul_f64 v[22:23], v[14:15], v[18:19]
	v_mul_f64 v[20:21], v[16:17], v[18:19]
	v_fma_f64 v[14:15], v[14:15], v[18:19], -v[22:23]
	v_add_f64 v[24:25], v[20:21], v[14:15]
	v_add_f64 v[26:27], v[22:23], v[24:25]
	s_mov_b32 s8, 0
	v_ldexp_f64 v[28:29], v[26:27], -2
	s_mov_b32 s9, 0x7ff00000
	v_fract_f64_e32 v[30:31], v[28:29]
	v_cmp_neq_f64_e64 vcc, |v[28:29]|, s[8:9]
	v_cndmask_b32_e32 v29, 0, v31, vcc
	v_cndmask_b32_e32 v28, 0, v30, vcc
	v_add_f64 v[30:31], v[24:25], -v[20:21]
	v_add_f64 v[14:15], v[14:15], -v[30:31]
	;; [unrolled: 1-line block ×4, first 2 shown]
	v_fma_f64 v[16:17], v[16:17], v[18:19], -v[20:21]
	v_trig_preop_f64 v[20:21], |v[10:11]|, 2
	v_add_f64 v[14:15], v[14:15], v[30:31]
	v_mul_f64 v[30:31], v[20:21], v[18:19]
	v_add_f64 v[34:35], v[30:31], v[16:17]
	v_add_f64 v[36:37], v[34:35], v[14:15]
	v_add_f64 v[22:23], v[26:27], -v[22:23]
	v_add_f64 v[26:27], v[36:37], -v[34:35]
	;; [unrolled: 1-line block ×5, first 2 shown]
	v_add_f64 v[14:15], v[14:15], v[26:27]
	v_add_f64 v[26:27], v[34:35], -v[30:31]
	v_add_f64 v[16:17], v[16:17], -v[26:27]
	;; [unrolled: 1-line block ×4, first 2 shown]
	v_add_f64 v[16:17], v[16:17], v[26:27]
	v_add_f64 v[22:23], v[24:25], -v[22:23]
	v_add_f64 v[14:15], v[16:17], v[14:15]
	v_fma_f64 v[16:17], v[20:21], v[18:19], -v[30:31]
	v_add_f64 v[24:25], v[22:23], v[36:37]
	v_add_f64 v[14:15], v[16:17], v[14:15]
	v_ldexp_f64 v[16:17], v[28:29], 2
	v_add_f64 v[18:19], v[24:25], v[16:17]
	v_mov_b32_e32 v20, 0x40100000
	v_cmp_gt_f64_e32 vcc, 0, v[18:19]
	v_mov_b32_e32 v32, 0
	v_cndmask_b32_e32 v33, 0, v20, vcc
	v_add_f64 v[22:23], v[24:25], -v[22:23]
	v_add_f64 v[16:17], v[16:17], v[32:33]
	v_add_f64 v[22:23], v[36:37], -v[22:23]
	v_add_f64 v[18:19], v[24:25], v[16:17]
	v_add_f64 v[14:15], v[22:23], v[14:15]
	v_cvt_i32_f64_e32 v22, v[18:19]
	v_cvt_f64_i32_e32 v[18:19], v22
	v_add_f64 v[16:17], v[16:17], -v[18:19]
	v_add_f64 v[20:21], v[24:25], v[16:17]
	v_add_f64 v[16:17], v[20:21], -v[16:17]
	v_add_f64 v[16:17], v[24:25], -v[16:17]
	v_add_f64 v[14:15], v[14:15], v[16:17]
	v_cmp_le_f64_e32 vcc, 0.5, v[20:21]
	v_mov_b32_e32 v16, 0x3ff00000
	v_cndmask_b32_e32 v33, 0, v16, vcc
	v_add_f64 v[16:17], v[20:21], -v[32:33]
	v_add_f64 v[20:21], v[16:17], v[14:15]
	v_addc_co_u32_e64 v18, s[8:9], 0, v22, vcc
	v_add_f64 v[16:17], v[20:21], -v[16:17]
	s_mov_b32 s23, 0x3ff921fb
	v_add_f64 v[14:15], v[14:15], -v[16:17]
	v_mul_f64 v[16:17], v[20:21], s[22:23]
	s_mov_b32 s8, 0x33145c07
	v_fma_f64 v[22:23], v[20:21], s[22:23], -v[16:17]
	s_mov_b32 s9, 0x3c91a626
	v_fmac_f64_e32 v[22:23], s[8:9], v[20:21]
	v_fmac_f64_e32 v[22:23], s[22:23], v[14:15]
	v_add_f64 v[14:15], v[16:17], v[22:23]
	v_add_f64 v[16:17], v[14:15], -v[16:17]
	v_add_f64 v[16:17], v[22:23], -v[16:17]
.LBB214_8:
	s_andn2_saveexec_b64 s[8:9], s[24:25]
	s_cbranch_execz .LBB214_10
; %bb.9:
	s_mov_b32 s22, 0x6dc9c883
	s_mov_b32 s23, 0x3fe45f30
	v_mul_f64 v[14:15], |v[10:11]|, s[22:23]
	s_mov_b32 s22, 0x54442d18
	v_rndne_f64_e32 v[18:19], v[14:15]
	s_mov_b32 s23, 0xbff921fb
	v_fma_f64 v[14:15], v[18:19], s[22:23], |v[10:11]|
	s_mov_b32 s23, 0xbc91a626
	s_mov_b32 s22, 0x33145c00
	v_mul_f64 v[20:21], v[18:19], s[22:23]
	v_add_f64 v[24:25], v[14:15], v[20:21]
	v_fma_f64 v[16:17], s[22:23], v[18:19], v[14:15]
	s_mov_b32 s23, 0x3c91a626
	v_add_f64 v[14:15], v[14:15], -v[24:25]
	v_fma_f64 v[22:23], s[22:23], v[18:19], v[20:21]
	v_add_f64 v[14:15], v[14:15], v[20:21]
	v_add_f64 v[20:21], v[24:25], -v[16:17]
	v_add_f64 v[14:15], v[20:21], v[14:15]
	s_mov_b32 s22, 0x252049c0
	v_add_f64 v[20:21], v[14:15], -v[22:23]
	s_mov_b32 s23, 0xb97b839a
	v_fmac_f64_e32 v[20:21], s[22:23], v[18:19]
	v_add_f64 v[14:15], v[16:17], v[20:21]
	v_add_f64 v[16:17], v[14:15], -v[16:17]
	v_add_f64 v[16:17], v[20:21], -v[16:17]
	v_cvt_i32_f64_e32 v18, v[18:19]
.LBB214_10:
	s_or_b64 exec, exec, s[8:9]
	v_mul_f64 v[20:21], v[14:15], v[14:15]
	v_fma_f64 v[22:23], v[14:15], v[14:15], -v[20:21]
	v_add_f64 v[24:25], v[16:17], v[16:17]
	v_fmac_f64_e32 v[22:23], v[14:15], v[24:25]
	s_mov_b32 s22, 0xc751c08c
	v_add_f64 v[20:21], v[20:21], v[22:23]
	v_mov_b32_e32 v22, 0xa9a29f71
	v_mov_b32_e32 v23, 0xbf078809
	s_mov_b32 s23, 0x3ef5e089
	v_fmac_f64_e32 v[22:23], s[22:23], v[20:21]
	v_mov_b32_e32 v24, 0x90a8aae0
	v_mov_b32_e32 v25, 0x3f17746f
	v_fmac_f64_e32 v[24:25], v[20:21], v[22:23]
	v_mov_b32_e32 v22, 0xa6fbf144
	v_mov_b32_e32 v23, 0xbefbb44d
	;; [unrolled: 3-line block ×12, first 2 shown]
	v_fmac_f64_e32 v[22:23], v[20:21], v[24:25]
	v_mul_f64 v[20:21], v[20:21], v[22:23]
	v_mul_f64 v[22:23], v[14:15], v[20:21]
	v_add_f64 v[24:25], v[14:15], v[22:23]
	v_fma_f64 v[20:21], v[14:15], v[20:21], -v[22:23]
	v_add_f64 v[14:15], v[24:25], -v[14:15]
	v_add_f64 v[14:15], v[22:23], -v[14:15]
	v_add_f64 v[16:17], v[16:17], v[20:21]
	v_add_f64 v[14:15], v[16:17], v[14:15]
	;; [unrolled: 1-line block ×3, first 2 shown]
	v_rcp_f64_e32 v[20:21], v[16:17]
	v_and_b32_e32 v28, 1, v18
	v_add_f64 v[18:19], v[16:17], -v[24:25]
	v_add_f64 v[14:15], v[14:15], -v[18:19]
	v_fma_f64 v[18:19], -v[16:17], v[20:21], 1.0
	v_fmac_f64_e32 v[20:21], v[18:19], v[20:21]
	v_fma_f64 v[18:19], -v[16:17], v[20:21], 1.0
	v_fmac_f64_e32 v[20:21], v[18:19], v[20:21]
	v_mul_f64 v[18:19], v[16:17], v[20:21]
	v_fma_f64 v[22:23], v[20:21], v[16:17], -v[18:19]
	v_fmac_f64_e32 v[22:23], v[20:21], v[14:15]
	v_add_f64 v[14:15], v[18:19], v[22:23]
	v_add_f64 v[24:25], -v[14:15], 1.0
	v_add_f64 v[18:19], v[14:15], -v[18:19]
	v_add_f64 v[26:27], -v[24:25], 1.0
	v_add_f64 v[14:15], v[26:27], -v[14:15]
	v_add_f64 v[18:19], v[18:19], -v[22:23]
	v_add_f64 v[14:15], v[18:19], v[14:15]
	v_add_f64 v[14:15], v[24:25], v[14:15]
	v_mul_f64 v[14:15], v[20:21], v[14:15]
	v_add_f64 v[14:15], v[20:21], v[14:15]
	v_xor_b32_e32 v15, 0x80000000, v15
	v_cmp_eq_u32_e32 vcc, 0, v28
	v_cndmask_b32_e32 v14, v14, v16, vcc
	v_cndmask_b32_e32 v15, v15, v17, vcc
	v_and_b32_e32 v16, 0x80000000, v11
	s_movk_i32 s22, 0x1f8
	v_xor_b32_e32 v15, v15, v16
	v_cmp_class_f64_e64 vcc, v[10:11], s22
	v_mov_b32_e32 v11, 0x7ff80000
	s_mov_b32 s22, 0x54442d18
	v_cndmask_b32_e32 v10, 0, v14, vcc
	v_cndmask_b32_e32 v11, v11, v15, vcc
	s_mov_b32 s23, 0xc00921fb
	v_div_scale_f64 v[14:15], s[24:25], v[10:11], v[10:11], s[22:23]
	v_rcp_f64_e32 v[16:17], v[14:15]
	s_mov_b64 s[8:9], exec
	v_fma_f64 v[18:19], -v[14:15], v[16:17], 1.0
	v_fmac_f64_e32 v[16:17], v[16:17], v[18:19]
	v_fma_f64 v[18:19], -v[14:15], v[16:17], 1.0
	v_fmac_f64_e32 v[16:17], v[16:17], v[18:19]
	v_div_scale_f64 v[18:19], vcc, s[22:23], v[10:11], s[22:23]
	v_mul_f64 v[20:21], v[18:19], v[16:17]
	v_fma_f64 v[14:15], -v[14:15], v[20:21], v[18:19]
	s_nop 1
	v_div_fmas_f64 v[14:15], v[14:15], v[16:17], v[20:21]
	v_div_fixup_f64 v[14:15], v[14:15], v[10:11], s[22:23]
	v_add_f64 v[16:17], -v[4:5], 1.0
.LBB214_11:
	s_or_b64 exec, exec, s[20:21]
	s_mov_b32 s22, 0
	s_mov_b32 s23, 0x7ff00000
	s_orn2_b64 s[20:21], s[8:9], exec
.LBB214_12:
	s_or_b64 exec, exec, s[12:13]
	v_pk_mov_b32 v[10:11], s[22:23], s[22:23] op_sel:[0,1]
	s_and_saveexec_b64 s[8:9], s[20:21]
	s_cbranch_execz .LBB214_24
; %bb.13:
	s_mov_b32 s20, 0
	s_mov_b32 s21, 0x40240000
	v_cmp_gt_f64_e32 vcc, s[20:21], v[16:17]
	v_pk_mov_b32 v[10:11], 0, 0
	s_and_saveexec_b64 s[12:13], vcc
	s_cbranch_execz .LBB214_17
; %bb.14:
	s_mov_b64 s[22:23], 0
	v_pk_mov_b32 v[10:11], 0, 0
.LBB214_15:                             ; =>This Inner Loop Header: Depth=1
	v_div_scale_f64 v[18:19], s[24:25], v[16:17], v[16:17], 1.0
	v_rcp_f64_e32 v[20:21], v[18:19]
	v_div_scale_f64 v[22:23], vcc, 1.0, v[16:17], 1.0
	v_fma_f64 v[24:25], -v[18:19], v[20:21], 1.0
	v_fmac_f64_e32 v[20:21], v[20:21], v[24:25]
	v_fma_f64 v[24:25], -v[18:19], v[20:21], 1.0
	v_fmac_f64_e32 v[20:21], v[20:21], v[24:25]
	v_mul_f64 v[24:25], v[22:23], v[20:21]
	v_fma_f64 v[18:19], -v[18:19], v[24:25], v[22:23]
	v_div_fmas_f64 v[18:19], v[18:19], v[20:21], v[24:25]
	v_div_fixup_f64 v[18:19], v[18:19], v[16:17], 1.0
	v_add_f64 v[16:17], v[16:17], 1.0
	v_cmp_ngt_f64_e32 vcc, s[20:21], v[16:17]
	s_or_b64 s[22:23], vcc, s[22:23]
	v_add_f64 v[10:11], v[10:11], -v[18:19]
	s_andn2_b64 exec, exec, s[22:23]
	s_cbranch_execnz .LBB214_15
; %bb.16:
	s_or_b64 exec, exec, s[22:23]
.LBB214_17:
	s_or_b64 exec, exec, s[12:13]
	s_mov_b32 s12, 0
	s_mov_b32 s13, 0x40240000
	v_cmp_neq_f64_e32 vcc, s[12:13], v[16:17]
                                        ; implicit-def: $vgpr18_vgpr19
	s_and_saveexec_b64 s[12:13], vcc
	s_xor_b64 s[12:13], exec, s[12:13]
	s_cbranch_execz .LBB214_21
; %bb.18:
	s_brev_b32 s20, 1
	s_mov_b32 s21, 0x43763457
	v_cmp_gt_f64_e32 vcc, s[20:21], v[16:17]
	v_pk_mov_b32 v[18:19], 0, 0
	s_and_saveexec_b64 s[20:21], vcc
	s_cbranch_execz .LBB214_20
; %bb.19:
	v_mul_f64 v[18:19], v[16:17], v[16:17]
	v_div_scale_f64 v[20:21], s[22:23], v[18:19], v[18:19], 1.0
	v_rcp_f64_e32 v[22:23], v[20:21]
	v_div_scale_f64 v[24:25], vcc, 1.0, v[18:19], 1.0
	s_mov_b32 s22, 0x55555555
	v_fma_f64 v[26:27], -v[20:21], v[22:23], 1.0
	v_fmac_f64_e32 v[22:23], v[22:23], v[26:27]
	v_fma_f64 v[26:27], -v[20:21], v[22:23], 1.0
	v_fmac_f64_e32 v[22:23], v[22:23], v[26:27]
	v_mul_f64 v[26:27], v[24:25], v[22:23]
	v_fma_f64 v[20:21], -v[20:21], v[26:27], v[24:25]
	v_div_fmas_f64 v[20:21], v[20:21], v[22:23], v[26:27]
	v_div_fixup_f64 v[18:19], v[20:21], v[18:19], 1.0
	s_mov_b32 s23, 0x3fb55555
	v_fma_f64 v[20:21], v[18:19], 0, s[22:23]
	v_mov_b32_e32 v22, 0x95995996
	v_mov_b32_e32 v23, 0xbf959959
	v_fmac_f64_e32 v[22:23], v[18:19], v[20:21]
	v_mov_b32_e32 v20, 0xf07c1f08
	v_mov_b32_e32 v21, 0x3f7f07c1
	v_fmac_f64_e32 v[20:21], v[18:19], v[22:23]
	v_mov_b32_e32 v22, 0x11111111
	v_mov_b32_e32 v23, 0xbf711111
	v_pk_mov_b32 v[24:25], v[22:23], v[22:23] op_sel:[0,1]
	v_fmac_f64_e32 v[24:25], v[18:19], v[20:21]
	v_mov_b32_e32 v20, 0x10410410
	v_mov_b32_e32 v21, 0x3f704104
	v_fmac_f64_e32 v[20:21], v[18:19], v[24:25]
	v_mov_b32_e32 v23, 0xbf811111
	v_fmac_f64_e32 v[22:23], v[18:19], v[20:21]
	v_fma_f64 v[20:21], v[18:19], v[22:23], s[22:23]
	v_mul_f64 v[18:19], v[18:19], v[20:21]
.LBB214_20:
	s_or_b64 exec, exec, s[20:21]
	s_mov_b32 s20, 0x55555555
	v_frexp_mant_f64_e32 v[20:21], v[16:17]
	s_mov_b32 s21, 0x3fe55555
	v_mov_b32_e32 v22, 0x3ff00000
	v_cmp_gt_f64_e32 vcc, s[20:21], v[20:21]
	v_cndmask_b32_e64 v23, v22, 2.0, vcc
	v_mov_b32_e32 v22, 0
	v_mul_f64 v[20:21], v[20:21], v[22:23]
	v_frexp_exp_i32_f64_e32 v24, v[16:17]
	v_add_f64 v[22:23], v[20:21], 1.0
	v_subbrev_co_u32_e32 v34, vcc, 0, v24, vcc
	v_rcp_f64_e32 v[24:25], v[22:23]
	v_add_f64 v[28:29], v[22:23], -1.0
	v_add_f64 v[26:27], v[20:21], -1.0
	v_add_f64 v[20:21], v[20:21], -v[28:29]
	v_fma_f64 v[28:29], -v[22:23], v[24:25], 1.0
	v_fmac_f64_e32 v[24:25], v[28:29], v[24:25]
	v_fma_f64 v[28:29], -v[22:23], v[24:25], 1.0
	v_fmac_f64_e32 v[24:25], v[28:29], v[24:25]
	v_mul_f64 v[28:29], v[26:27], v[24:25]
	v_mul_f64 v[30:31], v[22:23], v[28:29]
	v_fma_f64 v[22:23], v[28:29], v[22:23], -v[30:31]
	v_fmac_f64_e32 v[22:23], v[28:29], v[20:21]
	v_add_f64 v[20:21], v[30:31], v[22:23]
	v_add_f64 v[32:33], v[26:27], -v[20:21]
	v_add_f64 v[30:31], v[20:21], -v[30:31]
	v_add_f64 v[26:27], v[26:27], -v[32:33]
	v_add_f64 v[20:21], v[26:27], -v[20:21]
	v_add_f64 v[22:23], v[30:31], -v[22:23]
	v_add_f64 v[20:21], v[22:23], v[20:21]
	v_add_f64 v[20:21], v[32:33], v[20:21]
	v_mul_f64 v[20:21], v[24:25], v[20:21]
	v_add_f64 v[22:23], v[28:29], v[20:21]
	v_add_f64 v[24:25], v[22:23], -v[28:29]
	s_mov_b32 s20, 0xbf559e2b
	v_add_f64 v[20:21], v[20:21], -v[24:25]
	v_mul_f64 v[24:25], v[22:23], v[22:23]
	v_mov_b32_e32 v26, 0x6b47b09a
	v_mov_b32_e32 v27, 0x3fc38538
	s_mov_b32 s21, 0x3fc3ab76
	v_fmac_f64_e32 v[26:27], s[20:21], v[24:25]
	v_mov_b32_e32 v28, 0xd7f4df2e
	v_mov_b32_e32 v29, 0x3fc7474d
	v_fmac_f64_e32 v[28:29], v[24:25], v[26:27]
	v_mov_b32_e32 v26, 0x16291751
	v_mov_b32_e32 v27, 0x3fcc71c0
	;; [unrolled: 3-line block ×5, first 2 shown]
	v_fmac_f64_e32 v[28:29], v[24:25], v[26:27]
	v_ldexp_f64 v[26:27], v[22:23], 1
	v_mul_f64 v[22:23], v[22:23], v[24:25]
	v_mul_f64 v[22:23], v[22:23], v[28:29]
	v_add_f64 v[24:25], v[26:27], v[22:23]
	v_add_f64 v[26:27], v[24:25], -v[26:27]
	v_ldexp_f64 v[20:21], v[20:21], 1
	v_add_f64 v[22:23], v[22:23], -v[26:27]
	v_add_f64 v[20:21], v[20:21], v[22:23]
	v_add_f64 v[22:23], v[24:25], v[20:21]
	v_add_f64 v[24:25], v[22:23], -v[24:25]
	s_mov_b32 s20, 0xfefa39ef
	v_add_f64 v[20:21], v[20:21], -v[24:25]
	v_cvt_f64_i32_e32 v[24:25], v34
	s_mov_b32 s21, 0x3fe62e42
	v_mul_f64 v[26:27], v[24:25], s[20:21]
	v_fma_f64 v[28:29], v[24:25], s[20:21], -v[26:27]
	s_mov_b32 s20, 0x3b39803f
	s_mov_b32 s21, 0x3c7abc9e
	v_fmac_f64_e32 v[28:29], s[20:21], v[24:25]
	v_add_f64 v[24:25], v[26:27], v[28:29]
	v_add_f64 v[26:27], v[24:25], -v[26:27]
	v_add_f64 v[26:27], v[28:29], -v[26:27]
	v_add_f64 v[28:29], v[24:25], v[22:23]
	v_add_f64 v[30:31], v[28:29], -v[24:25]
	v_add_f64 v[32:33], v[28:29], -v[30:31]
	;; [unrolled: 1-line block ×4, first 2 shown]
	v_add_f64 v[22:23], v[22:23], v[24:25]
	v_add_f64 v[24:25], v[26:27], v[20:21]
	v_add_f64 v[30:31], v[24:25], -v[26:27]
	v_add_f64 v[32:33], v[24:25], -v[30:31]
	v_add_f64 v[22:23], v[24:25], v[22:23]
	v_add_f64 v[26:27], v[26:27], -v[32:33]
	v_add_f64 v[20:21], v[20:21], -v[30:31]
	v_add_f64 v[24:25], v[28:29], v[22:23]
	v_add_f64 v[20:21], v[20:21], v[26:27]
	v_add_f64 v[26:27], v[24:25], -v[28:29]
	v_add_f64 v[22:23], v[22:23], -v[26:27]
	v_add_f64 v[20:21], v[20:21], v[22:23]
	v_div_scale_f64 v[22:23], s[20:21], v[16:17], v[16:17], -0.5
	v_add_f64 v[20:21], v[24:25], v[20:21]
	v_rcp_f64_e32 v[24:25], v[22:23]
	s_movk_i32 s22, 0x204
	v_cmp_class_f64_e64 vcc, v[16:17], s22
	v_cndmask_b32_e32 v21, v21, v17, vcc
	v_cndmask_b32_e32 v20, v20, v16, vcc
	v_add_f64 v[10:11], v[10:11], v[20:21]
	v_fma_f64 v[20:21], -v[22:23], v[24:25], 1.0
	v_fmac_f64_e32 v[24:25], v[24:25], v[20:21]
	v_fma_f64 v[20:21], -v[22:23], v[24:25], 1.0
	v_fmac_f64_e32 v[24:25], v[24:25], v[20:21]
	v_div_scale_f64 v[20:21], vcc, -0.5, v[16:17], -0.5
	v_mul_f64 v[26:27], v[20:21], v[24:25]
	v_fma_f64 v[20:21], -v[22:23], v[26:27], v[20:21]
	s_nop 1
	v_div_fmas_f64 v[20:21], v[20:21], v[24:25], v[26:27]
	v_div_fixup_f64 v[16:17], v[20:21], v[16:17], -0.5
	v_add_f64 v[10:11], v[10:11], v[16:17]
	v_add_f64 v[18:19], v[10:11], -v[18:19]
                                        ; implicit-def: $vgpr10_vgpr11
.LBB214_21:
	s_andn2_saveexec_b64 s[12:13], s[12:13]
; %bb.22:
	s_mov_b32 s20, 0xdc85cc95
	s_mov_b32 s21, 0x40020396
	v_add_f64 v[18:19], v[10:11], s[20:21]
; %bb.23:
	s_or_b64 exec, exec, s[12:13]
	v_add_f64 v[10:11], v[14:15], v[18:19]
.LBB214_24:
	s_or_b64 exec, exec, s[8:9]
.LBB214_25:
	s_or_b64 exec, exec, s[10:11]
	v_cmp_gt_f64_e64 s[10:11], 0, v[2:3]
	v_cmp_eq_f64_e64 s[8:9], 0, v[2:3]
	v_cmp_neq_f64_e32 vcc, 0, v[2:3]
	s_and_saveexec_b64 s[20:21], vcc
	s_cbranch_execz .LBB214_47
; %bb.26:
	s_mov_b64 s[24:25], -1
	v_pk_mov_b32 v[14:15], 0, 0
                                        ; implicit-def: $sgpr26_sgpr27
	s_and_saveexec_b64 s[22:23], s[10:11]
	s_cbranch_execz .LBB214_34
; %bb.27:
	v_floor_f64_e32 v[6:7], v[2:3]
	v_cmp_neq_f64_e32 vcc, v[6:7], v[2:3]
	s_mov_b64 s[12:13], 0
	v_pk_mov_b32 v[14:15], 0, 0
                                        ; implicit-def: $vgpr12_vgpr13
	s_and_saveexec_b64 s[24:25], vcc
	s_cbranch_execz .LBB214_33
; %bb.28:
	s_mov_b32 s27, 0x400921fb
	s_mov_b32 s26, 0x54442d18
	;; [unrolled: 1-line block ×3, first 2 shown]
	v_mul_f64 v[6:7], v[2:3], s[26:27]
	s_mov_b32 s13, 0x41d00000
	v_cmp_nlt_f64_e64 s[12:13], |v[6:7]|, s[12:13]
                                        ; implicit-def: $vgpr16
                                        ; implicit-def: $vgpr12_vgpr13
                                        ; implicit-def: $vgpr14_vgpr15
	s_and_saveexec_b64 s[28:29], s[12:13]
	s_xor_b64 s[28:29], exec, s[28:29]
	s_cbranch_execz .LBB214_30
; %bb.29:
	s_mov_b32 s12, 0
	s_mov_b32 s13, 0x7b000000
	s_movk_i32 s27, 0xff80
	v_and_b32_e32 v18, 0x7fffffff, v7
	v_ldexp_f64 v[16:17], |v[6:7]|, s27
	v_cmp_ge_f64_e64 vcc, |v[6:7]|, s[12:13]
	v_trig_preop_f64 v[12:13], |v[6:7]|, 0
	v_cndmask_b32_e32 v17, v18, v17, vcc
	v_cndmask_b32_e32 v16, v6, v16, vcc
	v_trig_preop_f64 v[14:15], |v[6:7]|, 1
	v_mul_f64 v[20:21], v[12:13], v[16:17]
	v_mul_f64 v[18:19], v[14:15], v[16:17]
	v_fma_f64 v[12:13], v[12:13], v[16:17], -v[20:21]
	v_add_f64 v[22:23], v[18:19], v[12:13]
	v_add_f64 v[24:25], v[20:21], v[22:23]
	s_mov_b32 s12, 0
	v_ldexp_f64 v[26:27], v[24:25], -2
	s_mov_b32 s13, 0x7ff00000
	v_fract_f64_e32 v[28:29], v[26:27]
	v_cmp_neq_f64_e64 vcc, |v[26:27]|, s[12:13]
	v_cndmask_b32_e32 v27, 0, v29, vcc
	v_cndmask_b32_e32 v26, 0, v28, vcc
	v_add_f64 v[28:29], v[22:23], -v[18:19]
	v_add_f64 v[12:13], v[12:13], -v[28:29]
	;; [unrolled: 1-line block ×4, first 2 shown]
	v_fma_f64 v[14:15], v[14:15], v[16:17], -v[18:19]
	v_trig_preop_f64 v[18:19], |v[6:7]|, 2
	v_add_f64 v[12:13], v[12:13], v[28:29]
	v_mul_f64 v[28:29], v[18:19], v[16:17]
	v_add_f64 v[32:33], v[28:29], v[14:15]
	v_add_f64 v[34:35], v[32:33], v[12:13]
	v_add_f64 v[20:21], v[24:25], -v[20:21]
	v_add_f64 v[24:25], v[34:35], -v[32:33]
	;; [unrolled: 1-line block ×5, first 2 shown]
	v_add_f64 v[12:13], v[12:13], v[24:25]
	v_add_f64 v[24:25], v[32:33], -v[28:29]
	v_add_f64 v[14:15], v[14:15], -v[24:25]
	;; [unrolled: 1-line block ×4, first 2 shown]
	v_add_f64 v[14:15], v[14:15], v[24:25]
	v_add_f64 v[20:21], v[22:23], -v[20:21]
	v_add_f64 v[12:13], v[14:15], v[12:13]
	v_fma_f64 v[14:15], v[18:19], v[16:17], -v[28:29]
	v_add_f64 v[22:23], v[20:21], v[34:35]
	v_add_f64 v[12:13], v[14:15], v[12:13]
	v_ldexp_f64 v[14:15], v[26:27], 2
	v_add_f64 v[16:17], v[22:23], v[14:15]
	v_mov_b32_e32 v18, 0x40100000
	v_cmp_gt_f64_e32 vcc, 0, v[16:17]
	v_mov_b32_e32 v30, 0
	v_cndmask_b32_e32 v31, 0, v18, vcc
	v_add_f64 v[20:21], v[22:23], -v[20:21]
	v_add_f64 v[14:15], v[14:15], v[30:31]
	v_add_f64 v[20:21], v[34:35], -v[20:21]
	v_add_f64 v[16:17], v[22:23], v[14:15]
	v_add_f64 v[12:13], v[20:21], v[12:13]
	v_cvt_i32_f64_e32 v20, v[16:17]
	v_cvt_f64_i32_e32 v[16:17], v20
	v_add_f64 v[14:15], v[14:15], -v[16:17]
	v_add_f64 v[18:19], v[22:23], v[14:15]
	v_add_f64 v[14:15], v[18:19], -v[14:15]
	v_add_f64 v[14:15], v[22:23], -v[14:15]
	v_add_f64 v[12:13], v[12:13], v[14:15]
	v_cmp_le_f64_e32 vcc, 0.5, v[18:19]
	v_mov_b32_e32 v14, 0x3ff00000
	v_cndmask_b32_e32 v31, 0, v14, vcc
	v_add_f64 v[14:15], v[18:19], -v[30:31]
	v_add_f64 v[18:19], v[14:15], v[12:13]
	v_addc_co_u32_e64 v16, s[12:13], 0, v20, vcc
	v_add_f64 v[14:15], v[18:19], -v[14:15]
	s_mov_b32 s27, 0x3ff921fb
	v_add_f64 v[12:13], v[12:13], -v[14:15]
	v_mul_f64 v[14:15], v[18:19], s[26:27]
	s_mov_b32 s12, 0x33145c07
	v_fma_f64 v[20:21], v[18:19], s[26:27], -v[14:15]
	s_mov_b32 s13, 0x3c91a626
	v_fmac_f64_e32 v[20:21], s[12:13], v[18:19]
	v_fmac_f64_e32 v[20:21], s[26:27], v[12:13]
	v_add_f64 v[12:13], v[14:15], v[20:21]
	v_add_f64 v[14:15], v[12:13], -v[14:15]
	v_add_f64 v[14:15], v[20:21], -v[14:15]
.LBB214_30:
	s_andn2_saveexec_b64 s[12:13], s[28:29]
	s_cbranch_execz .LBB214_32
; %bb.31:
	s_mov_b32 s26, 0x6dc9c883
	s_mov_b32 s27, 0x3fe45f30
	v_mul_f64 v[12:13], |v[6:7]|, s[26:27]
	s_mov_b32 s26, 0x54442d18
	v_rndne_f64_e32 v[16:17], v[12:13]
	s_mov_b32 s27, 0xbff921fb
	v_fma_f64 v[12:13], v[16:17], s[26:27], |v[6:7]|
	s_mov_b32 s27, 0xbc91a626
	s_mov_b32 s26, 0x33145c00
	v_mul_f64 v[18:19], v[16:17], s[26:27]
	v_add_f64 v[22:23], v[12:13], v[18:19]
	v_fma_f64 v[14:15], s[26:27], v[16:17], v[12:13]
	s_mov_b32 s27, 0x3c91a626
	v_add_f64 v[12:13], v[12:13], -v[22:23]
	v_fma_f64 v[20:21], s[26:27], v[16:17], v[18:19]
	v_add_f64 v[12:13], v[12:13], v[18:19]
	v_add_f64 v[18:19], v[22:23], -v[14:15]
	v_add_f64 v[12:13], v[18:19], v[12:13]
	s_mov_b32 s26, 0x252049c0
	v_add_f64 v[18:19], v[12:13], -v[20:21]
	s_mov_b32 s27, 0xb97b839a
	v_fmac_f64_e32 v[18:19], s[26:27], v[16:17]
	v_add_f64 v[12:13], v[14:15], v[18:19]
	v_add_f64 v[14:15], v[12:13], -v[14:15]
	v_add_f64 v[14:15], v[18:19], -v[14:15]
	v_cvt_i32_f64_e32 v16, v[16:17]
.LBB214_32:
	s_or_b64 exec, exec, s[12:13]
	v_mul_f64 v[18:19], v[12:13], v[12:13]
	v_fma_f64 v[20:21], v[12:13], v[12:13], -v[18:19]
	v_add_f64 v[22:23], v[14:15], v[14:15]
	v_fmac_f64_e32 v[20:21], v[12:13], v[22:23]
	s_mov_b32 s26, 0xc751c08c
	v_add_f64 v[18:19], v[18:19], v[20:21]
	v_mov_b32_e32 v20, 0xa9a29f71
	v_mov_b32_e32 v21, 0xbf078809
	s_mov_b32 s27, 0x3ef5e089
	v_fmac_f64_e32 v[20:21], s[26:27], v[18:19]
	v_mov_b32_e32 v22, 0x90a8aae0
	v_mov_b32_e32 v23, 0x3f17746f
	v_fmac_f64_e32 v[22:23], v[18:19], v[20:21]
	v_mov_b32_e32 v20, 0xa6fbf144
	v_mov_b32_e32 v21, 0xbefbb44d
	;; [unrolled: 3-line block ×12, first 2 shown]
	v_fmac_f64_e32 v[20:21], v[18:19], v[22:23]
	v_mul_f64 v[18:19], v[18:19], v[20:21]
	v_mul_f64 v[20:21], v[12:13], v[18:19]
	v_add_f64 v[22:23], v[12:13], v[20:21]
	v_fma_f64 v[18:19], v[12:13], v[18:19], -v[20:21]
	v_add_f64 v[12:13], v[22:23], -v[12:13]
	v_add_f64 v[12:13], v[20:21], -v[12:13]
	v_add_f64 v[14:15], v[14:15], v[18:19]
	v_add_f64 v[12:13], v[14:15], v[12:13]
	;; [unrolled: 1-line block ×3, first 2 shown]
	v_rcp_f64_e32 v[18:19], v[14:15]
	v_and_b32_e32 v26, 1, v16
	v_add_f64 v[16:17], v[14:15], -v[22:23]
	v_add_f64 v[12:13], v[12:13], -v[16:17]
	v_fma_f64 v[16:17], -v[14:15], v[18:19], 1.0
	v_fmac_f64_e32 v[18:19], v[16:17], v[18:19]
	v_fma_f64 v[16:17], -v[14:15], v[18:19], 1.0
	v_fmac_f64_e32 v[18:19], v[16:17], v[18:19]
	v_mul_f64 v[16:17], v[14:15], v[18:19]
	v_fma_f64 v[20:21], v[18:19], v[14:15], -v[16:17]
	v_fmac_f64_e32 v[20:21], v[18:19], v[12:13]
	v_add_f64 v[12:13], v[16:17], v[20:21]
	v_add_f64 v[22:23], -v[12:13], 1.0
	v_add_f64 v[16:17], v[12:13], -v[16:17]
	v_add_f64 v[24:25], -v[22:23], 1.0
	v_add_f64 v[12:13], v[24:25], -v[12:13]
	v_add_f64 v[16:17], v[16:17], -v[20:21]
	v_add_f64 v[12:13], v[16:17], v[12:13]
	v_add_f64 v[12:13], v[22:23], v[12:13]
	v_mul_f64 v[12:13], v[18:19], v[12:13]
	v_add_f64 v[12:13], v[18:19], v[12:13]
	v_xor_b32_e32 v13, 0x80000000, v13
	v_cmp_eq_u32_e32 vcc, 0, v26
	v_cndmask_b32_e32 v12, v12, v14, vcc
	v_cndmask_b32_e32 v13, v13, v15, vcc
	v_and_b32_e32 v14, 0x80000000, v7
	s_movk_i32 s26, 0x1f8
	v_xor_b32_e32 v13, v13, v14
	v_cmp_class_f64_e64 vcc, v[6:7], s26
	v_mov_b32_e32 v7, 0x7ff80000
	s_mov_b32 s26, 0x54442d18
	v_cndmask_b32_e32 v6, 0, v12, vcc
	v_cndmask_b32_e32 v7, v7, v13, vcc
	s_mov_b32 s27, 0xc00921fb
	v_div_scale_f64 v[12:13], s[28:29], v[6:7], v[6:7], s[26:27]
	v_rcp_f64_e32 v[14:15], v[12:13]
	s_mov_b64 s[12:13], exec
	v_fma_f64 v[16:17], -v[12:13], v[14:15], 1.0
	v_fmac_f64_e32 v[14:15], v[14:15], v[16:17]
	v_fma_f64 v[16:17], -v[12:13], v[14:15], 1.0
	v_fmac_f64_e32 v[14:15], v[14:15], v[16:17]
	v_div_scale_f64 v[16:17], vcc, s[26:27], v[6:7], s[26:27]
	v_mul_f64 v[18:19], v[16:17], v[14:15]
	v_fma_f64 v[12:13], -v[12:13], v[18:19], v[16:17]
	s_nop 1
	v_div_fmas_f64 v[12:13], v[12:13], v[14:15], v[18:19]
	v_div_fixup_f64 v[14:15], v[12:13], v[6:7], s[26:27]
	v_add_f64 v[12:13], -v[2:3], 1.0
.LBB214_33:
	s_or_b64 exec, exec, s[24:25]
	s_mov_b32 s26, 0
	s_mov_b32 s27, 0x7ff00000
	s_orn2_b64 s[24:25], s[12:13], exec
.LBB214_34:
	s_or_b64 exec, exec, s[22:23]
	v_pk_mov_b32 v[6:7], s[26:27], s[26:27] op_sel:[0,1]
	s_and_saveexec_b64 s[12:13], s[24:25]
	s_cbranch_execz .LBB214_46
; %bb.35:
	s_mov_b32 s24, 0
	s_mov_b32 s25, 0x40240000
	v_cmp_gt_f64_e32 vcc, s[24:25], v[12:13]
	v_pk_mov_b32 v[6:7], 0, 0
	s_and_saveexec_b64 s[22:23], vcc
	s_cbranch_execz .LBB214_39
; %bb.36:
	s_mov_b64 s[26:27], 0
	v_pk_mov_b32 v[6:7], 0, 0
.LBB214_37:                             ; =>This Inner Loop Header: Depth=1
	v_div_scale_f64 v[16:17], s[28:29], v[12:13], v[12:13], 1.0
	v_rcp_f64_e32 v[18:19], v[16:17]
	v_div_scale_f64 v[20:21], vcc, 1.0, v[12:13], 1.0
	v_fma_f64 v[22:23], -v[16:17], v[18:19], 1.0
	v_fmac_f64_e32 v[18:19], v[18:19], v[22:23]
	v_fma_f64 v[22:23], -v[16:17], v[18:19], 1.0
	v_fmac_f64_e32 v[18:19], v[18:19], v[22:23]
	v_mul_f64 v[22:23], v[20:21], v[18:19]
	v_fma_f64 v[16:17], -v[16:17], v[22:23], v[20:21]
	v_div_fmas_f64 v[16:17], v[16:17], v[18:19], v[22:23]
	v_div_fixup_f64 v[16:17], v[16:17], v[12:13], 1.0
	v_add_f64 v[12:13], v[12:13], 1.0
	v_cmp_ngt_f64_e32 vcc, s[24:25], v[12:13]
	s_or_b64 s[26:27], vcc, s[26:27]
	v_add_f64 v[6:7], v[6:7], -v[16:17]
	s_andn2_b64 exec, exec, s[26:27]
	s_cbranch_execnz .LBB214_37
; %bb.38:
	s_or_b64 exec, exec, s[26:27]
.LBB214_39:
	s_or_b64 exec, exec, s[22:23]
	s_mov_b32 s22, 0
	s_mov_b32 s23, 0x40240000
	v_cmp_neq_f64_e32 vcc, s[22:23], v[12:13]
                                        ; implicit-def: $vgpr16_vgpr17
	s_and_saveexec_b64 s[22:23], vcc
	s_xor_b64 s[22:23], exec, s[22:23]
	s_cbranch_execz .LBB214_43
; %bb.40:
	s_brev_b32 s24, 1
	s_mov_b32 s25, 0x43763457
	v_cmp_gt_f64_e32 vcc, s[24:25], v[12:13]
	v_pk_mov_b32 v[16:17], 0, 0
	s_and_saveexec_b64 s[24:25], vcc
	s_cbranch_execz .LBB214_42
; %bb.41:
	v_mul_f64 v[16:17], v[12:13], v[12:13]
	v_div_scale_f64 v[18:19], s[26:27], v[16:17], v[16:17], 1.0
	v_rcp_f64_e32 v[20:21], v[18:19]
	v_div_scale_f64 v[22:23], vcc, 1.0, v[16:17], 1.0
	s_mov_b32 s26, 0x55555555
	v_fma_f64 v[24:25], -v[18:19], v[20:21], 1.0
	v_fmac_f64_e32 v[20:21], v[20:21], v[24:25]
	v_fma_f64 v[24:25], -v[18:19], v[20:21], 1.0
	v_fmac_f64_e32 v[20:21], v[20:21], v[24:25]
	v_mul_f64 v[24:25], v[22:23], v[20:21]
	v_fma_f64 v[18:19], -v[18:19], v[24:25], v[22:23]
	v_div_fmas_f64 v[18:19], v[18:19], v[20:21], v[24:25]
	v_div_fixup_f64 v[16:17], v[18:19], v[16:17], 1.0
	s_mov_b32 s27, 0x3fb55555
	v_fma_f64 v[18:19], v[16:17], 0, s[26:27]
	v_mov_b32_e32 v20, 0x95995996
	v_mov_b32_e32 v21, 0xbf959959
	v_fmac_f64_e32 v[20:21], v[16:17], v[18:19]
	v_mov_b32_e32 v18, 0xf07c1f08
	v_mov_b32_e32 v19, 0x3f7f07c1
	v_fmac_f64_e32 v[18:19], v[16:17], v[20:21]
	v_mov_b32_e32 v20, 0x11111111
	v_mov_b32_e32 v21, 0xbf711111
	v_pk_mov_b32 v[22:23], v[20:21], v[20:21] op_sel:[0,1]
	v_fmac_f64_e32 v[22:23], v[16:17], v[18:19]
	v_mov_b32_e32 v18, 0x10410410
	v_mov_b32_e32 v19, 0x3f704104
	v_fmac_f64_e32 v[18:19], v[16:17], v[22:23]
	v_mov_b32_e32 v21, 0xbf811111
	v_fmac_f64_e32 v[20:21], v[16:17], v[18:19]
	v_fma_f64 v[18:19], v[16:17], v[20:21], s[26:27]
	v_mul_f64 v[16:17], v[16:17], v[18:19]
.LBB214_42:
	s_or_b64 exec, exec, s[24:25]
	s_mov_b32 s24, 0x55555555
	v_frexp_mant_f64_e32 v[18:19], v[12:13]
	s_mov_b32 s25, 0x3fe55555
	v_mov_b32_e32 v20, 0x3ff00000
	v_cmp_gt_f64_e32 vcc, s[24:25], v[18:19]
	v_cndmask_b32_e64 v21, v20, 2.0, vcc
	v_mov_b32_e32 v20, 0
	v_mul_f64 v[18:19], v[18:19], v[20:21]
	v_frexp_exp_i32_f64_e32 v22, v[12:13]
	v_add_f64 v[20:21], v[18:19], 1.0
	v_subbrev_co_u32_e32 v32, vcc, 0, v22, vcc
	v_rcp_f64_e32 v[22:23], v[20:21]
	v_add_f64 v[26:27], v[20:21], -1.0
	v_add_f64 v[24:25], v[18:19], -1.0
	v_add_f64 v[18:19], v[18:19], -v[26:27]
	v_fma_f64 v[26:27], -v[20:21], v[22:23], 1.0
	v_fmac_f64_e32 v[22:23], v[26:27], v[22:23]
	v_fma_f64 v[26:27], -v[20:21], v[22:23], 1.0
	v_fmac_f64_e32 v[22:23], v[26:27], v[22:23]
	v_mul_f64 v[26:27], v[24:25], v[22:23]
	v_mul_f64 v[28:29], v[20:21], v[26:27]
	v_fma_f64 v[20:21], v[26:27], v[20:21], -v[28:29]
	v_fmac_f64_e32 v[20:21], v[26:27], v[18:19]
	v_add_f64 v[18:19], v[28:29], v[20:21]
	v_add_f64 v[30:31], v[24:25], -v[18:19]
	v_add_f64 v[28:29], v[18:19], -v[28:29]
	;; [unrolled: 1-line block ×5, first 2 shown]
	v_add_f64 v[18:19], v[20:21], v[18:19]
	v_add_f64 v[18:19], v[30:31], v[18:19]
	v_mul_f64 v[18:19], v[22:23], v[18:19]
	v_add_f64 v[20:21], v[26:27], v[18:19]
	v_add_f64 v[22:23], v[20:21], -v[26:27]
	s_mov_b32 s24, 0xbf559e2b
	v_add_f64 v[18:19], v[18:19], -v[22:23]
	v_mul_f64 v[22:23], v[20:21], v[20:21]
	v_mov_b32_e32 v24, 0x6b47b09a
	v_mov_b32_e32 v25, 0x3fc38538
	s_mov_b32 s25, 0x3fc3ab76
	v_fmac_f64_e32 v[24:25], s[24:25], v[22:23]
	v_mov_b32_e32 v26, 0xd7f4df2e
	v_mov_b32_e32 v27, 0x3fc7474d
	v_fmac_f64_e32 v[26:27], v[22:23], v[24:25]
	v_mov_b32_e32 v24, 0x16291751
	v_mov_b32_e32 v25, 0x3fcc71c0
	;; [unrolled: 3-line block ×5, first 2 shown]
	v_fmac_f64_e32 v[26:27], v[22:23], v[24:25]
	v_ldexp_f64 v[24:25], v[20:21], 1
	v_mul_f64 v[20:21], v[20:21], v[22:23]
	v_mul_f64 v[20:21], v[20:21], v[26:27]
	v_add_f64 v[22:23], v[24:25], v[20:21]
	v_add_f64 v[24:25], v[22:23], -v[24:25]
	v_ldexp_f64 v[18:19], v[18:19], 1
	v_add_f64 v[20:21], v[20:21], -v[24:25]
	v_add_f64 v[18:19], v[18:19], v[20:21]
	v_add_f64 v[20:21], v[22:23], v[18:19]
	v_add_f64 v[22:23], v[20:21], -v[22:23]
	s_mov_b32 s24, 0xfefa39ef
	v_add_f64 v[18:19], v[18:19], -v[22:23]
	v_cvt_f64_i32_e32 v[22:23], v32
	s_mov_b32 s25, 0x3fe62e42
	v_mul_f64 v[24:25], v[22:23], s[24:25]
	v_fma_f64 v[26:27], v[22:23], s[24:25], -v[24:25]
	s_mov_b32 s24, 0x3b39803f
	s_mov_b32 s25, 0x3c7abc9e
	v_fmac_f64_e32 v[26:27], s[24:25], v[22:23]
	v_add_f64 v[22:23], v[24:25], v[26:27]
	v_add_f64 v[24:25], v[22:23], -v[24:25]
	v_add_f64 v[24:25], v[26:27], -v[24:25]
	v_add_f64 v[26:27], v[22:23], v[20:21]
	v_add_f64 v[28:29], v[26:27], -v[22:23]
	v_add_f64 v[30:31], v[26:27], -v[28:29]
	;; [unrolled: 1-line block ×4, first 2 shown]
	v_add_f64 v[20:21], v[20:21], v[22:23]
	v_add_f64 v[22:23], v[24:25], v[18:19]
	v_add_f64 v[28:29], v[22:23], -v[24:25]
	v_add_f64 v[30:31], v[22:23], -v[28:29]
	v_add_f64 v[20:21], v[22:23], v[20:21]
	v_add_f64 v[24:25], v[24:25], -v[30:31]
	v_add_f64 v[18:19], v[18:19], -v[28:29]
	v_add_f64 v[22:23], v[26:27], v[20:21]
	v_add_f64 v[18:19], v[18:19], v[24:25]
	v_add_f64 v[24:25], v[22:23], -v[26:27]
	v_add_f64 v[20:21], v[20:21], -v[24:25]
	v_add_f64 v[18:19], v[18:19], v[20:21]
	v_div_scale_f64 v[20:21], s[24:25], v[12:13], v[12:13], -0.5
	v_add_f64 v[18:19], v[22:23], v[18:19]
	v_rcp_f64_e32 v[22:23], v[20:21]
	s_movk_i32 s26, 0x204
	v_cmp_class_f64_e64 vcc, v[12:13], s26
	v_cndmask_b32_e32 v19, v19, v13, vcc
	v_cndmask_b32_e32 v18, v18, v12, vcc
	v_add_f64 v[6:7], v[6:7], v[18:19]
	v_fma_f64 v[18:19], -v[20:21], v[22:23], 1.0
	v_fmac_f64_e32 v[22:23], v[22:23], v[18:19]
	v_fma_f64 v[18:19], -v[20:21], v[22:23], 1.0
	v_fmac_f64_e32 v[22:23], v[22:23], v[18:19]
	v_div_scale_f64 v[18:19], vcc, -0.5, v[12:13], -0.5
	v_mul_f64 v[24:25], v[18:19], v[22:23]
	v_fma_f64 v[18:19], -v[20:21], v[24:25], v[18:19]
	s_nop 1
	v_div_fmas_f64 v[18:19], v[18:19], v[22:23], v[24:25]
	v_div_fixup_f64 v[12:13], v[18:19], v[12:13], -0.5
	v_add_f64 v[6:7], v[6:7], v[12:13]
	v_add_f64 v[16:17], v[6:7], -v[16:17]
                                        ; implicit-def: $vgpr6_vgpr7
.LBB214_43:
	s_andn2_saveexec_b64 s[22:23], s[22:23]
; %bb.44:
	s_mov_b32 s24, 0xdc85cc95
	s_mov_b32 s25, 0x40020396
	v_add_f64 v[16:17], v[6:7], s[24:25]
; %bb.45:
	s_or_b64 exec, exec, s[22:23]
	v_add_f64 v[6:7], v[14:15], v[16:17]
.LBB214_46:
	s_or_b64 exec, exec, s[12:13]
.LBB214_47:
	s_or_b64 exec, exec, s[20:21]
	s_mov_b32 s12, 0x55555555
	v_frexp_mant_f64_e32 v[12:13], v[0:1]
	s_mov_b32 s13, 0x3fe55555
	v_mov_b32_e32 v32, 0x3ff00000
	v_cmp_gt_f64_e32 vcc, s[12:13], v[12:13]
	v_cndmask_b32_e64 v15, v32, 2.0, vcc
	v_mov_b32_e32 v14, 0
	v_frexp_exp_i32_f64_e32 v16, v[0:1]
	v_mul_f64 v[12:13], v[12:13], v[14:15]
	v_subbrev_co_u32_e32 v15, vcc, 0, v16, vcc
	v_add_f64 v[16:17], v[12:13], 1.0
	v_rcp_f64_e32 v[18:19], v[16:17]
	v_add_f64 v[22:23], v[16:17], -1.0
	v_add_f64 v[20:21], v[12:13], -1.0
	v_add_f64 v[12:13], v[12:13], -v[22:23]
	v_fma_f64 v[22:23], -v[16:17], v[18:19], 1.0
	v_fmac_f64_e32 v[18:19], v[22:23], v[18:19]
	v_fma_f64 v[22:23], -v[16:17], v[18:19], 1.0
	v_fmac_f64_e32 v[18:19], v[22:23], v[18:19]
	v_mul_f64 v[22:23], v[20:21], v[18:19]
	v_mul_f64 v[24:25], v[16:17], v[22:23]
	v_fma_f64 v[16:17], v[22:23], v[16:17], -v[24:25]
	v_fmac_f64_e32 v[16:17], v[22:23], v[12:13]
	v_add_f64 v[12:13], v[24:25], v[16:17]
	v_add_f64 v[26:27], v[20:21], -v[12:13]
	v_add_f64 v[24:25], v[12:13], -v[24:25]
	;; [unrolled: 1-line block ×5, first 2 shown]
	v_add_f64 v[12:13], v[16:17], v[12:13]
	v_add_f64 v[12:13], v[26:27], v[12:13]
	v_mul_f64 v[12:13], v[18:19], v[12:13]
	v_add_f64 v[16:17], v[22:23], v[12:13]
	s_mov_b32 s22, 0x6b47b09a
	v_add_f64 v[18:19], v[16:17], -v[22:23]
	s_mov_b32 s23, 0x3fc38538
	s_mov_b32 s20, 0xbf559e2b
	v_add_f64 v[12:13], v[12:13], -v[18:19]
	v_mul_f64 v[18:19], v[16:17], v[16:17]
	s_mov_b32 s21, 0x3fc3ab76
	v_pk_mov_b32 v[20:21], s[22:23], s[22:23] op_sel:[0,1]
	s_mov_b32 s22, 0xd7f4df2e
	v_fma_f64 v[22:23], s[20:21], v[18:19], v[20:21]
	s_mov_b32 s23, 0x3fc7474d
	s_mov_b32 s24, 0x16291751
	v_fma_f64 v[22:23], v[18:19], v[22:23], s[22:23]
	s_mov_b32 s25, 0x3fcc71c0
	;; [unrolled: 3-line block ×4, first 2 shown]
	v_fma_f64 v[22:23], v[18:19], v[22:23], s[28:29]
	s_mov_b32 s30, 0x55555780
	s_mov_b32 s31, s13
	v_fma_f64 v[22:23], v[18:19], v[22:23], s[30:31]
	v_ldexp_f64 v[24:25], v[16:17], 1
	v_mul_f64 v[16:17], v[16:17], v[18:19]
	v_mul_f64 v[16:17], v[16:17], v[22:23]
	v_add_f64 v[18:19], v[24:25], v[16:17]
	v_add_f64 v[22:23], v[18:19], -v[24:25]
	v_ldexp_f64 v[12:13], v[12:13], 1
	v_add_f64 v[16:17], v[16:17], -v[22:23]
	v_add_f64 v[12:13], v[12:13], v[16:17]
	v_add_f64 v[16:17], v[18:19], v[12:13]
	v_add_f64 v[18:19], v[16:17], -v[18:19]
	s_mov_b32 s34, 0xfefa39ef
	v_add_f64 v[12:13], v[12:13], -v[18:19]
	v_cvt_f64_i32_e32 v[18:19], v15
	s_mov_b32 s35, 0x3fe62e42
	v_mul_f64 v[22:23], v[18:19], s[34:35]
	s_mov_b32 s36, 0x3b39803f
	v_fma_f64 v[24:25], v[18:19], s[34:35], -v[22:23]
	s_mov_b32 s37, 0x3c7abc9e
	v_fmac_f64_e32 v[24:25], s[36:37], v[18:19]
	v_add_f64 v[18:19], v[22:23], v[24:25]
	v_add_f64 v[22:23], v[18:19], -v[22:23]
	v_add_f64 v[22:23], v[24:25], -v[22:23]
	v_add_f64 v[24:25], v[18:19], v[16:17]
	v_add_f64 v[26:27], v[24:25], -v[18:19]
	v_add_f64 v[28:29], v[24:25], -v[26:27]
	;; [unrolled: 1-line block ×4, first 2 shown]
	v_add_f64 v[16:17], v[16:17], v[18:19]
	v_add_f64 v[18:19], v[22:23], v[12:13]
	v_add_f64 v[26:27], v[18:19], -v[22:23]
	v_add_f64 v[28:29], v[18:19], -v[26:27]
	v_add_f64 v[16:17], v[18:19], v[16:17]
	v_add_f64 v[22:23], v[22:23], -v[28:29]
	v_add_f64 v[12:13], v[12:13], -v[26:27]
	v_add_f64 v[18:19], v[24:25], v[16:17]
	v_add_f64 v[12:13], v[12:13], v[22:23]
	v_add_f64 v[22:23], v[18:19], -v[24:25]
	v_add_f64 v[16:17], v[16:17], -v[22:23]
	v_add_f64 v[12:13], v[12:13], v[16:17]
	s_movk_i32 s38, 0x204
	v_add_f64 v[12:13], v[18:19], v[12:13]
	v_cmp_class_f64_e64 vcc, v[0:1], s38
	v_cndmask_b32_e32 v12, v12, v0, vcc
	v_cndmask_b32_e32 v13, v13, v1, vcc
	v_mov_b32_e32 v33, 0x7ff80000
	v_cmp_ngt_f64_e32 vcc, 0, v[0:1]
	v_cndmask_b32_e32 v13, v33, v13, vcc
	v_cmp_nge_f64_e32 vcc, 0, v[0:1]
	v_cndmask_b32_e32 v16, 0, v12, vcc
	v_mov_b32_e32 v34, 0xfff00000
	v_cmp_neq_f64_e32 vcc, 0, v[0:1]
	v_cndmask_b32_e32 v17, v34, v13, vcc
	v_frexp_mant_f64_e32 v[12:13], v[2:3]
	v_cmp_gt_f64_e32 vcc, s[12:13], v[12:13]
	v_cndmask_b32_e64 v15, v32, 2.0, vcc
	v_frexp_exp_i32_f64_e32 v18, v[2:3]
	v_mul_f64 v[12:13], v[12:13], v[14:15]
	v_subbrev_co_u32_e32 v15, vcc, 0, v18, vcc
	v_add_f64 v[18:19], v[12:13], 1.0
	v_rcp_f64_e32 v[22:23], v[18:19]
	v_add_f64 v[26:27], v[18:19], -1.0
	v_add_f64 v[24:25], v[12:13], -1.0
	v_add_f64 v[12:13], v[12:13], -v[26:27]
	v_fma_f64 v[26:27], -v[18:19], v[22:23], 1.0
	v_fmac_f64_e32 v[22:23], v[26:27], v[22:23]
	v_fma_f64 v[26:27], -v[18:19], v[22:23], 1.0
	v_fmac_f64_e32 v[22:23], v[26:27], v[22:23]
	v_mul_f64 v[26:27], v[24:25], v[22:23]
	v_mul_f64 v[28:29], v[18:19], v[26:27]
	v_fma_f64 v[18:19], v[26:27], v[18:19], -v[28:29]
	v_fmac_f64_e32 v[18:19], v[26:27], v[12:13]
	v_add_f64 v[12:13], v[28:29], v[18:19]
	v_add_f64 v[30:31], v[24:25], -v[12:13]
	v_add_f64 v[28:29], v[12:13], -v[28:29]
	;; [unrolled: 1-line block ×5, first 2 shown]
	v_add_f64 v[12:13], v[18:19], v[12:13]
	v_add_f64 v[12:13], v[30:31], v[12:13]
	v_mul_f64 v[12:13], v[22:23], v[12:13]
	v_add_f64 v[18:19], v[26:27], v[12:13]
	v_add_f64 v[22:23], v[18:19], -v[26:27]
	v_add_f64 v[12:13], v[12:13], -v[22:23]
	v_mul_f64 v[22:23], v[18:19], v[18:19]
	v_fma_f64 v[24:25], s[20:21], v[22:23], v[20:21]
	v_fma_f64 v[24:25], v[22:23], v[24:25], s[22:23]
	;; [unrolled: 1-line block ×6, first 2 shown]
	v_ldexp_f64 v[26:27], v[18:19], 1
	v_mul_f64 v[18:19], v[18:19], v[22:23]
	v_mul_f64 v[18:19], v[18:19], v[24:25]
	v_add_f64 v[22:23], v[26:27], v[18:19]
	v_add_f64 v[24:25], v[22:23], -v[26:27]
	v_ldexp_f64 v[12:13], v[12:13], 1
	v_add_f64 v[18:19], v[18:19], -v[24:25]
	v_add_f64 v[12:13], v[12:13], v[18:19]
	v_add_f64 v[18:19], v[22:23], v[12:13]
	v_add_f64 v[22:23], v[18:19], -v[22:23]
	v_add_f64 v[12:13], v[12:13], -v[22:23]
	v_cvt_f64_i32_e32 v[22:23], v15
	v_mul_f64 v[24:25], v[22:23], s[34:35]
	v_fma_f64 v[26:27], v[22:23], s[34:35], -v[24:25]
	v_fmac_f64_e32 v[26:27], s[36:37], v[22:23]
	v_add_f64 v[22:23], v[24:25], v[26:27]
	v_add_f64 v[24:25], v[22:23], -v[24:25]
	v_add_f64 v[24:25], v[26:27], -v[24:25]
	v_add_f64 v[26:27], v[22:23], v[18:19]
	v_add_f64 v[28:29], v[26:27], -v[22:23]
	v_add_f64 v[30:31], v[26:27], -v[28:29]
	;; [unrolled: 1-line block ×4, first 2 shown]
	v_add_f64 v[18:19], v[18:19], v[22:23]
	v_add_f64 v[22:23], v[24:25], v[12:13]
	v_add_f64 v[28:29], v[22:23], -v[24:25]
	v_add_f64 v[30:31], v[22:23], -v[28:29]
	v_add_f64 v[18:19], v[22:23], v[18:19]
	v_add_f64 v[24:25], v[24:25], -v[30:31]
	v_add_f64 v[12:13], v[12:13], -v[28:29]
	v_add_f64 v[22:23], v[26:27], v[18:19]
	v_add_f64 v[12:13], v[12:13], v[24:25]
	v_add_f64 v[24:25], v[22:23], -v[26:27]
	v_add_f64 v[18:19], v[18:19], -v[24:25]
	v_add_f64 v[12:13], v[12:13], v[18:19]
	v_add_f64 v[12:13], v[22:23], v[12:13]
	v_cmp_class_f64_e64 vcc, v[2:3], s38
	v_cndmask_b32_e32 v3, v13, v3, vcc
	v_cndmask_b32_e32 v2, v12, v2, vcc
	v_cndmask_b32_e64 v3, v3, v33, s[10:11]
	s_or_b64 s[10:11], s[8:9], s[10:11]
	v_cndmask_b32_e64 v2, v2, 0, s[10:11]
	v_cndmask_b32_e64 v3, v3, v34, s[8:9]
	v_add_f64 v[12:13], v[2:3], -v[16:17]
	v_frexp_mant_f64_e32 v[2:3], v[4:5]
	v_cmp_gt_f64_e32 vcc, s[12:13], v[2:3]
	v_cndmask_b32_e64 v15, v32, 2.0, vcc
	v_mul_f64 v[2:3], v[2:3], v[14:15]
	v_frexp_exp_i32_f64_e32 v18, v[4:5]
	v_add_f64 v[14:15], v[2:3], 1.0
	v_subbrev_co_u32_e32 v30, vcc, 0, v18, vcc
	v_rcp_f64_e32 v[18:19], v[14:15]
	v_add_f64 v[24:25], v[14:15], -1.0
	v_add_f64 v[22:23], v[2:3], -1.0
	v_add_f64 v[2:3], v[2:3], -v[24:25]
	v_fma_f64 v[24:25], -v[14:15], v[18:19], 1.0
	v_fmac_f64_e32 v[18:19], v[24:25], v[18:19]
	v_fma_f64 v[24:25], -v[14:15], v[18:19], 1.0
	v_fmac_f64_e32 v[18:19], v[24:25], v[18:19]
	v_mul_f64 v[24:25], v[22:23], v[18:19]
	v_mul_f64 v[26:27], v[14:15], v[24:25]
	v_fma_f64 v[14:15], v[24:25], v[14:15], -v[26:27]
	v_fmac_f64_e32 v[14:15], v[24:25], v[2:3]
	v_add_f64 v[2:3], v[26:27], v[14:15]
	v_add_f64 v[28:29], v[22:23], -v[2:3]
	v_add_f64 v[26:27], v[2:3], -v[26:27]
	;; [unrolled: 1-line block ×5, first 2 shown]
	v_add_f64 v[2:3], v[14:15], v[2:3]
	v_add_f64 v[2:3], v[28:29], v[2:3]
	v_mul_f64 v[2:3], v[18:19], v[2:3]
	v_add_f64 v[14:15], v[24:25], v[2:3]
	v_add_f64 v[18:19], v[14:15], -v[24:25]
	v_add_f64 v[2:3], v[2:3], -v[18:19]
	v_mul_f64 v[18:19], v[14:15], v[14:15]
	v_fmac_f64_e32 v[20:21], s[20:21], v[18:19]
	v_fma_f64 v[20:21], v[18:19], v[20:21], s[22:23]
	v_fma_f64 v[20:21], v[18:19], v[20:21], s[24:25]
	;; [unrolled: 1-line block ×5, first 2 shown]
	v_ldexp_f64 v[22:23], v[14:15], 1
	v_mul_f64 v[14:15], v[14:15], v[18:19]
	v_mul_f64 v[14:15], v[14:15], v[20:21]
	v_add_f64 v[18:19], v[22:23], v[14:15]
	v_add_f64 v[20:21], v[18:19], -v[22:23]
	v_ldexp_f64 v[2:3], v[2:3], 1
	v_add_f64 v[14:15], v[14:15], -v[20:21]
	v_add_f64 v[2:3], v[2:3], v[14:15]
	v_add_f64 v[14:15], v[18:19], v[2:3]
	v_add_f64 v[18:19], v[14:15], -v[18:19]
	v_add_f64 v[2:3], v[2:3], -v[18:19]
	v_cvt_f64_i32_e32 v[18:19], v30
	v_mul_f64 v[20:21], v[18:19], s[34:35]
	v_fma_f64 v[22:23], v[18:19], s[34:35], -v[20:21]
	v_fmac_f64_e32 v[22:23], s[36:37], v[18:19]
	v_add_f64 v[18:19], v[20:21], v[22:23]
	v_add_f64 v[20:21], v[18:19], -v[20:21]
	v_add_f64 v[20:21], v[22:23], -v[20:21]
	v_add_f64 v[22:23], v[18:19], v[14:15]
	v_add_f64 v[24:25], v[22:23], -v[18:19]
	v_add_f64 v[26:27], v[22:23], -v[24:25]
	;; [unrolled: 1-line block ×4, first 2 shown]
	v_add_f64 v[14:15], v[14:15], v[18:19]
	v_add_f64 v[18:19], v[20:21], v[2:3]
	v_add_f64 v[24:25], v[18:19], -v[20:21]
	v_add_f64 v[26:27], v[18:19], -v[24:25]
	v_add_f64 v[14:15], v[18:19], v[14:15]
	v_add_f64 v[20:21], v[20:21], -v[26:27]
	v_add_f64 v[2:3], v[2:3], -v[24:25]
	v_add_f64 v[18:19], v[22:23], v[14:15]
	v_add_f64 v[2:3], v[2:3], v[20:21]
	v_add_f64 v[20:21], v[18:19], -v[22:23]
	v_add_f64 v[14:15], v[14:15], -v[20:21]
	v_add_f64 v[2:3], v[2:3], v[14:15]
	v_add_f64 v[2:3], v[18:19], v[2:3]
	v_cmp_class_f64_e64 vcc, v[4:5], s38
	v_cndmask_b32_e32 v3, v3, v5, vcc
	v_cndmask_b32_e32 v2, v2, v4, vcc
	v_cndmask_b32_e64 v3, v3, v33, s[6:7]
	s_or_b64 s[6:7], s[4:5], s[6:7]
	v_cndmask_b32_e64 v2, v2, 0, s[6:7]
	v_cndmask_b32_e64 v3, v3, v34, s[4:5]
	s_mov_b32 s4, 0xbfd83414
	v_add_f64 v[4:5], v[2:3], -v[12:13]
	v_mov_b32_e32 v2, 0x77e51e3a
	v_mov_b32_e32 v3, 0xbfb0d789
	s_mov_b32 s5, 0x3f889c11
	v_fmac_f64_e32 v[2:3], s[4:5], v[4:5]
	v_mov_b32_e32 v14, 0x5cae1837
	v_mov_b32_e32 v15, 0xbf85bb42
	v_fmac_f64_e32 v[14:15], v[4:5], v[2:3]
	v_mov_b32_e32 v2, 0x6bcc4e44
	v_mov_b32_e32 v3, 0x3ff00f06
	s_mov_b32 s4, 0xaec5a24c
	v_fmac_f64_e32 v[2:3], v[4:5], v[14:15]
	v_mov_b32_e32 v14, 0xab8c79b8
	v_mov_b32_e32 v15, 0xbfa6b96c
	s_mov_b32 s5, 0x3f7dd7b9
	v_fmac_f64_e32 v[14:15], s[4:5], v[4:5]
	v_mov_b32_e32 v22, 0xe72c33e5
	v_mov_b32_e32 v23, 0xbf9df125
	v_fmac_f64_e32 v[22:23], v[4:5], v[14:15]
	s_mov_b32 s4, 0x876f8f6c
	v_fma_f64 v[14:15], v[4:5], v[22:23], 1.0
	v_mov_b32_e32 v22, 0x941d9ff6
	v_mov_b32_e32 v23, 0x3fac16f0
	s_mov_b32 s5, 0xbf5801d5
	v_fmac_f64_e32 v[22:23], s[4:5], v[4:5]
	v_mov_b32_e32 v24, 0x60c2bf56
	v_mov_b32_e32 v25, 0xbfd6c47f
	v_fmac_f64_e32 v[24:25], v[4:5], v[22:23]
	v_mov_b32_e32 v22, 0xd3c4aca6
	v_mov_b32_e32 v23, 0x3fe44722
	v_fmac_f64_e32 v[22:23], v[4:5], v[24:25]
	s_mov_b32 s4, 0xa6fe5ce4
	v_fmac_f64_e32 v[2:3], v[12:13], v[22:23]
	v_mov_b32_e32 v22, 0x10d8992
	v_mov_b32_e32 v23, 0x3fabed87
	s_mov_b32 s5, 0xbf63b8d8
	v_fmac_f64_e32 v[22:23], s[4:5], v[4:5]
	v_mov_b32_e32 v24, 0x567206eb
	v_mov_b32_e32 v25, 0xbfd63ae9
	v_fmac_f64_e32 v[24:25], v[4:5], v[22:23]
	v_mov_b32_e32 v22, 0x88adee4d
	v_mov_b32_e32 v23, 0x3fe4581e
	v_fmac_f64_e32 v[22:23], v[4:5], v[24:25]
	s_mov_b32 s4, 0x982be205
	v_fmac_f64_e32 v[14:15], v[12:13], v[22:23]
	v_mov_b32_e32 v22, 0xd16c9001
	v_mov_b32_e32 v23, 0x3f63e6b9
	s_mov_b32 s5, 0xbf246a55
	v_fmac_f64_e32 v[22:23], s[4:5], v[4:5]
	v_mov_b32_e32 v24, 0x127b2590
	v_mov_b32_e32 v25, 0x3f725371
	v_fmac_f64_e32 v[24:25], v[4:5], v[22:23]
	v_mov_b32_e32 v22, 0x1cec12a
	v_mov_b32_e32 v23, 0xbfa0c639
	v_mul_f64 v[20:21], v[12:13], v[12:13]
	v_fmac_f64_e32 v[22:23], v[4:5], v[24:25]
	s_mov_b32 s4, 0x11991889
	v_fmac_f64_e32 v[2:3], v[20:21], v[22:23]
	v_mov_b32_e32 v22, 0xeac41e1a
	v_mov_b32_e32 v23, 0x3f62f67f
	s_mov_b32 s5, 0xbf2e3dd7
	v_fmac_f64_e32 v[22:23], s[4:5], v[4:5]
	v_mov_b32_e32 v24, 0xaecd1ab1
	v_mov_b32_e32 v25, 0x3f73d894
	v_fmac_f64_e32 v[24:25], v[4:5], v[22:23]
	v_mov_b32_e32 v22, 0xf48f75e0
	v_mov_b32_e32 v23, 0xbfa0e71b
	v_fmac_f64_e32 v[22:23], v[4:5], v[24:25]
	s_mov_b32 s4, 0x1a6848ad
	v_fmac_f64_e32 v[14:15], v[20:21], v[22:23]
	v_mov_b32_e32 v22, 0x211d2b9
	v_mov_b32_e32 v23, 0x3f926e5f
	s_mov_b32 s5, 0x3f86032c
	v_fmac_f64_e32 v[22:23], s[4:5], v[4:5]
	v_mov_b32_e32 v24, 0x5bcc055c
	v_mov_b32_e32 v25, 0xbfd466b0
	v_fmac_f64_e32 v[24:25], v[4:5], v[22:23]
	v_mov_b32_e32 v22, 0xc6746e11
	v_mov_b32_e32 v23, 0x3fcc68de
	;; [unrolled: 12-line block ×3, first 2 shown]
	s_mov_b32 s4, 0x9107b305
	v_fmac_f64_e32 v[22:23], v[4:5], v[24:25]
	v_mov_b32_e32 v24, 0x2d90bb88
	v_mov_b32_e32 v25, 0x3f8f72bd
	s_mov_b32 s5, 0x3f59657e
	v_fmac_f64_e32 v[24:25], s[4:5], v[4:5]
	v_mov_b32_e32 v26, 0x6565f54f
	v_mov_b32_e32 v27, 0x3fafd89e
	v_fmac_f64_e32 v[26:27], v[4:5], v[24:25]
	v_mov_b32_e32 v24, 0xd179b4ec
	v_mov_b32_e32 v25, 0xbfd2e353
	v_fmac_f64_e32 v[14:15], v[16:17], v[22:23]
	v_mul_f64 v[22:23], v[16:17], v[12:13]
	v_fmac_f64_e32 v[24:25], v[4:5], v[26:27]
	s_mov_b32 s4, 0xf8390276
	v_fmac_f64_e32 v[2:3], v[22:23], v[24:25]
	v_mov_b32_e32 v24, 0xd27e3565
	v_mov_b32_e32 v25, 0x3f8a1196
	s_mov_b32 s5, 0xbf47f9a5
	v_fmac_f64_e32 v[24:25], s[4:5], v[4:5]
	v_mov_b32_e32 v26, 0x15f75ae4
	v_mov_b32_e32 v27, 0xbfb0de4a
	v_fmac_f64_e32 v[26:27], v[4:5], v[24:25]
	v_mov_b32_e32 v24, 0x7c283f70
	v_mov_b32_e32 v25, 0x3fb9fab2
	v_fmac_f64_e32 v[24:25], v[4:5], v[26:27]
	s_mov_b32 s4, 0xf042b979
	v_fmac_f64_e32 v[14:15], v[22:23], v[24:25]
	v_mov_b32_e32 v22, 0xfcc8eb09
	v_mov_b32_e32 v23, 0x3f552cfa
	s_mov_b32 s5, 0x3f1249ea
	v_fmac_f64_e32 v[22:23], s[4:5], v[4:5]
	v_mov_b32_e32 v24, 0x1509897d
	v_mov_b32_e32 v25, 0x3f71156f
	v_fmac_f64_e32 v[24:25], v[4:5], v[22:23]
	v_mov_b32_e32 v22, 0x41b4a77b
	v_mov_b32_e32 v23, 0x3f961204
	v_mul_f64 v[18:19], v[16:17], v[16:17]
	v_mul_f64 v[16:17], v[16:17], v[20:21]
	v_fmac_f64_e32 v[22:23], v[4:5], v[24:25]
	s_mov_b32 s4, 0x446411b
	v_fmac_f64_e32 v[2:3], v[16:17], v[22:23]
	v_mov_b32_e32 v22, 0x26578c91
	v_mov_b32_e32 v23, 0x3f39c9d3
	s_mov_b32 s5, 0xbf05a331
	v_fmac_f64_e32 v[22:23], s[4:5], v[4:5]
	v_mov_b32_e32 v24, 0xf0cb0b47
	v_mov_b32_e32 v25, 0x3f51f5c6
	v_fmac_f64_e32 v[24:25], v[4:5], v[22:23]
	v_mov_b32_e32 v22, 0xe3a91981
	v_mov_b32_e32 v23, 0xbf7dbb11
	v_fmac_f64_e32 v[22:23], v[4:5], v[24:25]
	s_mov_b32 s4, 0x66d307cc
	v_fmac_f64_e32 v[14:15], v[16:17], v[22:23]
	v_mov_b32_e32 v16, 0xb931d32
	v_mov_b32_e32 v17, 0x3f863bc4
	s_mov_b32 s5, 0x3f63001e
	v_fmac_f64_e32 v[16:17], s[4:5], v[4:5]
	v_mov_b32_e32 v22, 0xda3aea9f
	v_mov_b32_e32 v23, 0x3f8149fe
	v_fmac_f64_e32 v[22:23], v[4:5], v[16:17]
	v_mov_b32_e32 v16, 0x5f255c07
	v_mov_b32_e32 v17, 0xbfae9f35
	;; [unrolled: 12-line block ×4, first 2 shown]
	v_mul_f64 v[12:13], v[18:19], v[12:13]
	v_fmac_f64_e32 v[16:17], v[4:5], v[22:23]
	s_mov_b32 s4, 0x228301
	v_fmac_f64_e32 v[2:3], v[12:13], v[16:17]
	v_mov_b32_e32 v16, 0x6f7ab9a1
	v_mov_b32_e32 v17, 0x3f4a3761
	s_mov_b32 s5, 0xbf0fca94
	v_fmac_f64_e32 v[16:17], s[4:5], v[4:5]
	v_mov_b32_e32 v22, 0x1d157266
	v_mov_b32_e32 v23, 0xbf67826d
	v_fmac_f64_e32 v[22:23], v[4:5], v[16:17]
	v_mov_b32_e32 v16, 0xb793c7ef
	v_mov_b32_e32 v17, 0x3f5f8a11
	v_fmac_f64_e32 v[16:17], v[4:5], v[22:23]
	s_mov_b32 s4, 0xd7f527e6
	v_fmac_f64_e32 v[14:15], v[12:13], v[16:17]
	v_mov_b32_e32 v16, 0x42b8da51
	v_mov_b32_e32 v17, 0xbee3e9d4
	s_mov_b32 s5, 0x3f0c3c5f
	v_mul_f64 v[12:13], v[18:19], v[20:21]
	v_fmac_f64_e32 v[16:17], s[4:5], v[4:5]
	v_mov_b32_e32 v18, 0xed4e796
	v_mov_b32_e32 v19, 0xbf5fba84
	v_fmac_f64_e32 v[18:19], v[4:5], v[16:17]
	v_mov_b32_e32 v16, 0x66e39ede
	v_mov_b32_e32 v17, 0x3f782b23
	v_fmac_f64_e32 v[16:17], v[4:5], v[18:19]
	s_mov_b32 s4, 0xe0832576
	v_add_f64 v[6:7], v[10:11], -v[6:7]
	v_fmac_f64_e32 v[2:3], v[12:13], v[16:17]
	v_mov_b32_e32 v16, 0x7758deb9
	v_mov_b32_e32 v17, 0x3ee70304
	s_mov_b32 s5, 0xbebbb2d6
	v_mul_f64 v[0:1], v[6:7], v[0:1]
	v_fmac_f64_e32 v[16:17], s[4:5], v[4:5]
	v_div_scale_f64 v[6:7], s[4:5], v[8:9], v[8:9], v[0:1]
	v_rcp_f64_e32 v[10:11], v[6:7]
	v_mov_b32_e32 v18, 0xf5b9b42
	v_mov_b32_e32 v19, 0x3f123e9d
	v_fmac_f64_e32 v[18:19], v[4:5], v[16:17]
	v_mov_b32_e32 v16, 0x140b680c
	v_mov_b32_e32 v17, 0xbf36ca1f
	v_fmac_f64_e32 v[16:17], v[4:5], v[18:19]
	v_fma_f64 v[4:5], -v[6:7], v[10:11], 1.0
	v_fmac_f64_e32 v[10:11], v[10:11], v[4:5]
	v_fma_f64 v[4:5], -v[6:7], v[10:11], 1.0
	v_fmac_f64_e32 v[10:11], v[10:11], v[4:5]
	v_div_scale_f64 v[4:5], vcc, v[0:1], v[8:9], v[0:1]
	v_fmac_f64_e32 v[14:15], v[12:13], v[16:17]
	v_mul_f64 v[12:13], v[4:5], v[10:11]
	v_fma_f64 v[4:5], -v[6:7], v[12:13], v[4:5]
	v_div_scale_f64 v[6:7], s[4:5], v[14:15], v[14:15], v[2:3]
	v_rcp_f64_e32 v[16:17], v[6:7]
	v_div_fmas_f64 v[4:5], v[4:5], v[10:11], v[12:13]
	v_div_fixup_f64 v[0:1], v[4:5], v[8:9], v[0:1]
                                        ; implicit-def: $vgpr10_vgpr11
	v_fma_f64 v[4:5], -v[6:7], v[16:17], 1.0
	v_fmac_f64_e32 v[16:17], v[16:17], v[4:5]
	v_fma_f64 v[4:5], -v[6:7], v[16:17], 1.0
	v_fmac_f64_e32 v[16:17], v[16:17], v[4:5]
	v_div_scale_f64 v[4:5], vcc, v[2:3], v[14:15], v[2:3]
	v_mul_f64 v[8:9], v[4:5], v[16:17]
	v_fma_f64 v[4:5], -v[6:7], v[8:9], v[4:5]
	s_nop 1
	v_div_fmas_f64 v[4:5], v[4:5], v[16:17], v[8:9]
	v_div_fixup_f64 v[2:3], v[4:5], v[14:15], v[2:3]
	v_mul_f64 v[6:7], v[2:3], v[0:1]
                                        ; implicit-def: $vgpr2_vgpr3
                                        ; implicit-def: $vgpr8_vgpr9
                                        ; implicit-def: $vgpr0_vgpr1
.LBB214_48:
	s_andn2_saveexec_b64 s[8:9], s[18:19]
	s_cbranch_execz .LBB214_150
; %bb.49:
	v_add_f64 v[12:13], v[8:9], v[2:3]
	v_div_scale_f64 v[4:5], s[4:5], v[12:13], v[12:13], v[2:3]
	v_rcp_f64_e32 v[6:7], v[4:5]
	v_add_f64 v[20:21], v[12:13], 1.0
	v_div_scale_f64 v[16:17], vcc, v[2:3], v[12:13], v[2:3]
	v_fma_f64 v[14:15], -v[4:5], v[6:7], 1.0
	v_fmac_f64_e32 v[6:7], v[6:7], v[14:15]
	v_fma_f64 v[14:15], -v[4:5], v[6:7], 1.0
	v_fmac_f64_e32 v[6:7], v[6:7], v[14:15]
	v_mul_f64 v[14:15], v[8:9], v[2:3]
	v_div_scale_f64 v[22:23], s[4:5], v[20:21], v[20:21], v[14:15]
	v_rcp_f64_e32 v[24:25], v[22:23]
	v_mul_f64 v[18:19], v[16:17], v[6:7]
	v_fma_f64 v[4:5], -v[4:5], v[18:19], v[16:17]
	v_div_fmas_f64 v[4:5], v[4:5], v[6:7], v[18:19]
	v_fma_f64 v[6:7], -v[22:23], v[24:25], 1.0
	v_fmac_f64_e32 v[24:25], v[24:25], v[6:7]
	v_fma_f64 v[6:7], -v[22:23], v[24:25], 1.0
	v_fmac_f64_e32 v[24:25], v[24:25], v[6:7]
	v_div_scale_f64 v[6:7], vcc, v[14:15], v[20:21], v[14:15]
	v_mul_f64 v[16:17], v[6:7], v[24:25]
	v_fma_f64 v[6:7], -v[22:23], v[16:17], v[6:7]
	s_mov_b32 s4, 0
	s_nop 0
	v_div_fmas_f64 v[6:7], v[6:7], v[24:25], v[16:17]
	v_div_fixup_f64 v[6:7], v[6:7], v[20:21], v[14:15]
	s_brev_b32 s5, 8
	v_cmp_gt_f64_e32 vcc, s[4:5], v[6:7]
	v_cndmask_b32_e64 v16, 0, 1, vcc
	v_lshlrev_b32_e32 v16, 8, v16
	v_ldexp_f64 v[6:7], v[6:7], v16
	v_rsq_f64_e32 v[16:17], v[6:7]
	v_div_fixup_f64 v[4:5], v[4:5], v[12:13], v[2:3]
	v_mul_f64 v[18:19], v[6:7], v[16:17]
	v_mul_f64 v[16:17], v[16:17], 0.5
	v_fma_f64 v[20:21], -v[16:17], v[18:19], 0.5
	v_fmac_f64_e32 v[18:19], v[18:19], v[20:21]
	v_fma_f64 v[22:23], -v[18:19], v[18:19], v[6:7]
	v_fmac_f64_e32 v[16:17], v[16:17], v[20:21]
	v_fmac_f64_e32 v[18:19], v[22:23], v[16:17]
	v_fma_f64 v[20:21], -v[18:19], v[18:19], v[6:7]
	v_fmac_f64_e32 v[18:19], v[20:21], v[16:17]
	v_mov_b32_e32 v16, 0xffffff80
	v_cndmask_b32_e32 v16, 0, v16, vcc
	v_ldexp_f64 v[16:17], v[18:19], v16
	v_mov_b32_e32 v18, 0x260
	v_cmp_class_f64_e32 vcc, v[6:7], v18
	v_cndmask_b32_e32 v7, v17, v7, vcc
	v_cndmask_b32_e32 v6, v16, v6, vcc
	v_div_scale_f64 v[16:17], s[4:5], v[12:13], v[12:13], v[6:7]
	v_rcp_f64_e32 v[18:19], v[16:17]
	s_mov_b32 s5, 0xbfb99999
	s_mov_b32 s4, 0x9999999a
	v_fma_f64 v[20:21], -v[16:17], v[18:19], 1.0
	v_fmac_f64_e32 v[18:19], v[18:19], v[20:21]
	v_fma_f64 v[20:21], -v[16:17], v[18:19], 1.0
	v_fmac_f64_e32 v[18:19], v[18:19], v[20:21]
	v_div_scale_f64 v[20:21], vcc, v[6:7], v[12:13], v[6:7]
	v_mul_f64 v[22:23], v[20:21], v[18:19]
	v_fma_f64 v[16:17], -v[16:17], v[22:23], v[20:21]
	s_nop 1
	v_div_fmas_f64 v[16:17], v[16:17], v[18:19], v[22:23]
	v_div_fixup_f64 v[6:7], v[16:17], v[12:13], v[6:7]
	v_fma_f64 v[16:17], s[4:5], v[6:7], v[4:5]
	s_mov_b32 s5, 0x3fb99999
	v_fma_f64 v[6:7], s[4:5], v[6:7], v[4:5]
	v_cmp_le_f64_e32 vcc, v[16:17], v[0:1]
	v_cmp_ge_f64_e64 s[4:5], v[6:7], v[0:1]
	s_and_b64 s[4:5], vcc, s[4:5]
	v_mul_f64 v[16:17], v[8:9], v[8:9]
                                        ; implicit-def: $vgpr6_vgpr7
	s_and_saveexec_b64 s[6:7], s[4:5]
	s_xor_b64 s[4:5], exec, s[6:7]
	s_cbranch_execz .LBB214_51
; %bb.50:
	s_mov_b32 s6, 0
	s_mov_b32 s7, 0x40478000
	v_mov_b32_e32 v6, 0
	v_mul_f64 v[4:5], v[0:1], s[6:7]
	v_mov_b32_e32 v7, 0x40300000
	s_mov_b32 s6, 0
	v_fmac_f64_e32 v[6:7], 0x403b0000, v[8:9]
	s_mov_b32 s7, 0x40340000
	v_mov_b32_e32 v14, 0
	v_mul_f64 v[6:7], v[6:7], s[6:7]
	v_mov_b32_e32 v15, 0x40458000
	v_fmac_f64_e32 v[14:15], v[6:7], v[0:1]
	v_mul_f64 v[6:7], v[16:17], v[14:15]
	v_mov_b32_e32 v14, 0
	v_mov_b32_e32 v15, 0x404d8000
	v_fmac_f64_e32 v[14:15], 0x40668000, v[8:9]
	s_mov_b32 s6, 0
	v_fmac_f64_e32 v[14:15], 0xc0568000, v[0:1]
	s_mov_b32 s7, 0x40080000
	v_mul_f64 v[14:15], v[14:15], s[6:7]
	s_mov_b32 s6, 0
	s_mov_b32 s7, 0x40995000
	v_mov_b32_e32 v20, 0
	v_mul_f64 v[18:19], v[8:9], s[6:7]
	v_mov_b32_e32 v21, 0x407c5000
	v_fmac_f64_e32 v[20:21], v[10:11], v[18:19]
	v_fmac_f64_e32 v[20:21], 0xc07c7000, v[0:1]
	v_mul_f64 v[0:1], v[8:9], v[20:21]
	v_mov_b32_e32 v20, 0
	v_mov_b32_e32 v21, 0xc0260000
	v_ldexp_f64 v[18:19], v[10:11], 3
	v_fmac_f64_e32 v[20:21], 0x4060e000, v[8:9]
	v_mul_f64 v[18:19], v[18:19], v[20:21]
	v_fmac_f64_e32 v[0:1], v[18:19], v[2:3]
	s_mov_b32 s6, 0
	v_mul_f64 v[0:1], v[0:1], v[2:3]
	s_mov_b32 s7, 0x40280000
	v_fmac_f64_e32 v[0:1], v[16:17], v[14:15]
	v_fma_f64 v[14:15], v[2:3], s[6:7], 1.0
	v_fma_f64 v[18:19], v[8:9], s[6:7], 1.0
	v_mul_f64 v[14:15], v[14:15], v[18:19]
	v_mul_f64 v[18:19], v[12:13], v[12:13]
	v_div_scale_f64 v[20:21], s[10:11], v[18:19], v[18:19], v[14:15]
	v_rcp_f64_e32 v[22:23], v[20:21]
	v_mul_f64 v[0:1], v[0:1], v[2:3]
	v_fmac_f64_e32 v[0:1], v[8:9], v[6:7]
	v_mul_f64 v[4:5], v[4:5], v[16:17]
	v_mul_f64 v[0:1], v[0:1], v[2:3]
	v_fmac_f64_e32 v[0:1], v[16:17], v[4:5]
	v_fma_f64 v[4:5], -v[20:21], v[22:23], 1.0
	v_fmac_f64_e32 v[22:23], v[22:23], v[4:5]
	v_fma_f64 v[4:5], -v[20:21], v[22:23], 1.0
	v_fmac_f64_e32 v[22:23], v[22:23], v[4:5]
	v_div_scale_f64 v[4:5], vcc, v[14:15], v[18:19], v[14:15]
	v_mul_f64 v[6:7], v[4:5], v[22:23]
	s_mov_b32 s10, 0
	v_fma_f64 v[4:5], -v[20:21], v[6:7], v[4:5]
	s_mov_b32 s11, 0x40c95000
	v_div_fmas_f64 v[4:5], v[4:5], v[22:23], v[6:7]
	v_mul_f64 v[6:7], v[2:3], s[10:11]
	v_div_fixup_f64 v[4:5], v[4:5], v[18:19], v[14:15]
	v_mul_f64 v[6:7], v[6:7], v[2:3]
	v_mul_f64 v[2:3], v[6:7], v[2:3]
	v_div_scale_f64 v[6:7], s[10:11], v[10:11], v[10:11], v[4:5]
	v_rcp_f64_e32 v[14:15], v[6:7]
	v_mul_f64 v[2:3], v[8:9], v[2:3]
	v_mul_f64 v[2:3], v[8:9], v[2:3]
	v_fma_f64 v[8:9], v[12:13], s[6:7], 1.0
	v_mul_f64 v[2:3], v[8:9], v[2:3]
	v_fma_f64 v[8:9], -v[6:7], v[14:15], 1.0
	v_fmac_f64_e32 v[14:15], v[14:15], v[8:9]
	v_fma_f64 v[8:9], -v[6:7], v[14:15], 1.0
	v_fmac_f64_e32 v[14:15], v[14:15], v[8:9]
	v_div_scale_f64 v[8:9], vcc, v[4:5], v[10:11], v[4:5]
	v_mul_f64 v[12:13], v[8:9], v[14:15]
	v_fma_f64 v[6:7], -v[6:7], v[12:13], v[8:9]
                                        ; implicit-def: $vgpr16_vgpr17
	s_nop 1
	v_div_fmas_f64 v[6:7], v[6:7], v[14:15], v[12:13]
	v_div_fixup_f64 v[4:5], v[6:7], v[10:11], v[4:5]
	v_mul_f64 v[0:1], v[4:5], v[0:1]
	v_div_scale_f64 v[4:5], s[6:7], v[2:3], v[2:3], v[0:1]
	v_rcp_f64_e32 v[6:7], v[4:5]
                                        ; implicit-def: $vgpr12_vgpr13
                                        ; implicit-def: $vgpr14_vgpr15
	v_fma_f64 v[8:9], -v[4:5], v[6:7], 1.0
	v_fmac_f64_e32 v[6:7], v[6:7], v[8:9]
	v_fma_f64 v[8:9], -v[4:5], v[6:7], 1.0
	v_fmac_f64_e32 v[6:7], v[6:7], v[8:9]
	v_div_scale_f64 v[8:9], vcc, v[0:1], v[2:3], v[0:1]
	v_mul_f64 v[10:11], v[8:9], v[6:7]
	v_fma_f64 v[4:5], -v[4:5], v[10:11], v[8:9]
                                        ; implicit-def: $vgpr8_vgpr9
	s_nop 1
	v_div_fmas_f64 v[4:5], v[4:5], v[6:7], v[10:11]
	v_div_fixup_f64 v[6:7], v[4:5], v[2:3], v[0:1]
                                        ; implicit-def: $vgpr2_vgpr3
                                        ; implicit-def: $vgpr0_vgpr1
                                        ; implicit-def: $vgpr10_vgpr11
                                        ; implicit-def: $vgpr4_vgpr5
.LBB214_51:
	s_andn2_saveexec_b64 s[10:11], s[4:5]
	s_cbranch_execz .LBB214_53
; %bb.52:
	v_add_f64 v[18:19], v[2:3], v[2:3]
	v_mul_f64 v[6:7], v[18:19], v[8:9]
	v_div_scale_f64 v[20:21], s[4:5], v[12:13], v[12:13], v[6:7]
	v_rcp_f64_e32 v[22:23], v[20:21]
	v_div_scale_f64 v[24:25], vcc, v[6:7], v[12:13], v[6:7]
	s_mov_b32 s18, 0
	v_fma_f64 v[26:27], -v[20:21], v[22:23], 1.0
	v_fmac_f64_e32 v[22:23], v[22:23], v[26:27]
	v_fma_f64 v[26:27], -v[20:21], v[22:23], 1.0
	v_fmac_f64_e32 v[22:23], v[22:23], v[26:27]
	v_mul_f64 v[26:27], v[24:25], v[22:23]
	v_fma_f64 v[20:21], -v[20:21], v[26:27], v[24:25]
	v_div_fmas_f64 v[20:21], v[20:21], v[22:23], v[26:27]
	v_div_fixup_f64 v[6:7], v[20:21], v[12:13], v[6:7]
	s_brev_b32 s19, 8
	v_cmp_gt_f64_e32 vcc, s[18:19], v[6:7]
	v_cndmask_b32_e64 v20, 0, 1, vcc
	v_lshlrev_b32_e32 v20, 8, v20
	v_ldexp_f64 v[6:7], v[6:7], v20
	v_rsq_f64_e32 v[20:21], v[6:7]
	v_mov_b32_e32 v35, 0xffffff80
	v_mov_b32_e32 v36, 0x260
	;; [unrolled: 1-line block ×3, first 2 shown]
	v_mul_f64 v[22:23], v[6:7], v[20:21]
	v_mul_f64 v[20:21], v[20:21], 0.5
	v_fma_f64 v[24:25], -v[20:21], v[22:23], 0.5
	v_fmac_f64_e32 v[22:23], v[22:23], v[24:25]
	v_fma_f64 v[26:27], -v[22:23], v[22:23], v[6:7]
	v_fmac_f64_e32 v[20:21], v[20:21], v[24:25]
	v_fmac_f64_e32 v[22:23], v[26:27], v[20:21]
	v_fma_f64 v[24:25], -v[22:23], v[22:23], v[6:7]
	v_fmac_f64_e32 v[22:23], v[24:25], v[20:21]
	v_cndmask_b32_e32 v20, 0, v35, vcc
	v_ldexp_f64 v[20:21], v[22:23], v20
	v_cmp_class_f64_e32 vcc, v[6:7], v36
	v_cndmask_b32_e32 v21, v21, v7, vcc
	v_cndmask_b32_e32 v20, v20, v6, vcc
	v_div_scale_f64 v[6:7], s[4:5], v[20:21], v[20:21], -v[0:1]
	v_rcp_f64_e32 v[22:23], v[6:7]
	s_mov_b32 s4, 0
	s_mov_b32 s5, 0x40280000
	v_mul_f64 v[28:29], v[2:3], s[4:5]
	v_fma_f64 v[24:25], -v[6:7], v[22:23], 1.0
	v_fmac_f64_e32 v[22:23], v[22:23], v[24:25]
	v_div_scale_f64 v[30:31], s[6:7], v[28:29], v[28:29], 1.0
	v_fma_f64 v[24:25], -v[6:7], v[22:23], 1.0
	v_rcp_f64_e32 v[32:33], v[30:31]
	v_fmac_f64_e32 v[22:23], v[22:23], v[24:25]
	v_div_scale_f64 v[24:25], vcc, -v[0:1], v[20:21], -v[0:1]
	v_mul_f64 v[26:27], v[24:25], v[22:23]
	v_fma_f64 v[6:7], -v[6:7], v[26:27], v[24:25]
	s_mov_b32 s6, 0
	s_nop 0
	v_div_fmas_f64 v[22:23], v[6:7], v[22:23], v[26:27]
	v_fma_f64 v[6:7], -v[30:31], v[32:33], 1.0
	v_fmac_f64_e32 v[32:33], v[32:33], v[6:7]
	v_fma_f64 v[6:7], -v[30:31], v[32:33], 1.0
	s_mov_b32 s7, 0x40720000
	v_fmac_f64_e32 v[32:33], v[32:33], v[6:7]
	v_div_scale_f64 v[6:7], vcc, 1.0, v[28:29], 1.0
	v_mul_f64 v[26:27], v[2:3], s[6:7]
	v_mul_f64 v[24:25], v[6:7], v[32:33]
	;; [unrolled: 1-line block ×3, first 2 shown]
	v_fma_f64 v[6:7], -v[30:31], v[24:25], v[6:7]
	v_div_scale_f64 v[30:31], s[12:13], v[26:27], v[26:27], 1.0
	v_rcp_f64_e32 v[38:39], v[30:31]
	v_div_fmas_f64 v[6:7], v[6:7], v[32:33], v[24:25]
	v_div_fixup_f64 v[6:7], v[6:7], v[28:29], 1.0
	v_add_f64 v[6:7], v[6:7], 1.0
	v_fma_f64 v[24:25], -v[30:31], v[38:39], 1.0
	v_fmac_f64_e32 v[38:39], v[38:39], v[24:25]
	v_fma_f64 v[24:25], -v[30:31], v[38:39], 1.0
	v_fmac_f64_e32 v[38:39], v[38:39], v[24:25]
	v_div_scale_f64 v[24:25], vcc, 1.0, v[26:27], 1.0
	v_mul_f64 v[28:29], v[24:25], v[38:39]
	v_fma_f64 v[24:25], -v[30:31], v[28:29], v[24:25]
	v_mul_f64 v[30:31], v[8:9], s[4:5]
	v_div_scale_f64 v[32:33], s[12:13], v[30:31], v[30:31], 1.0
	v_rcp_f64_e32 v[48:49], v[32:33]
	v_div_fmas_f64 v[24:25], v[24:25], v[38:39], v[28:29]
	v_div_fixup_f64 v[24:25], v[24:25], v[26:27], 1.0
	v_add_f64 v[6:7], v[6:7], v[24:25]
	v_fma_f64 v[24:25], -v[32:33], v[48:49], 1.0
	v_fmac_f64_e32 v[48:49], v[48:49], v[24:25]
	v_fma_f64 v[24:25], -v[32:33], v[48:49], 1.0
	v_fmac_f64_e32 v[48:49], v[48:49], v[24:25]
	v_div_scale_f64 v[24:25], vcc, 1.0, v[30:31], 1.0
	v_mul_f64 v[28:29], v[8:9], s[6:7]
	v_mul_f64 v[26:27], v[24:25], v[48:49]
	;; [unrolled: 1-line block ×3, first 2 shown]
	v_fma_f64 v[24:25], -v[32:33], v[26:27], v[24:25]
	v_div_scale_f64 v[32:33], s[12:13], v[28:29], v[28:29], 1.0
	v_rcp_f64_e32 v[38:39], v[32:33]
	v_div_fmas_f64 v[24:25], v[24:25], v[48:49], v[26:27]
	v_div_fixup_f64 v[24:25], v[24:25], v[30:31], 1.0
	v_add_f64 v[24:25], v[24:25], 1.0
	v_fma_f64 v[26:27], -v[32:33], v[38:39], 1.0
	v_fmac_f64_e32 v[38:39], v[38:39], v[26:27]
	v_fma_f64 v[26:27], -v[32:33], v[38:39], 1.0
	v_fmac_f64_e32 v[38:39], v[38:39], v[26:27]
	v_div_scale_f64 v[26:27], vcc, 1.0, v[28:29], 1.0
	v_mul_f64 v[30:31], v[26:27], v[38:39]
	v_fma_f64 v[26:27], -v[32:33], v[30:31], v[26:27]
	s_mov_b32 s12, 0x55555555
	s_nop 0
	v_div_fmas_f64 v[26:27], v[26:27], v[38:39], v[30:31]
	v_mul_f64 v[30:31], v[12:13], s[4:5]
	v_div_scale_f64 v[32:33], s[4:5], v[30:31], v[30:31], 1.0
	v_rcp_f64_e32 v[38:39], v[32:33]
	v_div_fixup_f64 v[26:27], v[26:27], v[28:29], 1.0
	v_add_f64 v[24:25], v[24:25], v[26:27]
	v_mul_f64 v[24:25], v[6:7], v[24:25]
	v_fma_f64 v[6:7], -v[32:33], v[38:39], 1.0
	v_fmac_f64_e32 v[38:39], v[38:39], v[6:7]
	v_fma_f64 v[6:7], -v[32:33], v[38:39], 1.0
	v_fmac_f64_e32 v[38:39], v[38:39], v[6:7]
	v_div_scale_f64 v[6:7], vcc, 1.0, v[30:31], 1.0
	v_mul_f64 v[28:29], v[12:13], s[6:7]
	v_mul_f64 v[26:27], v[6:7], v[38:39]
	;; [unrolled: 1-line block ×3, first 2 shown]
	v_fma_f64 v[6:7], -v[32:33], v[26:27], v[6:7]
	v_div_scale_f64 v[32:33], s[4:5], v[28:29], v[28:29], 1.0
	v_rcp_f64_e32 v[48:49], v[32:33]
	v_div_fmas_f64 v[6:7], v[6:7], v[38:39], v[26:27]
	v_div_fixup_f64 v[6:7], v[6:7], v[30:31], 1.0
	v_add_f64 v[6:7], v[6:7], 1.0
	v_fma_f64 v[26:27], -v[32:33], v[48:49], 1.0
	v_fmac_f64_e32 v[48:49], v[48:49], v[26:27]
	v_fma_f64 v[26:27], -v[32:33], v[48:49], 1.0
	v_fmac_f64_e32 v[48:49], v[48:49], v[26:27]
	v_div_scale_f64 v[26:27], vcc, 1.0, v[28:29], 1.0
	v_mul_f64 v[30:31], v[26:27], v[48:49]
	v_fma_f64 v[26:27], -v[32:33], v[30:31], v[26:27]
	s_mov_b32 s13, 0x3fe55555
	s_nop 0
	v_div_fmas_f64 v[26:27], v[26:27], v[48:49], v[30:31]
	v_div_fixup_f64 v[26:27], v[26:27], v[28:29], 1.0
	v_add_f64 v[26:27], v[6:7], v[26:27]
	v_div_scale_f64 v[28:29], s[4:5], v[26:27], v[26:27], v[24:25]
	v_rcp_f64_e32 v[30:31], v[28:29]
	v_add_f64 v[48:49], v[0:1], -1.0
	v_mul_f64 v[14:15], v[48:49], v[14:15]
	v_mov_b32_e32 v6, 0
	v_fma_f64 v[32:33], -v[28:29], v[30:31], 1.0
	v_fmac_f64_e32 v[30:31], v[30:31], v[32:33]
	v_fma_f64 v[32:33], -v[28:29], v[30:31], 1.0
	v_fmac_f64_e32 v[30:31], v[30:31], v[32:33]
	v_div_scale_f64 v[32:33], vcc, v[24:25], v[26:27], v[24:25]
	v_mul_f64 v[38:39], v[32:33], v[30:31]
	v_fma_f64 v[28:29], -v[28:29], v[38:39], v[32:33]
	v_div_scale_f64 v[32:33], s[4:5], v[8:9], v[8:9], v[18:19]
	s_nop 0
	v_div_fmas_f64 v[28:29], v[28:29], v[30:31], v[38:39]
	v_rcp_f64_e32 v[38:39], v[32:33]
	v_mul_f64 v[30:31], v[2:3], v[2:3]
	v_add_f64 v[30:31], v[30:31], v[30:31]
	v_fmac_f64_e32 v[14:15], v[48:49], v[30:31]
	v_fma_f64 v[30:31], -v[32:33], v[38:39], 1.0
	v_fmac_f64_e32 v[38:39], v[38:39], v[30:31]
	v_fma_f64 v[30:31], -v[32:33], v[38:39], 1.0
	v_fmac_f64_e32 v[38:39], v[38:39], v[30:31]
	v_div_scale_f64 v[30:31], vcc, v[18:19], v[8:9], v[18:19]
	v_mul_f64 v[50:51], v[30:31], v[38:39]
	v_fma_f64 v[30:31], -v[32:33], v[50:51], v[30:31]
	s_mov_b32 s4, 0x968915a9
	s_nop 0
	v_div_fmas_f64 v[30:31], v[30:31], v[38:39], v[50:51]
	v_div_fixup_f64 v[18:19], v[30:31], v[8:9], v[18:19]
	v_cmp_gt_f64_e32 vcc, s[18:19], v[18:19]
	v_cndmask_b32_e64 v7, 0, 1, vcc
	v_lshlrev_b32_e32 v7, 8, v7
	v_ldexp_f64 v[18:19], v[18:19], v7
	v_rsq_f64_e32 v[32:33], v[18:19]
	v_fma_f64 v[30:31], -v[16:17], v[0:1], v[14:15]
	v_mul_f64 v[16:17], v[8:9], v[0:1]
	v_fmac_f64_e32 v[16:17], v[48:49], v[2:3]
	v_mul_f64 v[14:15], v[18:19], v[32:33]
	v_mul_f64 v[32:33], v[32:33], 0.5
	v_fma_f64 v[38:39], -v[32:33], v[14:15], 0.5
	v_fmac_f64_e32 v[14:15], v[14:15], v[38:39]
	v_fma_f64 v[48:49], -v[14:15], v[14:15], v[18:19]
	v_fmac_f64_e32 v[32:33], v[32:33], v[38:39]
	v_fmac_f64_e32 v[14:15], v[48:49], v[32:33]
	v_fma_f64 v[38:39], -v[14:15], v[14:15], v[18:19]
	v_fmac_f64_e32 v[14:15], v[38:39], v[32:33]
	v_cndmask_b32_e32 v7, 0, v35, vcc
	v_ldexp_f64 v[14:15], v[14:15], v7
	v_cmp_class_f64_e32 vcc, v[18:19], v36
	v_cndmask_b32_e32 v33, v15, v19, vcc
	v_cndmask_b32_e32 v32, v14, v18, vcc
	v_mov_b32_e32 v7, 0x3ff80000
	v_cmp_eq_f64_e32 vcc, 1.0, v[12:13]
	v_frexp_mant_f64_e64 v[14:15], |v[12:13]|
	v_cndmask_b32_e32 v7, v7, v34, vcc
	v_cmp_gt_f64_e32 vcc, s[12:13], v[14:15]
	v_cndmask_b32_e64 v19, v34, 2.0, vcc
	v_mov_b32_e32 v18, v6
	v_mul_f64 v[14:15], v[14:15], v[18:19]
	v_add_f64 v[18:19], v[14:15], 1.0
	v_rcp_f64_e32 v[38:39], v[18:19]
	v_add_f64 v[50:51], v[18:19], -1.0
	v_add_f64 v[48:49], v[14:15], -1.0
	v_add_f64 v[14:15], v[14:15], -v[50:51]
	v_fma_f64 v[50:51], -v[18:19], v[38:39], 1.0
	v_fmac_f64_e32 v[38:39], v[50:51], v[38:39]
	v_fma_f64 v[50:51], -v[18:19], v[38:39], 1.0
	v_fmac_f64_e32 v[38:39], v[50:51], v[38:39]
	v_mul_f64 v[50:51], v[48:49], v[38:39]
	v_mul_f64 v[52:53], v[18:19], v[50:51]
	v_fma_f64 v[18:19], v[50:51], v[18:19], -v[52:53]
	v_fmac_f64_e32 v[18:19], v[50:51], v[14:15]
	v_add_f64 v[14:15], v[52:53], v[18:19]
	v_add_f64 v[54:55], v[48:49], -v[14:15]
	v_add_f64 v[52:53], v[14:15], -v[52:53]
	;; [unrolled: 1-line block ×5, first 2 shown]
	v_add_f64 v[14:15], v[18:19], v[14:15]
	v_add_f64 v[14:15], v[54:55], v[14:15]
	v_mul_f64 v[14:15], v[38:39], v[14:15]
	v_add_f64 v[18:19], v[50:51], v[14:15]
	v_add_f64 v[38:39], v[18:19], -v[50:51]
	v_add_f64 v[38:39], v[14:15], -v[38:39]
	v_mul_f64 v[14:15], v[18:19], v[18:19]
	v_fma_f64 v[48:49], v[18:19], v[18:19], -v[14:15]
	v_add_f64 v[50:51], v[38:39], v[38:39]
	v_fmac_f64_e32 v[48:49], v[18:19], v[50:51]
	v_add_f64 v[50:51], v[14:15], v[48:49]
	v_add_f64 v[14:15], v[50:51], -v[14:15]
	s_mov_b32 s5, 0x3fba6564
	s_mov_b32 s20, 0x4222de17
	v_frexp_exp_i32_f64_e32 v37, v[12:13]
	v_add_f64 v[48:49], v[48:49], -v[14:15]
	s_mov_b32 s21, 0x3fbdee67
	v_pk_mov_b32 v[14:15], s[4:5], s[4:5] op_sel:[0,1]
	s_mov_b32 s22, 0x3abe935a
	v_subbrev_co_u32_e32 v37, vcc, 0, v37, vcc
	v_fma_f64 v[52:53], s[20:21], v[50:51], v[14:15]
	s_mov_b32 s23, 0x3fbe25e4
	s_mov_b32 s24, 0x47e6c9c2
	;; [unrolled: 1-line block ×3, first 2 shown]
	v_fma_f64 v[52:53], v[50:51], v[52:53], s[22:23]
	s_mov_b32 s25, 0x3fc110ef
	s_mov_b32 s26, 0xcfa74449
	v_cvt_f64_i32_e32 v[54:55], v37
	s_mov_b32 s41, 0x3fe62e42
	v_fma_f64 v[52:53], v[50:51], v[52:53], s[24:25]
	s_mov_b32 s27, 0x3fc3b13b
	s_mov_b32 s28, 0x71bf3c30
	v_mul_f64 v[64:65], v[54:55], s[40:41]
	s_mov_b32 s42, 0x3b39803f
	v_fma_f64 v[52:53], v[50:51], v[52:53], s[26:27]
	s_mov_b32 s29, 0x3fc745d1
	s_mov_b32 s34, 0x1c7792ce
	v_fma_f64 v[66:67], v[54:55], s[40:41], -v[64:65]
	s_mov_b32 s43, 0x3c7abc9e
	v_mul_f64 v[70:71], v[18:19], v[50:51]
	v_fma_f64 v[52:53], v[50:51], v[52:53], s[28:29]
	s_mov_b32 s35, 0x3fcc71c7
	s_mov_b32 s36, 0x924920da
	v_fmac_f64_e32 v[66:67], s[42:43], v[54:55]
	v_fma_f64 v[80:81], v[50:51], v[18:19], -v[70:71]
	v_fma_f64 v[52:53], v[50:51], v[52:53], s[34:35]
	s_mov_b32 s37, 0x3fd24924
	s_mov_b32 s38, 0x9999999c
	v_add_f64 v[54:55], v[64:65], v[66:67]
	v_fmac_f64_e32 v[80:81], v[50:51], v[38:39]
	v_fma_f64 v[52:53], v[50:51], v[52:53], s[36:37]
	s_mov_b32 s39, 0x3fd99999
	v_add_f64 v[64:65], v[54:55], -v[64:65]
	v_fmac_f64_e32 v[80:81], v[48:49], v[18:19]
	v_fma_f64 v[52:53], v[50:51], v[52:53], s[38:39]
	v_add_f64 v[64:65], v[66:67], -v[64:65]
	v_ldexp_f64 v[66:67], v[18:19], 1
	v_add_f64 v[18:19], v[70:71], v[80:81]
	v_ldexp_f64 v[68:69], v[38:39], 1
	v_add_f64 v[38:39], v[18:19], -v[70:71]
	v_mul_f64 v[70:71], v[50:51], v[52:53]
	v_fma_f64 v[50:51], v[50:51], v[52:53], -v[70:71]
	v_fmac_f64_e32 v[50:51], v[48:49], v[52:53]
	v_add_f64 v[48:49], v[70:71], v[50:51]
	v_add_f64 v[52:53], v[48:49], -v[70:71]
	v_add_f64 v[50:51], v[50:51], -v[52:53]
	v_add_f64 v[52:53], v[48:49], s[12:13]
	s_mov_b32 s45, 0xbfe55555
	s_mov_b32 s44, s12
	;; [unrolled: 1-line block ×3, first 2 shown]
	v_add_f64 v[70:71], v[52:53], s[44:45]
	s_mov_b32 s47, 0x3c8543b0
	v_add_f64 v[48:49], v[48:49], -v[70:71]
	v_add_f64 v[50:51], v[50:51], s[46:47]
	v_add_f64 v[48:49], v[50:51], v[48:49]
	;; [unrolled: 1-line block ×3, first 2 shown]
	v_add_f64 v[52:53], v[52:53], -v[50:51]
	v_add_f64 v[48:49], v[48:49], v[52:53]
	v_mul_f64 v[52:53], v[18:19], v[50:51]
	v_fma_f64 v[70:71], v[18:19], v[50:51], -v[52:53]
	v_add_f64 v[38:39], v[80:81], -v[38:39]
	v_fmac_f64_e32 v[70:71], v[18:19], v[48:49]
	v_fmac_f64_e32 v[70:71], v[38:39], v[50:51]
	v_add_f64 v[18:19], v[52:53], v[70:71]
	v_add_f64 v[38:39], v[18:19], -v[52:53]
	v_add_f64 v[48:49], v[66:67], v[18:19]
	v_add_f64 v[38:39], v[70:71], -v[38:39]
	v_add_f64 v[50:51], v[48:49], -v[66:67]
	;; [unrolled: 1-line block ×3, first 2 shown]
	v_add_f64 v[38:39], v[68:69], v[38:39]
	v_add_f64 v[18:19], v[38:39], v[18:19]
	;; [unrolled: 1-line block ×3, first 2 shown]
	v_add_f64 v[48:49], v[38:39], -v[48:49]
	v_add_f64 v[18:19], v[18:19], -v[48:49]
	v_add_f64 v[48:49], v[54:55], v[38:39]
	v_add_f64 v[50:51], v[48:49], -v[54:55]
	v_add_f64 v[52:53], v[48:49], -v[50:51]
	;; [unrolled: 1-line block ×4, first 2 shown]
	v_add_f64 v[38:39], v[38:39], v[52:53]
	v_add_f64 v[50:51], v[64:65], v[18:19]
	v_add_f64 v[52:53], v[50:51], -v[64:65]
	v_add_f64 v[38:39], v[50:51], v[38:39]
	v_add_f64 v[54:55], v[50:51], -v[52:53]
	;; [unrolled: 2-line block ×3, first 2 shown]
	v_add_f64 v[18:19], v[18:19], -v[52:53]
	v_add_f64 v[48:49], v[50:51], -v[48:49]
	v_add_f64 v[18:19], v[18:19], v[54:55]
	v_add_f64 v[38:39], v[38:39], -v[48:49]
	v_add_f64 v[18:19], v[18:19], v[38:39]
	v_add_f64 v[38:39], v[50:51], v[18:19]
	v_add_f64 v[48:49], v[38:39], -v[50:51]
	v_add_f64 v[18:19], v[18:19], -v[48:49]
	v_mul_f64 v[48:49], v[6:7], v[38:39]
	v_fma_f64 v[38:39], v[6:7], v[38:39], -v[48:49]
	v_fmac_f64_e32 v[38:39], v[6:7], v[18:19]
	s_movk_i32 s86, 0x204
	v_add_f64 v[18:19], v[48:49], v[38:39]
	v_cmp_class_f64_e64 vcc, v[48:49], s86
	s_mov_b32 s48, 0x652b82fe
	v_add_f64 v[50:51], v[18:19], -v[48:49]
	v_cndmask_b32_e32 v49, v19, v49, vcc
	v_cndmask_b32_e32 v48, v18, v48, vcc
	s_mov_b32 s49, 0x3ff71547
	v_mul_f64 v[18:19], v[48:49], s[48:49]
	v_add_f64 v[38:39], v[38:39], -v[50:51]
	v_rndne_f64_e32 v[50:51], v[18:19]
	s_mov_b32 s51, 0xbfe62e42
	s_mov_b32 s50, s40
	;; [unrolled: 1-line block ×3, first 2 shown]
	v_fma_f64 v[52:53], s[50:51], v[50:51], v[48:49]
	s_mov_b32 s53, 0xbc7abc9e
	s_mov_b32 s52, s42
	;; [unrolled: 1-line block ×4, first 2 shown]
	v_fmac_f64_e32 v[52:53], s[52:53], v[50:51]
	s_mov_b32 s55, 0x3e5ade15
	v_pk_mov_b32 v[18:19], s[4:5], s[4:5] op_sel:[0,1]
	s_mov_b32 s56, 0x623fde64
	v_fma_f64 v[54:55], s[54:55], v[52:53], v[18:19]
	s_mov_b32 s57, 0x3ec71dee
	s_mov_b32 s58, 0x7c89e6b0
	v_fma_f64 v[54:55], v[52:53], v[54:55], s[56:57]
	s_mov_b32 s59, 0x3efa0199
	;; [unrolled: 3-line block ×9, first 2 shown]
	v_fma_f64 v[54:55], v[52:53], v[54:55], 1.0
	s_mov_b32 s72, 0
	v_cmp_neq_f64_e64 vcc, |v[48:49]|, s[30:31]
	v_fma_f64 v[52:53], v[52:53], v[54:55], 1.0
	v_cvt_i32_f64_e32 v37, v[50:51]
	s_mov_b32 s73, 0x40900000
	s_mov_b32 s74, 0
	v_cndmask_b32_e32 v39, 0, v39, vcc
	v_cndmask_b32_e32 v38, 0, v38, vcc
	v_ldexp_f64 v[50:51], v[52:53], v37
	v_cmp_lt_f64_e32 vcc, s[72:73], v[48:49]
	v_mov_b32_e32 v37, 0x7ff00000
	s_mov_b32 s75, 0xc090cc00
	v_cndmask_b32_e64 v52, v50, 0, vcc
	v_cndmask_b32_e32 v53, v51, v37, vcc
	v_cmp_ngt_f64_e64 s[4:5], s[74:75], v[48:49]
	v_and_b32_e32 v51, 0x7fffffff, v51
	v_cndmask_b32_e64 v49, 0, v53, s[4:5]
	v_cndmask_b32_e64 v48, 0, v52, s[4:5]
	v_cmp_eq_f64_e64 s[6:7], s[30:31], v[50:51]
	v_pk_mov_b32 v[52:53], v[48:49], v[48:49] op_sel:[0,1]
	s_or_b64 s[6:7], vcc, s[6:7]
	v_fmac_f64_e32 v[52:53], v[52:53], v[38:39]
	s_and_b64 vcc, s[4:5], s[6:7]
	v_cndmask_b32_e32 v39, v52, v48, vcc
	v_cndmask_b32_e32 v52, v53, v49, vcc
	v_trunc_f64_e32 v[48:49], v[6:7]
	v_cmp_eq_f64_e32 vcc, v[48:49], v[6:7]
	v_mul_f64 v[48:49], v[6:7], 0.5
	v_trunc_f64_e32 v[50:51], v[48:49]
	v_cmp_neq_f64_e64 s[4:5], v[50:51], v[48:49]
	s_and_b64 s[4:5], vcc, s[4:5]
	s_brev_b32 s87, -2
	v_cndmask_b32_e64 v7, v34, v13, s[4:5]
	v_mov_b32_e32 v38, 0x7ff80000
	v_bfi_b32 v7, s87, v52, v7
	v_cndmask_b32_e32 v48, v38, v7, vcc
	v_cndmask_b32_e32 v49, 0, v39, vcc
	v_cmp_gt_f64_e32 vcc, 0, v[12:13]
	v_cndmask_b32_e32 v39, v39, v49, vcc
	v_cndmask_b32_e32 v7, v7, v48, vcc
	v_cmp_eq_f64_e32 vcc, 0, v[12:13]
	v_cmp_class_f64_e64 s[6:7], v[12:13], s86
	v_cndmask_b32_e64 v48, v37, 0, vcc
	v_cndmask_b32_e64 v49, 0, v13, s[4:5]
	v_bfi_b32 v48, s87, v48, v49
	s_or_b64 vcc, vcc, s[6:7]
	v_cndmask_b32_e32 v7, v7, v48, vcc
	v_cndmask_b32_e64 v39, v39, 0, vcc
	v_cmp_o_f64_e32 vcc, v[12:13], v[12:13]
	v_cndmask_b32_e32 v48, 0, v39, vcc
	v_cndmask_b32_e32 v49, v38, v7, vcc
	v_mul_f64 v[32:33], v[32:33], v[48:49]
	v_mul_f64 v[32:33], v[16:17], v[32:33]
	;; [unrolled: 1-line block ×3, first 2 shown]
	v_div_scale_f64 v[48:49], s[4:5], v[32:33], v[32:33], v[30:31]
	v_rcp_f64_e32 v[50:51], v[48:49]
	v_div_fixup_f64 v[20:21], v[22:23], v[20:21], -v[0:1]
	v_div_fixup_f64 v[22:23], v[28:29], v[26:27], v[24:25]
	v_mul_f64 v[28:29], v[12:13], v[0:1]
	v_fma_f64 v[24:25], -v[48:49], v[50:51], 1.0
	v_fmac_f64_e32 v[50:51], v[50:51], v[24:25]
	v_fma_f64 v[24:25], -v[48:49], v[50:51], 1.0
	v_fmac_f64_e32 v[50:51], v[50:51], v[24:25]
	v_div_scale_f64 v[24:25], vcc, v[30:31], v[32:33], v[30:31]
	v_mul_f64 v[26:27], v[24:25], v[50:51]
	v_fma_f64 v[24:25], -v[48:49], v[26:27], v[24:25]
	v_div_scale_f64 v[48:49], s[4:5], v[28:29], v[28:29], v[2:3]
	v_rcp_f64_e32 v[52:53], v[48:49]
	v_div_fmas_f64 v[24:25], v[24:25], v[50:51], v[26:27]
	v_div_fixup_f64 v[24:25], v[24:25], v[32:33], v[30:31]
	s_mov_b32 s4, 0x6b47b09a
	v_fma_f64 v[26:27], -v[48:49], v[52:53], 1.0
	v_fmac_f64_e32 v[52:53], v[52:53], v[26:27]
	v_fma_f64 v[26:27], -v[48:49], v[52:53], 1.0
	v_fmac_f64_e32 v[52:53], v[52:53], v[26:27]
	v_div_scale_f64 v[26:27], vcc, v[2:3], v[28:29], v[2:3]
	v_mul_f64 v[30:31], v[26:27], v[52:53]
	v_fma_f64 v[26:27], -v[48:49], v[30:31], v[26:27]
	s_mov_b32 s5, 0x3fc38538
	s_nop 0
	v_div_fmas_f64 v[26:27], v[26:27], v[52:53], v[30:31]
	v_div_fixup_f64 v[26:27], v[26:27], v[28:29], v[2:3]
	v_frexp_mant_f64_e32 v[28:29], v[26:27]
	v_cmp_gt_f64_e32 vcc, s[12:13], v[28:29]
	v_cndmask_b32_e64 v7, v34, 2.0, vcc
	v_frexp_exp_i32_f64_e32 v30, v[26:27]
	v_mul_f64 v[28:29], v[28:29], v[6:7]
	v_subbrev_co_u32_e32 v7, vcc, 0, v30, vcc
	v_add_f64 v[30:31], v[28:29], 1.0
	v_rcp_f64_e32 v[32:33], v[30:31]
	v_add_f64 v[50:51], v[30:31], -1.0
	v_add_f64 v[48:49], v[28:29], -1.0
	v_add_f64 v[28:29], v[28:29], -v[50:51]
	v_fma_f64 v[50:51], -v[30:31], v[32:33], 1.0
	v_fmac_f64_e32 v[32:33], v[50:51], v[32:33]
	v_fma_f64 v[50:51], -v[30:31], v[32:33], 1.0
	v_fmac_f64_e32 v[32:33], v[50:51], v[32:33]
	v_mul_f64 v[50:51], v[48:49], v[32:33]
	v_mul_f64 v[52:53], v[30:31], v[50:51]
	v_fma_f64 v[30:31], v[50:51], v[30:31], -v[52:53]
	v_fmac_f64_e32 v[30:31], v[50:51], v[28:29]
	v_add_f64 v[28:29], v[52:53], v[30:31]
	v_add_f64 v[54:55], v[48:49], -v[28:29]
	v_add_f64 v[52:53], v[28:29], -v[52:53]
	;; [unrolled: 1-line block ×5, first 2 shown]
	v_add_f64 v[28:29], v[30:31], v[28:29]
	v_add_f64 v[28:29], v[54:55], v[28:29]
	v_mul_f64 v[28:29], v[32:33], v[28:29]
	v_add_f64 v[30:31], v[50:51], v[28:29]
	v_add_f64 v[32:33], v[30:31], -v[50:51]
	s_mov_b32 s6, 0xbf559e2b
	v_add_f64 v[28:29], v[28:29], -v[32:33]
	v_mul_f64 v[32:33], v[30:31], v[30:31]
	s_mov_b32 s7, 0x3fc3ab76
	v_pk_mov_b32 v[48:49], s[4:5], s[4:5] op_sel:[0,1]
	s_mov_b32 s76, 0xd7f4df2e
	v_fma_f64 v[50:51], s[6:7], v[32:33], v[48:49]
	s_mov_b32 s77, 0x3fc7474d
	s_mov_b32 s78, 0x16291751
	v_fma_f64 v[50:51], v[32:33], v[50:51], s[76:77]
	s_mov_b32 s79, 0x3fcc71c0
	v_fma_f64 v[50:51], v[32:33], v[50:51], s[78:79]
	s_mov_b32 s80, 0x9b27acf1
	s_mov_b32 s81, s37
	v_fma_f64 v[50:51], v[32:33], v[50:51], s[80:81]
	s_mov_b32 s82, 0x998ef7b6
	;; [unrolled: 3-line block ×3, first 2 shown]
	s_mov_b32 s85, s13
	v_fma_f64 v[50:51], v[32:33], v[50:51], s[84:85]
	v_ldexp_f64 v[52:53], v[30:31], 1
	v_mul_f64 v[30:31], v[30:31], v[32:33]
	v_mul_f64 v[30:31], v[30:31], v[50:51]
	v_add_f64 v[32:33], v[52:53], v[30:31]
	v_add_f64 v[50:51], v[32:33], -v[52:53]
	v_ldexp_f64 v[28:29], v[28:29], 1
	v_add_f64 v[30:31], v[30:31], -v[50:51]
	v_add_f64 v[28:29], v[28:29], v[30:31]
	v_add_f64 v[30:31], v[32:33], v[28:29]
	v_add_f64 v[32:33], v[30:31], -v[32:33]
	v_add_f64 v[28:29], v[28:29], -v[32:33]
	v_cvt_f64_i32_e32 v[32:33], v7
	v_mul_f64 v[50:51], v[32:33], s[40:41]
	v_fma_f64 v[52:53], v[32:33], s[40:41], -v[50:51]
	v_fmac_f64_e32 v[52:53], s[42:43], v[32:33]
	v_add_f64 v[32:33], v[50:51], v[52:53]
	v_add_f64 v[50:51], v[32:33], -v[50:51]
	v_add_f64 v[50:51], v[52:53], -v[50:51]
	v_add_f64 v[52:53], v[32:33], v[30:31]
	v_add_f64 v[54:55], v[52:53], -v[32:33]
	v_add_f64 v[64:65], v[52:53], -v[54:55]
	;; [unrolled: 1-line block ×4, first 2 shown]
	v_add_f64 v[30:31], v[30:31], v[32:33]
	v_add_f64 v[32:33], v[50:51], v[28:29]
	v_add_f64 v[54:55], v[32:33], -v[50:51]
	v_add_f64 v[64:65], v[32:33], -v[54:55]
	v_add_f64 v[30:31], v[32:33], v[30:31]
	v_add_f64 v[50:51], v[50:51], -v[64:65]
	v_add_f64 v[28:29], v[28:29], -v[54:55]
	v_add_f64 v[32:33], v[52:53], v[30:31]
	v_add_f64 v[28:29], v[28:29], v[50:51]
	v_add_f64 v[50:51], v[32:33], -v[52:53]
	v_add_f64 v[30:31], v[30:31], -v[50:51]
	v_add_f64 v[28:29], v[28:29], v[30:31]
	v_ldexp_f64 v[30:31], v[2:3], 3
	v_mul_f64 v[30:31], v[30:31], v[8:9]
	v_add_f64 v[28:29], v[32:33], v[28:29]
	v_div_scale_f64 v[32:33], s[4:5], v[12:13], v[12:13], v[30:31]
	v_rcp_f64_e32 v[50:51], v[32:33]
	v_cmp_class_f64_e64 vcc, v[26:27], s86
	v_cndmask_b32_e32 v7, v28, v26, vcc
	v_cndmask_b32_e32 v28, v29, v27, vcc
	v_cmp_ngt_f64_e32 vcc, 0, v[26:27]
	v_cndmask_b32_e32 v39, v38, v28, vcc
	v_fma_f64 v[28:29], -v[32:33], v[50:51], 1.0
	v_fmac_f64_e32 v[50:51], v[50:51], v[28:29]
	v_fma_f64 v[28:29], -v[32:33], v[50:51], 1.0
	v_fmac_f64_e32 v[50:51], v[50:51], v[28:29]
	v_div_scale_f64 v[28:29], vcc, v[30:31], v[12:13], v[30:31]
	v_mul_f64 v[52:53], v[28:29], v[50:51]
	v_fma_f64 v[28:29], -v[32:33], v[52:53], v[28:29]
	v_cmp_nge_f64_e64 s[4:5], 0, v[26:27]
	s_nop 0
	v_div_fmas_f64 v[28:29], v[28:29], v[50:51], v[52:53]
	v_div_fixup_f64 v[28:29], v[28:29], v[12:13], v[30:31]
	v_cmp_gt_f64_e32 vcc, s[18:19], v[28:29]
	v_cndmask_b32_e64 v30, 0, 1, vcc
	v_lshlrev_b32_e32 v30, 8, v30
	v_ldexp_f64 v[28:29], v[28:29], v30
	v_rsq_f64_e32 v[30:31], v[28:29]
	v_cndmask_b32_e64 v32, 0, v7, s[4:5]
	v_cndmask_b32_e32 v7, 0, v35, vcc
	v_cmp_class_f64_e32 vcc, v[28:29], v36
	v_mul_f64 v[50:51], v[28:29], v[30:31]
	v_mul_f64 v[30:31], v[30:31], 0.5
	v_fma_f64 v[52:53], -v[30:31], v[50:51], 0.5
	v_fmac_f64_e32 v[50:51], v[50:51], v[52:53]
	v_fma_f64 v[54:55], -v[50:51], v[50:51], v[28:29]
	v_fmac_f64_e32 v[30:31], v[30:31], v[52:53]
	v_fmac_f64_e32 v[50:51], v[54:55], v[30:31]
	v_fma_f64 v[52:53], -v[50:51], v[50:51], v[28:29]
	v_fmac_f64_e32 v[50:51], v[52:53], v[30:31]
	v_ldexp_f64 v[30:31], v[50:51], v7
	v_cndmask_b32_e32 v29, v31, v29, vcc
	v_cndmask_b32_e32 v28, v30, v28, vcc
	v_div_scale_f64 v[30:31], s[4:5], v[16:17], v[16:17], v[28:29]
	v_rcp_f64_e32 v[50:51], v[30:31]
	v_mov_b32_e32 v66, 0xfff00000
	v_cmp_neq_f64_e32 vcc, 0, v[26:27]
	v_cndmask_b32_e32 v33, v66, v39, vcc
	v_fma_f64 v[52:53], -v[30:31], v[50:51], 1.0
	v_fmac_f64_e32 v[50:51], v[50:51], v[52:53]
	v_fma_f64 v[52:53], -v[30:31], v[50:51], 1.0
	v_fmac_f64_e32 v[50:51], v[50:51], v[52:53]
	v_div_scale_f64 v[52:53], vcc, v[28:29], v[16:17], v[28:29]
	v_mul_f64 v[54:55], v[52:53], v[50:51]
	v_mul_f64 v[12:13], v[10:11], v[12:13]
	v_fma_f64 v[30:31], -v[30:31], v[54:55], v[52:53]
	v_div_scale_f64 v[52:53], s[4:5], v[12:13], v[12:13], v[8:9]
	v_rcp_f64_e32 v[64:65], v[52:53]
	v_div_fmas_f64 v[10:11], v[30:31], v[50:51], v[54:55]
	v_div_fixup_f64 v[10:11], v[10:11], v[16:17], v[28:29]
	v_mul_f64 v[2:3], v[32:33], v[2:3]
	v_fma_f64 v[16:17], -v[52:53], v[64:65], 1.0
	v_fmac_f64_e32 v[64:65], v[64:65], v[16:17]
	v_fma_f64 v[16:17], -v[52:53], v[64:65], 1.0
	v_fmac_f64_e32 v[64:65], v[64:65], v[16:17]
	v_div_scale_f64 v[16:17], vcc, v[8:9], v[12:13], v[8:9]
	v_mul_f64 v[28:29], v[16:17], v[64:65]
	v_fma_f64 v[16:17], -v[52:53], v[28:29], v[16:17]
	v_mul_f64 v[26:27], v[32:33], 0.5
	s_nop 0
	v_div_fmas_f64 v[16:17], v[16:17], v[64:65], v[28:29]
	v_div_fixup_f64 v[12:13], v[16:17], v[12:13], v[8:9]
	v_frexp_mant_f64_e32 v[16:17], v[12:13]
	v_cmp_gt_f64_e32 vcc, s[12:13], v[16:17]
	v_cndmask_b32_e64 v7, v34, 2.0, vcc
	v_frexp_exp_i32_f64_e32 v28, v[12:13]
	v_mul_f64 v[16:17], v[16:17], v[6:7]
	v_subbrev_co_u32_e32 v7, vcc, 0, v28, vcc
	v_add_f64 v[28:29], v[16:17], 1.0
	v_rcp_f64_e32 v[30:31], v[28:29]
	v_add_f64 v[52:53], v[28:29], -1.0
	v_add_f64 v[50:51], v[16:17], -1.0
	v_add_f64 v[16:17], v[16:17], -v[52:53]
	v_fma_f64 v[52:53], -v[28:29], v[30:31], 1.0
	v_fmac_f64_e32 v[30:31], v[52:53], v[30:31]
	v_fma_f64 v[52:53], -v[28:29], v[30:31], 1.0
	v_fmac_f64_e32 v[30:31], v[52:53], v[30:31]
	v_mul_f64 v[52:53], v[50:51], v[30:31]
	v_mul_f64 v[54:55], v[28:29], v[52:53]
	v_fma_f64 v[28:29], v[52:53], v[28:29], -v[54:55]
	v_fmac_f64_e32 v[28:29], v[52:53], v[16:17]
	v_add_f64 v[16:17], v[54:55], v[28:29]
	v_add_f64 v[64:65], v[50:51], -v[16:17]
	v_add_f64 v[54:55], v[16:17], -v[54:55]
	;; [unrolled: 1-line block ×5, first 2 shown]
	v_add_f64 v[16:17], v[28:29], v[16:17]
	v_add_f64 v[16:17], v[64:65], v[16:17]
	v_mul_f64 v[16:17], v[30:31], v[16:17]
	v_add_f64 v[28:29], v[52:53], v[16:17]
	v_add_f64 v[30:31], v[28:29], -v[52:53]
	v_add_f64 v[16:17], v[16:17], -v[30:31]
	v_mul_f64 v[30:31], v[28:29], v[28:29]
	v_fmac_f64_e32 v[48:49], s[6:7], v[30:31]
	v_fma_f64 v[48:49], v[30:31], v[48:49], s[76:77]
	v_fma_f64 v[48:49], v[30:31], v[48:49], s[78:79]
	;; [unrolled: 1-line block ×5, first 2 shown]
	v_ldexp_f64 v[50:51], v[28:29], 1
	v_mul_f64 v[28:29], v[28:29], v[30:31]
	v_mul_f64 v[28:29], v[28:29], v[48:49]
	v_add_f64 v[30:31], v[50:51], v[28:29]
	v_add_f64 v[48:49], v[30:31], -v[50:51]
	v_ldexp_f64 v[16:17], v[16:17], 1
	v_add_f64 v[28:29], v[28:29], -v[48:49]
	v_add_f64 v[16:17], v[16:17], v[28:29]
	v_add_f64 v[28:29], v[30:31], v[16:17]
	v_add_f64 v[30:31], v[28:29], -v[30:31]
	v_add_f64 v[16:17], v[16:17], -v[30:31]
	v_cvt_f64_i32_e32 v[30:31], v7
	v_mul_f64 v[48:49], v[30:31], s[40:41]
	v_fma_f64 v[50:51], v[30:31], s[40:41], -v[48:49]
	v_fmac_f64_e32 v[50:51], s[42:43], v[30:31]
	v_add_f64 v[30:31], v[48:49], v[50:51]
	v_add_f64 v[48:49], v[30:31], -v[48:49]
	v_add_f64 v[48:49], v[50:51], -v[48:49]
	v_add_f64 v[50:51], v[30:31], v[28:29]
	v_add_f64 v[52:53], v[50:51], -v[30:31]
	v_add_f64 v[54:55], v[50:51], -v[52:53]
	;; [unrolled: 1-line block ×4, first 2 shown]
	v_add_f64 v[28:29], v[28:29], v[30:31]
	v_add_f64 v[30:31], v[48:49], v[16:17]
	v_add_f64 v[52:53], v[30:31], -v[48:49]
	v_add_f64 v[54:55], v[30:31], -v[52:53]
	v_add_f64 v[28:29], v[30:31], v[28:29]
	v_add_f64 v[48:49], v[48:49], -v[54:55]
	v_add_f64 v[16:17], v[16:17], -v[52:53]
	v_add_f64 v[30:31], v[50:51], v[28:29]
	v_add_f64 v[16:17], v[16:17], v[48:49]
	v_add_f64 v[48:49], v[30:31], -v[50:51]
	v_add_f64 v[28:29], v[28:29], -v[48:49]
	v_add_f64 v[16:17], v[16:17], v[28:29]
	v_add_f64 v[16:17], v[30:31], v[16:17]
	v_cmp_class_f64_e64 vcc, v[12:13], s86
	v_cndmask_b32_e32 v7, v16, v12, vcc
	v_cndmask_b32_e32 v16, v17, v13, vcc
	v_cmp_ngt_f64_e32 vcc, 0, v[12:13]
	v_cndmask_b32_e32 v17, v38, v16, vcc
	v_cmp_nge_f64_e32 vcc, 0, v[12:13]
	v_cndmask_b32_e32 v16, 0, v7, vcc
	v_cmp_neq_f64_e32 vcc, 0, v[12:13]
	v_cndmask_b32_e32 v17, v66, v17, vcc
	v_fmac_f64_e32 v[2:3], v[8:9], v[16:17]
	v_mov_b32_e32 v7, 0xbff80000
	v_cmp_eq_f64_e32 vcc, 1.0, v[2:3]
	v_frexp_mant_f64_e64 v[8:9], |v[2:3]|
	v_cndmask_b32_e32 v7, v7, v34, vcc
	v_cmp_gt_f64_e32 vcc, s[12:13], v[8:9]
	v_cndmask_b32_e64 v13, v34, 2.0, vcc
	v_mov_b32_e32 v12, v6
	v_mul_f64 v[8:9], v[8:9], v[12:13]
	v_frexp_exp_i32_f64_e32 v16, v[2:3]
	v_add_f64 v[12:13], v[8:9], 1.0
	v_subbrev_co_u32_e32 v35, vcc, 0, v16, vcc
	v_rcp_f64_e32 v[16:17], v[12:13]
	v_add_f64 v[30:31], v[12:13], -1.0
	v_add_f64 v[28:29], v[8:9], -1.0
	v_add_f64 v[8:9], v[8:9], -v[30:31]
	v_fma_f64 v[30:31], -v[12:13], v[16:17], 1.0
	v_fmac_f64_e32 v[16:17], v[30:31], v[16:17]
	v_fma_f64 v[30:31], -v[12:13], v[16:17], 1.0
	v_fmac_f64_e32 v[16:17], v[30:31], v[16:17]
	v_mul_f64 v[30:31], v[28:29], v[16:17]
	v_mul_f64 v[32:33], v[12:13], v[30:31]
	v_fma_f64 v[12:13], v[30:31], v[12:13], -v[32:33]
	v_fmac_f64_e32 v[12:13], v[30:31], v[8:9]
	v_add_f64 v[8:9], v[32:33], v[12:13]
	v_add_f64 v[48:49], v[28:29], -v[8:9]
	v_add_f64 v[32:33], v[8:9], -v[32:33]
	;; [unrolled: 1-line block ×5, first 2 shown]
	v_add_f64 v[8:9], v[12:13], v[8:9]
	v_add_f64 v[8:9], v[48:49], v[8:9]
	v_mul_f64 v[8:9], v[16:17], v[8:9]
	v_add_f64 v[12:13], v[30:31], v[8:9]
	v_add_f64 v[16:17], v[12:13], -v[30:31]
	v_add_f64 v[8:9], v[8:9], -v[16:17]
	v_mul_f64 v[16:17], v[12:13], v[12:13]
	v_fma_f64 v[28:29], v[12:13], v[12:13], -v[16:17]
	v_add_f64 v[30:31], v[8:9], v[8:9]
	v_fmac_f64_e32 v[28:29], v[12:13], v[30:31]
	v_add_f64 v[30:31], v[16:17], v[28:29]
	v_fmac_f64_e32 v[14:15], s[20:21], v[30:31]
	v_add_f64 v[16:17], v[30:31], -v[16:17]
	v_fma_f64 v[14:15], v[30:31], v[14:15], s[22:23]
	v_add_f64 v[16:17], v[28:29], -v[16:17]
	v_fma_f64 v[14:15], v[30:31], v[14:15], s[24:25]
	v_cvt_f64_i32_e32 v[28:29], v35
	v_fma_f64 v[14:15], v[30:31], v[14:15], s[26:27]
	v_mul_f64 v[32:33], v[28:29], s[40:41]
	v_mul_f64 v[52:53], v[12:13], v[30:31]
	v_fma_f64 v[14:15], v[30:31], v[14:15], s[28:29]
	v_fma_f64 v[48:49], v[28:29], s[40:41], -v[32:33]
	v_fma_f64 v[54:55], v[30:31], v[12:13], -v[52:53]
	v_fma_f64 v[14:15], v[30:31], v[14:15], s[34:35]
	v_fmac_f64_e32 v[48:49], s[42:43], v[28:29]
	v_fmac_f64_e32 v[54:55], v[30:31], v[8:9]
	v_fma_f64 v[14:15], v[30:31], v[14:15], s[36:37]
	v_add_f64 v[28:29], v[32:33], v[48:49]
	v_fmac_f64_e32 v[54:55], v[16:17], v[12:13]
	v_fma_f64 v[14:15], v[30:31], v[14:15], s[38:39]
	v_add_f64 v[32:33], v[28:29], -v[32:33]
	v_ldexp_f64 v[50:51], v[8:9], 1
	v_add_f64 v[8:9], v[52:53], v[54:55]
	v_add_f64 v[32:33], v[48:49], -v[32:33]
	v_ldexp_f64 v[48:49], v[12:13], 1
	v_add_f64 v[12:13], v[8:9], -v[52:53]
	v_mul_f64 v[52:53], v[30:31], v[14:15]
	v_fma_f64 v[30:31], v[30:31], v[14:15], -v[52:53]
	v_fmac_f64_e32 v[30:31], v[16:17], v[14:15]
	v_add_f64 v[14:15], v[52:53], v[30:31]
	v_add_f64 v[16:17], v[14:15], -v[52:53]
	v_add_f64 v[16:17], v[30:31], -v[16:17]
	v_add_f64 v[30:31], v[14:15], s[12:13]
	v_add_f64 v[52:53], v[30:31], s[44:45]
	v_add_f64 v[14:15], v[14:15], -v[52:53]
	v_add_f64 v[16:17], v[16:17], s[46:47]
	v_add_f64 v[14:15], v[16:17], v[14:15]
	;; [unrolled: 1-line block ×3, first 2 shown]
	v_add_f64 v[30:31], v[30:31], -v[16:17]
	v_add_f64 v[14:15], v[14:15], v[30:31]
	v_mul_f64 v[30:31], v[8:9], v[16:17]
	v_fma_f64 v[52:53], v[8:9], v[16:17], -v[30:31]
	v_add_f64 v[12:13], v[54:55], -v[12:13]
	v_fmac_f64_e32 v[52:53], v[8:9], v[14:15]
	v_fmac_f64_e32 v[52:53], v[12:13], v[16:17]
	v_add_f64 v[8:9], v[30:31], v[52:53]
	v_add_f64 v[12:13], v[8:9], -v[30:31]
	v_add_f64 v[14:15], v[48:49], v[8:9]
	v_add_f64 v[12:13], v[52:53], -v[12:13]
	v_add_f64 v[16:17], v[14:15], -v[48:49]
	;; [unrolled: 1-line block ×3, first 2 shown]
	v_add_f64 v[12:13], v[50:51], v[12:13]
	v_add_f64 v[8:9], v[12:13], v[8:9]
	;; [unrolled: 1-line block ×3, first 2 shown]
	v_add_f64 v[14:15], v[12:13], -v[14:15]
	v_add_f64 v[8:9], v[8:9], -v[14:15]
	v_add_f64 v[14:15], v[28:29], v[12:13]
	v_add_f64 v[16:17], v[14:15], -v[28:29]
	v_add_f64 v[30:31], v[14:15], -v[16:17]
	;; [unrolled: 1-line block ×4, first 2 shown]
	v_add_f64 v[12:13], v[12:13], v[28:29]
	v_add_f64 v[16:17], v[32:33], v[8:9]
	v_add_f64 v[28:29], v[16:17], -v[32:33]
	v_add_f64 v[12:13], v[16:17], v[12:13]
	v_add_f64 v[30:31], v[16:17], -v[28:29]
	;; [unrolled: 2-line block ×3, first 2 shown]
	v_add_f64 v[8:9], v[8:9], -v[28:29]
	v_add_f64 v[14:15], v[16:17], -v[14:15]
	v_add_f64 v[8:9], v[8:9], v[30:31]
	v_add_f64 v[12:13], v[12:13], -v[14:15]
	v_add_f64 v[8:9], v[8:9], v[12:13]
	v_add_f64 v[12:13], v[16:17], v[8:9]
	v_add_f64 v[14:15], v[12:13], -v[16:17]
	v_add_f64 v[8:9], v[8:9], -v[14:15]
	v_mul_f64 v[14:15], v[6:7], v[12:13]
	v_fma_f64 v[12:13], v[6:7], v[12:13], -v[14:15]
	v_fmac_f64_e32 v[12:13], v[6:7], v[8:9]
	v_add_f64 v[8:9], v[14:15], v[12:13]
	v_cmp_class_f64_e64 vcc, v[14:15], s86
	v_add_f64 v[16:17], v[8:9], -v[14:15]
	v_cndmask_b32_e32 v9, v9, v15, vcc
	v_cndmask_b32_e32 v8, v8, v14, vcc
	v_mul_f64 v[14:15], v[8:9], s[48:49]
	v_rndne_f64_e32 v[14:15], v[14:15]
	v_add_f64 v[12:13], v[12:13], -v[16:17]
	v_fma_f64 v[16:17], s[50:51], v[14:15], v[8:9]
	v_fmac_f64_e32 v[16:17], s[52:53], v[14:15]
	v_fmac_f64_e32 v[18:19], s[54:55], v[16:17]
	v_fma_f64 v[18:19], v[16:17], v[18:19], s[56:57]
	v_fma_f64 v[18:19], v[16:17], v[18:19], s[58:59]
	v_fma_f64 v[18:19], v[16:17], v[18:19], s[60:61]
	v_fma_f64 v[18:19], v[16:17], v[18:19], s[62:63]
	v_fma_f64 v[18:19], v[16:17], v[18:19], s[64:65]
	v_fma_f64 v[18:19], v[16:17], v[18:19], s[66:67]
	v_fma_f64 v[18:19], v[16:17], v[18:19], s[68:69]
	v_fma_f64 v[18:19], v[16:17], v[18:19], s[70:71]
	v_fma_f64 v[18:19], v[16:17], v[18:19], 1.0
	v_cmp_neq_f64_e64 vcc, |v[8:9]|, s[30:31]
	v_fma_f64 v[16:17], v[16:17], v[18:19], 1.0
	v_cvt_i32_f64_e32 v14, v[14:15]
	v_cndmask_b32_e32 v13, 0, v13, vcc
	v_cndmask_b32_e32 v12, 0, v12, vcc
	v_ldexp_f64 v[14:15], v[16:17], v14
	v_cmp_lt_f64_e32 vcc, s[72:73], v[8:9]
	v_cndmask_b32_e64 v16, v14, 0, vcc
	v_cndmask_b32_e32 v17, v15, v37, vcc
	v_cmp_ngt_f64_e64 s[4:5], s[74:75], v[8:9]
	v_and_b32_e32 v15, 0x7fffffff, v15
	v_cndmask_b32_e64 v9, 0, v17, s[4:5]
	v_cndmask_b32_e64 v8, 0, v16, s[4:5]
	v_cmp_eq_f64_e64 s[6:7], s[30:31], v[14:15]
	v_pk_mov_b32 v[16:17], v[8:9], v[8:9] op_sel:[0,1]
	s_or_b64 s[6:7], vcc, s[6:7]
	v_fmac_f64_e32 v[16:17], v[16:17], v[12:13]
	s_and_b64 vcc, s[4:5], s[6:7]
	v_cndmask_b32_e32 v14, v16, v8, vcc
	v_cndmask_b32_e32 v15, v17, v9, vcc
	v_trunc_f64_e32 v[8:9], v[6:7]
	v_cmp_eq_f64_e32 vcc, v[8:9], v[6:7]
	v_mul_f64 v[8:9], v[6:7], 0.5
	v_trunc_f64_e32 v[12:13], v[8:9]
	v_cmp_neq_f64_e64 s[4:5], v[12:13], v[8:9]
	s_and_b64 s[4:5], vcc, s[4:5]
	v_cndmask_b32_e64 v8, v34, v3, s[4:5]
	v_bfi_b32 v8, s87, v15, v8
	v_cndmask_b32_e32 v9, v38, v8, vcc
	v_cndmask_b32_e32 v12, 0, v14, vcc
	v_cmp_gt_f64_e32 vcc, 0, v[2:3]
	v_cndmask_b32_e32 v12, v14, v12, vcc
	v_cndmask_b32_e32 v8, v8, v9, vcc
	v_cmp_eq_f64_e32 vcc, 0, v[2:3]
	v_cmp_gt_f64_e64 s[6:7], 0, v[6:7]
	s_xor_b64 s[6:7], vcc, s[6:7]
	v_cmp_class_f64_e64 s[12:13], v[2:3], s86
	v_cndmask_b32_e64 v6, v37, 0, s[6:7]
	v_cndmask_b32_e64 v7, 0, v3, s[4:5]
	v_bfi_b32 v6, s87, v6, v7
	s_or_b64 vcc, vcc, s[12:13]
	v_cndmask_b32_e32 v6, v8, v6, vcc
	v_cndmask_b32_e64 v7, v12, 0, vcc
	v_cmp_o_f64_e32 vcc, v[2:3], v[2:3]
	v_cndmask_b32_e32 v3, v38, v6, vcc
	v_cndmask_b32_e32 v2, 0, v7, vcc
	v_xor_b32_e32 v6, 0x80000000, v3
	v_cmp_gt_f64_e32 vcc, v[4:5], v[0:1]
	v_cndmask_b32_e32 v3, v6, v3, vcc
	v_add_f64 v[0:1], v[10:11], v[2:3]
	v_fmac_f64_e32 v[24:25], v[26:27], v[0:1]
	v_mul_f64 v[0:1], v[20:21], v[22:23]
	v_mul_f64 v[6:7], v[0:1], v[24:25]
.LBB214_53:
	s_or_b64 exec, exec, s[10:11]
	s_or_b64 exec, exec, s[8:9]
                                        ; implicit-def: $vgpr8_vgpr9
                                        ; implicit-def: $vgpr2_vgpr3
                                        ; implicit-def: $vgpr10_vgpr11
                                        ; implicit-def: $vgpr12_vgpr13
.LBB214_54:
	s_andn2_saveexec_b64 s[10:11], s[16:17]
	s_cbranch_execz .LBB214_100
.LBB214_55:
	v_mov_b32_e32 v0, 0
	v_add_f64 v[6:7], v[8:9], v[2:3]
	v_mov_b32_e32 v1, 0x7ff00000
	v_cmp_neq_f64_e32 vcc, 0, v[6:7]
	v_pk_mov_b32 v[4:5], v[0:1], v[0:1] op_sel:[0,1]
	s_and_saveexec_b64 s[6:7], vcc
	s_cbranch_execz .LBB214_77
; %bb.56:
	v_cmp_gt_f64_e32 vcc, 0, v[6:7]
	s_mov_b64 s[12:13], -1
	v_pk_mov_b32 v[14:15], 0, 0
                                        ; implicit-def: $sgpr16_sgpr17
	s_and_saveexec_b64 s[8:9], vcc
	s_cbranch_execz .LBB214_64
; %bb.57:
	v_floor_f64_e32 v[4:5], v[6:7]
	v_cmp_neq_f64_e32 vcc, v[4:5], v[6:7]
	s_mov_b64 s[4:5], 0
	v_pk_mov_b32 v[14:15], 0, 0
	s_and_saveexec_b64 s[12:13], vcc
	s_cbranch_execz .LBB214_63
; %bb.58:
	s_mov_b32 s17, 0x400921fb
	s_mov_b32 s16, 0x54442d18
	;; [unrolled: 1-line block ×3, first 2 shown]
	v_mul_f64 v[4:5], v[6:7], s[16:17]
	s_mov_b32 s5, 0x41d00000
	v_cmp_nlt_f64_e64 s[4:5], |v[4:5]|, s[4:5]
                                        ; implicit-def: $vgpr18
                                        ; implicit-def: $vgpr14_vgpr15
                                        ; implicit-def: $vgpr16_vgpr17
	s_and_saveexec_b64 s[18:19], s[4:5]
	s_xor_b64 s[18:19], exec, s[18:19]
	s_cbranch_execz .LBB214_60
; %bb.59:
	s_mov_b32 s4, 0
	s_mov_b32 s5, 0x7b000000
	s_movk_i32 s17, 0xff80
	v_and_b32_e32 v20, 0x7fffffff, v5
	v_ldexp_f64 v[18:19], |v[4:5]|, s17
	v_cmp_ge_f64_e64 vcc, |v[4:5]|, s[4:5]
	v_trig_preop_f64 v[14:15], |v[4:5]|, 0
	v_cndmask_b32_e32 v19, v20, v19, vcc
	v_cndmask_b32_e32 v18, v4, v18, vcc
	v_trig_preop_f64 v[16:17], |v[4:5]|, 1
	v_mul_f64 v[22:23], v[14:15], v[18:19]
	v_mul_f64 v[20:21], v[16:17], v[18:19]
	v_fma_f64 v[14:15], v[14:15], v[18:19], -v[22:23]
	v_add_f64 v[24:25], v[20:21], v[14:15]
	v_add_f64 v[26:27], v[22:23], v[24:25]
	s_mov_b32 s4, 0
	v_ldexp_f64 v[28:29], v[26:27], -2
	s_mov_b32 s5, 0x7ff00000
	v_fract_f64_e32 v[30:31], v[28:29]
	v_cmp_neq_f64_e64 vcc, |v[28:29]|, s[4:5]
	v_cndmask_b32_e32 v29, 0, v31, vcc
	v_cndmask_b32_e32 v28, 0, v30, vcc
	v_add_f64 v[30:31], v[24:25], -v[20:21]
	v_add_f64 v[14:15], v[14:15], -v[30:31]
	;; [unrolled: 1-line block ×4, first 2 shown]
	v_fma_f64 v[16:17], v[16:17], v[18:19], -v[20:21]
	v_trig_preop_f64 v[20:21], |v[4:5]|, 2
	v_add_f64 v[14:15], v[14:15], v[30:31]
	v_mul_f64 v[30:31], v[20:21], v[18:19]
	v_add_f64 v[34:35], v[30:31], v[16:17]
	v_add_f64 v[36:37], v[34:35], v[14:15]
	v_add_f64 v[22:23], v[26:27], -v[22:23]
	v_add_f64 v[26:27], v[36:37], -v[34:35]
	;; [unrolled: 1-line block ×5, first 2 shown]
	v_add_f64 v[14:15], v[14:15], v[26:27]
	v_add_f64 v[26:27], v[34:35], -v[30:31]
	v_add_f64 v[16:17], v[16:17], -v[26:27]
	v_add_f64 v[26:27], v[34:35], -v[26:27]
	v_add_f64 v[26:27], v[30:31], -v[26:27]
	v_add_f64 v[16:17], v[16:17], v[26:27]
	v_add_f64 v[22:23], v[24:25], -v[22:23]
	v_add_f64 v[14:15], v[16:17], v[14:15]
	v_fma_f64 v[16:17], v[20:21], v[18:19], -v[30:31]
	v_add_f64 v[24:25], v[22:23], v[36:37]
	v_add_f64 v[14:15], v[16:17], v[14:15]
	v_ldexp_f64 v[16:17], v[28:29], 2
	v_add_f64 v[18:19], v[24:25], v[16:17]
	v_mov_b32_e32 v20, 0x40100000
	v_cmp_gt_f64_e32 vcc, 0, v[18:19]
	v_mov_b32_e32 v32, 0
	v_cndmask_b32_e32 v33, 0, v20, vcc
	v_add_f64 v[22:23], v[24:25], -v[22:23]
	v_add_f64 v[16:17], v[16:17], v[32:33]
	v_add_f64 v[22:23], v[36:37], -v[22:23]
	v_add_f64 v[18:19], v[24:25], v[16:17]
	v_add_f64 v[14:15], v[22:23], v[14:15]
	v_cvt_i32_f64_e32 v22, v[18:19]
	v_cvt_f64_i32_e32 v[18:19], v22
	v_add_f64 v[16:17], v[16:17], -v[18:19]
	v_add_f64 v[20:21], v[24:25], v[16:17]
	v_add_f64 v[16:17], v[20:21], -v[16:17]
	v_add_f64 v[16:17], v[24:25], -v[16:17]
	v_add_f64 v[14:15], v[14:15], v[16:17]
	v_cmp_le_f64_e32 vcc, 0.5, v[20:21]
	v_mov_b32_e32 v16, 0x3ff00000
	v_cndmask_b32_e32 v33, 0, v16, vcc
	v_add_f64 v[16:17], v[20:21], -v[32:33]
	v_add_f64 v[20:21], v[16:17], v[14:15]
	v_addc_co_u32_e64 v18, s[4:5], 0, v22, vcc
	v_add_f64 v[16:17], v[20:21], -v[16:17]
	s_mov_b32 s17, 0x3ff921fb
	v_add_f64 v[14:15], v[14:15], -v[16:17]
	v_mul_f64 v[16:17], v[20:21], s[16:17]
	s_mov_b32 s4, 0x33145c07
	v_fma_f64 v[22:23], v[20:21], s[16:17], -v[16:17]
	s_mov_b32 s5, 0x3c91a626
	v_fmac_f64_e32 v[22:23], s[4:5], v[20:21]
	v_fmac_f64_e32 v[22:23], s[16:17], v[14:15]
	v_add_f64 v[14:15], v[16:17], v[22:23]
	v_add_f64 v[16:17], v[14:15], -v[16:17]
	v_add_f64 v[16:17], v[22:23], -v[16:17]
.LBB214_60:
	s_andn2_saveexec_b64 s[4:5], s[18:19]
	s_cbranch_execz .LBB214_62
; %bb.61:
	s_mov_b32 s16, 0x6dc9c883
	s_mov_b32 s17, 0x3fe45f30
	v_mul_f64 v[14:15], |v[4:5]|, s[16:17]
	s_mov_b32 s16, 0x54442d18
	v_rndne_f64_e32 v[18:19], v[14:15]
	s_mov_b32 s17, 0xbff921fb
	v_fma_f64 v[14:15], v[18:19], s[16:17], |v[4:5]|
	s_mov_b32 s17, 0xbc91a626
	s_mov_b32 s16, 0x33145c00
	v_mul_f64 v[20:21], v[18:19], s[16:17]
	v_add_f64 v[24:25], v[14:15], v[20:21]
	v_fma_f64 v[16:17], s[16:17], v[18:19], v[14:15]
	s_mov_b32 s17, 0x3c91a626
	v_add_f64 v[14:15], v[14:15], -v[24:25]
	v_fma_f64 v[22:23], s[16:17], v[18:19], v[20:21]
	v_add_f64 v[14:15], v[14:15], v[20:21]
	v_add_f64 v[20:21], v[24:25], -v[16:17]
	v_add_f64 v[14:15], v[20:21], v[14:15]
	s_mov_b32 s16, 0x252049c0
	v_add_f64 v[20:21], v[14:15], -v[22:23]
	s_mov_b32 s17, 0xb97b839a
	v_fmac_f64_e32 v[20:21], s[16:17], v[18:19]
	v_add_f64 v[14:15], v[16:17], v[20:21]
	v_add_f64 v[16:17], v[14:15], -v[16:17]
	v_add_f64 v[16:17], v[20:21], -v[16:17]
	v_cvt_i32_f64_e32 v18, v[18:19]
.LBB214_62:
	s_or_b64 exec, exec, s[4:5]
	v_mul_f64 v[20:21], v[14:15], v[14:15]
	v_fma_f64 v[22:23], v[14:15], v[14:15], -v[20:21]
	v_add_f64 v[24:25], v[16:17], v[16:17]
	v_fmac_f64_e32 v[22:23], v[14:15], v[24:25]
	s_mov_b32 s16, 0xc751c08c
	v_add_f64 v[20:21], v[20:21], v[22:23]
	v_mov_b32_e32 v22, 0xa9a29f71
	v_mov_b32_e32 v23, 0xbf078809
	s_mov_b32 s17, 0x3ef5e089
	v_fmac_f64_e32 v[22:23], s[16:17], v[20:21]
	v_mov_b32_e32 v24, 0x90a8aae0
	v_mov_b32_e32 v25, 0x3f17746f
	v_fmac_f64_e32 v[24:25], v[20:21], v[22:23]
	v_mov_b32_e32 v22, 0xa6fbf144
	v_mov_b32_e32 v23, 0xbefbb44d
	;; [unrolled: 3-line block ×12, first 2 shown]
	v_fmac_f64_e32 v[22:23], v[20:21], v[24:25]
	v_mul_f64 v[20:21], v[20:21], v[22:23]
	v_mul_f64 v[22:23], v[14:15], v[20:21]
	v_add_f64 v[24:25], v[14:15], v[22:23]
	v_fma_f64 v[20:21], v[14:15], v[20:21], -v[22:23]
	v_add_f64 v[14:15], v[24:25], -v[14:15]
	v_add_f64 v[14:15], v[22:23], -v[14:15]
	v_add_f64 v[16:17], v[16:17], v[20:21]
	v_add_f64 v[14:15], v[16:17], v[14:15]
	;; [unrolled: 1-line block ×3, first 2 shown]
	v_rcp_f64_e32 v[20:21], v[16:17]
	v_and_b32_e32 v28, 1, v18
	v_add_f64 v[18:19], v[16:17], -v[24:25]
	v_add_f64 v[14:15], v[14:15], -v[18:19]
	v_fma_f64 v[18:19], -v[16:17], v[20:21], 1.0
	v_fmac_f64_e32 v[20:21], v[18:19], v[20:21]
	v_fma_f64 v[18:19], -v[16:17], v[20:21], 1.0
	v_fmac_f64_e32 v[20:21], v[18:19], v[20:21]
	v_mul_f64 v[18:19], v[16:17], v[20:21]
	v_fma_f64 v[22:23], v[20:21], v[16:17], -v[18:19]
	v_fmac_f64_e32 v[22:23], v[20:21], v[14:15]
	v_add_f64 v[14:15], v[18:19], v[22:23]
	v_add_f64 v[24:25], -v[14:15], 1.0
	v_add_f64 v[18:19], v[14:15], -v[18:19]
	v_add_f64 v[26:27], -v[24:25], 1.0
	v_add_f64 v[14:15], v[26:27], -v[14:15]
	v_add_f64 v[18:19], v[18:19], -v[22:23]
	v_add_f64 v[14:15], v[18:19], v[14:15]
	v_add_f64 v[14:15], v[24:25], v[14:15]
	v_mul_f64 v[14:15], v[20:21], v[14:15]
	v_add_f64 v[14:15], v[20:21], v[14:15]
	v_xor_b32_e32 v15, 0x80000000, v15
	v_cmp_eq_u32_e32 vcc, 0, v28
	v_cndmask_b32_e32 v14, v14, v16, vcc
	v_cndmask_b32_e32 v15, v15, v17, vcc
	v_and_b32_e32 v16, 0x80000000, v5
	s_movk_i32 s16, 0x1f8
	v_xor_b32_e32 v15, v15, v16
	v_cmp_class_f64_e64 vcc, v[4:5], s16
	v_mov_b32_e32 v5, 0x7ff80000
	s_mov_b32 s16, 0x54442d18
	v_cndmask_b32_e32 v4, 0, v14, vcc
	v_cndmask_b32_e32 v5, v5, v15, vcc
	s_mov_b32 s17, 0xc00921fb
	v_div_scale_f64 v[14:15], s[18:19], v[4:5], v[4:5], s[16:17]
	v_rcp_f64_e32 v[16:17], v[14:15]
	s_mov_b64 s[4:5], exec
	v_add_f64 v[6:7], -v[6:7], 1.0
	v_fma_f64 v[18:19], -v[14:15], v[16:17], 1.0
	v_fmac_f64_e32 v[16:17], v[16:17], v[18:19]
	v_fma_f64 v[18:19], -v[14:15], v[16:17], 1.0
	v_fmac_f64_e32 v[16:17], v[16:17], v[18:19]
	v_div_scale_f64 v[18:19], vcc, s[16:17], v[4:5], s[16:17]
	v_mul_f64 v[20:21], v[18:19], v[16:17]
	v_fma_f64 v[14:15], -v[14:15], v[20:21], v[18:19]
	s_nop 1
	v_div_fmas_f64 v[14:15], v[14:15], v[16:17], v[20:21]
	v_div_fixup_f64 v[14:15], v[14:15], v[4:5], s[16:17]
.LBB214_63:
	s_or_b64 exec, exec, s[12:13]
	s_mov_b32 s16, 0
	s_mov_b32 s17, 0x7ff00000
	s_orn2_b64 s[12:13], s[4:5], exec
.LBB214_64:
	s_or_b64 exec, exec, s[8:9]
	v_pk_mov_b32 v[4:5], s[16:17], s[16:17] op_sel:[0,1]
	s_and_saveexec_b64 s[4:5], s[12:13]
	s_cbranch_execz .LBB214_76
; %bb.65:
	s_mov_b32 s12, 0
	s_mov_b32 s13, 0x40240000
	v_cmp_gt_f64_e32 vcc, s[12:13], v[6:7]
	v_pk_mov_b32 v[4:5], 0, 0
	s_and_saveexec_b64 s[8:9], vcc
	s_cbranch_execz .LBB214_69
; %bb.66:
	s_mov_b64 s[16:17], 0
	v_pk_mov_b32 v[4:5], 0, 0
.LBB214_67:                             ; =>This Inner Loop Header: Depth=1
	v_div_scale_f64 v[16:17], s[18:19], v[6:7], v[6:7], 1.0
	v_rcp_f64_e32 v[18:19], v[16:17]
	v_div_scale_f64 v[20:21], vcc, 1.0, v[6:7], 1.0
	v_fma_f64 v[22:23], -v[16:17], v[18:19], 1.0
	v_fmac_f64_e32 v[18:19], v[18:19], v[22:23]
	v_fma_f64 v[22:23], -v[16:17], v[18:19], 1.0
	v_fmac_f64_e32 v[18:19], v[18:19], v[22:23]
	v_mul_f64 v[22:23], v[20:21], v[18:19]
	v_fma_f64 v[16:17], -v[16:17], v[22:23], v[20:21]
	v_div_fmas_f64 v[16:17], v[16:17], v[18:19], v[22:23]
	v_div_fixup_f64 v[16:17], v[16:17], v[6:7], 1.0
	v_add_f64 v[6:7], v[6:7], 1.0
	v_cmp_ngt_f64_e32 vcc, s[12:13], v[6:7]
	s_or_b64 s[16:17], vcc, s[16:17]
	v_add_f64 v[4:5], v[4:5], -v[16:17]
	s_andn2_b64 exec, exec, s[16:17]
	s_cbranch_execnz .LBB214_67
; %bb.68:
	s_or_b64 exec, exec, s[16:17]
.LBB214_69:
	s_or_b64 exec, exec, s[8:9]
	s_mov_b32 s8, 0
	s_mov_b32 s9, 0x40240000
	v_cmp_neq_f64_e32 vcc, s[8:9], v[6:7]
                                        ; implicit-def: $vgpr16_vgpr17
	s_and_saveexec_b64 s[8:9], vcc
	s_xor_b64 s[8:9], exec, s[8:9]
	s_cbranch_execz .LBB214_73
; %bb.70:
	s_brev_b32 s12, 1
	s_mov_b32 s13, 0x43763457
	v_cmp_gt_f64_e32 vcc, s[12:13], v[6:7]
	v_pk_mov_b32 v[16:17], 0, 0
	s_and_saveexec_b64 s[12:13], vcc
	s_cbranch_execz .LBB214_72
; %bb.71:
	v_mul_f64 v[16:17], v[6:7], v[6:7]
	v_div_scale_f64 v[18:19], s[16:17], v[16:17], v[16:17], 1.0
	v_rcp_f64_e32 v[20:21], v[18:19]
	v_div_scale_f64 v[22:23], vcc, 1.0, v[16:17], 1.0
	s_mov_b32 s16, 0x55555555
	v_fma_f64 v[24:25], -v[18:19], v[20:21], 1.0
	v_fmac_f64_e32 v[20:21], v[20:21], v[24:25]
	v_fma_f64 v[24:25], -v[18:19], v[20:21], 1.0
	v_fmac_f64_e32 v[20:21], v[20:21], v[24:25]
	v_mul_f64 v[24:25], v[22:23], v[20:21]
	v_fma_f64 v[18:19], -v[18:19], v[24:25], v[22:23]
	v_div_fmas_f64 v[18:19], v[18:19], v[20:21], v[24:25]
	v_div_fixup_f64 v[16:17], v[18:19], v[16:17], 1.0
	s_mov_b32 s17, 0x3fb55555
	v_fma_f64 v[18:19], v[16:17], 0, s[16:17]
	v_mov_b32_e32 v20, 0x95995996
	v_mov_b32_e32 v21, 0xbf959959
	v_fmac_f64_e32 v[20:21], v[16:17], v[18:19]
	v_mov_b32_e32 v18, 0xf07c1f08
	v_mov_b32_e32 v19, 0x3f7f07c1
	v_fmac_f64_e32 v[18:19], v[16:17], v[20:21]
	v_mov_b32_e32 v20, 0x11111111
	v_mov_b32_e32 v21, 0xbf711111
	v_pk_mov_b32 v[22:23], v[20:21], v[20:21] op_sel:[0,1]
	v_fmac_f64_e32 v[22:23], v[16:17], v[18:19]
	v_mov_b32_e32 v18, 0x10410410
	v_mov_b32_e32 v19, 0x3f704104
	v_fmac_f64_e32 v[18:19], v[16:17], v[22:23]
	v_mov_b32_e32 v21, 0xbf811111
	v_fmac_f64_e32 v[20:21], v[16:17], v[18:19]
	v_fma_f64 v[18:19], v[16:17], v[20:21], s[16:17]
	v_mul_f64 v[16:17], v[16:17], v[18:19]
.LBB214_72:
	s_or_b64 exec, exec, s[12:13]
	s_mov_b32 s12, 0x55555555
	v_frexp_mant_f64_e32 v[18:19], v[6:7]
	s_mov_b32 s13, 0x3fe55555
	v_mov_b32_e32 v20, 0x3ff00000
	v_cmp_gt_f64_e32 vcc, s[12:13], v[18:19]
	v_cndmask_b32_e64 v21, v20, 2.0, vcc
	v_mov_b32_e32 v20, 0
	v_mul_f64 v[18:19], v[18:19], v[20:21]
	v_frexp_exp_i32_f64_e32 v22, v[6:7]
	v_add_f64 v[20:21], v[18:19], 1.0
	v_subbrev_co_u32_e32 v32, vcc, 0, v22, vcc
	v_rcp_f64_e32 v[22:23], v[20:21]
	v_add_f64 v[26:27], v[20:21], -1.0
	v_add_f64 v[24:25], v[18:19], -1.0
	v_add_f64 v[18:19], v[18:19], -v[26:27]
	v_fma_f64 v[26:27], -v[20:21], v[22:23], 1.0
	v_fmac_f64_e32 v[22:23], v[26:27], v[22:23]
	v_fma_f64 v[26:27], -v[20:21], v[22:23], 1.0
	v_fmac_f64_e32 v[22:23], v[26:27], v[22:23]
	v_mul_f64 v[26:27], v[24:25], v[22:23]
	v_mul_f64 v[28:29], v[20:21], v[26:27]
	v_fma_f64 v[20:21], v[26:27], v[20:21], -v[28:29]
	v_fmac_f64_e32 v[20:21], v[26:27], v[18:19]
	v_add_f64 v[18:19], v[28:29], v[20:21]
	v_add_f64 v[30:31], v[24:25], -v[18:19]
	v_add_f64 v[28:29], v[18:19], -v[28:29]
	;; [unrolled: 1-line block ×5, first 2 shown]
	v_add_f64 v[18:19], v[20:21], v[18:19]
	v_add_f64 v[18:19], v[30:31], v[18:19]
	v_mul_f64 v[18:19], v[22:23], v[18:19]
	v_add_f64 v[20:21], v[26:27], v[18:19]
	v_add_f64 v[22:23], v[20:21], -v[26:27]
	s_mov_b32 s12, 0xbf559e2b
	v_add_f64 v[18:19], v[18:19], -v[22:23]
	v_mul_f64 v[22:23], v[20:21], v[20:21]
	v_mov_b32_e32 v24, 0x6b47b09a
	v_mov_b32_e32 v25, 0x3fc38538
	s_mov_b32 s13, 0x3fc3ab76
	v_fmac_f64_e32 v[24:25], s[12:13], v[22:23]
	v_mov_b32_e32 v26, 0xd7f4df2e
	v_mov_b32_e32 v27, 0x3fc7474d
	v_fmac_f64_e32 v[26:27], v[22:23], v[24:25]
	v_mov_b32_e32 v24, 0x16291751
	v_mov_b32_e32 v25, 0x3fcc71c0
	;; [unrolled: 3-line block ×5, first 2 shown]
	v_fmac_f64_e32 v[26:27], v[22:23], v[24:25]
	v_ldexp_f64 v[24:25], v[20:21], 1
	v_mul_f64 v[20:21], v[20:21], v[22:23]
	v_mul_f64 v[20:21], v[20:21], v[26:27]
	v_add_f64 v[22:23], v[24:25], v[20:21]
	v_add_f64 v[24:25], v[22:23], -v[24:25]
	v_ldexp_f64 v[18:19], v[18:19], 1
	v_add_f64 v[20:21], v[20:21], -v[24:25]
	v_add_f64 v[18:19], v[18:19], v[20:21]
	v_add_f64 v[20:21], v[22:23], v[18:19]
	v_add_f64 v[22:23], v[20:21], -v[22:23]
	s_mov_b32 s12, 0xfefa39ef
	v_add_f64 v[18:19], v[18:19], -v[22:23]
	v_cvt_f64_i32_e32 v[22:23], v32
	s_mov_b32 s13, 0x3fe62e42
	v_mul_f64 v[24:25], v[22:23], s[12:13]
	v_fma_f64 v[26:27], v[22:23], s[12:13], -v[24:25]
	s_mov_b32 s12, 0x3b39803f
	s_mov_b32 s13, 0x3c7abc9e
	v_fmac_f64_e32 v[26:27], s[12:13], v[22:23]
	v_add_f64 v[22:23], v[24:25], v[26:27]
	v_add_f64 v[24:25], v[22:23], -v[24:25]
	v_add_f64 v[24:25], v[26:27], -v[24:25]
	v_add_f64 v[26:27], v[22:23], v[20:21]
	v_add_f64 v[28:29], v[26:27], -v[22:23]
	v_add_f64 v[30:31], v[26:27], -v[28:29]
	;; [unrolled: 1-line block ×4, first 2 shown]
	v_add_f64 v[20:21], v[20:21], v[22:23]
	v_add_f64 v[22:23], v[24:25], v[18:19]
	v_add_f64 v[28:29], v[22:23], -v[24:25]
	v_add_f64 v[30:31], v[22:23], -v[28:29]
	v_add_f64 v[20:21], v[22:23], v[20:21]
	v_add_f64 v[24:25], v[24:25], -v[30:31]
	v_add_f64 v[18:19], v[18:19], -v[28:29]
	v_add_f64 v[22:23], v[26:27], v[20:21]
	v_add_f64 v[18:19], v[18:19], v[24:25]
	v_add_f64 v[24:25], v[22:23], -v[26:27]
	v_add_f64 v[20:21], v[20:21], -v[24:25]
	v_add_f64 v[18:19], v[18:19], v[20:21]
	v_div_scale_f64 v[20:21], s[12:13], v[6:7], v[6:7], -0.5
	v_add_f64 v[18:19], v[22:23], v[18:19]
	v_rcp_f64_e32 v[22:23], v[20:21]
	s_movk_i32 s16, 0x204
	v_cmp_class_f64_e64 vcc, v[6:7], s16
	v_cndmask_b32_e32 v19, v19, v7, vcc
	v_cndmask_b32_e32 v18, v18, v6, vcc
	v_add_f64 v[4:5], v[4:5], v[18:19]
	v_fma_f64 v[18:19], -v[20:21], v[22:23], 1.0
	v_fmac_f64_e32 v[22:23], v[22:23], v[18:19]
	v_fma_f64 v[18:19], -v[20:21], v[22:23], 1.0
	v_fmac_f64_e32 v[22:23], v[22:23], v[18:19]
	v_div_scale_f64 v[18:19], vcc, -0.5, v[6:7], -0.5
	v_mul_f64 v[24:25], v[18:19], v[22:23]
	v_fma_f64 v[18:19], -v[20:21], v[24:25], v[18:19]
	s_nop 1
	v_div_fmas_f64 v[18:19], v[18:19], v[22:23], v[24:25]
	v_div_fixup_f64 v[6:7], v[18:19], v[6:7], -0.5
	v_add_f64 v[4:5], v[4:5], v[6:7]
	v_add_f64 v[16:17], v[4:5], -v[16:17]
                                        ; implicit-def: $vgpr4_vgpr5
.LBB214_73:
	s_andn2_saveexec_b64 s[8:9], s[8:9]
; %bb.74:
	s_mov_b32 s12, 0xdc85cc95
	s_mov_b32 s13, 0x40020396
	v_add_f64 v[16:17], v[4:5], s[12:13]
; %bb.75:
	s_or_b64 exec, exec, s[8:9]
	v_add_f64 v[4:5], v[14:15], v[16:17]
.LBB214_76:
	s_or_b64 exec, exec, s[4:5]
.LBB214_77:
	s_or_b64 exec, exec, s[6:7]
	v_cmp_neq_f64_e32 vcc, 0, v[2:3]
	s_and_saveexec_b64 s[6:7], vcc
	s_cbranch_execz .LBB214_99
; %bb.78:
	s_mov_b64 s[4:5], 0
	v_cmp_gt_f64_e32 vcc, 0, v[2:3]
	s_mov_b64 s[12:13], -1
	v_pk_mov_b32 v[6:7], 0, 0
                                        ; implicit-def: $sgpr16_sgpr17
	s_and_saveexec_b64 s[8:9], vcc
	s_cbranch_execz .LBB214_86
; %bb.79:
	v_floor_f64_e32 v[0:1], v[2:3]
	v_cmp_neq_f64_e32 vcc, v[0:1], v[2:3]
	v_pk_mov_b32 v[6:7], 0, 0
                                        ; implicit-def: $vgpr12_vgpr13
	s_and_saveexec_b64 s[12:13], vcc
	s_cbranch_execz .LBB214_85
; %bb.80:
	s_mov_b32 s17, 0x400921fb
	s_mov_b32 s16, 0x54442d18
	;; [unrolled: 1-line block ×3, first 2 shown]
	v_mul_f64 v[0:1], v[2:3], s[16:17]
	s_mov_b32 s5, 0x41d00000
	v_cmp_nlt_f64_e64 s[4:5], |v[0:1]|, s[4:5]
                                        ; implicit-def: $vgpr14
                                        ; implicit-def: $vgpr6_vgpr7
                                        ; implicit-def: $vgpr12_vgpr13
	s_and_saveexec_b64 s[18:19], s[4:5]
	s_xor_b64 s[18:19], exec, s[18:19]
	s_cbranch_execz .LBB214_82
; %bb.81:
	s_mov_b32 s4, 0
	s_mov_b32 s5, 0x7b000000
	s_movk_i32 s17, 0xff80
	v_and_b32_e32 v16, 0x7fffffff, v1
	v_ldexp_f64 v[14:15], |v[0:1]|, s17
	v_cmp_ge_f64_e64 vcc, |v[0:1]|, s[4:5]
	v_trig_preop_f64 v[6:7], |v[0:1]|, 0
	v_cndmask_b32_e32 v15, v16, v15, vcc
	v_cndmask_b32_e32 v14, v0, v14, vcc
	v_trig_preop_f64 v[12:13], |v[0:1]|, 1
	v_mul_f64 v[18:19], v[6:7], v[14:15]
	v_mul_f64 v[16:17], v[12:13], v[14:15]
	v_fma_f64 v[6:7], v[6:7], v[14:15], -v[18:19]
	v_add_f64 v[20:21], v[16:17], v[6:7]
	v_add_f64 v[22:23], v[18:19], v[20:21]
	s_mov_b32 s4, 0
	v_ldexp_f64 v[24:25], v[22:23], -2
	s_mov_b32 s5, 0x7ff00000
	v_fract_f64_e32 v[26:27], v[24:25]
	v_cmp_neq_f64_e64 vcc, |v[24:25]|, s[4:5]
	v_cndmask_b32_e32 v25, 0, v27, vcc
	v_cndmask_b32_e32 v24, 0, v26, vcc
	v_add_f64 v[26:27], v[20:21], -v[16:17]
	v_add_f64 v[6:7], v[6:7], -v[26:27]
	;; [unrolled: 1-line block ×4, first 2 shown]
	v_fma_f64 v[12:13], v[12:13], v[14:15], -v[16:17]
	v_trig_preop_f64 v[16:17], |v[0:1]|, 2
	v_add_f64 v[6:7], v[6:7], v[26:27]
	v_mul_f64 v[26:27], v[16:17], v[14:15]
	v_add_f64 v[30:31], v[26:27], v[12:13]
	v_add_f64 v[32:33], v[30:31], v[6:7]
	v_add_f64 v[18:19], v[22:23], -v[18:19]
	v_add_f64 v[22:23], v[32:33], -v[30:31]
	;; [unrolled: 1-line block ×5, first 2 shown]
	v_add_f64 v[6:7], v[6:7], v[22:23]
	v_add_f64 v[22:23], v[30:31], -v[26:27]
	v_add_f64 v[12:13], v[12:13], -v[22:23]
	;; [unrolled: 1-line block ×4, first 2 shown]
	v_add_f64 v[12:13], v[12:13], v[22:23]
	v_add_f64 v[18:19], v[20:21], -v[18:19]
	v_add_f64 v[6:7], v[12:13], v[6:7]
	v_fma_f64 v[12:13], v[16:17], v[14:15], -v[26:27]
	v_add_f64 v[20:21], v[18:19], v[32:33]
	v_add_f64 v[6:7], v[12:13], v[6:7]
	v_ldexp_f64 v[12:13], v[24:25], 2
	v_add_f64 v[14:15], v[20:21], v[12:13]
	v_mov_b32_e32 v16, 0x40100000
	v_cmp_gt_f64_e32 vcc, 0, v[14:15]
	v_mov_b32_e32 v28, 0
	v_cndmask_b32_e32 v29, 0, v16, vcc
	v_add_f64 v[18:19], v[20:21], -v[18:19]
	v_add_f64 v[12:13], v[12:13], v[28:29]
	v_add_f64 v[18:19], v[32:33], -v[18:19]
	v_add_f64 v[14:15], v[20:21], v[12:13]
	v_add_f64 v[6:7], v[18:19], v[6:7]
	v_cvt_i32_f64_e32 v18, v[14:15]
	v_cvt_f64_i32_e32 v[14:15], v18
	v_add_f64 v[12:13], v[12:13], -v[14:15]
	v_add_f64 v[16:17], v[20:21], v[12:13]
	v_add_f64 v[12:13], v[16:17], -v[12:13]
	v_add_f64 v[12:13], v[20:21], -v[12:13]
	v_add_f64 v[6:7], v[6:7], v[12:13]
	v_cmp_le_f64_e32 vcc, 0.5, v[16:17]
	v_mov_b32_e32 v12, 0x3ff00000
	v_cndmask_b32_e32 v29, 0, v12, vcc
	v_add_f64 v[12:13], v[16:17], -v[28:29]
	v_add_f64 v[16:17], v[12:13], v[6:7]
	v_addc_co_u32_e64 v14, s[4:5], 0, v18, vcc
	v_add_f64 v[12:13], v[16:17], -v[12:13]
	s_mov_b32 s17, 0x3ff921fb
	v_add_f64 v[6:7], v[6:7], -v[12:13]
	v_mul_f64 v[12:13], v[16:17], s[16:17]
	s_mov_b32 s4, 0x33145c07
	v_fma_f64 v[18:19], v[16:17], s[16:17], -v[12:13]
	s_mov_b32 s5, 0x3c91a626
	v_fmac_f64_e32 v[18:19], s[4:5], v[16:17]
	v_fmac_f64_e32 v[18:19], s[16:17], v[6:7]
	v_add_f64 v[6:7], v[12:13], v[18:19]
	v_add_f64 v[12:13], v[6:7], -v[12:13]
	v_add_f64 v[12:13], v[18:19], -v[12:13]
.LBB214_82:
	s_andn2_saveexec_b64 s[4:5], s[18:19]
	s_cbranch_execz .LBB214_84
; %bb.83:
	s_mov_b32 s16, 0x6dc9c883
	s_mov_b32 s17, 0x3fe45f30
	v_mul_f64 v[6:7], |v[0:1]|, s[16:17]
	s_mov_b32 s16, 0x54442d18
	v_rndne_f64_e32 v[14:15], v[6:7]
	s_mov_b32 s17, 0xbff921fb
	v_fma_f64 v[6:7], v[14:15], s[16:17], |v[0:1]|
	s_mov_b32 s17, 0xbc91a626
	s_mov_b32 s16, 0x33145c00
	v_mul_f64 v[16:17], v[14:15], s[16:17]
	v_add_f64 v[20:21], v[6:7], v[16:17]
	v_fma_f64 v[12:13], s[16:17], v[14:15], v[6:7]
	s_mov_b32 s17, 0x3c91a626
	v_add_f64 v[6:7], v[6:7], -v[20:21]
	v_fma_f64 v[18:19], s[16:17], v[14:15], v[16:17]
	v_add_f64 v[6:7], v[6:7], v[16:17]
	v_add_f64 v[16:17], v[20:21], -v[12:13]
	v_add_f64 v[6:7], v[16:17], v[6:7]
	s_mov_b32 s16, 0x252049c0
	v_add_f64 v[16:17], v[6:7], -v[18:19]
	s_mov_b32 s17, 0xb97b839a
	v_fmac_f64_e32 v[16:17], s[16:17], v[14:15]
	v_add_f64 v[6:7], v[12:13], v[16:17]
	v_add_f64 v[12:13], v[6:7], -v[12:13]
	v_add_f64 v[12:13], v[16:17], -v[12:13]
	v_cvt_i32_f64_e32 v14, v[14:15]
.LBB214_84:
	s_or_b64 exec, exec, s[4:5]
	v_mul_f64 v[16:17], v[6:7], v[6:7]
	v_fma_f64 v[18:19], v[6:7], v[6:7], -v[16:17]
	v_add_f64 v[20:21], v[12:13], v[12:13]
	v_fmac_f64_e32 v[18:19], v[6:7], v[20:21]
	s_mov_b32 s16, 0xc751c08c
	v_add_f64 v[16:17], v[16:17], v[18:19]
	v_mov_b32_e32 v18, 0xa9a29f71
	v_mov_b32_e32 v19, 0xbf078809
	s_mov_b32 s17, 0x3ef5e089
	v_fmac_f64_e32 v[18:19], s[16:17], v[16:17]
	v_mov_b32_e32 v20, 0x90a8aae0
	v_mov_b32_e32 v21, 0x3f17746f
	v_fmac_f64_e32 v[20:21], v[16:17], v[18:19]
	v_mov_b32_e32 v18, 0xa6fbf144
	v_mov_b32_e32 v19, 0xbefbb44d
	;; [unrolled: 3-line block ×12, first 2 shown]
	v_fmac_f64_e32 v[18:19], v[16:17], v[20:21]
	v_mul_f64 v[16:17], v[16:17], v[18:19]
	v_mul_f64 v[18:19], v[6:7], v[16:17]
	v_add_f64 v[20:21], v[6:7], v[18:19]
	v_fma_f64 v[16:17], v[6:7], v[16:17], -v[18:19]
	v_add_f64 v[6:7], v[20:21], -v[6:7]
	v_add_f64 v[6:7], v[18:19], -v[6:7]
	v_add_f64 v[12:13], v[12:13], v[16:17]
	v_add_f64 v[6:7], v[12:13], v[6:7]
	;; [unrolled: 1-line block ×3, first 2 shown]
	v_rcp_f64_e32 v[16:17], v[12:13]
	v_and_b32_e32 v24, 1, v14
	v_add_f64 v[14:15], v[12:13], -v[20:21]
	v_add_f64 v[6:7], v[6:7], -v[14:15]
	v_fma_f64 v[14:15], -v[12:13], v[16:17], 1.0
	v_fmac_f64_e32 v[16:17], v[14:15], v[16:17]
	v_fma_f64 v[14:15], -v[12:13], v[16:17], 1.0
	v_fmac_f64_e32 v[16:17], v[14:15], v[16:17]
	v_mul_f64 v[14:15], v[12:13], v[16:17]
	v_fma_f64 v[18:19], v[16:17], v[12:13], -v[14:15]
	v_fmac_f64_e32 v[18:19], v[16:17], v[6:7]
	v_add_f64 v[6:7], v[14:15], v[18:19]
	v_add_f64 v[20:21], -v[6:7], 1.0
	v_add_f64 v[14:15], v[6:7], -v[14:15]
	v_add_f64 v[22:23], -v[20:21], 1.0
	v_add_f64 v[6:7], v[22:23], -v[6:7]
	v_add_f64 v[14:15], v[14:15], -v[18:19]
	v_add_f64 v[6:7], v[14:15], v[6:7]
	v_add_f64 v[6:7], v[20:21], v[6:7]
	v_mul_f64 v[6:7], v[16:17], v[6:7]
	v_add_f64 v[6:7], v[16:17], v[6:7]
	v_xor_b32_e32 v7, 0x80000000, v7
	v_cmp_eq_u32_e32 vcc, 0, v24
	v_cndmask_b32_e32 v6, v6, v12, vcc
	v_cndmask_b32_e32 v7, v7, v13, vcc
	v_and_b32_e32 v12, 0x80000000, v1
	s_movk_i32 s16, 0x1f8
	v_xor_b32_e32 v7, v7, v12
	v_cmp_class_f64_e64 vcc, v[0:1], s16
	v_mov_b32_e32 v1, 0x7ff80000
	s_mov_b32 s16, 0x54442d18
	v_cndmask_b32_e32 v0, 0, v6, vcc
	v_cndmask_b32_e32 v1, v1, v7, vcc
	s_mov_b32 s17, 0xc00921fb
	v_div_scale_f64 v[6:7], s[18:19], v[0:1], v[0:1], s[16:17]
	v_rcp_f64_e32 v[12:13], v[6:7]
	s_mov_b64 s[4:5], exec
	v_fma_f64 v[14:15], -v[6:7], v[12:13], 1.0
	v_fmac_f64_e32 v[12:13], v[12:13], v[14:15]
	v_fma_f64 v[14:15], -v[6:7], v[12:13], 1.0
	v_fmac_f64_e32 v[12:13], v[12:13], v[14:15]
	v_div_scale_f64 v[14:15], vcc, s[16:17], v[0:1], s[16:17]
	v_mul_f64 v[16:17], v[14:15], v[12:13]
	v_fma_f64 v[6:7], -v[6:7], v[16:17], v[14:15]
	s_nop 1
	v_div_fmas_f64 v[6:7], v[6:7], v[12:13], v[16:17]
	v_div_fixup_f64 v[6:7], v[6:7], v[0:1], s[16:17]
	v_add_f64 v[12:13], -v[2:3], 1.0
.LBB214_85:
	s_or_b64 exec, exec, s[12:13]
	s_mov_b32 s16, 0
	s_mov_b32 s17, 0x7ff00000
	s_orn2_b64 s[12:13], s[4:5], exec
.LBB214_86:
	s_or_b64 exec, exec, s[8:9]
	v_pk_mov_b32 v[0:1], s[16:17], s[16:17] op_sel:[0,1]
	s_and_saveexec_b64 s[4:5], s[12:13]
	s_cbranch_execz .LBB214_98
; %bb.87:
	s_mov_b32 s12, 0
	s_mov_b32 s13, 0x40240000
	v_cmp_gt_f64_e32 vcc, s[12:13], v[12:13]
	v_pk_mov_b32 v[0:1], 0, 0
	s_and_saveexec_b64 s[8:9], vcc
	s_cbranch_execz .LBB214_91
; %bb.88:
	s_mov_b64 s[16:17], 0
	v_pk_mov_b32 v[0:1], 0, 0
.LBB214_89:                             ; =>This Inner Loop Header: Depth=1
	v_div_scale_f64 v[14:15], s[18:19], v[12:13], v[12:13], 1.0
	v_rcp_f64_e32 v[16:17], v[14:15]
	v_div_scale_f64 v[18:19], vcc, 1.0, v[12:13], 1.0
	v_fma_f64 v[20:21], -v[14:15], v[16:17], 1.0
	v_fmac_f64_e32 v[16:17], v[16:17], v[20:21]
	v_fma_f64 v[20:21], -v[14:15], v[16:17], 1.0
	v_fmac_f64_e32 v[16:17], v[16:17], v[20:21]
	v_mul_f64 v[20:21], v[18:19], v[16:17]
	v_fma_f64 v[14:15], -v[14:15], v[20:21], v[18:19]
	v_div_fmas_f64 v[14:15], v[14:15], v[16:17], v[20:21]
	v_div_fixup_f64 v[14:15], v[14:15], v[12:13], 1.0
	v_add_f64 v[12:13], v[12:13], 1.0
	v_cmp_ngt_f64_e32 vcc, s[12:13], v[12:13]
	s_or_b64 s[16:17], vcc, s[16:17]
	v_add_f64 v[0:1], v[0:1], -v[14:15]
	s_andn2_b64 exec, exec, s[16:17]
	s_cbranch_execnz .LBB214_89
; %bb.90:
	s_or_b64 exec, exec, s[16:17]
.LBB214_91:
	s_or_b64 exec, exec, s[8:9]
	s_mov_b32 s8, 0
	s_mov_b32 s9, 0x40240000
	v_cmp_neq_f64_e32 vcc, s[8:9], v[12:13]
                                        ; implicit-def: $vgpr14_vgpr15
	s_and_saveexec_b64 s[8:9], vcc
	s_xor_b64 s[8:9], exec, s[8:9]
	s_cbranch_execz .LBB214_95
; %bb.92:
	s_brev_b32 s12, 1
	s_mov_b32 s13, 0x43763457
	v_cmp_gt_f64_e32 vcc, s[12:13], v[12:13]
	v_pk_mov_b32 v[14:15], 0, 0
	s_and_saveexec_b64 s[12:13], vcc
	s_cbranch_execz .LBB214_94
; %bb.93:
	v_mul_f64 v[14:15], v[12:13], v[12:13]
	v_div_scale_f64 v[16:17], s[16:17], v[14:15], v[14:15], 1.0
	v_rcp_f64_e32 v[18:19], v[16:17]
	v_div_scale_f64 v[20:21], vcc, 1.0, v[14:15], 1.0
	s_mov_b32 s16, 0x55555555
	v_fma_f64 v[22:23], -v[16:17], v[18:19], 1.0
	v_fmac_f64_e32 v[18:19], v[18:19], v[22:23]
	v_fma_f64 v[22:23], -v[16:17], v[18:19], 1.0
	v_fmac_f64_e32 v[18:19], v[18:19], v[22:23]
	v_mul_f64 v[22:23], v[20:21], v[18:19]
	v_fma_f64 v[16:17], -v[16:17], v[22:23], v[20:21]
	v_div_fmas_f64 v[16:17], v[16:17], v[18:19], v[22:23]
	v_div_fixup_f64 v[14:15], v[16:17], v[14:15], 1.0
	s_mov_b32 s17, 0x3fb55555
	v_fma_f64 v[16:17], v[14:15], 0, s[16:17]
	v_mov_b32_e32 v18, 0x95995996
	v_mov_b32_e32 v19, 0xbf959959
	v_fmac_f64_e32 v[18:19], v[14:15], v[16:17]
	v_mov_b32_e32 v16, 0xf07c1f08
	v_mov_b32_e32 v17, 0x3f7f07c1
	v_fmac_f64_e32 v[16:17], v[14:15], v[18:19]
	v_mov_b32_e32 v18, 0x11111111
	v_mov_b32_e32 v19, 0xbf711111
	v_pk_mov_b32 v[20:21], v[18:19], v[18:19] op_sel:[0,1]
	v_fmac_f64_e32 v[20:21], v[14:15], v[16:17]
	v_mov_b32_e32 v16, 0x10410410
	v_mov_b32_e32 v17, 0x3f704104
	v_fmac_f64_e32 v[16:17], v[14:15], v[20:21]
	v_mov_b32_e32 v19, 0xbf811111
	v_fmac_f64_e32 v[18:19], v[14:15], v[16:17]
	v_fma_f64 v[16:17], v[14:15], v[18:19], s[16:17]
	v_mul_f64 v[14:15], v[14:15], v[16:17]
.LBB214_94:
	s_or_b64 exec, exec, s[12:13]
	s_mov_b32 s12, 0x55555555
	v_frexp_mant_f64_e32 v[16:17], v[12:13]
	s_mov_b32 s13, 0x3fe55555
	v_mov_b32_e32 v18, 0x3ff00000
	v_cmp_gt_f64_e32 vcc, s[12:13], v[16:17]
	v_cndmask_b32_e64 v19, v18, 2.0, vcc
	v_mov_b32_e32 v18, 0
	v_mul_f64 v[16:17], v[16:17], v[18:19]
	v_frexp_exp_i32_f64_e32 v20, v[12:13]
	v_add_f64 v[18:19], v[16:17], 1.0
	v_subbrev_co_u32_e32 v30, vcc, 0, v20, vcc
	v_rcp_f64_e32 v[20:21], v[18:19]
	v_add_f64 v[24:25], v[18:19], -1.0
	v_add_f64 v[22:23], v[16:17], -1.0
	v_add_f64 v[16:17], v[16:17], -v[24:25]
	v_fma_f64 v[24:25], -v[18:19], v[20:21], 1.0
	v_fmac_f64_e32 v[20:21], v[24:25], v[20:21]
	v_fma_f64 v[24:25], -v[18:19], v[20:21], 1.0
	v_fmac_f64_e32 v[20:21], v[24:25], v[20:21]
	v_mul_f64 v[24:25], v[22:23], v[20:21]
	v_mul_f64 v[26:27], v[18:19], v[24:25]
	v_fma_f64 v[18:19], v[24:25], v[18:19], -v[26:27]
	v_fmac_f64_e32 v[18:19], v[24:25], v[16:17]
	v_add_f64 v[16:17], v[26:27], v[18:19]
	v_add_f64 v[28:29], v[22:23], -v[16:17]
	v_add_f64 v[26:27], v[16:17], -v[26:27]
	;; [unrolled: 1-line block ×5, first 2 shown]
	v_add_f64 v[16:17], v[18:19], v[16:17]
	v_add_f64 v[16:17], v[28:29], v[16:17]
	v_mul_f64 v[16:17], v[20:21], v[16:17]
	v_add_f64 v[18:19], v[24:25], v[16:17]
	v_add_f64 v[20:21], v[18:19], -v[24:25]
	s_mov_b32 s12, 0xbf559e2b
	v_add_f64 v[16:17], v[16:17], -v[20:21]
	v_mul_f64 v[20:21], v[18:19], v[18:19]
	v_mov_b32_e32 v22, 0x6b47b09a
	v_mov_b32_e32 v23, 0x3fc38538
	s_mov_b32 s13, 0x3fc3ab76
	v_fmac_f64_e32 v[22:23], s[12:13], v[20:21]
	v_mov_b32_e32 v24, 0xd7f4df2e
	v_mov_b32_e32 v25, 0x3fc7474d
	v_fmac_f64_e32 v[24:25], v[20:21], v[22:23]
	v_mov_b32_e32 v22, 0x16291751
	v_mov_b32_e32 v23, 0x3fcc71c0
	;; [unrolled: 3-line block ×5, first 2 shown]
	v_fmac_f64_e32 v[24:25], v[20:21], v[22:23]
	v_ldexp_f64 v[22:23], v[18:19], 1
	v_mul_f64 v[18:19], v[18:19], v[20:21]
	v_mul_f64 v[18:19], v[18:19], v[24:25]
	v_add_f64 v[20:21], v[22:23], v[18:19]
	v_add_f64 v[22:23], v[20:21], -v[22:23]
	v_ldexp_f64 v[16:17], v[16:17], 1
	v_add_f64 v[18:19], v[18:19], -v[22:23]
	v_add_f64 v[16:17], v[16:17], v[18:19]
	v_add_f64 v[18:19], v[20:21], v[16:17]
	v_add_f64 v[20:21], v[18:19], -v[20:21]
	s_mov_b32 s12, 0xfefa39ef
	v_add_f64 v[16:17], v[16:17], -v[20:21]
	v_cvt_f64_i32_e32 v[20:21], v30
	s_mov_b32 s13, 0x3fe62e42
	v_mul_f64 v[22:23], v[20:21], s[12:13]
	v_fma_f64 v[24:25], v[20:21], s[12:13], -v[22:23]
	s_mov_b32 s12, 0x3b39803f
	s_mov_b32 s13, 0x3c7abc9e
	v_fmac_f64_e32 v[24:25], s[12:13], v[20:21]
	v_add_f64 v[20:21], v[22:23], v[24:25]
	v_add_f64 v[22:23], v[20:21], -v[22:23]
	v_add_f64 v[22:23], v[24:25], -v[22:23]
	v_add_f64 v[24:25], v[20:21], v[18:19]
	v_add_f64 v[26:27], v[24:25], -v[20:21]
	v_add_f64 v[28:29], v[24:25], -v[26:27]
	;; [unrolled: 1-line block ×4, first 2 shown]
	v_add_f64 v[18:19], v[18:19], v[20:21]
	v_add_f64 v[20:21], v[22:23], v[16:17]
	v_add_f64 v[26:27], v[20:21], -v[22:23]
	v_add_f64 v[28:29], v[20:21], -v[26:27]
	v_add_f64 v[18:19], v[20:21], v[18:19]
	v_add_f64 v[22:23], v[22:23], -v[28:29]
	v_add_f64 v[16:17], v[16:17], -v[26:27]
	v_add_f64 v[20:21], v[24:25], v[18:19]
	v_add_f64 v[16:17], v[16:17], v[22:23]
	v_add_f64 v[22:23], v[20:21], -v[24:25]
	v_add_f64 v[18:19], v[18:19], -v[22:23]
	v_add_f64 v[16:17], v[16:17], v[18:19]
	v_div_scale_f64 v[18:19], s[12:13], v[12:13], v[12:13], -0.5
	v_add_f64 v[16:17], v[20:21], v[16:17]
	v_rcp_f64_e32 v[20:21], v[18:19]
	s_movk_i32 s16, 0x204
	v_cmp_class_f64_e64 vcc, v[12:13], s16
	v_cndmask_b32_e32 v17, v17, v13, vcc
	v_cndmask_b32_e32 v16, v16, v12, vcc
	v_add_f64 v[0:1], v[0:1], v[16:17]
	v_fma_f64 v[16:17], -v[18:19], v[20:21], 1.0
	v_fmac_f64_e32 v[20:21], v[20:21], v[16:17]
	v_fma_f64 v[16:17], -v[18:19], v[20:21], 1.0
	v_fmac_f64_e32 v[20:21], v[20:21], v[16:17]
	v_div_scale_f64 v[16:17], vcc, -0.5, v[12:13], -0.5
	v_mul_f64 v[22:23], v[16:17], v[20:21]
	v_fma_f64 v[16:17], -v[18:19], v[22:23], v[16:17]
	s_nop 1
	v_div_fmas_f64 v[16:17], v[16:17], v[20:21], v[22:23]
	v_div_fixup_f64 v[12:13], v[16:17], v[12:13], -0.5
	v_add_f64 v[0:1], v[0:1], v[12:13]
	v_add_f64 v[14:15], v[0:1], -v[14:15]
                                        ; implicit-def: $vgpr0_vgpr1
.LBB214_95:
	s_andn2_saveexec_b64 s[8:9], s[8:9]
; %bb.96:
	s_mov_b32 s12, 0xdc85cc95
	s_mov_b32 s13, 0x40020396
	v_add_f64 v[14:15], v[0:1], s[12:13]
; %bb.97:
	s_or_b64 exec, exec, s[8:9]
	v_add_f64 v[0:1], v[6:7], v[14:15]
.LBB214_98:
	s_or_b64 exec, exec, s[4:5]
.LBB214_99:
	s_or_b64 exec, exec, s[6:7]
	v_add_f64 v[4:5], v[4:5], -v[0:1]
	v_div_scale_f64 v[0:1], s[4:5], v[8:9], v[8:9], v[4:5]
	v_rcp_f64_e32 v[6:7], v[0:1]
	v_div_scale_f64 v[12:13], vcc, v[4:5], v[8:9], v[4:5]
	v_add_f64 v[16:17], v[2:3], -1.0
	v_fma_f64 v[14:15], -v[0:1], v[6:7], 1.0
	v_fmac_f64_e32 v[6:7], v[6:7], v[14:15]
	v_fma_f64 v[14:15], -v[0:1], v[6:7], 1.0
	v_fmac_f64_e32 v[6:7], v[6:7], v[14:15]
	v_mul_f64 v[14:15], v[12:13], v[6:7]
	v_fma_f64 v[0:1], -v[0:1], v[14:15], v[12:13]
	v_div_fmas_f64 v[0:1], v[0:1], v[6:7], v[14:15]
	v_add_f64 v[6:7], v[8:9], 1.0
	v_div_scale_f64 v[12:13], s[4:5], v[6:7], v[6:7], v[10:11]
	v_rcp_f64_e32 v[14:15], v[12:13]
	v_fma_f64 v[18:19], v[16:17], 0, 1.0
	v_div_fixup_f64 v[0:1], v[0:1], v[8:9], v[4:5]
	v_mov_b32_e32 v32, 0x3ff00000
	v_fma_f64 v[20:21], -v[12:13], v[14:15], 1.0
	v_fmac_f64_e32 v[14:15], v[14:15], v[20:21]
	v_fma_f64 v[20:21], -v[12:13], v[14:15], 1.0
	v_fmac_f64_e32 v[14:15], v[14:15], v[20:21]
	v_div_scale_f64 v[20:21], vcc, v[10:11], v[6:7], v[10:11]
	v_mul_f64 v[22:23], v[20:21], v[14:15]
	v_fma_f64 v[12:13], -v[12:13], v[22:23], v[20:21]
	s_mov_b32 s9, 0x3fe62e42
	s_nop 0
	v_div_fmas_f64 v[12:13], v[12:13], v[14:15], v[22:23]
	v_div_fixup_f64 v[6:7], v[12:13], v[6:7], v[10:11]
	v_fma_f64 v[12:13], v[16:17], v[4:5], v[18:19]
	v_fma_f64 v[0:1], -v[6:7], v[12:13], v[0:1]
	v_mul_f64 v[6:7], v[10:11], 0.5
	v_mul_f64 v[6:7], v[6:7], v[10:11]
	v_add_f64 v[12:13], v[8:9], 2.0
	v_div_scale_f64 v[14:15], s[4:5], v[12:13], v[12:13], v[6:7]
	v_rcp_f64_e32 v[20:21], v[14:15]
	v_add_f64 v[22:23], v[2:3], -2.0
	v_fma_f64 v[18:19], v[22:23], v[18:19], v[16:17]
	v_mul_f64 v[16:17], v[16:17], v[22:23]
	v_fma_f64 v[22:23], -v[14:15], v[20:21], 1.0
	v_fmac_f64_e32 v[20:21], v[20:21], v[22:23]
	v_fma_f64 v[22:23], -v[14:15], v[20:21], 1.0
	v_fmac_f64_e32 v[20:21], v[20:21], v[22:23]
	v_div_scale_f64 v[22:23], vcc, v[6:7], v[12:13], v[6:7]
	v_mul_f64 v[24:25], v[22:23], v[20:21]
	s_mov_b32 s4, 0
	v_fma_f64 v[14:15], -v[14:15], v[24:25], v[22:23]
	s_mov_b32 s5, 0xc0080000
	v_div_fmas_f64 v[14:15], v[14:15], v[20:21], v[24:25]
	v_div_scale_f64 v[20:21], s[6:7], s[4:5], s[4:5], v[10:11]
	v_rcp_f64_e32 v[22:23], v[20:21]
	v_div_fixup_f64 v[12:13], v[14:15], v[12:13], v[6:7]
	v_fma_f64 v[14:15], v[16:17], v[4:5], v[18:19]
	v_fmac_f64_e32 v[0:1], v[12:13], v[14:15]
	v_fma_f64 v[12:13], -v[20:21], v[22:23], 1.0
	v_fmac_f64_e32 v[22:23], v[22:23], v[12:13]
	v_fma_f64 v[12:13], -v[20:21], v[22:23], 1.0
	v_fmac_f64_e32 v[22:23], v[22:23], v[12:13]
	v_div_scale_f64 v[12:13], vcc, v[10:11], s[4:5], v[10:11]
	v_mul_f64 v[14:15], v[12:13], v[22:23]
	v_fma_f64 v[12:13], -v[20:21], v[14:15], v[12:13]
	s_mov_b32 s6, 0
	s_nop 0
	v_div_fmas_f64 v[12:13], v[12:13], v[22:23], v[14:15]
	v_div_fixup_f64 v[12:13], v[12:13], s[4:5], v[10:11]
	s_mov_b32 s7, 0x40080000
	v_mul_f64 v[6:7], v[12:13], v[6:7]
	v_add_f64 v[12:13], v[8:9], s[6:7]
	v_div_scale_f64 v[14:15], s[6:7], v[12:13], v[12:13], v[6:7]
	v_rcp_f64_e32 v[20:21], v[14:15]
	v_add_f64 v[22:23], v[2:3], s[4:5]
	v_fma_f64 v[18:19], v[22:23], v[18:19], v[16:17]
	v_mul_f64 v[16:17], v[22:23], v[16:17]
	v_fma_f64 v[22:23], -v[14:15], v[20:21], 1.0
	v_fmac_f64_e32 v[20:21], v[20:21], v[22:23]
	v_fma_f64 v[22:23], -v[14:15], v[20:21], 1.0
	v_fmac_f64_e32 v[20:21], v[20:21], v[22:23]
	v_div_scale_f64 v[22:23], vcc, v[6:7], v[12:13], v[6:7]
	v_mul_f64 v[24:25], v[22:23], v[20:21]
	v_fma_f64 v[14:15], -v[14:15], v[24:25], v[22:23]
	v_add_f64 v[22:23], v[2:3], -4.0
	s_nop 0
	v_div_fmas_f64 v[14:15], v[14:15], v[20:21], v[24:25]
	v_div_fixup_f64 v[12:13], v[14:15], v[12:13], v[6:7]
	v_fma_f64 v[14:15], v[16:17], v[4:5], v[18:19]
	v_fmac_f64_e32 v[0:1], v[12:13], v[14:15]
	v_ldexp_f64 v[12:13], -v[10:11], -2
	v_mul_f64 v[6:7], v[12:13], v[6:7]
	v_add_f64 v[12:13], v[8:9], 4.0
	v_div_scale_f64 v[14:15], s[4:5], v[12:13], v[12:13], v[6:7]
	v_rcp_f64_e32 v[20:21], v[14:15]
	v_fma_f64 v[18:19], v[22:23], v[18:19], v[16:17]
	v_mul_f64 v[16:17], v[22:23], v[16:17]
	s_mov_b32 s4, 0
	v_fma_f64 v[22:23], -v[14:15], v[20:21], 1.0
	v_fmac_f64_e32 v[20:21], v[20:21], v[22:23]
	v_fma_f64 v[22:23], -v[14:15], v[20:21], 1.0
	v_fmac_f64_e32 v[20:21], v[20:21], v[22:23]
	v_div_scale_f64 v[22:23], vcc, v[6:7], v[12:13], v[6:7]
	v_mul_f64 v[24:25], v[22:23], v[20:21]
	v_fma_f64 v[14:15], -v[14:15], v[24:25], v[22:23]
	s_mov_b32 s5, 0xc0140000
	s_nop 0
	v_div_fmas_f64 v[14:15], v[14:15], v[20:21], v[24:25]
	v_div_scale_f64 v[20:21], s[6:7], s[4:5], s[4:5], v[10:11]
	v_rcp_f64_e32 v[22:23], v[20:21]
	v_div_fixup_f64 v[12:13], v[14:15], v[12:13], v[6:7]
	v_fma_f64 v[14:15], v[16:17], v[4:5], v[18:19]
	v_fmac_f64_e32 v[0:1], v[12:13], v[14:15]
	v_fma_f64 v[12:13], -v[20:21], v[22:23], 1.0
	v_fmac_f64_e32 v[22:23], v[22:23], v[12:13]
	v_fma_f64 v[12:13], -v[20:21], v[22:23], 1.0
	v_fmac_f64_e32 v[22:23], v[22:23], v[12:13]
	v_div_scale_f64 v[12:13], vcc, v[10:11], s[4:5], v[10:11]
	v_mul_f64 v[14:15], v[12:13], v[22:23]
	v_fma_f64 v[12:13], -v[20:21], v[14:15], v[12:13]
	s_mov_b32 s6, 0
	s_nop 0
	v_div_fmas_f64 v[12:13], v[12:13], v[22:23], v[14:15]
	v_div_fixup_f64 v[12:13], v[12:13], s[4:5], v[10:11]
	s_mov_b32 s7, 0x40140000
	v_mul_f64 v[6:7], v[12:13], v[6:7]
	v_add_f64 v[12:13], v[8:9], s[6:7]
	v_div_scale_f64 v[14:15], s[6:7], v[12:13], v[12:13], v[6:7]
	v_rcp_f64_e32 v[20:21], v[14:15]
	v_add_f64 v[22:23], v[2:3], s[4:5]
	v_fma_f64 v[18:19], v[22:23], v[18:19], v[16:17]
	v_mul_f64 v[16:17], v[22:23], v[16:17]
	v_fma_f64 v[22:23], -v[14:15], v[20:21], 1.0
	v_fmac_f64_e32 v[20:21], v[20:21], v[22:23]
	v_fma_f64 v[22:23], -v[14:15], v[20:21], 1.0
	v_fmac_f64_e32 v[20:21], v[20:21], v[22:23]
	v_div_scale_f64 v[22:23], vcc, v[6:7], v[12:13], v[6:7]
	v_mul_f64 v[24:25], v[22:23], v[20:21]
	s_mov_b32 s4, 0
	v_fma_f64 v[14:15], -v[14:15], v[24:25], v[22:23]
	s_mov_b32 s5, 0xc0180000
	v_div_fmas_f64 v[14:15], v[14:15], v[20:21], v[24:25]
	v_div_scale_f64 v[20:21], s[6:7], s[4:5], s[4:5], v[10:11]
	v_rcp_f64_e32 v[22:23], v[20:21]
	v_div_fixup_f64 v[12:13], v[14:15], v[12:13], v[6:7]
	v_fma_f64 v[14:15], v[16:17], v[4:5], v[18:19]
	v_fmac_f64_e32 v[0:1], v[12:13], v[14:15]
	v_fma_f64 v[12:13], -v[20:21], v[22:23], 1.0
	v_fmac_f64_e32 v[22:23], v[22:23], v[12:13]
	v_fma_f64 v[12:13], -v[20:21], v[22:23], 1.0
	v_fmac_f64_e32 v[22:23], v[22:23], v[12:13]
	v_div_scale_f64 v[12:13], vcc, v[10:11], s[4:5], v[10:11]
	v_mul_f64 v[14:15], v[12:13], v[22:23]
	v_fma_f64 v[12:13], -v[20:21], v[14:15], v[12:13]
	s_mov_b32 s6, 0
	s_nop 0
	v_div_fmas_f64 v[12:13], v[12:13], v[22:23], v[14:15]
	v_div_fixup_f64 v[12:13], v[12:13], s[4:5], v[10:11]
	s_mov_b32 s7, 0x40180000
	v_mul_f64 v[6:7], v[12:13], v[6:7]
	v_add_f64 v[12:13], v[8:9], s[6:7]
	v_div_scale_f64 v[14:15], s[6:7], v[12:13], v[12:13], v[6:7]
	v_rcp_f64_e32 v[20:21], v[14:15]
	v_add_f64 v[22:23], v[2:3], s[4:5]
	v_fma_f64 v[18:19], v[22:23], v[18:19], v[16:17]
	v_mul_f64 v[16:17], v[22:23], v[16:17]
	v_fma_f64 v[22:23], -v[14:15], v[20:21], 1.0
	v_fmac_f64_e32 v[20:21], v[20:21], v[22:23]
	v_fma_f64 v[22:23], -v[14:15], v[20:21], 1.0
	v_fmac_f64_e32 v[20:21], v[20:21], v[22:23]
	v_div_scale_f64 v[22:23], vcc, v[6:7], v[12:13], v[6:7]
	v_mul_f64 v[24:25], v[22:23], v[20:21]
	s_mov_b32 s4, 0
	v_fma_f64 v[14:15], -v[14:15], v[24:25], v[22:23]
	s_mov_b32 s5, 0xc01c0000
	v_div_fmas_f64 v[14:15], v[14:15], v[20:21], v[24:25]
	v_div_scale_f64 v[20:21], s[6:7], s[4:5], s[4:5], v[10:11]
	v_rcp_f64_e32 v[22:23], v[20:21]
	v_div_fixup_f64 v[12:13], v[14:15], v[12:13], v[6:7]
	v_fma_f64 v[14:15], v[16:17], v[4:5], v[18:19]
	v_fmac_f64_e32 v[0:1], v[12:13], v[14:15]
	v_fma_f64 v[12:13], -v[20:21], v[22:23], 1.0
	v_fmac_f64_e32 v[22:23], v[22:23], v[12:13]
	v_fma_f64 v[12:13], -v[20:21], v[22:23], 1.0
	v_fmac_f64_e32 v[22:23], v[22:23], v[12:13]
	v_div_scale_f64 v[12:13], vcc, v[10:11], s[4:5], v[10:11]
	v_mul_f64 v[14:15], v[12:13], v[22:23]
	v_fma_f64 v[12:13], -v[20:21], v[14:15], v[12:13]
	s_mov_b32 s6, 0
	s_nop 0
	v_div_fmas_f64 v[12:13], v[12:13], v[22:23], v[14:15]
	v_div_fixup_f64 v[12:13], v[12:13], s[4:5], v[10:11]
	s_mov_b32 s7, 0x401c0000
	v_mul_f64 v[6:7], v[12:13], v[6:7]
	v_add_f64 v[12:13], v[8:9], s[6:7]
	v_div_scale_f64 v[14:15], s[6:7], v[12:13], v[12:13], v[6:7]
	v_rcp_f64_e32 v[20:21], v[14:15]
	v_add_f64 v[22:23], v[2:3], s[4:5]
	v_fma_f64 v[18:19], v[22:23], v[18:19], v[16:17]
	v_mul_f64 v[16:17], v[22:23], v[16:17]
	v_fma_f64 v[22:23], -v[14:15], v[20:21], 1.0
	v_fmac_f64_e32 v[20:21], v[20:21], v[22:23]
	v_fma_f64 v[22:23], -v[14:15], v[20:21], 1.0
	v_fmac_f64_e32 v[20:21], v[20:21], v[22:23]
	v_div_scale_f64 v[22:23], vcc, v[6:7], v[12:13], v[6:7]
	v_mul_f64 v[24:25], v[22:23], v[20:21]
	v_fma_f64 v[14:15], -v[14:15], v[24:25], v[22:23]
	s_mov_b32 s6, 0
	s_nop 0
	v_div_fmas_f64 v[14:15], v[14:15], v[20:21], v[24:25]
	v_div_fixup_f64 v[12:13], v[14:15], v[12:13], v[6:7]
	v_fma_f64 v[14:15], v[16:17], v[4:5], v[18:19]
	v_fmac_f64_e32 v[0:1], v[12:13], v[14:15]
	v_ldexp_f64 v[12:13], -v[10:11], -3
	s_mov_b32 s7, 0x40200000
	v_mul_f64 v[6:7], v[12:13], v[6:7]
	v_add_f64 v[8:9], v[8:9], s[6:7]
	v_div_scale_f64 v[12:13], s[6:7], v[8:9], v[8:9], v[6:7]
	v_rcp_f64_e32 v[14:15], v[12:13]
	s_mov_b32 s4, 0
	s_mov_b32 s5, 0xc0200000
	v_add_f64 v[20:21], v[2:3], s[4:5]
	v_fma_f64 v[18:19], v[20:21], v[18:19], v[16:17]
	v_mul_f64 v[16:17], v[20:21], v[16:17]
	v_fma_f64 v[20:21], -v[12:13], v[14:15], 1.0
	v_fmac_f64_e32 v[14:15], v[14:15], v[20:21]
	v_fma_f64 v[20:21], -v[12:13], v[14:15], 1.0
	v_fmac_f64_e32 v[14:15], v[14:15], v[20:21]
	v_div_scale_f64 v[20:21], vcc, v[6:7], v[8:9], v[6:7]
	v_mul_f64 v[22:23], v[20:21], v[14:15]
	v_fma_f64 v[12:13], -v[12:13], v[22:23], v[20:21]
	v_fmac_f64_e32 v[18:19], v[16:17], v[4:5]
	s_nop 0
	v_div_fmas_f64 v[12:13], v[12:13], v[14:15], v[22:23]
	v_div_fixup_f64 v[6:7], v[12:13], v[8:9], v[6:7]
	v_add_f64 v[8:9], -v[10:11], 1.0
	v_fmac_f64_e32 v[0:1], v[6:7], v[18:19]
	v_add_f64 v[6:7], -v[2:3], 1.0
	v_cmp_eq_f64_e32 vcc, 1.0, v[8:9]
	v_cndmask_b32_e32 v3, v7, v32, vcc
	v_cndmask_b32_e64 v2, v6, 0, vcc
	v_cmp_eq_f64_e64 s[4:5], 0, v[2:3]
	v_cndmask_b32_e64 v5, v9, v32, s[4:5]
	v_and_b32_e32 v9, 0x7fffffff, v9
	v_cndmask_b32_e64 v4, v8, 0, s[4:5]
	v_cndmask_b32_e64 v9, v9, v32, s[4:5]
	v_cndmask_b32_e64 v8, v8, 0, s[4:5]
	v_frexp_mant_f64_e32 v[12:13], v[8:9]
	s_mov_b32 s7, 0x3fe55555
	s_mov_b32 s6, 0x55555555
	v_cmp_gt_f64_e64 s[4:5], s[6:7], v[12:13]
	v_mov_b32_e32 v10, 0
	v_cndmask_b32_e64 v11, v32, 2.0, s[4:5]
	v_mul_f64 v[10:11], v[12:13], v[10:11]
	v_frexp_exp_i32_f64_e32 v14, v[8:9]
	v_add_f64 v[12:13], v[10:11], 1.0
	v_subbrev_co_u32_e64 v24, s[4:5], 0, v14, s[4:5]
	v_rcp_f64_e32 v[14:15], v[12:13]
	v_add_f64 v[18:19], v[12:13], -1.0
	v_add_f64 v[16:17], v[10:11], -1.0
	v_add_f64 v[10:11], v[10:11], -v[18:19]
	v_fma_f64 v[18:19], -v[12:13], v[14:15], 1.0
	v_fmac_f64_e32 v[14:15], v[18:19], v[14:15]
	v_fma_f64 v[18:19], -v[12:13], v[14:15], 1.0
	v_fmac_f64_e32 v[14:15], v[18:19], v[14:15]
	v_mul_f64 v[18:19], v[16:17], v[14:15]
	v_mul_f64 v[20:21], v[12:13], v[18:19]
	v_fma_f64 v[12:13], v[18:19], v[12:13], -v[20:21]
	v_fmac_f64_e32 v[12:13], v[18:19], v[10:11]
	v_add_f64 v[10:11], v[20:21], v[12:13]
	v_add_f64 v[22:23], v[16:17], -v[10:11]
	v_add_f64 v[20:21], v[10:11], -v[20:21]
	v_add_f64 v[16:17], v[16:17], -v[22:23]
	v_add_f64 v[10:11], v[16:17], -v[10:11]
	v_add_f64 v[12:13], v[20:21], -v[12:13]
	v_add_f64 v[10:11], v[12:13], v[10:11]
	v_add_f64 v[10:11], v[22:23], v[10:11]
	v_mul_f64 v[10:11], v[14:15], v[10:11]
	v_add_f64 v[12:13], v[18:19], v[10:11]
	v_add_f64 v[14:15], v[12:13], -v[18:19]
	v_add_f64 v[10:11], v[10:11], -v[14:15]
	v_mul_f64 v[14:15], v[12:13], v[12:13]
	v_fma_f64 v[16:17], v[12:13], v[12:13], -v[14:15]
	v_add_f64 v[18:19], v[10:11], v[10:11]
	v_fmac_f64_e32 v[16:17], v[12:13], v[18:19]
	v_add_f64 v[18:19], v[14:15], v[16:17]
	v_add_f64 v[14:15], v[18:19], -v[14:15]
	s_mov_b32 s4, 0x4222de17
	v_add_f64 v[14:15], v[16:17], -v[14:15]
	v_mov_b32_e32 v16, 0x968915a9
	v_mov_b32_e32 v17, 0x3fba6564
	s_mov_b32 s5, 0x3fbdee67
	v_fmac_f64_e32 v[16:17], s[4:5], v[18:19]
	v_mov_b32_e32 v20, 0x3abe935a
	v_mov_b32_e32 v21, 0x3fbe25e4
	v_fmac_f64_e32 v[20:21], v[18:19], v[16:17]
	v_mov_b32_e32 v16, 0x47e6c9c2
	v_mov_b32_e32 v17, 0x3fc110ef
	;; [unrolled: 3-line block ×7, first 2 shown]
	v_fmac_f64_e32 v[20:21], v[18:19], v[16:17]
	v_cvt_f64_i32_e32 v[16:17], v24
	s_mov_b32 s8, 0xfefa39ef
	v_mul_f64 v[22:23], v[16:17], s[8:9]
	v_mul_f64 v[28:29], v[12:13], v[18:19]
	v_fma_f64 v[24:25], v[16:17], s[8:9], -v[22:23]
	s_mov_b32 s17, 0x3c7abc9e
	s_mov_b32 s16, 0x3b39803f
	v_fma_f64 v[30:31], v[18:19], v[12:13], -v[28:29]
	v_fmac_f64_e32 v[24:25], s[16:17], v[16:17]
	v_fmac_f64_e32 v[30:31], v[18:19], v[10:11]
	v_add_f64 v[16:17], v[22:23], v[24:25]
	v_fmac_f64_e32 v[30:31], v[14:15], v[12:13]
	v_add_f64 v[22:23], v[16:17], -v[22:23]
	v_ldexp_f64 v[26:27], v[10:11], 1
	v_add_f64 v[10:11], v[28:29], v[30:31]
	v_add_f64 v[22:23], v[24:25], -v[22:23]
	v_ldexp_f64 v[24:25], v[12:13], 1
	v_add_f64 v[12:13], v[10:11], -v[28:29]
	v_mul_f64 v[28:29], v[18:19], v[20:21]
	v_fma_f64 v[18:19], v[18:19], v[20:21], -v[28:29]
	v_fmac_f64_e32 v[18:19], v[14:15], v[20:21]
	v_add_f64 v[14:15], v[28:29], v[18:19]
	v_add_f64 v[20:21], v[14:15], -v[28:29]
	v_add_f64 v[18:19], v[18:19], -v[20:21]
	v_add_f64 v[20:21], v[14:15], s[6:7]
	s_mov_b32 s7, 0xbfe55555
	s_mov_b32 s4, 0xd5df274d
	v_add_f64 v[28:29], v[20:21], s[6:7]
	s_mov_b32 s5, 0x3c8543b0
	v_add_f64 v[14:15], v[14:15], -v[28:29]
	v_add_f64 v[18:19], v[18:19], s[4:5]
	v_add_f64 v[14:15], v[18:19], v[14:15]
	;; [unrolled: 1-line block ×3, first 2 shown]
	v_add_f64 v[20:21], v[20:21], -v[18:19]
	v_add_f64 v[14:15], v[14:15], v[20:21]
	v_mul_f64 v[20:21], v[10:11], v[18:19]
	v_fma_f64 v[28:29], v[10:11], v[18:19], -v[20:21]
	v_add_f64 v[12:13], v[30:31], -v[12:13]
	v_fmac_f64_e32 v[28:29], v[10:11], v[14:15]
	v_fmac_f64_e32 v[28:29], v[12:13], v[18:19]
	v_add_f64 v[10:11], v[20:21], v[28:29]
	v_add_f64 v[12:13], v[10:11], -v[20:21]
	v_add_f64 v[14:15], v[24:25], v[10:11]
	v_add_f64 v[12:13], v[28:29], -v[12:13]
	v_add_f64 v[18:19], v[14:15], -v[24:25]
	;; [unrolled: 1-line block ×3, first 2 shown]
	v_add_f64 v[12:13], v[26:27], v[12:13]
	v_add_f64 v[10:11], v[12:13], v[10:11]
	;; [unrolled: 1-line block ×3, first 2 shown]
	v_add_f64 v[14:15], v[12:13], -v[14:15]
	v_add_f64 v[10:11], v[10:11], -v[14:15]
	v_add_f64 v[14:15], v[16:17], v[12:13]
	v_add_f64 v[18:19], v[14:15], -v[16:17]
	v_add_f64 v[20:21], v[14:15], -v[18:19]
	;; [unrolled: 1-line block ×4, first 2 shown]
	v_add_f64 v[12:13], v[12:13], v[16:17]
	v_add_f64 v[16:17], v[22:23], v[10:11]
	v_add_f64 v[18:19], v[16:17], -v[22:23]
	v_add_f64 v[12:13], v[16:17], v[12:13]
	v_add_f64 v[20:21], v[16:17], -v[18:19]
	;; [unrolled: 2-line block ×3, first 2 shown]
	v_add_f64 v[10:11], v[10:11], -v[18:19]
	v_add_f64 v[14:15], v[16:17], -v[14:15]
	v_add_f64 v[10:11], v[10:11], v[20:21]
	v_add_f64 v[12:13], v[12:13], -v[14:15]
	v_add_f64 v[10:11], v[10:11], v[12:13]
	v_add_f64 v[12:13], v[16:17], v[10:11]
	v_add_f64 v[14:15], v[12:13], -v[16:17]
	v_add_f64 v[10:11], v[10:11], -v[14:15]
	v_mul_f64 v[14:15], v[2:3], v[12:13]
	v_fma_f64 v[12:13], v[2:3], v[12:13], -v[14:15]
	v_fmac_f64_e32 v[12:13], v[2:3], v[10:11]
	s_movk_i32 s4, 0x204
	v_add_f64 v[10:11], v[14:15], v[12:13]
	v_cmp_class_f64_e64 s[4:5], v[14:15], s4
	s_mov_b32 s12, 0
	v_add_f64 v[16:17], v[10:11], -v[14:15]
	v_cndmask_b32_e64 v11, v11, v15, s[4:5]
	v_cndmask_b32_e64 v10, v10, v14, s[4:5]
	s_mov_b32 s13, 0x7ff00000
	v_add_f64 v[12:13], v[12:13], -v[16:17]
	v_cmp_neq_f64_e64 s[4:5], |v[10:11]|, s[12:13]
	v_cndmask_b32_e64 v13, 0, v13, s[4:5]
	v_cndmask_b32_e64 v12, 0, v12, s[4:5]
	s_mov_b32 s4, 0x652b82fe
	s_mov_b32 s5, 0x3ff71547
	v_mul_f64 v[14:15], v[10:11], s[4:5]
	v_rndne_f64_e32 v[14:15], v[14:15]
	s_mov_b32 s9, 0xbfe62e42
	v_fma_f64 v[16:17], s[8:9], v[14:15], v[10:11]
	s_mov_b32 s17, 0xbc7abc9e
	s_mov_b32 s4, 0x6a5dcb37
	v_fmac_f64_e32 v[16:17], s[16:17], v[14:15]
	v_mov_b32_e32 v18, 0xfca7ab0c
	v_mov_b32_e32 v19, 0x3e928af3
	s_mov_b32 s5, 0x3e5ade15
	v_fmac_f64_e32 v[18:19], s[4:5], v[16:17]
	v_mov_b32_e32 v20, 0x623fde64
	v_mov_b32_e32 v21, 0x3ec71dee
	v_fmac_f64_e32 v[20:21], v[16:17], v[18:19]
	v_mov_b32_e32 v18, 0x7c89e6b0
	v_mov_b32_e32 v19, 0x3efa0199
	;; [unrolled: 3-line block ×8, first 2 shown]
	v_fmac_f64_e32 v[18:19], v[16:17], v[20:21]
	v_fma_f64 v[18:19], v[16:17], v[18:19], 1.0
	s_mov_b32 s4, 0
	v_fma_f64 v[16:17], v[16:17], v[18:19], 1.0
	v_cvt_i32_f64_e32 v14, v[14:15]
	s_mov_b32 s5, 0x40900000
	s_mov_b32 s6, 0
	v_ldexp_f64 v[14:15], v[16:17], v14
	v_cmp_lt_f64_e64 s[4:5], s[4:5], v[10:11]
	v_mov_b32_e32 v18, 0x7ff00000
	s_mov_b32 s7, 0xc090cc00
	v_cndmask_b32_e64 v16, v14, 0, s[4:5]
	v_cndmask_b32_e64 v17, v15, v18, s[4:5]
	v_cmp_ngt_f64_e64 s[6:7], s[6:7], v[10:11]
	v_and_b32_e32 v15, 0x7fffffff, v15
	v_cndmask_b32_e64 v11, 0, v17, s[6:7]
	v_cndmask_b32_e64 v10, 0, v16, s[6:7]
	v_cmp_eq_f64_e64 s[8:9], s[12:13], v[14:15]
	v_pk_mov_b32 v[16:17], v[10:11], v[10:11] op_sel:[0,1]
	s_or_b64 s[4:5], s[4:5], s[8:9]
	v_fmac_f64_e32 v[16:17], v[16:17], v[12:13]
	s_and_b64 s[4:5], s[6:7], s[4:5]
	v_mul_f64 v[12:13], v[2:3], 0.5
	v_cndmask_b32_e64 v16, v16, v10, s[4:5]
	v_cndmask_b32_e64 v17, v17, v11, s[4:5]
	v_trunc_f64_e32 v[10:11], v[2:3]
	v_trunc_f64_e32 v[14:15], v[12:13]
	v_cmp_neq_f64_e64 s[4:5], v[14:15], v[12:13]
	v_cmp_eq_f64_e64 s[6:7], v[10:11], v[2:3]
	s_and_b64 s[4:5], s[6:7], s[4:5]
	s_brev_b32 s18, -2
	v_cndmask_b32_e64 v11, v32, v5, s[4:5]
	v_bfi_b32 v11, s18, v17, v11
	v_mov_b32_e32 v12, 0x7ff80000
	v_and_b32_e32 v7, 0x7fffffff, v7
	v_cndmask_b32_e64 v10, 0, v16, s[6:7]
	v_cndmask_b32_e64 v13, v12, v11, s[6:7]
	v_cmp_gt_f64_e64 s[6:7], 0, v[4:5]
	v_cndmask_b32_e32 v7, v7, v32, vcc
	v_cndmask_b32_e64 v6, v6, 0, vcc
	v_cndmask_b32_e64 v11, v11, v13, s[6:7]
	v_cndmask_b32_e64 v10, v16, v10, s[6:7]
	v_cmp_neq_f64_e32 vcc, v[2:3], v[6:7]
	v_cmp_gt_f64_e64 s[6:7], 1.0, v[8:9]
	s_xor_b64 s[6:7], vcc, s[6:7]
	v_cndmask_b32_e64 v13, v6, 0, s[6:7]
	v_cndmask_b32_e64 v14, v7, 0, s[6:7]
	v_cmp_eq_f64_e32 vcc, 1.0, v[8:9]
	v_cmp_eq_f64_e64 s[6:7], 0, v[4:5]
	v_cmp_gt_f64_e64 s[8:9], 0, v[2:3]
	v_cndmask_b32_e32 v14, v14, v9, vcc
	v_cndmask_b32_e32 v13, v13, v8, vcc
	v_cmp_eq_f64_e32 vcc, s[12:13], v[6:7]
	s_xor_b64 s[8:9], s[8:9], s[6:7]
	v_cndmask_b32_e32 v6, v10, v13, vcc
	v_cndmask_b32_e32 v7, v11, v14, vcc
	v_cmp_eq_f64_e32 vcc, s[12:13], v[8:9]
	v_cndmask_b32_e64 v8, v18, 0, s[8:9]
	v_cndmask_b32_e64 v9, 0, v5, s[4:5]
	v_bfi_b32 v8, s18, v8, v9
	s_or_b64 vcc, vcc, s[6:7]
	v_cndmask_b32_e32 v7, v7, v8, vcc
	v_cndmask_b32_e64 v6, v6, 0, vcc
	v_cmp_o_f64_e32 vcc, v[4:5], v[2:3]
	v_cndmask_b32_e32 v2, 0, v6, vcc
	v_cndmask_b32_e32 v3, v12, v7, vcc
	v_mul_f64 v[0:1], v[2:3], v[0:1]
	v_bfrev_b32_e32 v2, 1
	v_cmp_o_f64_e64 vcc, -v[0:1], -v[0:1]
	v_cndmask_b32_e32 v7, v2, v1, vcc
	v_cndmask_b32_e32 v6, 0, v0, vcc
.LBB214_100:
	s_or_b64 exec, exec, s[10:11]
                                        ; implicit-def: $vgpr10_vgpr11
                                        ; implicit-def: $vgpr8_vgpr9
                                        ; implicit-def: $vgpr0_vgpr1
                                        ; implicit-def: $vgpr2_vgpr3
                                        ; implicit-def: $vgpr12_vgpr13
.LBB214_101:
	s_andn2_saveexec_b64 s[10:11], s[14:15]
	s_cbranch_execz .LBB214_149
; %bb.102:
	v_mov_b32_e32 v4, 0
	v_mov_b32_e32 v5, 0x7ff00000
	v_cmp_neq_f64_e32 vcc, 0, v[2:3]
	v_pk_mov_b32 v[6:7], v[4:5], v[4:5] op_sel:[0,1]
	s_and_saveexec_b64 s[6:7], vcc
	s_cbranch_execz .LBB214_124
; %bb.103:
	v_cmp_gt_f64_e32 vcc, 0, v[2:3]
	s_mov_b64 s[12:13], -1
	v_pk_mov_b32 v[14:15], 0, 0
                                        ; implicit-def: $sgpr14_sgpr15
	s_and_saveexec_b64 s[8:9], vcc
	s_cbranch_execz .LBB214_111
; %bb.104:
	v_floor_f64_e32 v[6:7], v[2:3]
	v_cmp_neq_f64_e32 vcc, v[6:7], v[2:3]
	s_mov_b64 s[4:5], 0
	v_pk_mov_b32 v[14:15], 0, 0
                                        ; implicit-def: $vgpr12_vgpr13
	s_and_saveexec_b64 s[12:13], vcc
	s_cbranch_execz .LBB214_110
; %bb.105:
	s_mov_b32 s15, 0x400921fb
	s_mov_b32 s14, 0x54442d18
	;; [unrolled: 1-line block ×3, first 2 shown]
	v_mul_f64 v[6:7], v[2:3], s[14:15]
	s_mov_b32 s5, 0x41d00000
	v_cmp_nlt_f64_e64 s[4:5], |v[6:7]|, s[4:5]
                                        ; implicit-def: $vgpr16
                                        ; implicit-def: $vgpr12_vgpr13
                                        ; implicit-def: $vgpr14_vgpr15
	s_and_saveexec_b64 s[16:17], s[4:5]
	s_xor_b64 s[16:17], exec, s[16:17]
	s_cbranch_execz .LBB214_107
; %bb.106:
	s_mov_b32 s4, 0
	s_mov_b32 s5, 0x7b000000
	s_movk_i32 s15, 0xff80
	v_and_b32_e32 v18, 0x7fffffff, v7
	v_ldexp_f64 v[16:17], |v[6:7]|, s15
	v_cmp_ge_f64_e64 vcc, |v[6:7]|, s[4:5]
	v_trig_preop_f64 v[12:13], |v[6:7]|, 0
	v_cndmask_b32_e32 v17, v18, v17, vcc
	v_cndmask_b32_e32 v16, v6, v16, vcc
	v_trig_preop_f64 v[14:15], |v[6:7]|, 1
	v_mul_f64 v[20:21], v[12:13], v[16:17]
	v_mul_f64 v[18:19], v[14:15], v[16:17]
	v_fma_f64 v[12:13], v[12:13], v[16:17], -v[20:21]
	v_add_f64 v[22:23], v[18:19], v[12:13]
	v_add_f64 v[24:25], v[20:21], v[22:23]
	s_mov_b32 s4, 0
	v_ldexp_f64 v[26:27], v[24:25], -2
	s_mov_b32 s5, 0x7ff00000
	v_fract_f64_e32 v[28:29], v[26:27]
	v_cmp_neq_f64_e64 vcc, |v[26:27]|, s[4:5]
	v_cndmask_b32_e32 v27, 0, v29, vcc
	v_cndmask_b32_e32 v26, 0, v28, vcc
	v_add_f64 v[28:29], v[22:23], -v[18:19]
	v_add_f64 v[12:13], v[12:13], -v[28:29]
	;; [unrolled: 1-line block ×4, first 2 shown]
	v_fma_f64 v[14:15], v[14:15], v[16:17], -v[18:19]
	v_trig_preop_f64 v[18:19], |v[6:7]|, 2
	v_add_f64 v[12:13], v[12:13], v[28:29]
	v_mul_f64 v[28:29], v[18:19], v[16:17]
	v_add_f64 v[32:33], v[28:29], v[14:15]
	v_add_f64 v[34:35], v[32:33], v[12:13]
	v_add_f64 v[20:21], v[24:25], -v[20:21]
	v_add_f64 v[24:25], v[34:35], -v[32:33]
	;; [unrolled: 1-line block ×5, first 2 shown]
	v_add_f64 v[12:13], v[12:13], v[24:25]
	v_add_f64 v[24:25], v[32:33], -v[28:29]
	v_add_f64 v[14:15], v[14:15], -v[24:25]
	;; [unrolled: 1-line block ×4, first 2 shown]
	v_add_f64 v[14:15], v[14:15], v[24:25]
	v_add_f64 v[20:21], v[22:23], -v[20:21]
	v_add_f64 v[12:13], v[14:15], v[12:13]
	v_fma_f64 v[14:15], v[18:19], v[16:17], -v[28:29]
	v_add_f64 v[22:23], v[20:21], v[34:35]
	v_add_f64 v[12:13], v[14:15], v[12:13]
	v_ldexp_f64 v[14:15], v[26:27], 2
	v_add_f64 v[16:17], v[22:23], v[14:15]
	v_mov_b32_e32 v18, 0x40100000
	v_cmp_gt_f64_e32 vcc, 0, v[16:17]
	v_mov_b32_e32 v30, 0
	v_cndmask_b32_e32 v31, 0, v18, vcc
	v_add_f64 v[20:21], v[22:23], -v[20:21]
	v_add_f64 v[14:15], v[14:15], v[30:31]
	v_add_f64 v[20:21], v[34:35], -v[20:21]
	v_add_f64 v[16:17], v[22:23], v[14:15]
	v_add_f64 v[12:13], v[20:21], v[12:13]
	v_cvt_i32_f64_e32 v20, v[16:17]
	v_cvt_f64_i32_e32 v[16:17], v20
	v_add_f64 v[14:15], v[14:15], -v[16:17]
	v_add_f64 v[18:19], v[22:23], v[14:15]
	v_add_f64 v[14:15], v[18:19], -v[14:15]
	v_add_f64 v[14:15], v[22:23], -v[14:15]
	v_add_f64 v[12:13], v[12:13], v[14:15]
	v_cmp_le_f64_e32 vcc, 0.5, v[18:19]
	v_mov_b32_e32 v14, 0x3ff00000
	v_cndmask_b32_e32 v31, 0, v14, vcc
	v_add_f64 v[14:15], v[18:19], -v[30:31]
	v_add_f64 v[18:19], v[14:15], v[12:13]
	v_addc_co_u32_e64 v16, s[4:5], 0, v20, vcc
	v_add_f64 v[14:15], v[18:19], -v[14:15]
	s_mov_b32 s15, 0x3ff921fb
	v_add_f64 v[12:13], v[12:13], -v[14:15]
	v_mul_f64 v[14:15], v[18:19], s[14:15]
	s_mov_b32 s4, 0x33145c07
	v_fma_f64 v[20:21], v[18:19], s[14:15], -v[14:15]
	s_mov_b32 s5, 0x3c91a626
	v_fmac_f64_e32 v[20:21], s[4:5], v[18:19]
	v_fmac_f64_e32 v[20:21], s[14:15], v[12:13]
	v_add_f64 v[12:13], v[14:15], v[20:21]
	v_add_f64 v[14:15], v[12:13], -v[14:15]
	v_add_f64 v[14:15], v[20:21], -v[14:15]
.LBB214_107:
	s_andn2_saveexec_b64 s[4:5], s[16:17]
	s_cbranch_execz .LBB214_109
; %bb.108:
	s_mov_b32 s14, 0x6dc9c883
	s_mov_b32 s15, 0x3fe45f30
	v_mul_f64 v[12:13], |v[6:7]|, s[14:15]
	s_mov_b32 s14, 0x54442d18
	v_rndne_f64_e32 v[16:17], v[12:13]
	s_mov_b32 s15, 0xbff921fb
	v_fma_f64 v[12:13], v[16:17], s[14:15], |v[6:7]|
	s_mov_b32 s15, 0xbc91a626
	s_mov_b32 s14, 0x33145c00
	v_mul_f64 v[18:19], v[16:17], s[14:15]
	v_add_f64 v[22:23], v[12:13], v[18:19]
	v_fma_f64 v[14:15], s[14:15], v[16:17], v[12:13]
	s_mov_b32 s15, 0x3c91a626
	v_add_f64 v[12:13], v[12:13], -v[22:23]
	v_fma_f64 v[20:21], s[14:15], v[16:17], v[18:19]
	v_add_f64 v[12:13], v[12:13], v[18:19]
	v_add_f64 v[18:19], v[22:23], -v[14:15]
	v_add_f64 v[12:13], v[18:19], v[12:13]
	s_mov_b32 s14, 0x252049c0
	v_add_f64 v[18:19], v[12:13], -v[20:21]
	s_mov_b32 s15, 0xb97b839a
	v_fmac_f64_e32 v[18:19], s[14:15], v[16:17]
	v_add_f64 v[12:13], v[14:15], v[18:19]
	v_add_f64 v[14:15], v[12:13], -v[14:15]
	v_add_f64 v[14:15], v[18:19], -v[14:15]
	v_cvt_i32_f64_e32 v16, v[16:17]
.LBB214_109:
	s_or_b64 exec, exec, s[4:5]
	v_mul_f64 v[18:19], v[12:13], v[12:13]
	v_fma_f64 v[20:21], v[12:13], v[12:13], -v[18:19]
	v_add_f64 v[22:23], v[14:15], v[14:15]
	v_fmac_f64_e32 v[20:21], v[12:13], v[22:23]
	s_mov_b32 s14, 0xc751c08c
	v_add_f64 v[18:19], v[18:19], v[20:21]
	v_mov_b32_e32 v20, 0xa9a29f71
	v_mov_b32_e32 v21, 0xbf078809
	s_mov_b32 s15, 0x3ef5e089
	v_fmac_f64_e32 v[20:21], s[14:15], v[18:19]
	v_mov_b32_e32 v22, 0x90a8aae0
	v_mov_b32_e32 v23, 0x3f17746f
	v_fmac_f64_e32 v[22:23], v[18:19], v[20:21]
	v_mov_b32_e32 v20, 0xa6fbf144
	v_mov_b32_e32 v21, 0xbefbb44d
	;; [unrolled: 3-line block ×12, first 2 shown]
	v_fmac_f64_e32 v[20:21], v[18:19], v[22:23]
	v_mul_f64 v[18:19], v[18:19], v[20:21]
	v_mul_f64 v[20:21], v[12:13], v[18:19]
	v_add_f64 v[22:23], v[12:13], v[20:21]
	v_fma_f64 v[18:19], v[12:13], v[18:19], -v[20:21]
	v_add_f64 v[12:13], v[22:23], -v[12:13]
	v_add_f64 v[12:13], v[20:21], -v[12:13]
	v_add_f64 v[14:15], v[14:15], v[18:19]
	v_add_f64 v[12:13], v[14:15], v[12:13]
	v_add_f64 v[14:15], v[22:23], v[12:13]
	v_rcp_f64_e32 v[18:19], v[14:15]
	v_and_b32_e32 v26, 1, v16
	v_add_f64 v[16:17], v[14:15], -v[22:23]
	v_add_f64 v[12:13], v[12:13], -v[16:17]
	v_fma_f64 v[16:17], -v[14:15], v[18:19], 1.0
	v_fmac_f64_e32 v[18:19], v[16:17], v[18:19]
	v_fma_f64 v[16:17], -v[14:15], v[18:19], 1.0
	v_fmac_f64_e32 v[18:19], v[16:17], v[18:19]
	v_mul_f64 v[16:17], v[14:15], v[18:19]
	v_fma_f64 v[20:21], v[18:19], v[14:15], -v[16:17]
	v_fmac_f64_e32 v[20:21], v[18:19], v[12:13]
	v_add_f64 v[12:13], v[16:17], v[20:21]
	v_add_f64 v[22:23], -v[12:13], 1.0
	v_add_f64 v[16:17], v[12:13], -v[16:17]
	v_add_f64 v[24:25], -v[22:23], 1.0
	v_add_f64 v[12:13], v[24:25], -v[12:13]
	v_add_f64 v[16:17], v[16:17], -v[20:21]
	v_add_f64 v[12:13], v[16:17], v[12:13]
	v_add_f64 v[12:13], v[22:23], v[12:13]
	v_mul_f64 v[12:13], v[18:19], v[12:13]
	v_add_f64 v[12:13], v[18:19], v[12:13]
	v_xor_b32_e32 v13, 0x80000000, v13
	v_cmp_eq_u32_e32 vcc, 0, v26
	v_cndmask_b32_e32 v12, v12, v14, vcc
	v_cndmask_b32_e32 v13, v13, v15, vcc
	v_and_b32_e32 v14, 0x80000000, v7
	s_movk_i32 s14, 0x1f8
	v_xor_b32_e32 v13, v13, v14
	v_cmp_class_f64_e64 vcc, v[6:7], s14
	v_mov_b32_e32 v7, 0x7ff80000
	s_mov_b32 s14, 0x54442d18
	v_cndmask_b32_e32 v6, 0, v12, vcc
	v_cndmask_b32_e32 v7, v7, v13, vcc
	s_mov_b32 s15, 0xc00921fb
	v_div_scale_f64 v[12:13], s[16:17], v[6:7], v[6:7], s[14:15]
	v_rcp_f64_e32 v[14:15], v[12:13]
	s_mov_b64 s[4:5], exec
	v_fma_f64 v[16:17], -v[12:13], v[14:15], 1.0
	v_fmac_f64_e32 v[14:15], v[14:15], v[16:17]
	v_fma_f64 v[16:17], -v[12:13], v[14:15], 1.0
	v_fmac_f64_e32 v[14:15], v[14:15], v[16:17]
	v_div_scale_f64 v[16:17], vcc, s[14:15], v[6:7], s[14:15]
	v_mul_f64 v[18:19], v[16:17], v[14:15]
	v_fma_f64 v[12:13], -v[12:13], v[18:19], v[16:17]
	s_nop 1
	v_div_fmas_f64 v[12:13], v[12:13], v[14:15], v[18:19]
	v_div_fixup_f64 v[14:15], v[12:13], v[6:7], s[14:15]
	v_add_f64 v[12:13], -v[2:3], 1.0
.LBB214_110:
	s_or_b64 exec, exec, s[12:13]
	s_mov_b32 s14, 0
	s_mov_b32 s15, 0x7ff00000
	s_orn2_b64 s[12:13], s[4:5], exec
.LBB214_111:
	s_or_b64 exec, exec, s[8:9]
	v_pk_mov_b32 v[6:7], s[14:15], s[14:15] op_sel:[0,1]
	s_and_saveexec_b64 s[4:5], s[12:13]
	s_cbranch_execz .LBB214_123
; %bb.112:
	s_mov_b32 s12, 0
	s_mov_b32 s13, 0x40240000
	v_cmp_gt_f64_e32 vcc, s[12:13], v[12:13]
	v_pk_mov_b32 v[6:7], 0, 0
	s_and_saveexec_b64 s[8:9], vcc
	s_cbranch_execz .LBB214_116
; %bb.113:
	s_mov_b64 s[14:15], 0
	v_pk_mov_b32 v[6:7], 0, 0
.LBB214_114:                            ; =>This Inner Loop Header: Depth=1
	v_div_scale_f64 v[16:17], s[16:17], v[12:13], v[12:13], 1.0
	v_rcp_f64_e32 v[18:19], v[16:17]
	v_div_scale_f64 v[20:21], vcc, 1.0, v[12:13], 1.0
	v_fma_f64 v[22:23], -v[16:17], v[18:19], 1.0
	v_fmac_f64_e32 v[18:19], v[18:19], v[22:23]
	v_fma_f64 v[22:23], -v[16:17], v[18:19], 1.0
	v_fmac_f64_e32 v[18:19], v[18:19], v[22:23]
	v_mul_f64 v[22:23], v[20:21], v[18:19]
	v_fma_f64 v[16:17], -v[16:17], v[22:23], v[20:21]
	v_div_fmas_f64 v[16:17], v[16:17], v[18:19], v[22:23]
	v_div_fixup_f64 v[16:17], v[16:17], v[12:13], 1.0
	v_add_f64 v[12:13], v[12:13], 1.0
	v_cmp_ngt_f64_e32 vcc, s[12:13], v[12:13]
	s_or_b64 s[14:15], vcc, s[14:15]
	v_add_f64 v[6:7], v[6:7], -v[16:17]
	s_andn2_b64 exec, exec, s[14:15]
	s_cbranch_execnz .LBB214_114
; %bb.115:
	s_or_b64 exec, exec, s[14:15]
.LBB214_116:
	s_or_b64 exec, exec, s[8:9]
	s_mov_b32 s8, 0
	s_mov_b32 s9, 0x40240000
	v_cmp_neq_f64_e32 vcc, s[8:9], v[12:13]
                                        ; implicit-def: $vgpr16_vgpr17
	s_and_saveexec_b64 s[8:9], vcc
	s_xor_b64 s[8:9], exec, s[8:9]
	s_cbranch_execz .LBB214_120
; %bb.117:
	s_brev_b32 s12, 1
	s_mov_b32 s13, 0x43763457
	v_cmp_gt_f64_e32 vcc, s[12:13], v[12:13]
	v_pk_mov_b32 v[16:17], 0, 0
	s_and_saveexec_b64 s[12:13], vcc
	s_cbranch_execz .LBB214_119
; %bb.118:
	v_mul_f64 v[16:17], v[12:13], v[12:13]
	v_div_scale_f64 v[18:19], s[14:15], v[16:17], v[16:17], 1.0
	v_rcp_f64_e32 v[20:21], v[18:19]
	v_div_scale_f64 v[22:23], vcc, 1.0, v[16:17], 1.0
	s_mov_b32 s14, 0x55555555
	v_fma_f64 v[24:25], -v[18:19], v[20:21], 1.0
	v_fmac_f64_e32 v[20:21], v[20:21], v[24:25]
	v_fma_f64 v[24:25], -v[18:19], v[20:21], 1.0
	v_fmac_f64_e32 v[20:21], v[20:21], v[24:25]
	v_mul_f64 v[24:25], v[22:23], v[20:21]
	v_fma_f64 v[18:19], -v[18:19], v[24:25], v[22:23]
	v_div_fmas_f64 v[18:19], v[18:19], v[20:21], v[24:25]
	v_div_fixup_f64 v[16:17], v[18:19], v[16:17], 1.0
	s_mov_b32 s15, 0x3fb55555
	v_fma_f64 v[18:19], v[16:17], 0, s[14:15]
	v_mov_b32_e32 v20, 0x95995996
	v_mov_b32_e32 v21, 0xbf959959
	v_fmac_f64_e32 v[20:21], v[16:17], v[18:19]
	v_mov_b32_e32 v18, 0xf07c1f08
	v_mov_b32_e32 v19, 0x3f7f07c1
	v_fmac_f64_e32 v[18:19], v[16:17], v[20:21]
	v_mov_b32_e32 v20, 0x11111111
	v_mov_b32_e32 v21, 0xbf711111
	v_pk_mov_b32 v[22:23], v[20:21], v[20:21] op_sel:[0,1]
	v_fmac_f64_e32 v[22:23], v[16:17], v[18:19]
	v_mov_b32_e32 v18, 0x10410410
	v_mov_b32_e32 v19, 0x3f704104
	v_fmac_f64_e32 v[18:19], v[16:17], v[22:23]
	v_mov_b32_e32 v21, 0xbf811111
	v_fmac_f64_e32 v[20:21], v[16:17], v[18:19]
	v_fma_f64 v[18:19], v[16:17], v[20:21], s[14:15]
	v_mul_f64 v[16:17], v[16:17], v[18:19]
.LBB214_119:
	s_or_b64 exec, exec, s[12:13]
	s_mov_b32 s12, 0x55555555
	v_frexp_mant_f64_e32 v[18:19], v[12:13]
	s_mov_b32 s13, 0x3fe55555
	v_mov_b32_e32 v20, 0x3ff00000
	v_cmp_gt_f64_e32 vcc, s[12:13], v[18:19]
	v_cndmask_b32_e64 v21, v20, 2.0, vcc
	v_mov_b32_e32 v20, 0
	v_mul_f64 v[18:19], v[18:19], v[20:21]
	v_frexp_exp_i32_f64_e32 v22, v[12:13]
	v_add_f64 v[20:21], v[18:19], 1.0
	v_subbrev_co_u32_e32 v32, vcc, 0, v22, vcc
	v_rcp_f64_e32 v[22:23], v[20:21]
	v_add_f64 v[26:27], v[20:21], -1.0
	v_add_f64 v[24:25], v[18:19], -1.0
	v_add_f64 v[18:19], v[18:19], -v[26:27]
	v_fma_f64 v[26:27], -v[20:21], v[22:23], 1.0
	v_fmac_f64_e32 v[22:23], v[26:27], v[22:23]
	v_fma_f64 v[26:27], -v[20:21], v[22:23], 1.0
	v_fmac_f64_e32 v[22:23], v[26:27], v[22:23]
	v_mul_f64 v[26:27], v[24:25], v[22:23]
	v_mul_f64 v[28:29], v[20:21], v[26:27]
	v_fma_f64 v[20:21], v[26:27], v[20:21], -v[28:29]
	v_fmac_f64_e32 v[20:21], v[26:27], v[18:19]
	v_add_f64 v[18:19], v[28:29], v[20:21]
	v_add_f64 v[30:31], v[24:25], -v[18:19]
	v_add_f64 v[28:29], v[18:19], -v[28:29]
	;; [unrolled: 1-line block ×5, first 2 shown]
	v_add_f64 v[18:19], v[20:21], v[18:19]
	v_add_f64 v[18:19], v[30:31], v[18:19]
	v_mul_f64 v[18:19], v[22:23], v[18:19]
	v_add_f64 v[20:21], v[26:27], v[18:19]
	v_add_f64 v[22:23], v[20:21], -v[26:27]
	s_mov_b32 s12, 0xbf559e2b
	v_add_f64 v[18:19], v[18:19], -v[22:23]
	v_mul_f64 v[22:23], v[20:21], v[20:21]
	v_mov_b32_e32 v24, 0x6b47b09a
	v_mov_b32_e32 v25, 0x3fc38538
	s_mov_b32 s13, 0x3fc3ab76
	v_fmac_f64_e32 v[24:25], s[12:13], v[22:23]
	v_mov_b32_e32 v26, 0xd7f4df2e
	v_mov_b32_e32 v27, 0x3fc7474d
	v_fmac_f64_e32 v[26:27], v[22:23], v[24:25]
	v_mov_b32_e32 v24, 0x16291751
	v_mov_b32_e32 v25, 0x3fcc71c0
	;; [unrolled: 3-line block ×5, first 2 shown]
	v_fmac_f64_e32 v[26:27], v[22:23], v[24:25]
	v_ldexp_f64 v[24:25], v[20:21], 1
	v_mul_f64 v[20:21], v[20:21], v[22:23]
	v_mul_f64 v[20:21], v[20:21], v[26:27]
	v_add_f64 v[22:23], v[24:25], v[20:21]
	v_add_f64 v[24:25], v[22:23], -v[24:25]
	v_ldexp_f64 v[18:19], v[18:19], 1
	v_add_f64 v[20:21], v[20:21], -v[24:25]
	v_add_f64 v[18:19], v[18:19], v[20:21]
	v_add_f64 v[20:21], v[22:23], v[18:19]
	v_add_f64 v[22:23], v[20:21], -v[22:23]
	s_mov_b32 s12, 0xfefa39ef
	v_add_f64 v[18:19], v[18:19], -v[22:23]
	v_cvt_f64_i32_e32 v[22:23], v32
	s_mov_b32 s13, 0x3fe62e42
	v_mul_f64 v[24:25], v[22:23], s[12:13]
	v_fma_f64 v[26:27], v[22:23], s[12:13], -v[24:25]
	s_mov_b32 s12, 0x3b39803f
	s_mov_b32 s13, 0x3c7abc9e
	v_fmac_f64_e32 v[26:27], s[12:13], v[22:23]
	v_add_f64 v[22:23], v[24:25], v[26:27]
	v_add_f64 v[24:25], v[22:23], -v[24:25]
	v_add_f64 v[24:25], v[26:27], -v[24:25]
	v_add_f64 v[26:27], v[22:23], v[20:21]
	v_add_f64 v[28:29], v[26:27], -v[22:23]
	v_add_f64 v[30:31], v[26:27], -v[28:29]
	;; [unrolled: 1-line block ×4, first 2 shown]
	v_add_f64 v[20:21], v[20:21], v[22:23]
	v_add_f64 v[22:23], v[24:25], v[18:19]
	v_add_f64 v[28:29], v[22:23], -v[24:25]
	v_add_f64 v[30:31], v[22:23], -v[28:29]
	v_add_f64 v[20:21], v[22:23], v[20:21]
	v_add_f64 v[24:25], v[24:25], -v[30:31]
	v_add_f64 v[18:19], v[18:19], -v[28:29]
	v_add_f64 v[22:23], v[26:27], v[20:21]
	v_add_f64 v[18:19], v[18:19], v[24:25]
	v_add_f64 v[24:25], v[22:23], -v[26:27]
	v_add_f64 v[20:21], v[20:21], -v[24:25]
	v_add_f64 v[18:19], v[18:19], v[20:21]
	v_div_scale_f64 v[20:21], s[12:13], v[12:13], v[12:13], -0.5
	v_add_f64 v[18:19], v[22:23], v[18:19]
	v_rcp_f64_e32 v[22:23], v[20:21]
	s_movk_i32 s14, 0x204
	v_cmp_class_f64_e64 vcc, v[12:13], s14
	v_cndmask_b32_e32 v19, v19, v13, vcc
	v_cndmask_b32_e32 v18, v18, v12, vcc
	v_add_f64 v[6:7], v[6:7], v[18:19]
	v_fma_f64 v[18:19], -v[20:21], v[22:23], 1.0
	v_fmac_f64_e32 v[22:23], v[22:23], v[18:19]
	v_fma_f64 v[18:19], -v[20:21], v[22:23], 1.0
	v_fmac_f64_e32 v[22:23], v[22:23], v[18:19]
	v_div_scale_f64 v[18:19], vcc, -0.5, v[12:13], -0.5
	v_mul_f64 v[24:25], v[18:19], v[22:23]
	v_fma_f64 v[18:19], -v[20:21], v[24:25], v[18:19]
	s_nop 1
	v_div_fmas_f64 v[18:19], v[18:19], v[22:23], v[24:25]
	v_div_fixup_f64 v[12:13], v[18:19], v[12:13], -0.5
	v_add_f64 v[6:7], v[6:7], v[12:13]
	v_add_f64 v[16:17], v[6:7], -v[16:17]
                                        ; implicit-def: $vgpr6_vgpr7
.LBB214_120:
	s_andn2_saveexec_b64 s[8:9], s[8:9]
; %bb.121:
	s_mov_b32 s12, 0xdc85cc95
	s_mov_b32 s13, 0x40020396
	v_add_f64 v[16:17], v[6:7], s[12:13]
; %bb.122:
	s_or_b64 exec, exec, s[8:9]
	v_add_f64 v[6:7], v[14:15], v[16:17]
.LBB214_123:
	s_or_b64 exec, exec, s[4:5]
.LBB214_124:
	s_or_b64 exec, exec, s[6:7]
	v_add_f64 v[12:13], v[8:9], v[2:3]
	v_cmp_neq_f64_e32 vcc, 0, v[12:13]
	s_and_saveexec_b64 s[6:7], vcc
	s_cbranch_execz .LBB214_146
; %bb.125:
	s_mov_b64 s[4:5], 0
	v_cmp_gt_f64_e32 vcc, 0, v[12:13]
	s_mov_b64 s[12:13], -1
	v_pk_mov_b32 v[14:15], 0, 0
                                        ; implicit-def: $sgpr14_sgpr15
	s_and_saveexec_b64 s[8:9], vcc
	s_cbranch_execz .LBB214_133
; %bb.126:
	v_floor_f64_e32 v[4:5], v[12:13]
	v_cmp_neq_f64_e32 vcc, v[4:5], v[12:13]
	v_pk_mov_b32 v[14:15], 0, 0
	s_and_saveexec_b64 s[12:13], vcc
	s_cbranch_execz .LBB214_132
; %bb.127:
	s_mov_b32 s15, 0x400921fb
	s_mov_b32 s14, 0x54442d18
	;; [unrolled: 1-line block ×3, first 2 shown]
	v_mul_f64 v[4:5], v[12:13], s[14:15]
	s_mov_b32 s5, 0x41d00000
	v_cmp_nlt_f64_e64 s[4:5], |v[4:5]|, s[4:5]
                                        ; implicit-def: $vgpr18
                                        ; implicit-def: $vgpr14_vgpr15
                                        ; implicit-def: $vgpr16_vgpr17
	s_and_saveexec_b64 s[16:17], s[4:5]
	s_xor_b64 s[16:17], exec, s[16:17]
	s_cbranch_execz .LBB214_129
; %bb.128:
	s_mov_b32 s4, 0
	s_mov_b32 s5, 0x7b000000
	s_movk_i32 s15, 0xff80
	v_and_b32_e32 v20, 0x7fffffff, v5
	v_ldexp_f64 v[18:19], |v[4:5]|, s15
	v_cmp_ge_f64_e64 vcc, |v[4:5]|, s[4:5]
	v_trig_preop_f64 v[14:15], |v[4:5]|, 0
	v_cndmask_b32_e32 v19, v20, v19, vcc
	v_cndmask_b32_e32 v18, v4, v18, vcc
	v_trig_preop_f64 v[16:17], |v[4:5]|, 1
	v_mul_f64 v[22:23], v[14:15], v[18:19]
	v_mul_f64 v[20:21], v[16:17], v[18:19]
	v_fma_f64 v[14:15], v[14:15], v[18:19], -v[22:23]
	v_add_f64 v[24:25], v[20:21], v[14:15]
	v_add_f64 v[26:27], v[22:23], v[24:25]
	s_mov_b32 s4, 0
	v_ldexp_f64 v[28:29], v[26:27], -2
	s_mov_b32 s5, 0x7ff00000
	v_fract_f64_e32 v[30:31], v[28:29]
	v_cmp_neq_f64_e64 vcc, |v[28:29]|, s[4:5]
	v_cndmask_b32_e32 v29, 0, v31, vcc
	v_cndmask_b32_e32 v28, 0, v30, vcc
	v_add_f64 v[30:31], v[24:25], -v[20:21]
	v_add_f64 v[14:15], v[14:15], -v[30:31]
	;; [unrolled: 1-line block ×4, first 2 shown]
	v_fma_f64 v[16:17], v[16:17], v[18:19], -v[20:21]
	v_trig_preop_f64 v[20:21], |v[4:5]|, 2
	v_add_f64 v[14:15], v[14:15], v[30:31]
	v_mul_f64 v[30:31], v[20:21], v[18:19]
	v_add_f64 v[34:35], v[30:31], v[16:17]
	v_add_f64 v[36:37], v[34:35], v[14:15]
	v_add_f64 v[22:23], v[26:27], -v[22:23]
	v_add_f64 v[26:27], v[36:37], -v[34:35]
	;; [unrolled: 1-line block ×5, first 2 shown]
	v_add_f64 v[14:15], v[14:15], v[26:27]
	v_add_f64 v[26:27], v[34:35], -v[30:31]
	v_add_f64 v[16:17], v[16:17], -v[26:27]
	;; [unrolled: 1-line block ×4, first 2 shown]
	v_add_f64 v[16:17], v[16:17], v[26:27]
	v_add_f64 v[22:23], v[24:25], -v[22:23]
	v_add_f64 v[14:15], v[16:17], v[14:15]
	v_fma_f64 v[16:17], v[20:21], v[18:19], -v[30:31]
	v_add_f64 v[24:25], v[22:23], v[36:37]
	v_add_f64 v[14:15], v[16:17], v[14:15]
	v_ldexp_f64 v[16:17], v[28:29], 2
	v_add_f64 v[18:19], v[24:25], v[16:17]
	v_mov_b32_e32 v20, 0x40100000
	v_cmp_gt_f64_e32 vcc, 0, v[18:19]
	v_mov_b32_e32 v32, 0
	v_cndmask_b32_e32 v33, 0, v20, vcc
	v_add_f64 v[22:23], v[24:25], -v[22:23]
	v_add_f64 v[16:17], v[16:17], v[32:33]
	v_add_f64 v[22:23], v[36:37], -v[22:23]
	v_add_f64 v[18:19], v[24:25], v[16:17]
	v_add_f64 v[14:15], v[22:23], v[14:15]
	v_cvt_i32_f64_e32 v22, v[18:19]
	v_cvt_f64_i32_e32 v[18:19], v22
	v_add_f64 v[16:17], v[16:17], -v[18:19]
	v_add_f64 v[20:21], v[24:25], v[16:17]
	v_add_f64 v[16:17], v[20:21], -v[16:17]
	v_add_f64 v[16:17], v[24:25], -v[16:17]
	v_add_f64 v[14:15], v[14:15], v[16:17]
	v_cmp_le_f64_e32 vcc, 0.5, v[20:21]
	v_mov_b32_e32 v16, 0x3ff00000
	v_cndmask_b32_e32 v33, 0, v16, vcc
	v_add_f64 v[16:17], v[20:21], -v[32:33]
	v_add_f64 v[20:21], v[16:17], v[14:15]
	v_addc_co_u32_e64 v18, s[4:5], 0, v22, vcc
	v_add_f64 v[16:17], v[20:21], -v[16:17]
	s_mov_b32 s15, 0x3ff921fb
	v_add_f64 v[14:15], v[14:15], -v[16:17]
	v_mul_f64 v[16:17], v[20:21], s[14:15]
	s_mov_b32 s4, 0x33145c07
	v_fma_f64 v[22:23], v[20:21], s[14:15], -v[16:17]
	s_mov_b32 s5, 0x3c91a626
	v_fmac_f64_e32 v[22:23], s[4:5], v[20:21]
	v_fmac_f64_e32 v[22:23], s[14:15], v[14:15]
	v_add_f64 v[14:15], v[16:17], v[22:23]
	v_add_f64 v[16:17], v[14:15], -v[16:17]
	v_add_f64 v[16:17], v[22:23], -v[16:17]
.LBB214_129:
	s_andn2_saveexec_b64 s[4:5], s[16:17]
	s_cbranch_execz .LBB214_131
; %bb.130:
	s_mov_b32 s14, 0x6dc9c883
	s_mov_b32 s15, 0x3fe45f30
	v_mul_f64 v[14:15], |v[4:5]|, s[14:15]
	s_mov_b32 s14, 0x54442d18
	v_rndne_f64_e32 v[18:19], v[14:15]
	s_mov_b32 s15, 0xbff921fb
	v_fma_f64 v[14:15], v[18:19], s[14:15], |v[4:5]|
	s_mov_b32 s15, 0xbc91a626
	s_mov_b32 s14, 0x33145c00
	v_mul_f64 v[20:21], v[18:19], s[14:15]
	v_add_f64 v[24:25], v[14:15], v[20:21]
	v_fma_f64 v[16:17], s[14:15], v[18:19], v[14:15]
	s_mov_b32 s15, 0x3c91a626
	v_add_f64 v[14:15], v[14:15], -v[24:25]
	v_fma_f64 v[22:23], s[14:15], v[18:19], v[20:21]
	v_add_f64 v[14:15], v[14:15], v[20:21]
	v_add_f64 v[20:21], v[24:25], -v[16:17]
	v_add_f64 v[14:15], v[20:21], v[14:15]
	s_mov_b32 s14, 0x252049c0
	v_add_f64 v[20:21], v[14:15], -v[22:23]
	s_mov_b32 s15, 0xb97b839a
	v_fmac_f64_e32 v[20:21], s[14:15], v[18:19]
	v_add_f64 v[14:15], v[16:17], v[20:21]
	v_add_f64 v[16:17], v[14:15], -v[16:17]
	v_add_f64 v[16:17], v[20:21], -v[16:17]
	v_cvt_i32_f64_e32 v18, v[18:19]
.LBB214_131:
	s_or_b64 exec, exec, s[4:5]
	v_mul_f64 v[20:21], v[14:15], v[14:15]
	v_fma_f64 v[22:23], v[14:15], v[14:15], -v[20:21]
	v_add_f64 v[24:25], v[16:17], v[16:17]
	v_fmac_f64_e32 v[22:23], v[14:15], v[24:25]
	s_mov_b32 s14, 0xc751c08c
	v_add_f64 v[20:21], v[20:21], v[22:23]
	v_mov_b32_e32 v22, 0xa9a29f71
	v_mov_b32_e32 v23, 0xbf078809
	s_mov_b32 s15, 0x3ef5e089
	v_fmac_f64_e32 v[22:23], s[14:15], v[20:21]
	v_mov_b32_e32 v24, 0x90a8aae0
	v_mov_b32_e32 v25, 0x3f17746f
	v_fmac_f64_e32 v[24:25], v[20:21], v[22:23]
	v_mov_b32_e32 v22, 0xa6fbf144
	v_mov_b32_e32 v23, 0xbefbb44d
	;; [unrolled: 3-line block ×12, first 2 shown]
	v_fmac_f64_e32 v[22:23], v[20:21], v[24:25]
	v_mul_f64 v[20:21], v[20:21], v[22:23]
	v_mul_f64 v[22:23], v[14:15], v[20:21]
	v_add_f64 v[24:25], v[14:15], v[22:23]
	v_fma_f64 v[20:21], v[14:15], v[20:21], -v[22:23]
	v_add_f64 v[14:15], v[24:25], -v[14:15]
	v_add_f64 v[14:15], v[22:23], -v[14:15]
	v_add_f64 v[16:17], v[16:17], v[20:21]
	v_add_f64 v[14:15], v[16:17], v[14:15]
	;; [unrolled: 1-line block ×3, first 2 shown]
	v_rcp_f64_e32 v[20:21], v[16:17]
	v_and_b32_e32 v28, 1, v18
	v_add_f64 v[18:19], v[16:17], -v[24:25]
	v_add_f64 v[14:15], v[14:15], -v[18:19]
	v_fma_f64 v[18:19], -v[16:17], v[20:21], 1.0
	v_fmac_f64_e32 v[20:21], v[18:19], v[20:21]
	v_fma_f64 v[18:19], -v[16:17], v[20:21], 1.0
	v_fmac_f64_e32 v[20:21], v[18:19], v[20:21]
	v_mul_f64 v[18:19], v[16:17], v[20:21]
	v_fma_f64 v[22:23], v[20:21], v[16:17], -v[18:19]
	v_fmac_f64_e32 v[22:23], v[20:21], v[14:15]
	v_add_f64 v[14:15], v[18:19], v[22:23]
	v_add_f64 v[24:25], -v[14:15], 1.0
	v_add_f64 v[18:19], v[14:15], -v[18:19]
	v_add_f64 v[26:27], -v[24:25], 1.0
	v_add_f64 v[14:15], v[26:27], -v[14:15]
	v_add_f64 v[18:19], v[18:19], -v[22:23]
	v_add_f64 v[14:15], v[18:19], v[14:15]
	v_add_f64 v[14:15], v[24:25], v[14:15]
	v_mul_f64 v[14:15], v[20:21], v[14:15]
	v_add_f64 v[14:15], v[20:21], v[14:15]
	v_xor_b32_e32 v15, 0x80000000, v15
	v_cmp_eq_u32_e32 vcc, 0, v28
	v_cndmask_b32_e32 v14, v14, v16, vcc
	v_cndmask_b32_e32 v15, v15, v17, vcc
	v_and_b32_e32 v16, 0x80000000, v5
	s_movk_i32 s14, 0x1f8
	v_xor_b32_e32 v15, v15, v16
	v_cmp_class_f64_e64 vcc, v[4:5], s14
	v_mov_b32_e32 v5, 0x7ff80000
	s_mov_b32 s14, 0x54442d18
	v_cndmask_b32_e32 v4, 0, v14, vcc
	v_cndmask_b32_e32 v5, v5, v15, vcc
	s_mov_b32 s15, 0xc00921fb
	v_div_scale_f64 v[14:15], s[16:17], v[4:5], v[4:5], s[14:15]
	v_rcp_f64_e32 v[16:17], v[14:15]
	s_mov_b64 s[4:5], exec
	v_add_f64 v[12:13], -v[12:13], 1.0
	v_fma_f64 v[18:19], -v[14:15], v[16:17], 1.0
	v_fmac_f64_e32 v[16:17], v[16:17], v[18:19]
	v_fma_f64 v[18:19], -v[14:15], v[16:17], 1.0
	v_fmac_f64_e32 v[16:17], v[16:17], v[18:19]
	v_div_scale_f64 v[18:19], vcc, s[14:15], v[4:5], s[14:15]
	v_mul_f64 v[20:21], v[18:19], v[16:17]
	v_fma_f64 v[14:15], -v[14:15], v[20:21], v[18:19]
	s_nop 1
	v_div_fmas_f64 v[14:15], v[14:15], v[16:17], v[20:21]
	v_div_fixup_f64 v[14:15], v[14:15], v[4:5], s[14:15]
.LBB214_132:
	s_or_b64 exec, exec, s[12:13]
	s_mov_b32 s14, 0
	s_mov_b32 s15, 0x7ff00000
	s_orn2_b64 s[12:13], s[4:5], exec
.LBB214_133:
	s_or_b64 exec, exec, s[8:9]
	v_pk_mov_b32 v[4:5], s[14:15], s[14:15] op_sel:[0,1]
	s_and_saveexec_b64 s[4:5], s[12:13]
	s_cbranch_execz .LBB214_145
; %bb.134:
	s_mov_b32 s12, 0
	s_mov_b32 s13, 0x40240000
	v_cmp_gt_f64_e32 vcc, s[12:13], v[12:13]
	v_pk_mov_b32 v[4:5], 0, 0
	s_and_saveexec_b64 s[8:9], vcc
	s_cbranch_execz .LBB214_138
; %bb.135:
	s_mov_b64 s[14:15], 0
	v_pk_mov_b32 v[4:5], 0, 0
.LBB214_136:                            ; =>This Inner Loop Header: Depth=1
	v_div_scale_f64 v[16:17], s[16:17], v[12:13], v[12:13], 1.0
	v_rcp_f64_e32 v[18:19], v[16:17]
	v_div_scale_f64 v[20:21], vcc, 1.0, v[12:13], 1.0
	v_fma_f64 v[22:23], -v[16:17], v[18:19], 1.0
	v_fmac_f64_e32 v[18:19], v[18:19], v[22:23]
	v_fma_f64 v[22:23], -v[16:17], v[18:19], 1.0
	v_fmac_f64_e32 v[18:19], v[18:19], v[22:23]
	v_mul_f64 v[22:23], v[20:21], v[18:19]
	v_fma_f64 v[16:17], -v[16:17], v[22:23], v[20:21]
	v_div_fmas_f64 v[16:17], v[16:17], v[18:19], v[22:23]
	v_div_fixup_f64 v[16:17], v[16:17], v[12:13], 1.0
	v_add_f64 v[12:13], v[12:13], 1.0
	v_cmp_ngt_f64_e32 vcc, s[12:13], v[12:13]
	s_or_b64 s[14:15], vcc, s[14:15]
	v_add_f64 v[4:5], v[4:5], -v[16:17]
	s_andn2_b64 exec, exec, s[14:15]
	s_cbranch_execnz .LBB214_136
; %bb.137:
	s_or_b64 exec, exec, s[14:15]
.LBB214_138:
	s_or_b64 exec, exec, s[8:9]
	s_mov_b32 s8, 0
	s_mov_b32 s9, 0x40240000
	v_cmp_neq_f64_e32 vcc, s[8:9], v[12:13]
                                        ; implicit-def: $vgpr16_vgpr17
	s_and_saveexec_b64 s[8:9], vcc
	s_xor_b64 s[8:9], exec, s[8:9]
	s_cbranch_execz .LBB214_142
; %bb.139:
	s_brev_b32 s12, 1
	s_mov_b32 s13, 0x43763457
	v_cmp_gt_f64_e32 vcc, s[12:13], v[12:13]
	v_pk_mov_b32 v[16:17], 0, 0
	s_and_saveexec_b64 s[12:13], vcc
	s_cbranch_execz .LBB214_141
; %bb.140:
	v_mul_f64 v[16:17], v[12:13], v[12:13]
	v_div_scale_f64 v[18:19], s[14:15], v[16:17], v[16:17], 1.0
	v_rcp_f64_e32 v[20:21], v[18:19]
	v_div_scale_f64 v[22:23], vcc, 1.0, v[16:17], 1.0
	s_mov_b32 s14, 0x55555555
	v_fma_f64 v[24:25], -v[18:19], v[20:21], 1.0
	v_fmac_f64_e32 v[20:21], v[20:21], v[24:25]
	v_fma_f64 v[24:25], -v[18:19], v[20:21], 1.0
	v_fmac_f64_e32 v[20:21], v[20:21], v[24:25]
	v_mul_f64 v[24:25], v[22:23], v[20:21]
	v_fma_f64 v[18:19], -v[18:19], v[24:25], v[22:23]
	v_div_fmas_f64 v[18:19], v[18:19], v[20:21], v[24:25]
	v_div_fixup_f64 v[16:17], v[18:19], v[16:17], 1.0
	s_mov_b32 s15, 0x3fb55555
	v_fma_f64 v[18:19], v[16:17], 0, s[14:15]
	v_mov_b32_e32 v20, 0x95995996
	v_mov_b32_e32 v21, 0xbf959959
	v_fmac_f64_e32 v[20:21], v[16:17], v[18:19]
	v_mov_b32_e32 v18, 0xf07c1f08
	v_mov_b32_e32 v19, 0x3f7f07c1
	v_fmac_f64_e32 v[18:19], v[16:17], v[20:21]
	v_mov_b32_e32 v20, 0x11111111
	v_mov_b32_e32 v21, 0xbf711111
	v_pk_mov_b32 v[22:23], v[20:21], v[20:21] op_sel:[0,1]
	v_fmac_f64_e32 v[22:23], v[16:17], v[18:19]
	v_mov_b32_e32 v18, 0x10410410
	v_mov_b32_e32 v19, 0x3f704104
	v_fmac_f64_e32 v[18:19], v[16:17], v[22:23]
	v_mov_b32_e32 v21, 0xbf811111
	v_fmac_f64_e32 v[20:21], v[16:17], v[18:19]
	v_fma_f64 v[18:19], v[16:17], v[20:21], s[14:15]
	v_mul_f64 v[16:17], v[16:17], v[18:19]
.LBB214_141:
	s_or_b64 exec, exec, s[12:13]
	s_mov_b32 s12, 0x55555555
	v_frexp_mant_f64_e32 v[18:19], v[12:13]
	s_mov_b32 s13, 0x3fe55555
	v_mov_b32_e32 v20, 0x3ff00000
	v_cmp_gt_f64_e32 vcc, s[12:13], v[18:19]
	v_cndmask_b32_e64 v21, v20, 2.0, vcc
	v_mov_b32_e32 v20, 0
	v_mul_f64 v[18:19], v[18:19], v[20:21]
	v_frexp_exp_i32_f64_e32 v22, v[12:13]
	v_add_f64 v[20:21], v[18:19], 1.0
	v_subbrev_co_u32_e32 v32, vcc, 0, v22, vcc
	v_rcp_f64_e32 v[22:23], v[20:21]
	v_add_f64 v[26:27], v[20:21], -1.0
	v_add_f64 v[24:25], v[18:19], -1.0
	v_add_f64 v[18:19], v[18:19], -v[26:27]
	v_fma_f64 v[26:27], -v[20:21], v[22:23], 1.0
	v_fmac_f64_e32 v[22:23], v[26:27], v[22:23]
	v_fma_f64 v[26:27], -v[20:21], v[22:23], 1.0
	v_fmac_f64_e32 v[22:23], v[26:27], v[22:23]
	v_mul_f64 v[26:27], v[24:25], v[22:23]
	v_mul_f64 v[28:29], v[20:21], v[26:27]
	v_fma_f64 v[20:21], v[26:27], v[20:21], -v[28:29]
	v_fmac_f64_e32 v[20:21], v[26:27], v[18:19]
	v_add_f64 v[18:19], v[28:29], v[20:21]
	v_add_f64 v[30:31], v[24:25], -v[18:19]
	v_add_f64 v[28:29], v[18:19], -v[28:29]
	;; [unrolled: 1-line block ×5, first 2 shown]
	v_add_f64 v[18:19], v[20:21], v[18:19]
	v_add_f64 v[18:19], v[30:31], v[18:19]
	v_mul_f64 v[18:19], v[22:23], v[18:19]
	v_add_f64 v[20:21], v[26:27], v[18:19]
	v_add_f64 v[22:23], v[20:21], -v[26:27]
	s_mov_b32 s12, 0xbf559e2b
	v_add_f64 v[18:19], v[18:19], -v[22:23]
	v_mul_f64 v[22:23], v[20:21], v[20:21]
	v_mov_b32_e32 v24, 0x6b47b09a
	v_mov_b32_e32 v25, 0x3fc38538
	s_mov_b32 s13, 0x3fc3ab76
	v_fmac_f64_e32 v[24:25], s[12:13], v[22:23]
	v_mov_b32_e32 v26, 0xd7f4df2e
	v_mov_b32_e32 v27, 0x3fc7474d
	v_fmac_f64_e32 v[26:27], v[22:23], v[24:25]
	v_mov_b32_e32 v24, 0x16291751
	v_mov_b32_e32 v25, 0x3fcc71c0
	;; [unrolled: 3-line block ×5, first 2 shown]
	v_fmac_f64_e32 v[26:27], v[22:23], v[24:25]
	v_ldexp_f64 v[24:25], v[20:21], 1
	v_mul_f64 v[20:21], v[20:21], v[22:23]
	v_mul_f64 v[20:21], v[20:21], v[26:27]
	v_add_f64 v[22:23], v[24:25], v[20:21]
	v_add_f64 v[24:25], v[22:23], -v[24:25]
	v_ldexp_f64 v[18:19], v[18:19], 1
	v_add_f64 v[20:21], v[20:21], -v[24:25]
	v_add_f64 v[18:19], v[18:19], v[20:21]
	v_add_f64 v[20:21], v[22:23], v[18:19]
	v_add_f64 v[22:23], v[20:21], -v[22:23]
	s_mov_b32 s12, 0xfefa39ef
	v_add_f64 v[18:19], v[18:19], -v[22:23]
	v_cvt_f64_i32_e32 v[22:23], v32
	s_mov_b32 s13, 0x3fe62e42
	v_mul_f64 v[24:25], v[22:23], s[12:13]
	v_fma_f64 v[26:27], v[22:23], s[12:13], -v[24:25]
	s_mov_b32 s12, 0x3b39803f
	s_mov_b32 s13, 0x3c7abc9e
	v_fmac_f64_e32 v[26:27], s[12:13], v[22:23]
	v_add_f64 v[22:23], v[24:25], v[26:27]
	v_add_f64 v[24:25], v[22:23], -v[24:25]
	v_add_f64 v[24:25], v[26:27], -v[24:25]
	v_add_f64 v[26:27], v[22:23], v[20:21]
	v_add_f64 v[28:29], v[26:27], -v[22:23]
	v_add_f64 v[30:31], v[26:27], -v[28:29]
	;; [unrolled: 1-line block ×4, first 2 shown]
	v_add_f64 v[20:21], v[20:21], v[22:23]
	v_add_f64 v[22:23], v[24:25], v[18:19]
	v_add_f64 v[28:29], v[22:23], -v[24:25]
	v_add_f64 v[30:31], v[22:23], -v[28:29]
	v_add_f64 v[20:21], v[22:23], v[20:21]
	v_add_f64 v[24:25], v[24:25], -v[30:31]
	v_add_f64 v[18:19], v[18:19], -v[28:29]
	v_add_f64 v[22:23], v[26:27], v[20:21]
	v_add_f64 v[18:19], v[18:19], v[24:25]
	v_add_f64 v[24:25], v[22:23], -v[26:27]
	v_add_f64 v[20:21], v[20:21], -v[24:25]
	v_add_f64 v[18:19], v[18:19], v[20:21]
	v_div_scale_f64 v[20:21], s[12:13], v[12:13], v[12:13], -0.5
	v_add_f64 v[18:19], v[22:23], v[18:19]
	v_rcp_f64_e32 v[22:23], v[20:21]
	s_movk_i32 s14, 0x204
	v_cmp_class_f64_e64 vcc, v[12:13], s14
	v_cndmask_b32_e32 v19, v19, v13, vcc
	v_cndmask_b32_e32 v18, v18, v12, vcc
	v_add_f64 v[4:5], v[4:5], v[18:19]
	v_fma_f64 v[18:19], -v[20:21], v[22:23], 1.0
	v_fmac_f64_e32 v[22:23], v[22:23], v[18:19]
	v_fma_f64 v[18:19], -v[20:21], v[22:23], 1.0
	v_fmac_f64_e32 v[22:23], v[22:23], v[18:19]
	v_div_scale_f64 v[18:19], vcc, -0.5, v[12:13], -0.5
	v_mul_f64 v[24:25], v[18:19], v[22:23]
	v_fma_f64 v[18:19], -v[20:21], v[24:25], v[18:19]
	s_nop 1
	v_div_fmas_f64 v[18:19], v[18:19], v[22:23], v[24:25]
	v_div_fixup_f64 v[12:13], v[18:19], v[12:13], -0.5
	v_add_f64 v[4:5], v[4:5], v[12:13]
	v_add_f64 v[16:17], v[4:5], -v[16:17]
                                        ; implicit-def: $vgpr4_vgpr5
.LBB214_142:
	s_andn2_saveexec_b64 s[8:9], s[8:9]
; %bb.143:
	s_mov_b32 s12, 0xdc85cc95
	s_mov_b32 s13, 0x40020396
	v_add_f64 v[16:17], v[4:5], s[12:13]
; %bb.144:
	s_or_b64 exec, exec, s[8:9]
	v_add_f64 v[4:5], v[14:15], v[16:17]
.LBB214_145:
	s_or_b64 exec, exec, s[4:5]
.LBB214_146:
	s_or_b64 exec, exec, s[6:7]
	s_mov_b32 s4, 0x55555555
	v_add_f64 v[4:5], v[6:7], -v[4:5]
	v_frexp_mant_f64_e32 v[6:7], v[0:1]
	s_mov_b32 s5, 0x3fe55555
	v_mov_b32_e32 v12, 0x3ff00000
	v_cmp_gt_f64_e32 vcc, s[4:5], v[6:7]
	v_cndmask_b32_e64 v13, v12, 2.0, vcc
	v_mov_b32_e32 v12, 0
	v_mul_f64 v[6:7], v[6:7], v[12:13]
	v_frexp_exp_i32_f64_e32 v14, v[0:1]
	v_add_f64 v[12:13], v[6:7], 1.0
	v_subbrev_co_u32_e32 v24, vcc, 0, v14, vcc
	v_rcp_f64_e32 v[14:15], v[12:13]
	v_add_f64 v[18:19], v[12:13], -1.0
	v_add_f64 v[16:17], v[6:7], -1.0
	v_add_f64 v[6:7], v[6:7], -v[18:19]
	v_fma_f64 v[18:19], -v[12:13], v[14:15], 1.0
	v_fmac_f64_e32 v[14:15], v[18:19], v[14:15]
	v_fma_f64 v[18:19], -v[12:13], v[14:15], 1.0
	v_fmac_f64_e32 v[14:15], v[18:19], v[14:15]
	v_mul_f64 v[18:19], v[16:17], v[14:15]
	v_mul_f64 v[20:21], v[12:13], v[18:19]
	v_fma_f64 v[12:13], v[18:19], v[12:13], -v[20:21]
	v_fmac_f64_e32 v[12:13], v[18:19], v[6:7]
	v_add_f64 v[6:7], v[20:21], v[12:13]
	v_add_f64 v[22:23], v[16:17], -v[6:7]
	v_add_f64 v[20:21], v[6:7], -v[20:21]
	;; [unrolled: 1-line block ×5, first 2 shown]
	v_add_f64 v[6:7], v[12:13], v[6:7]
	v_add_f64 v[6:7], v[22:23], v[6:7]
	v_mul_f64 v[6:7], v[14:15], v[6:7]
	v_add_f64 v[12:13], v[18:19], v[6:7]
	v_add_f64 v[14:15], v[12:13], -v[18:19]
	s_mov_b32 s4, 0xbf559e2b
	v_add_f64 v[6:7], v[6:7], -v[14:15]
	v_mul_f64 v[14:15], v[12:13], v[12:13]
	v_mov_b32_e32 v16, 0x6b47b09a
	v_mov_b32_e32 v17, 0x3fc38538
	s_mov_b32 s5, 0x3fc3ab76
	v_fmac_f64_e32 v[16:17], s[4:5], v[14:15]
	v_mov_b32_e32 v18, 0xd7f4df2e
	v_mov_b32_e32 v19, 0x3fc7474d
	v_fmac_f64_e32 v[18:19], v[14:15], v[16:17]
	v_mov_b32_e32 v16, 0x16291751
	v_mov_b32_e32 v17, 0x3fcc71c0
	;; [unrolled: 3-line block ×5, first 2 shown]
	v_fmac_f64_e32 v[18:19], v[14:15], v[16:17]
	v_ldexp_f64 v[16:17], v[12:13], 1
	v_mul_f64 v[12:13], v[12:13], v[14:15]
	v_mul_f64 v[12:13], v[12:13], v[18:19]
	v_add_f64 v[14:15], v[16:17], v[12:13]
	v_add_f64 v[16:17], v[14:15], -v[16:17]
	v_ldexp_f64 v[6:7], v[6:7], 1
	v_add_f64 v[12:13], v[12:13], -v[16:17]
	v_add_f64 v[6:7], v[6:7], v[12:13]
	v_add_f64 v[12:13], v[14:15], v[6:7]
	v_add_f64 v[14:15], v[12:13], -v[14:15]
	s_mov_b32 s4, 0xfefa39ef
	v_add_f64 v[6:7], v[6:7], -v[14:15]
	v_cvt_f64_i32_e32 v[14:15], v24
	s_mov_b32 s5, 0x3fe62e42
	v_mul_f64 v[16:17], v[14:15], s[4:5]
	v_fma_f64 v[18:19], v[14:15], s[4:5], -v[16:17]
	s_mov_b32 s4, 0x3b39803f
	s_mov_b32 s5, 0x3c7abc9e
	v_fmac_f64_e32 v[18:19], s[4:5], v[14:15]
	v_add_f64 v[14:15], v[16:17], v[18:19]
	v_add_f64 v[16:17], v[14:15], -v[16:17]
	v_add_f64 v[16:17], v[18:19], -v[16:17]
	v_add_f64 v[18:19], v[14:15], v[12:13]
	v_add_f64 v[20:21], v[18:19], -v[14:15]
	v_add_f64 v[22:23], v[18:19], -v[20:21]
	;; [unrolled: 1-line block ×4, first 2 shown]
	v_add_f64 v[12:13], v[12:13], v[14:15]
	v_add_f64 v[14:15], v[16:17], v[6:7]
	v_add_f64 v[20:21], v[14:15], -v[16:17]
	v_add_f64 v[22:23], v[14:15], -v[20:21]
	v_add_f64 v[12:13], v[14:15], v[12:13]
	v_add_f64 v[16:17], v[16:17], -v[22:23]
	v_add_f64 v[6:7], v[6:7], -v[20:21]
	v_add_f64 v[14:15], v[18:19], v[12:13]
	v_add_f64 v[6:7], v[6:7], v[16:17]
	v_add_f64 v[16:17], v[14:15], -v[18:19]
	v_add_f64 v[12:13], v[12:13], -v[16:17]
	v_add_f64 v[6:7], v[6:7], v[12:13]
	s_movk_i32 s4, 0x204
	v_add_f64 v[6:7], v[14:15], v[6:7]
	v_cmp_class_f64_e64 vcc, v[0:1], s4
	v_cndmask_b32_e32 v6, v6, v0, vcc
	v_cndmask_b32_e32 v7, v7, v1, vcc
	v_mov_b32_e32 v12, 0x7ff80000
	v_cmp_ngt_f64_e32 vcc, 0, v[0:1]
	v_cndmask_b32_e32 v7, v12, v7, vcc
	v_div_scale_f64 v[12:13], s[4:5], v[2:3], v[2:3], 1.0
	v_rcp_f64_e32 v[14:15], v[12:13]
	v_cmp_nge_f64_e32 vcc, 0, v[0:1]
	v_cndmask_b32_e32 v6, 0, v6, vcc
	v_mov_b32_e32 v16, 0xfff00000
	v_cmp_neq_f64_e32 vcc, 0, v[0:1]
	v_cndmask_b32_e32 v7, v16, v7, vcc
	v_add_f64 v[6:7], v[4:5], -v[6:7]
	v_fma_f64 v[4:5], -v[12:13], v[14:15], 1.0
	v_fmac_f64_e32 v[14:15], v[14:15], v[4:5]
	v_fma_f64 v[4:5], -v[12:13], v[14:15], 1.0
	v_fmac_f64_e32 v[14:15], v[14:15], v[4:5]
	v_div_scale_f64 v[4:5], vcc, 1.0, v[2:3], 1.0
	v_mul_f64 v[16:17], v[4:5], v[14:15]
	v_fma_f64 v[4:5], -v[12:13], v[16:17], v[4:5]
	s_mov_b32 s12, 2
	s_nop 0
	v_div_fmas_f64 v[4:5], v[4:5], v[14:15], v[16:17]
	v_div_fixup_f64 v[4:5], v[4:5], v[2:3], 1.0
	v_mov_b32_e32 v14, 0
	v_add_f64 v[12:13], v[4:5], v[6:7]
	v_mov_b32_e32 v15, 0x3ff00000
	v_mul_f64 v[4:5], v[4:5], v[12:13]
	v_pk_mov_b32 v[12:13], v[14:15], v[14:15] op_sel:[0,1]
.LBB214_147:                            ; =>This Inner Loop Header: Depth=1
	v_add_f64 v[16:17], v[12:13], -v[8:9]
	v_add_f64 v[18:19], v[12:13], v[2:3]
	v_cvt_f64_u32_e32 v[20:21], s12
	v_mul_f64 v[16:17], v[16:17], v[0:1]
	v_div_scale_f64 v[22:23], s[4:5], v[18:19], v[18:19], 1.0
	v_add_f64 v[28:29], v[20:21], v[2:3]
	v_div_scale_f64 v[30:31], s[6:7], v[12:13], v[12:13], v[16:17]
	v_rcp_f64_e32 v[34:35], v[22:23]
	v_div_scale_f64 v[36:37], s[6:7], v[28:29], v[28:29], 1.0
	v_rcp_f64_e32 v[48:49], v[30:31]
	v_rcp_f64_e32 v[54:55], v[36:37]
	v_fma_f64 v[66:67], -v[22:23], v[34:35], 1.0
	v_fmac_f64_e32 v[34:35], v[34:35], v[66:67]
	v_fma_f64 v[68:69], -v[30:31], v[48:49], 1.0
	v_fma_f64 v[66:67], -v[36:37], v[54:55], 1.0
	v_fmac_f64_e32 v[48:49], v[48:49], v[68:69]
	v_add_f64 v[26:27], v[20:21], -v[8:9]
	v_fma_f64 v[68:69], -v[22:23], v[34:35], 1.0
	v_fmac_f64_e32 v[54:55], v[54:55], v[66:67]
	v_fma_f64 v[66:67], -v[30:31], v[48:49], 1.0
	v_div_scale_f64 v[32:33], vcc, v[16:17], v[12:13], v[16:17]
	v_mul_f64 v[26:27], v[26:27], v[0:1]
	v_fmac_f64_e32 v[34:35], v[34:35], v[68:69]
	v_fma_f64 v[68:69], -v[36:37], v[54:55], 1.0
	v_fmac_f64_e32 v[48:49], v[48:49], v[66:67]
	v_div_scale_f64 v[50:51], s[8:9], v[20:21], v[20:21], v[26:27]
	v_fmac_f64_e32 v[54:55], v[54:55], v[68:69]
	v_mul_f64 v[68:69], v[32:33], v[48:49]
	v_rcp_f64_e32 v[64:65], v[50:51]
	v_fma_f64 v[30:31], -v[30:31], v[68:69], v[32:33]
	v_div_fmas_f64 v[30:31], v[30:31], v[48:49], v[68:69]
	v_div_fixup_f64 v[16:17], v[30:31], v[12:13], v[16:17]
	v_mul_f64 v[14:15], v[14:15], v[16:17]
	v_fma_f64 v[70:71], -v[50:51], v[64:65], 1.0
	v_div_scale_f64 v[16:17], s[14:15], v[18:19], v[18:19], v[14:15]
	v_fmac_f64_e32 v[64:65], v[64:65], v[70:71]
	v_rcp_f64_e32 v[48:49], v[16:17]
	v_div_scale_f64 v[24:25], s[4:5], 1.0, v[18:19], 1.0
	v_fma_f64 v[70:71], -v[50:51], v[64:65], 1.0
	v_div_scale_f64 v[38:39], s[6:7], 1.0, v[28:29], 1.0
	v_div_scale_f64 v[52:53], s[8:9], v[26:27], v[20:21], v[26:27]
	v_mul_f64 v[66:67], v[24:25], v[34:35]
	v_fmac_f64_e32 v[64:65], v[64:65], v[70:71]
	v_fma_f64 v[22:23], -v[22:23], v[66:67], v[24:25]
	v_mul_f64 v[24:25], v[38:39], v[54:55]
	v_mul_f64 v[32:33], v[52:53], v[64:65]
	v_fma_f64 v[36:37], -v[36:37], v[24:25], v[38:39]
	v_fma_f64 v[38:39], -v[50:51], v[32:33], v[52:53]
	v_fma_f64 v[50:51], -v[16:17], v[48:49], 1.0
	v_fmac_f64_e32 v[48:49], v[48:49], v[50:51]
	v_fma_f64 v[50:51], -v[16:17], v[48:49], 1.0
	v_div_scale_f64 v[30:31], vcc, v[14:15], v[18:19], v[14:15]
	v_fmac_f64_e32 v[48:49], v[48:49], v[50:51]
	v_mul_f64 v[50:51], v[30:31], v[48:49]
	v_fma_f64 v[16:17], -v[16:17], v[50:51], v[30:31]
	s_nop 0
	v_div_fmas_f64 v[16:17], v[16:17], v[48:49], v[50:51]
	s_mov_b64 vcc, s[4:5]
	v_div_fmas_f64 v[22:23], v[22:23], v[34:35], v[66:67]
	s_mov_b64 vcc, s[8:9]
	v_div_fixup_f64 v[16:17], v[16:17], v[18:19], v[14:15]
	v_div_fixup_f64 v[18:19], v[22:23], v[18:19], 1.0
	v_div_fmas_f64 v[22:23], v[38:39], v[64:65], v[32:33]
	v_div_fixup_f64 v[20:21], v[22:23], v[20:21], v[26:27]
	v_add_f64 v[18:19], v[6:7], v[18:19]
	v_mul_f64 v[14:15], v[14:15], v[20:21]
	v_fmac_f64_e32 v[4:5], v[18:19], v[16:17]
	v_div_scale_f64 v[16:17], s[4:5], v[28:29], v[28:29], v[14:15]
	v_rcp_f64_e32 v[20:21], v[16:17]
	v_div_scale_f64 v[18:19], vcc, v[14:15], v[28:29], v[14:15]
	s_add_i32 s12, s12, 2
	v_fma_f64 v[22:23], -v[16:17], v[20:21], 1.0
	v_fmac_f64_e32 v[20:21], v[20:21], v[22:23]
	v_fma_f64 v[22:23], -v[16:17], v[20:21], 1.0
	v_fmac_f64_e32 v[20:21], v[20:21], v[22:23]
	v_mul_f64 v[22:23], v[18:19], v[20:21]
	v_fma_f64 v[16:17], -v[16:17], v[22:23], v[18:19]
	v_div_fmas_f64 v[16:17], v[16:17], v[20:21], v[22:23]
	s_mov_b64 vcc, s[6:7]
	v_div_fmas_f64 v[18:19], v[36:37], v[54:55], v[24:25]
	v_div_fixup_f64 v[18:19], v[18:19], v[28:29], 1.0
	v_div_fixup_f64 v[16:17], v[16:17], v[28:29], v[14:15]
	v_add_f64 v[18:19], v[6:7], v[18:19]
	s_cmp_lg_u32 s12, 12
	v_add_f64 v[12:13], v[12:13], 2.0
	v_fmac_f64_e32 v[4:5], v[18:19], v[16:17]
	s_cbranch_scc1 .LBB214_147
; %bb.148:
	v_mov_b32_e32 v2, 0xbff00000
	v_cmp_eq_f64_e32 vcc, 1.0, v[10:11]
	s_mov_b32 s12, 0
	v_cndmask_b32_e32 v3, v9, v2, vcc
	v_cndmask_b32_e64 v2, v8, 0, vcc
	s_brev_b32 s13, 1
	v_mov_b32_e32 v34, 0x3ff00000
	v_cmp_eq_f64_e64 s[4:5], s[12:13], v[2:3]
	v_cndmask_b32_e64 v7, v11, v34, s[4:5]
	v_and_b32_e32 v11, 0x7fffffff, v11
	v_cndmask_b32_e64 v6, v10, 0, s[4:5]
	v_cndmask_b32_e64 v11, v11, v34, s[4:5]
	;; [unrolled: 1-line block ×3, first 2 shown]
	v_frexp_mant_f64_e32 v[14:15], v[10:11]
	s_mov_b32 s7, 0x3fe55555
	s_mov_b32 s6, 0x55555555
	v_cmp_gt_f64_e64 s[4:5], s[6:7], v[14:15]
	v_mov_b32_e32 v12, 0
	v_cndmask_b32_e64 v13, v34, 2.0, s[4:5]
	v_mul_f64 v[12:13], v[14:15], v[12:13]
	v_frexp_exp_i32_f64_e32 v16, v[10:11]
	v_add_f64 v[14:15], v[12:13], 1.0
	v_subbrev_co_u32_e64 v26, s[4:5], 0, v16, s[4:5]
	v_rcp_f64_e32 v[16:17], v[14:15]
	v_add_f64 v[20:21], v[14:15], -1.0
	v_add_f64 v[18:19], v[12:13], -1.0
	v_add_f64 v[12:13], v[12:13], -v[20:21]
	v_fma_f64 v[20:21], -v[14:15], v[16:17], 1.0
	v_fmac_f64_e32 v[16:17], v[20:21], v[16:17]
	v_fma_f64 v[20:21], -v[14:15], v[16:17], 1.0
	v_fmac_f64_e32 v[16:17], v[20:21], v[16:17]
	v_mul_f64 v[20:21], v[18:19], v[16:17]
	v_mul_f64 v[22:23], v[14:15], v[20:21]
	v_fma_f64 v[14:15], v[20:21], v[14:15], -v[22:23]
	v_fmac_f64_e32 v[14:15], v[20:21], v[12:13]
	v_add_f64 v[12:13], v[22:23], v[14:15]
	v_add_f64 v[24:25], v[18:19], -v[12:13]
	v_add_f64 v[22:23], v[12:13], -v[22:23]
	;; [unrolled: 1-line block ×5, first 2 shown]
	v_add_f64 v[12:13], v[14:15], v[12:13]
	v_add_f64 v[12:13], v[24:25], v[12:13]
	v_mul_f64 v[12:13], v[16:17], v[12:13]
	v_add_f64 v[14:15], v[20:21], v[12:13]
	v_add_f64 v[16:17], v[14:15], -v[20:21]
	v_add_f64 v[12:13], v[12:13], -v[16:17]
	v_mul_f64 v[16:17], v[14:15], v[14:15]
	v_fma_f64 v[18:19], v[14:15], v[14:15], -v[16:17]
	v_add_f64 v[20:21], v[12:13], v[12:13]
	v_fmac_f64_e32 v[18:19], v[14:15], v[20:21]
	v_add_f64 v[20:21], v[16:17], v[18:19]
	v_add_f64 v[16:17], v[20:21], -v[16:17]
	s_mov_b32 s4, 0x4222de17
	v_add_f64 v[16:17], v[18:19], -v[16:17]
	v_mov_b32_e32 v18, 0x968915a9
	v_mov_b32_e32 v19, 0x3fba6564
	s_mov_b32 s5, 0x3fbdee67
	v_fmac_f64_e32 v[18:19], s[4:5], v[20:21]
	v_mov_b32_e32 v22, 0x3abe935a
	v_mov_b32_e32 v23, 0x3fbe25e4
	v_fmac_f64_e32 v[22:23], v[20:21], v[18:19]
	v_mov_b32_e32 v18, 0x47e6c9c2
	v_mov_b32_e32 v19, 0x3fc110ef
	;; [unrolled: 3-line block ×7, first 2 shown]
	v_fmac_f64_e32 v[22:23], v[20:21], v[18:19]
	v_cvt_f64_i32_e32 v[18:19], v26
	s_mov_b32 s9, 0x3fe62e42
	s_mov_b32 s8, 0xfefa39ef
	v_mul_f64 v[24:25], v[18:19], s[8:9]
	v_mul_f64 v[30:31], v[14:15], v[20:21]
	v_fma_f64 v[26:27], v[18:19], s[8:9], -v[24:25]
	s_mov_b32 s17, 0x3c7abc9e
	s_mov_b32 s16, 0x3b39803f
	v_fma_f64 v[32:33], v[20:21], v[14:15], -v[30:31]
	v_fmac_f64_e32 v[26:27], s[16:17], v[18:19]
	v_fmac_f64_e32 v[32:33], v[20:21], v[12:13]
	v_add_f64 v[18:19], v[24:25], v[26:27]
	v_fmac_f64_e32 v[32:33], v[16:17], v[14:15]
	v_add_f64 v[24:25], v[18:19], -v[24:25]
	v_ldexp_f64 v[28:29], v[12:13], 1
	v_add_f64 v[12:13], v[30:31], v[32:33]
	v_add_f64 v[24:25], v[26:27], -v[24:25]
	v_ldexp_f64 v[26:27], v[14:15], 1
	v_add_f64 v[14:15], v[12:13], -v[30:31]
	v_mul_f64 v[30:31], v[20:21], v[22:23]
	v_fma_f64 v[20:21], v[20:21], v[22:23], -v[30:31]
	v_fmac_f64_e32 v[20:21], v[16:17], v[22:23]
	v_add_f64 v[16:17], v[30:31], v[20:21]
	v_add_f64 v[22:23], v[16:17], -v[30:31]
	v_add_f64 v[20:21], v[20:21], -v[22:23]
	v_add_f64 v[22:23], v[16:17], s[6:7]
	s_mov_b32 s7, 0xbfe55555
	s_mov_b32 s4, 0xd5df274d
	v_add_f64 v[30:31], v[22:23], s[6:7]
	s_mov_b32 s5, 0x3c8543b0
	v_add_f64 v[16:17], v[16:17], -v[30:31]
	v_add_f64 v[20:21], v[20:21], s[4:5]
	v_add_f64 v[16:17], v[20:21], v[16:17]
	;; [unrolled: 1-line block ×3, first 2 shown]
	v_add_f64 v[22:23], v[22:23], -v[20:21]
	v_add_f64 v[16:17], v[16:17], v[22:23]
	v_mul_f64 v[22:23], v[12:13], v[20:21]
	v_fma_f64 v[30:31], v[12:13], v[20:21], -v[22:23]
	v_add_f64 v[14:15], v[32:33], -v[14:15]
	v_fmac_f64_e32 v[30:31], v[12:13], v[16:17]
	v_fmac_f64_e32 v[30:31], v[14:15], v[20:21]
	v_add_f64 v[12:13], v[22:23], v[30:31]
	v_add_f64 v[14:15], v[12:13], -v[22:23]
	v_add_f64 v[16:17], v[26:27], v[12:13]
	v_add_f64 v[14:15], v[30:31], -v[14:15]
	v_add_f64 v[20:21], v[16:17], -v[26:27]
	;; [unrolled: 1-line block ×3, first 2 shown]
	v_add_f64 v[14:15], v[28:29], v[14:15]
	v_add_f64 v[12:13], v[14:15], v[12:13]
	;; [unrolled: 1-line block ×3, first 2 shown]
	v_add_f64 v[16:17], v[14:15], -v[16:17]
	v_add_f64 v[12:13], v[12:13], -v[16:17]
	v_add_f64 v[16:17], v[18:19], v[14:15]
	v_add_f64 v[20:21], v[16:17], -v[18:19]
	v_add_f64 v[22:23], v[16:17], -v[20:21]
	v_add_f64 v[18:19], v[18:19], -v[22:23]
	v_add_f64 v[14:15], v[14:15], -v[20:21]
	v_add_f64 v[14:15], v[14:15], v[18:19]
	v_add_f64 v[18:19], v[24:25], v[12:13]
	v_add_f64 v[20:21], v[18:19], -v[24:25]
	v_add_f64 v[14:15], v[18:19], v[14:15]
	v_add_f64 v[22:23], v[18:19], -v[20:21]
	;; [unrolled: 2-line block ×3, first 2 shown]
	v_add_f64 v[12:13], v[12:13], -v[20:21]
	v_add_f64 v[16:17], v[18:19], -v[16:17]
	v_add_f64 v[12:13], v[12:13], v[22:23]
	v_add_f64 v[14:15], v[14:15], -v[16:17]
	v_add_f64 v[12:13], v[12:13], v[14:15]
	v_add_f64 v[14:15], v[18:19], v[12:13]
	v_add_f64 v[16:17], v[14:15], -v[18:19]
	v_add_f64 v[12:13], v[12:13], -v[16:17]
	v_mul_f64 v[16:17], -v[2:3], v[14:15]
	v_fma_f64 v[14:15], -v[2:3], v[14:15], -v[16:17]
	v_fma_f64 v[12:13], -v[2:3], v[12:13], v[14:15]
	s_movk_i32 s4, 0x204
	v_add_f64 v[14:15], v[16:17], v[12:13]
	v_cmp_class_f64_e64 s[4:5], v[16:17], s4
	s_mov_b32 s14, 0
	v_add_f64 v[18:19], v[14:15], -v[16:17]
	v_cndmask_b32_e64 v15, v15, v17, s[4:5]
	v_cndmask_b32_e64 v14, v14, v16, s[4:5]
	s_mov_b32 s15, 0x7ff00000
	v_add_f64 v[12:13], v[12:13], -v[18:19]
	v_cmp_neq_f64_e64 s[4:5], |v[14:15]|, s[14:15]
	v_cndmask_b32_e64 v13, 0, v13, s[4:5]
	v_cndmask_b32_e64 v12, 0, v12, s[4:5]
	s_mov_b32 s4, 0x652b82fe
	s_mov_b32 s5, 0x3ff71547
	v_mul_f64 v[16:17], v[14:15], s[4:5]
	v_rndne_f64_e32 v[16:17], v[16:17]
	s_mov_b32 s9, 0xbfe62e42
	v_fma_f64 v[18:19], s[8:9], v[16:17], v[14:15]
	s_mov_b32 s17, 0xbc7abc9e
	s_mov_b32 s4, 0x6a5dcb37
	v_fmac_f64_e32 v[18:19], s[16:17], v[16:17]
	v_mov_b32_e32 v20, 0xfca7ab0c
	v_mov_b32_e32 v21, 0x3e928af3
	s_mov_b32 s5, 0x3e5ade15
	v_fmac_f64_e32 v[20:21], s[4:5], v[18:19]
	v_mov_b32_e32 v22, 0x623fde64
	v_mov_b32_e32 v23, 0x3ec71dee
	v_fmac_f64_e32 v[22:23], v[18:19], v[20:21]
	v_mov_b32_e32 v20, 0x7c89e6b0
	v_mov_b32_e32 v21, 0x3efa0199
	;; [unrolled: 3-line block ×8, first 2 shown]
	v_fmac_f64_e32 v[20:21], v[18:19], v[22:23]
	v_fma_f64 v[20:21], v[18:19], v[20:21], 1.0
	s_mov_b32 s4, 0
	v_fma_f64 v[18:19], v[18:19], v[20:21], 1.0
	v_cvt_i32_f64_e32 v16, v[16:17]
	s_mov_b32 s5, 0x40900000
	s_mov_b32 s6, 0
	v_ldexp_f64 v[16:17], v[18:19], v16
	v_cmp_lt_f64_e64 s[4:5], s[4:5], v[14:15]
	v_mov_b32_e32 v20, 0x7ff00000
	s_mov_b32 s7, 0xc090cc00
	v_cndmask_b32_e64 v18, v16, 0, s[4:5]
	v_cndmask_b32_e64 v19, v17, v20, s[4:5]
	v_cmp_ngt_f64_e64 s[6:7], s[6:7], v[14:15]
	v_and_b32_e32 v17, 0x7fffffff, v17
	v_cndmask_b32_e64 v15, 0, v19, s[6:7]
	v_cndmask_b32_e64 v14, 0, v18, s[6:7]
	v_cmp_eq_f64_e64 s[8:9], s[14:15], v[16:17]
	v_pk_mov_b32 v[18:19], v[14:15], v[14:15] op_sel:[0,1]
	s_or_b64 s[4:5], s[4:5], s[8:9]
	v_fmac_f64_e32 v[18:19], v[18:19], v[12:13]
	s_and_b64 s[4:5], s[6:7], s[4:5]
	v_cndmask_b32_e64 v18, v18, v14, s[4:5]
	v_cndmask_b32_e64 v19, v19, v15, s[4:5]
	v_mul_f64 v[14:15], v[2:3], -0.5
	v_trunc_f64_e64 v[12:13], -v[2:3]
	v_trunc_f64_e32 v[16:17], v[14:15]
	v_cmp_neq_f64_e64 s[4:5], v[16:17], v[14:15]
	v_cmp_eq_f64_e64 s[6:7], v[12:13], -v[2:3]
	s_and_b64 s[4:5], s[6:7], s[4:5]
	s_brev_b32 s18, -2
	v_cndmask_b32_e64 v13, v34, v7, s[4:5]
	v_bfi_b32 v13, s18, v19, v13
	v_mov_b32_e32 v14, 0x7ff80000
	v_and_b32_e32 v9, 0x7fffffff, v9
	v_cndmask_b32_e64 v12, 0, v18, s[6:7]
	v_cndmask_b32_e64 v15, v14, v13, s[6:7]
	v_cmp_gt_f64_e64 s[6:7], 0, v[6:7]
	v_cndmask_b32_e32 v9, v9, v34, vcc
	v_cndmask_b32_e64 v8, v8, 0, vcc
	v_cndmask_b32_e64 v13, v13, v15, s[6:7]
	v_cndmask_b32_e64 v12, v18, v12, s[6:7]
	v_cmp_neq_f64_e64 s[6:7], -v[2:3], v[8:9]
	v_cmp_gt_f64_e32 vcc, 1.0, v[10:11]
	s_xor_b64 s[6:7], s[6:7], vcc
	v_cndmask_b32_e64 v15, v8, 0, s[6:7]
	v_cndmask_b32_e64 v16, v9, 0, s[6:7]
	v_cmp_eq_f64_e32 vcc, 1.0, v[10:11]
	v_cmp_eq_f64_e64 s[6:7], 0, v[6:7]
	v_cmp_lt_f64_e64 s[8:9], s[12:13], v[2:3]
	v_cndmask_b32_e32 v16, v16, v11, vcc
	v_cndmask_b32_e32 v15, v15, v10, vcc
	v_cmp_eq_f64_e32 vcc, s[14:15], v[8:9]
	s_xor_b64 s[8:9], s[8:9], s[6:7]
	v_cndmask_b32_e32 v8, v12, v15, vcc
	v_cndmask_b32_e32 v9, v13, v16, vcc
	v_cmp_eq_f64_e32 vcc, s[14:15], v[10:11]
	v_cndmask_b32_e64 v10, v20, 0, s[8:9]
	v_cndmask_b32_e64 v11, 0, v7, s[4:5]
	v_bfi_b32 v10, s18, v10, v11
	s_or_b64 vcc, vcc, s[6:7]
	v_cndmask_b32_e32 v9, v9, v10, vcc
	v_cndmask_b32_e64 v8, v8, 0, vcc
	v_cmp_o_f64_e64 vcc, v[6:7], -v[2:3]
	v_cndmask_b32_e32 v2, 0, v8, vcc
	v_cndmask_b32_e32 v3, v14, v9, vcc
	v_mul_f64 v[0:1], v[2:3], v[0:1]
	v_mul_f64 v[0:1], v[0:1], v[4:5]
	v_cmp_o_f64_e32 vcc, v[0:1], v[0:1]
	v_cndmask_b32_e32 v7, 0, v1, vcc
	v_cndmask_b32_e32 v6, 0, v0, vcc
.LBB214_149:
	s_or_b64 exec, exec, s[10:11]
	v_readlane_b32 s30, v40, 54
	v_mov_b32_e32 v0, v6
	v_mov_b32_e32 v1, v7
	v_readlane_b32 s31, v40, 55
	v_readlane_b32 s87, v40, 53
	v_readlane_b32 s86, v40, 52
	v_readlane_b32 s85, v40, 51
	v_readlane_b32 s84, v40, 50
	v_readlane_b32 s83, v40, 49
	v_readlane_b32 s82, v40, 48
	v_readlane_b32 s81, v40, 47
	v_readlane_b32 s80, v40, 46
	v_readlane_b32 s79, v40, 45
	v_readlane_b32 s78, v40, 44
	v_readlane_b32 s77, v40, 43
	v_readlane_b32 s76, v40, 42
	v_readlane_b32 s75, v40, 41
	v_readlane_b32 s74, v40, 40
	v_readlane_b32 s73, v40, 39
	v_readlane_b32 s72, v40, 38
	v_readlane_b32 s71, v40, 37
	v_readlane_b32 s70, v40, 36
	v_readlane_b32 s69, v40, 35
	v_readlane_b32 s68, v40, 34
	v_readlane_b32 s67, v40, 33
	v_readlane_b32 s66, v40, 32
	v_readlane_b32 s65, v40, 31
	v_readlane_b32 s64, v40, 30
	v_readlane_b32 s63, v40, 29
	v_readlane_b32 s62, v40, 28
	v_readlane_b32 s61, v40, 27
	v_readlane_b32 s60, v40, 26
	v_readlane_b32 s59, v40, 25
	v_readlane_b32 s58, v40, 24
	v_readlane_b32 s57, v40, 23
	v_readlane_b32 s56, v40, 22
	v_readlane_b32 s55, v40, 21
	v_readlane_b32 s54, v40, 20
	v_readlane_b32 s53, v40, 19
	v_readlane_b32 s52, v40, 18
	v_readlane_b32 s51, v40, 17
	v_readlane_b32 s50, v40, 16
	v_readlane_b32 s49, v40, 15
	v_readlane_b32 s48, v40, 14
	v_readlane_b32 s47, v40, 13
	v_readlane_b32 s46, v40, 12
	v_readlane_b32 s45, v40, 11
	v_readlane_b32 s44, v40, 10
	v_readlane_b32 s43, v40, 9
	v_readlane_b32 s42, v40, 8
	v_readlane_b32 s41, v40, 7
	v_readlane_b32 s40, v40, 6
	v_readlane_b32 s39, v40, 5
	v_readlane_b32 s38, v40, 4
	v_readlane_b32 s37, v40, 3
	v_readlane_b32 s36, v40, 2
	v_readlane_b32 s35, v40, 1
	v_readlane_b32 s34, v40, 0
	s_or_saveexec_b64 s[4:5], -1
	buffer_load_dword v40, off, s[0:3], s32 ; 4-byte Folded Reload
	s_mov_b64 exec, s[4:5]
	s_waitcnt vmcnt(0)
	s_setpc_b64 s[30:31]
.LBB214_150:
	s_or_b64 exec, exec, s[8:9]
                                        ; implicit-def: $vgpr8_vgpr9
                                        ; implicit-def: $vgpr2_vgpr3
                                        ; implicit-def: $vgpr10_vgpr11
                                        ; implicit-def: $vgpr12_vgpr13
	s_andn2_saveexec_b64 s[10:11], s[16:17]
	s_cbranch_execnz .LBB214_55
	s_branch .LBB214_100
.Lfunc_end214:
	.size	_ZZZZN2at6native28launch_dirichlet_grad_kernelERNS_18TensorIteratorBaseEENKUlvE_clEvENKUlvE_clEvENKUldddE_clEddd, .Lfunc_end214-_ZZZZN2at6native28launch_dirichlet_grad_kernelERNS_18TensorIteratorBaseEENKUlvE_clEvENKUlvE_clEvENKUldddE_clEddd
                                        ; -- End function
	.section	.AMDGPU.csdata,"",@progbits
; Function info:
; codeLenInByte = 37052
; NumSgprs: 92
; NumVgprs: 82
; NumAgprs: 0
; TotalNumVgprs: 82
; ScratchSize: 8
; MemoryBound: 0
	.section	.text._ZN2at6native29vectorized_elementwise_kernelILi16EZZZNS0_28launch_dirichlet_grad_kernelERNS_18TensorIteratorBaseEENKUlvE_clEvENKUlvE_clEvEUldddE_St5arrayIPcLm4EEEEviT0_T1_,"axG",@progbits,_ZN2at6native29vectorized_elementwise_kernelILi16EZZZNS0_28launch_dirichlet_grad_kernelERNS_18TensorIteratorBaseEENKUlvE_clEvENKUlvE_clEvEUldddE_St5arrayIPcLm4EEEEviT0_T1_,comdat
	.globl	_ZN2at6native29vectorized_elementwise_kernelILi16EZZZNS0_28launch_dirichlet_grad_kernelERNS_18TensorIteratorBaseEENKUlvE_clEvENKUlvE_clEvEUldddE_St5arrayIPcLm4EEEEviT0_T1_ ; -- Begin function _ZN2at6native29vectorized_elementwise_kernelILi16EZZZNS0_28launch_dirichlet_grad_kernelERNS_18TensorIteratorBaseEENKUlvE_clEvENKUlvE_clEvEUldddE_St5arrayIPcLm4EEEEviT0_T1_
	.p2align	8
	.type	_ZN2at6native29vectorized_elementwise_kernelILi16EZZZNS0_28launch_dirichlet_grad_kernelERNS_18TensorIteratorBaseEENKUlvE_clEvENKUlvE_clEvEUldddE_St5arrayIPcLm4EEEEviT0_T1_,@function
_ZN2at6native29vectorized_elementwise_kernelILi16EZZZNS0_28launch_dirichlet_grad_kernelERNS_18TensorIteratorBaseEENKUlvE_clEvENKUlvE_clEvEUldddE_St5arrayIPcLm4EEEEviT0_T1_: ; @_ZN2at6native29vectorized_elementwise_kernelILi16EZZZNS0_28launch_dirichlet_grad_kernelERNS_18TensorIteratorBaseEENKUlvE_clEvENKUlvE_clEvEUldddE_St5arrayIPcLm4EEEEviT0_T1_
; %bb.0:
	s_add_u32 flat_scratch_lo, s6, s9
	s_load_dword s6, s[4:5], 0x0
	s_load_dwordx8 s[12:19], s[4:5], 0x8
                                        ; implicit-def: $vgpr89 : SGPR spill to VGPR lane
	s_addc_u32 flat_scratch_hi, s7, 0
	s_add_u32 s0, s0, s9
	s_addc_u32 s1, s1, 0
	s_lshl_b32 s90, s8, 10
	s_waitcnt lgkmcnt(0)
	v_writelane_b32 v89, s12, 0
	v_writelane_b32 v89, s13, 1
	;; [unrolled: 1-line block ×5, first 2 shown]
	s_sub_i32 s33, s6, s90
	v_writelane_b32 v89, s17, 5
	v_mov_b32_e32 v41, v0
	s_cmpk_gt_i32 s33, 0x3ff
	s_mov_b64 s[4:5], -1
	v_writelane_b32 v89, s18, 6
	s_mov_b32 s32, 0
	v_writelane_b32 v89, s19, 7
	s_cbranch_scc0 .LBB215_2
; %bb.1:
	s_ashr_i32 s91, s90, 31
	s_lshl_b64 s[88:89], s[90:91], 3
	s_add_u32 s4, s14, s88
	s_addc_u32 s5, s15, s89
	s_add_u32 s6, s16, s88
	v_lshlrev_b32_e32 v46, 5, v41
	s_addc_u32 s7, s17, s89
	global_load_dwordx4 v[42:45], v46, s[4:5]
	global_load_dwordx4 v[56:59], v46, s[6:7]
	s_add_u32 s8, s18, s88
	s_addc_u32 s9, s19, s89
	global_load_dwordx4 v[60:63], v46, s[8:9]
	global_load_dwordx4 v[72:75], v46, s[4:5] offset:16
	global_load_dwordx4 v[76:79], v46, s[6:7] offset:16
	global_load_dwordx4 v[82:85], v46, s[8:9] offset:16
	s_mov_b32 s92, s90
	s_getpc_b64 s[90:91]
	s_add_u32 s90, s90, _ZZZZN2at6native28launch_dirichlet_grad_kernelERNS_18TensorIteratorBaseEENKUlvE_clEvENKUlvE_clEvENKUldddE_clEddd@rel32@lo+4
	s_addc_u32 s91, s91, _ZZZZN2at6native28launch_dirichlet_grad_kernelERNS_18TensorIteratorBaseEENKUlvE_clEvENKUlvE_clEvENKUldddE_clEddd@rel32@hi+12
	s_waitcnt vmcnt(5)
	v_mov_b32_e32 v0, v42
	v_mov_b32_e32 v1, v43
	s_waitcnt vmcnt(4)
	v_mov_b32_e32 v2, v56
	v_mov_b32_e32 v3, v57
	;; [unrolled: 3-line block ×3, first 2 shown]
	s_swappc_b64 s[30:31], s[90:91]
	v_mov_b32_e32 v42, v0
	v_mov_b32_e32 v43, v1
	v_mov_b32_e32 v0, v44
	v_mov_b32_e32 v1, v45
	v_mov_b32_e32 v2, v58
	v_mov_b32_e32 v3, v59
	v_mov_b32_e32 v4, v62
	v_mov_b32_e32 v5, v63
	s_swappc_b64 s[30:31], s[90:91]
	v_mov_b32_e32 v44, v0
	v_mov_b32_e32 v45, v1
	v_mov_b32_e32 v0, v72
	v_mov_b32_e32 v1, v73
	v_mov_b32_e32 v2, v76
	v_mov_b32_e32 v3, v77
	v_mov_b32_e32 v4, v82
	v_mov_b32_e32 v5, v83
	;; [unrolled: 9-line block ×3, first 2 shown]
	s_swappc_b64 s[30:31], s[90:91]
	v_readlane_b32 s12, v89, 0
	v_readlane_b32 s13, v89, 1
	s_add_u32 s4, s12, s88
	s_addc_u32 s5, s13, s89
	v_readlane_b32 s14, v89, 2
	v_readlane_b32 s15, v89, 3
	;; [unrolled: 1-line block ×6, first 2 shown]
	s_mov_b32 s90, s92
	v_mov_b32_e32 v58, v0
	v_mov_b32_e32 v59, v1
	global_store_dwordx4 v46, v[42:45], s[4:5]
	global_store_dwordx4 v46, v[56:59], s[4:5] offset:16
	s_mov_b64 s[4:5], 0
.LBB215_2:
	s_andn2_b64 vcc, exec, s[4:5]
	s_cbranch_vccnz .LBB215_23
; %bb.3:
	v_pk_mov_b32 v[42:43], 0, 0
	v_cmp_gt_i32_e64 s[88:89], s33, v41
	v_or_b32_e32 v86, s90, v41
	v_pk_mov_b32 v[0:1], v[42:43], v[42:43] op_sel:[0,1]
	v_pk_mov_b32 v[2:3], v[42:43], v[42:43] op_sel:[0,1]
	;; [unrolled: 1-line block ×3, first 2 shown]
	v_mov_b32_e32 v6, v41
	s_and_saveexec_b64 s[4:5], s[88:89]
	s_cbranch_execz .LBB215_5
; %bb.4:
	v_mov_b32_e32 v87, 0
	v_lshlrev_b64 v[0:1], 3, v[86:87]
	v_mov_b32_e32 v2, s15
	v_add_co_u32_e32 v6, vcc, s14, v0
	v_addc_co_u32_e32 v7, vcc, v2, v1, vcc
	v_mov_b32_e32 v2, s17
	v_add_co_u32_e32 v8, vcc, s16, v0
	v_addc_co_u32_e32 v9, vcc, v2, v1, vcc
	;; [unrolled: 3-line block ×3, first 2 shown]
	global_load_dwordx2 v[0:1], v[6:7], off
	global_load_dwordx2 v[2:3], v[8:9], off
	;; [unrolled: 1-line block ×3, first 2 shown]
	v_or_b32_e32 v6, 0x100, v41
.LBB215_5:
	s_or_b64 exec, exec, s[4:5]
	v_cmp_gt_i32_e32 vcc, s33, v6
	v_pk_mov_b32 v[46:47], v[42:43], v[42:43] op_sel:[0,1]
	v_pk_mov_b32 v[72:73], v[42:43], v[42:43] op_sel:[0,1]
	s_and_saveexec_b64 s[4:5], vcc
	s_cbranch_execz .LBB215_7
; %bb.6:
	v_add_u32_e32 v8, s90, v6
	v_mov_b32_e32 v9, 0
	v_lshlrev_b64 v[8:9], 3, v[8:9]
	v_mov_b32_e32 v7, s15
	v_add_co_u32_e32 v10, vcc, s14, v8
	v_addc_co_u32_e32 v11, vcc, v7, v9, vcc
	v_mov_b32_e32 v7, s17
	v_add_co_u32_e32 v12, vcc, s16, v8
	v_addc_co_u32_e32 v13, vcc, v7, v9, vcc
	;; [unrolled: 3-line block ×3, first 2 shown]
	global_load_dwordx2 v[42:43], v[10:11], off
	global_load_dwordx2 v[46:47], v[12:13], off
	;; [unrolled: 1-line block ×3, first 2 shown]
	v_add_u32_e32 v6, 0x100, v6
.LBB215_7:
	s_or_b64 exec, exec, s[4:5]
	v_pk_mov_b32 v[44:45], 0, 0
	v_cmp_gt_i32_e32 vcc, s33, v6
	v_pk_mov_b32 v[74:75], v[44:45], v[44:45] op_sel:[0,1]
	v_pk_mov_b32 v[76:77], v[44:45], v[44:45] op_sel:[0,1]
	;; [unrolled: 1-line block ×3, first 2 shown]
	s_and_saveexec_b64 s[4:5], vcc
	s_cbranch_execz .LBB215_9
; %bb.8:
	v_add_u32_e32 v8, s90, v6
	v_mov_b32_e32 v9, 0
	v_lshlrev_b64 v[8:9], 3, v[8:9]
	v_mov_b32_e32 v7, s15
	v_add_co_u32_e32 v10, vcc, s14, v8
	v_addc_co_u32_e32 v11, vcc, v7, v9, vcc
	v_mov_b32_e32 v7, s17
	v_add_co_u32_e32 v12, vcc, s16, v8
	v_addc_co_u32_e32 v13, vcc, v7, v9, vcc
	;; [unrolled: 3-line block ×3, first 2 shown]
	global_load_dwordx2 v[74:75], v[10:11], off
	global_load_dwordx2 v[76:77], v[12:13], off
	;; [unrolled: 1-line block ×3, first 2 shown]
	v_add_u32_e32 v6, 0x100, v6
.LBB215_9:
	s_or_b64 exec, exec, s[4:5]
	v_cmp_gt_i32_e32 vcc, s33, v6
	v_pk_mov_b32 v[82:83], v[44:45], v[44:45] op_sel:[0,1]
	v_pk_mov_b32 v[84:85], v[44:45], v[44:45] op_sel:[0,1]
	s_and_saveexec_b64 s[4:5], vcc
	s_cbranch_execz .LBB215_11
; %bb.10:
	v_add_u32_e32 v6, s90, v6
	v_mov_b32_e32 v7, 0
	v_lshlrev_b64 v[6:7], 3, v[6:7]
	v_mov_b32_e32 v9, s15
	v_add_co_u32_e32 v8, vcc, s14, v6
	v_addc_co_u32_e32 v9, vcc, v9, v7, vcc
	v_mov_b32_e32 v11, s17
	v_add_co_u32_e32 v10, vcc, s16, v6
	v_addc_co_u32_e32 v11, vcc, v11, v7, vcc
	;; [unrolled: 3-line block ×3, first 2 shown]
	global_load_dwordx2 v[44:45], v[8:9], off
	global_load_dwordx2 v[82:83], v[10:11], off
	;; [unrolled: 1-line block ×3, first 2 shown]
.LBB215_11:
	s_or_b64 exec, exec, s[4:5]
                                        ; implicit-def: $vgpr56_vgpr57_vgpr58_vgpr59_vgpr60_vgpr61_vgpr62_vgpr63
	s_and_saveexec_b64 s[94:95], s[88:89]
	s_cbranch_execz .LBB215_13
; %bb.12:
	s_getpc_b64 s[4:5]
	s_add_u32 s4, s4, _ZZZZN2at6native28launch_dirichlet_grad_kernelERNS_18TensorIteratorBaseEENKUlvE_clEvENKUlvE_clEvENKUldddE_clEddd@rel32@lo+4
	s_addc_u32 s5, s5, _ZZZZN2at6native28launch_dirichlet_grad_kernelERNS_18TensorIteratorBaseEENKUlvE_clEvENKUlvE_clEvENKUldddE_clEddd@rel32@hi+12
	s_swappc_b64 s[30:31], s[4:5]
	v_readlane_b32 s12, v89, 0
	v_readlane_b32 s13, v89, 1
	v_mov_b32_e32 v56, v0
	v_mov_b32_e32 v57, v1
	v_readlane_b32 s14, v89, 2
	v_readlane_b32 s15, v89, 3
	;; [unrolled: 1-line block ×6, first 2 shown]
.LBB215_13:
	s_or_b64 exec, exec, s[94:95]
	v_or_b32_e32 v88, 0x100, v41
	v_cmp_gt_i32_e32 vcc, s33, v88
	s_and_saveexec_b64 s[94:95], vcc
	s_cbranch_execz .LBB215_15
; %bb.14:
	s_waitcnt vmcnt(2)
	v_mov_b32_e32 v0, v42
	v_mov_b32_e32 v1, v43
	s_waitcnt vmcnt(1)
	v_mov_b32_e32 v2, v46
	v_mov_b32_e32 v3, v47
	s_waitcnt vmcnt(0)
	v_mov_b32_e32 v4, v72
	v_mov_b32_e32 v5, v73
	s_getpc_b64 s[4:5]
	s_add_u32 s4, s4, _ZZZZN2at6native28launch_dirichlet_grad_kernelERNS_18TensorIteratorBaseEENKUlvE_clEvENKUlvE_clEvENKUldddE_clEddd@rel32@lo+4
	s_addc_u32 s5, s5, _ZZZZN2at6native28launch_dirichlet_grad_kernelERNS_18TensorIteratorBaseEENKUlvE_clEvENKUlvE_clEvENKUldddE_clEddd@rel32@hi+12
	s_swappc_b64 s[30:31], s[4:5]
	v_readlane_b32 s12, v89, 0
	v_readlane_b32 s13, v89, 1
	v_mov_b32_e32 v58, v0
	v_mov_b32_e32 v59, v1
	v_readlane_b32 s14, v89, 2
	v_readlane_b32 s15, v89, 3
	;; [unrolled: 1-line block ×6, first 2 shown]
.LBB215_15:
	s_or_b64 exec, exec, s[94:95]
	s_waitcnt vmcnt(2)
	v_or_b32_e32 v0, 0x200, v41
	v_cmp_gt_i32_e32 vcc, s33, v0
	s_and_saveexec_b64 s[94:95], vcc
	s_cbranch_execz .LBB215_17
; %bb.16:
	v_mov_b32_e32 v0, v74
	v_mov_b32_e32 v1, v75
	s_waitcnt vmcnt(1)
	v_mov_b32_e32 v2, v76
	v_mov_b32_e32 v3, v77
	s_waitcnt vmcnt(0)
	v_mov_b32_e32 v4, v78
	v_mov_b32_e32 v5, v79
	s_getpc_b64 s[4:5]
	s_add_u32 s4, s4, _ZZZZN2at6native28launch_dirichlet_grad_kernelERNS_18TensorIteratorBaseEENKUlvE_clEvENKUlvE_clEvENKUldddE_clEddd@rel32@lo+4
	s_addc_u32 s5, s5, _ZZZZN2at6native28launch_dirichlet_grad_kernelERNS_18TensorIteratorBaseEENKUlvE_clEvENKUlvE_clEvENKUldddE_clEddd@rel32@hi+12
	s_swappc_b64 s[30:31], s[4:5]
	v_readlane_b32 s12, v89, 0
	v_readlane_b32 s13, v89, 1
	v_mov_b32_e32 v60, v0
	v_mov_b32_e32 v61, v1
	v_readlane_b32 s14, v89, 2
	v_readlane_b32 s15, v89, 3
	;; [unrolled: 1-line block ×6, first 2 shown]
.LBB215_17:
	s_or_b64 exec, exec, s[94:95]
	v_or_b32_e32 v0, 0x300, v41
	v_cmp_gt_i32_e32 vcc, s33, v0
	s_and_saveexec_b64 s[94:95], vcc
	s_cbranch_execnz .LBB215_24
; %bb.18:
	s_or_b64 exec, exec, s[94:95]
	s_and_saveexec_b64 s[4:5], s[88:89]
	s_xor_b64 s[4:5], exec, s[4:5]
	s_cbranch_execnz .LBB215_25
.LBB215_19:
	s_or_b64 exec, exec, s[4:5]
	v_cmp_gt_i32_e32 vcc, s33, v41
	s_and_saveexec_b64 s[4:5], vcc
	s_cbranch_execnz .LBB215_26
.LBB215_20:
	s_or_b64 exec, exec, s[4:5]
	v_cmp_gt_i32_e32 vcc, s33, v41
	s_and_saveexec_b64 s[4:5], vcc
	s_cbranch_execnz .LBB215_27
.LBB215_21:
	s_or_b64 exec, exec, s[4:5]
	v_cmp_gt_i32_e32 vcc, s33, v41
	s_and_saveexec_b64 s[4:5], vcc
	s_cbranch_execz .LBB215_23
.LBB215_22:
	v_add_u32_e32 v0, s90, v41
	v_mov_b32_e32 v1, 0
	v_lshlrev_b64 v[0:1], 3, v[0:1]
	s_waitcnt vmcnt(1)
	v_mov_b32_e32 v2, s13
	v_add_co_u32_e32 v0, vcc, s12, v0
	v_addc_co_u32_e32 v1, vcc, v2, v1, vcc
	global_store_dwordx2 v[0:1], v[62:63], off
.LBB215_23:
	s_endpgm
.LBB215_24:
	v_mov_b32_e32 v0, v44
	v_mov_b32_e32 v1, v45
	s_waitcnt vmcnt(1)
	v_mov_b32_e32 v2, v82
	v_mov_b32_e32 v3, v83
	s_waitcnt vmcnt(0)
	v_mov_b32_e32 v4, v84
	v_mov_b32_e32 v5, v85
	s_getpc_b64 s[4:5]
	s_add_u32 s4, s4, _ZZZZN2at6native28launch_dirichlet_grad_kernelERNS_18TensorIteratorBaseEENKUlvE_clEvENKUlvE_clEvENKUldddE_clEddd@rel32@lo+4
	s_addc_u32 s5, s5, _ZZZZN2at6native28launch_dirichlet_grad_kernelERNS_18TensorIteratorBaseEENKUlvE_clEvENKUlvE_clEvENKUldddE_clEddd@rel32@hi+12
	s_swappc_b64 s[30:31], s[4:5]
	v_readlane_b32 s12, v89, 0
	v_readlane_b32 s13, v89, 1
	v_mov_b32_e32 v62, v0
	v_mov_b32_e32 v63, v1
	v_readlane_b32 s14, v89, 2
	v_readlane_b32 s15, v89, 3
	;; [unrolled: 1-line block ×6, first 2 shown]
	s_or_b64 exec, exec, s[94:95]
	s_and_saveexec_b64 s[4:5], s[88:89]
	s_xor_b64 s[4:5], exec, s[4:5]
	s_cbranch_execz .LBB215_19
.LBB215_25:
	v_mov_b32_e32 v87, 0
	v_lshlrev_b64 v[0:1], 3, v[86:87]
	s_waitcnt vmcnt(1)
	v_mov_b32_e32 v2, s13
	v_add_co_u32_e32 v0, vcc, s12, v0
	v_addc_co_u32_e32 v1, vcc, v2, v1, vcc
	v_mov_b32_e32 v41, v88
	global_store_dwordx2 v[0:1], v[56:57], off
	s_or_b64 exec, exec, s[4:5]
	v_cmp_gt_i32_e32 vcc, s33, v41
	s_and_saveexec_b64 s[4:5], vcc
	s_cbranch_execz .LBB215_20
.LBB215_26:
	v_add_u32_e32 v0, s90, v41
	v_mov_b32_e32 v1, 0
	v_lshlrev_b64 v[0:1], 3, v[0:1]
	s_waitcnt vmcnt(1)
	v_mov_b32_e32 v2, s13
	v_add_co_u32_e32 v0, vcc, s12, v0
	v_addc_co_u32_e32 v1, vcc, v2, v1, vcc
	v_add_u32_e32 v41, 0x100, v41
	global_store_dwordx2 v[0:1], v[58:59], off
	s_or_b64 exec, exec, s[4:5]
	v_cmp_gt_i32_e32 vcc, s33, v41
	s_and_saveexec_b64 s[4:5], vcc
	s_cbranch_execz .LBB215_21
.LBB215_27:
	v_add_u32_e32 v0, s90, v41
	v_mov_b32_e32 v1, 0
	v_lshlrev_b64 v[0:1], 3, v[0:1]
	s_waitcnt vmcnt(1)
	v_mov_b32_e32 v2, s13
	v_add_co_u32_e32 v0, vcc, s12, v0
	v_addc_co_u32_e32 v1, vcc, v2, v1, vcc
	v_add_u32_e32 v41, 0x100, v41
	global_store_dwordx2 v[0:1], v[60:61], off
	s_or_b64 exec, exec, s[4:5]
	v_cmp_gt_i32_e32 vcc, s33, v41
	s_and_saveexec_b64 s[4:5], vcc
	s_cbranch_execnz .LBB215_22
	s_branch .LBB215_23
	.section	.rodata,"a",@progbits
	.p2align	6, 0x0
	.amdhsa_kernel _ZN2at6native29vectorized_elementwise_kernelILi16EZZZNS0_28launch_dirichlet_grad_kernelERNS_18TensorIteratorBaseEENKUlvE_clEvENKUlvE_clEvEUldddE_St5arrayIPcLm4EEEEviT0_T1_
		.amdhsa_group_segment_fixed_size 0
		.amdhsa_private_segment_fixed_size 8
		.amdhsa_kernarg_size 40
		.amdhsa_user_sgpr_count 8
		.amdhsa_user_sgpr_private_segment_buffer 1
		.amdhsa_user_sgpr_dispatch_ptr 0
		.amdhsa_user_sgpr_queue_ptr 0
		.amdhsa_user_sgpr_kernarg_segment_ptr 1
		.amdhsa_user_sgpr_dispatch_id 0
		.amdhsa_user_sgpr_flat_scratch_init 1
		.amdhsa_user_sgpr_kernarg_preload_length 0
		.amdhsa_user_sgpr_kernarg_preload_offset 0
		.amdhsa_user_sgpr_private_segment_size 0
		.amdhsa_uses_dynamic_stack 0
		.amdhsa_system_sgpr_private_segment_wavefront_offset 1
		.amdhsa_system_sgpr_workgroup_id_x 1
		.amdhsa_system_sgpr_workgroup_id_y 0
		.amdhsa_system_sgpr_workgroup_id_z 0
		.amdhsa_system_sgpr_workgroup_info 0
		.amdhsa_system_vgpr_workitem_id 0
		.amdhsa_next_free_vgpr 90
		.amdhsa_next_free_sgpr 96
		.amdhsa_accum_offset 92
		.amdhsa_reserve_vcc 1
		.amdhsa_reserve_flat_scratch 1
		.amdhsa_float_round_mode_32 0
		.amdhsa_float_round_mode_16_64 0
		.amdhsa_float_denorm_mode_32 3
		.amdhsa_float_denorm_mode_16_64 3
		.amdhsa_dx10_clamp 1
		.amdhsa_ieee_mode 1
		.amdhsa_fp16_overflow 0
		.amdhsa_tg_split 0
		.amdhsa_exception_fp_ieee_invalid_op 0
		.amdhsa_exception_fp_denorm_src 0
		.amdhsa_exception_fp_ieee_div_zero 0
		.amdhsa_exception_fp_ieee_overflow 0
		.amdhsa_exception_fp_ieee_underflow 0
		.amdhsa_exception_fp_ieee_inexact 0
		.amdhsa_exception_int_div_zero 0
	.end_amdhsa_kernel
	.section	.text._ZN2at6native29vectorized_elementwise_kernelILi16EZZZNS0_28launch_dirichlet_grad_kernelERNS_18TensorIteratorBaseEENKUlvE_clEvENKUlvE_clEvEUldddE_St5arrayIPcLm4EEEEviT0_T1_,"axG",@progbits,_ZN2at6native29vectorized_elementwise_kernelILi16EZZZNS0_28launch_dirichlet_grad_kernelERNS_18TensorIteratorBaseEENKUlvE_clEvENKUlvE_clEvEUldddE_St5arrayIPcLm4EEEEviT0_T1_,comdat
.Lfunc_end215:
	.size	_ZN2at6native29vectorized_elementwise_kernelILi16EZZZNS0_28launch_dirichlet_grad_kernelERNS_18TensorIteratorBaseEENKUlvE_clEvENKUlvE_clEvEUldddE_St5arrayIPcLm4EEEEviT0_T1_, .Lfunc_end215-_ZN2at6native29vectorized_elementwise_kernelILi16EZZZNS0_28launch_dirichlet_grad_kernelERNS_18TensorIteratorBaseEENKUlvE_clEvENKUlvE_clEvEUldddE_St5arrayIPcLm4EEEEviT0_T1_
                                        ; -- End function
	.section	.AMDGPU.csdata,"",@progbits
; Kernel info:
; codeLenInByte = 1872
; NumSgprs: 102
; NumVgprs: 90
; NumAgprs: 0
; TotalNumVgprs: 90
; ScratchSize: 8
; MemoryBound: 1
; FloatMode: 240
; IeeeMode: 1
; LDSByteSize: 0 bytes/workgroup (compile time only)
; SGPRBlocks: 12
; VGPRBlocks: 11
; NumSGPRsForWavesPerEU: 102
; NumVGPRsForWavesPerEU: 90
; AccumOffset: 92
; Occupancy: 5
; WaveLimiterHint : 0
; COMPUTE_PGM_RSRC2:SCRATCH_EN: 1
; COMPUTE_PGM_RSRC2:USER_SGPR: 8
; COMPUTE_PGM_RSRC2:TRAP_HANDLER: 0
; COMPUTE_PGM_RSRC2:TGID_X_EN: 1
; COMPUTE_PGM_RSRC2:TGID_Y_EN: 0
; COMPUTE_PGM_RSRC2:TGID_Z_EN: 0
; COMPUTE_PGM_RSRC2:TIDIG_COMP_CNT: 0
; COMPUTE_PGM_RSRC3_GFX90A:ACCUM_OFFSET: 22
; COMPUTE_PGM_RSRC3_GFX90A:TG_SPLIT: 0
	.section	.text._ZN2at6native29vectorized_elementwise_kernelILi8EZZZNS0_28launch_dirichlet_grad_kernelERNS_18TensorIteratorBaseEENKUlvE_clEvENKUlvE_clEvEUldddE_St5arrayIPcLm4EEEEviT0_T1_,"axG",@progbits,_ZN2at6native29vectorized_elementwise_kernelILi8EZZZNS0_28launch_dirichlet_grad_kernelERNS_18TensorIteratorBaseEENKUlvE_clEvENKUlvE_clEvEUldddE_St5arrayIPcLm4EEEEviT0_T1_,comdat
	.globl	_ZN2at6native29vectorized_elementwise_kernelILi8EZZZNS0_28launch_dirichlet_grad_kernelERNS_18TensorIteratorBaseEENKUlvE_clEvENKUlvE_clEvEUldddE_St5arrayIPcLm4EEEEviT0_T1_ ; -- Begin function _ZN2at6native29vectorized_elementwise_kernelILi8EZZZNS0_28launch_dirichlet_grad_kernelERNS_18TensorIteratorBaseEENKUlvE_clEvENKUlvE_clEvEUldddE_St5arrayIPcLm4EEEEviT0_T1_
	.p2align	8
	.type	_ZN2at6native29vectorized_elementwise_kernelILi8EZZZNS0_28launch_dirichlet_grad_kernelERNS_18TensorIteratorBaseEENKUlvE_clEvENKUlvE_clEvEUldddE_St5arrayIPcLm4EEEEviT0_T1_,@function
_ZN2at6native29vectorized_elementwise_kernelILi8EZZZNS0_28launch_dirichlet_grad_kernelERNS_18TensorIteratorBaseEENKUlvE_clEvENKUlvE_clEvEUldddE_St5arrayIPcLm4EEEEviT0_T1_: ; @_ZN2at6native29vectorized_elementwise_kernelILi8EZZZNS0_28launch_dirichlet_grad_kernelERNS_18TensorIteratorBaseEENKUlvE_clEvENKUlvE_clEvEUldddE_St5arrayIPcLm4EEEEviT0_T1_
; %bb.0:
	s_add_u32 flat_scratch_lo, s6, s9
	s_load_dword s6, s[4:5], 0x0
	s_load_dwordx8 s[12:19], s[4:5], 0x8
                                        ; implicit-def: $vgpr89 : SGPR spill to VGPR lane
	s_addc_u32 flat_scratch_hi, s7, 0
	s_add_u32 s0, s0, s9
	s_addc_u32 s1, s1, 0
	s_lshl_b32 s90, s8, 10
	s_waitcnt lgkmcnt(0)
	v_writelane_b32 v89, s12, 0
	v_writelane_b32 v89, s13, 1
	;; [unrolled: 1-line block ×5, first 2 shown]
	s_sub_i32 s33, s6, s90
	v_writelane_b32 v89, s17, 5
	v_mov_b32_e32 v41, v0
	s_cmpk_gt_i32 s33, 0x3ff
	s_mov_b64 s[4:5], -1
	v_writelane_b32 v89, s18, 6
	s_mov_b32 s32, 0
	v_writelane_b32 v89, s19, 7
	s_cbranch_scc0 .LBB216_2
; %bb.1:
	s_ashr_i32 s91, s90, 31
	s_lshl_b64 s[88:89], s[90:91], 3
	s_add_u32 s4, s14, s88
	s_addc_u32 s5, s15, s89
	s_add_u32 s6, s16, s88
	v_lshlrev_b32_e32 v46, 5, v41
	s_addc_u32 s7, s17, s89
	global_load_dwordx4 v[42:45], v46, s[4:5]
	global_load_dwordx4 v[56:59], v46, s[6:7]
	s_add_u32 s8, s18, s88
	s_addc_u32 s9, s19, s89
	global_load_dwordx4 v[60:63], v46, s[8:9]
	global_load_dwordx4 v[72:75], v46, s[4:5] offset:16
	global_load_dwordx4 v[76:79], v46, s[6:7] offset:16
	;; [unrolled: 1-line block ×3, first 2 shown]
	s_mov_b32 s92, s90
	s_getpc_b64 s[90:91]
	s_add_u32 s90, s90, _ZZZZN2at6native28launch_dirichlet_grad_kernelERNS_18TensorIteratorBaseEENKUlvE_clEvENKUlvE_clEvENKUldddE_clEddd@rel32@lo+4
	s_addc_u32 s91, s91, _ZZZZN2at6native28launch_dirichlet_grad_kernelERNS_18TensorIteratorBaseEENKUlvE_clEvENKUlvE_clEvENKUldddE_clEddd@rel32@hi+12
	s_waitcnt vmcnt(5)
	v_mov_b32_e32 v0, v42
	v_mov_b32_e32 v1, v43
	s_waitcnt vmcnt(4)
	v_mov_b32_e32 v2, v56
	v_mov_b32_e32 v3, v57
	;; [unrolled: 3-line block ×3, first 2 shown]
	s_swappc_b64 s[30:31], s[90:91]
	v_mov_b32_e32 v42, v0
	v_mov_b32_e32 v43, v1
	v_mov_b32_e32 v0, v44
	v_mov_b32_e32 v1, v45
	v_mov_b32_e32 v2, v58
	v_mov_b32_e32 v3, v59
	v_mov_b32_e32 v4, v62
	v_mov_b32_e32 v5, v63
	s_swappc_b64 s[30:31], s[90:91]
	v_mov_b32_e32 v44, v0
	v_mov_b32_e32 v45, v1
	v_mov_b32_e32 v0, v72
	v_mov_b32_e32 v1, v73
	v_mov_b32_e32 v2, v76
	v_mov_b32_e32 v3, v77
	v_mov_b32_e32 v4, v82
	v_mov_b32_e32 v5, v83
	;; [unrolled: 9-line block ×3, first 2 shown]
	s_swappc_b64 s[30:31], s[90:91]
	v_readlane_b32 s12, v89, 0
	v_readlane_b32 s13, v89, 1
	s_add_u32 s4, s12, s88
	s_addc_u32 s5, s13, s89
	v_readlane_b32 s14, v89, 2
	v_readlane_b32 s15, v89, 3
	;; [unrolled: 1-line block ×6, first 2 shown]
	s_mov_b32 s90, s92
	v_mov_b32_e32 v58, v0
	v_mov_b32_e32 v59, v1
	global_store_dwordx4 v46, v[42:45], s[4:5]
	global_store_dwordx4 v46, v[56:59], s[4:5] offset:16
	s_mov_b64 s[4:5], 0
.LBB216_2:
	s_andn2_b64 vcc, exec, s[4:5]
	s_cbranch_vccnz .LBB216_23
; %bb.3:
	v_pk_mov_b32 v[42:43], 0, 0
	v_cmp_gt_i32_e64 s[88:89], s33, v41
	v_or_b32_e32 v86, s90, v41
	v_pk_mov_b32 v[0:1], v[42:43], v[42:43] op_sel:[0,1]
	v_pk_mov_b32 v[2:3], v[42:43], v[42:43] op_sel:[0,1]
	;; [unrolled: 1-line block ×3, first 2 shown]
	v_mov_b32_e32 v6, v41
	s_and_saveexec_b64 s[4:5], s[88:89]
	s_cbranch_execz .LBB216_5
; %bb.4:
	v_mov_b32_e32 v87, 0
	v_lshlrev_b64 v[0:1], 3, v[86:87]
	v_mov_b32_e32 v2, s15
	v_add_co_u32_e32 v6, vcc, s14, v0
	v_addc_co_u32_e32 v7, vcc, v2, v1, vcc
	v_mov_b32_e32 v2, s17
	v_add_co_u32_e32 v8, vcc, s16, v0
	v_addc_co_u32_e32 v9, vcc, v2, v1, vcc
	;; [unrolled: 3-line block ×3, first 2 shown]
	global_load_dwordx2 v[0:1], v[6:7], off
	global_load_dwordx2 v[2:3], v[8:9], off
	;; [unrolled: 1-line block ×3, first 2 shown]
	v_or_b32_e32 v6, 0x100, v41
.LBB216_5:
	s_or_b64 exec, exec, s[4:5]
	v_cmp_gt_i32_e32 vcc, s33, v6
	v_pk_mov_b32 v[46:47], v[42:43], v[42:43] op_sel:[0,1]
	v_pk_mov_b32 v[72:73], v[42:43], v[42:43] op_sel:[0,1]
	s_and_saveexec_b64 s[4:5], vcc
	s_cbranch_execz .LBB216_7
; %bb.6:
	v_add_u32_e32 v8, s90, v6
	v_mov_b32_e32 v9, 0
	v_lshlrev_b64 v[8:9], 3, v[8:9]
	v_mov_b32_e32 v7, s15
	v_add_co_u32_e32 v10, vcc, s14, v8
	v_addc_co_u32_e32 v11, vcc, v7, v9, vcc
	v_mov_b32_e32 v7, s17
	v_add_co_u32_e32 v12, vcc, s16, v8
	v_addc_co_u32_e32 v13, vcc, v7, v9, vcc
	;; [unrolled: 3-line block ×3, first 2 shown]
	global_load_dwordx2 v[42:43], v[10:11], off
	global_load_dwordx2 v[46:47], v[12:13], off
	;; [unrolled: 1-line block ×3, first 2 shown]
	v_add_u32_e32 v6, 0x100, v6
.LBB216_7:
	s_or_b64 exec, exec, s[4:5]
	v_pk_mov_b32 v[44:45], 0, 0
	v_cmp_gt_i32_e32 vcc, s33, v6
	v_pk_mov_b32 v[74:75], v[44:45], v[44:45] op_sel:[0,1]
	v_pk_mov_b32 v[76:77], v[44:45], v[44:45] op_sel:[0,1]
	;; [unrolled: 1-line block ×3, first 2 shown]
	s_and_saveexec_b64 s[4:5], vcc
	s_cbranch_execz .LBB216_9
; %bb.8:
	v_add_u32_e32 v8, s90, v6
	v_mov_b32_e32 v9, 0
	v_lshlrev_b64 v[8:9], 3, v[8:9]
	v_mov_b32_e32 v7, s15
	v_add_co_u32_e32 v10, vcc, s14, v8
	v_addc_co_u32_e32 v11, vcc, v7, v9, vcc
	v_mov_b32_e32 v7, s17
	v_add_co_u32_e32 v12, vcc, s16, v8
	v_addc_co_u32_e32 v13, vcc, v7, v9, vcc
	;; [unrolled: 3-line block ×3, first 2 shown]
	global_load_dwordx2 v[74:75], v[10:11], off
	global_load_dwordx2 v[76:77], v[12:13], off
	;; [unrolled: 1-line block ×3, first 2 shown]
	v_add_u32_e32 v6, 0x100, v6
.LBB216_9:
	s_or_b64 exec, exec, s[4:5]
	v_cmp_gt_i32_e32 vcc, s33, v6
	v_pk_mov_b32 v[82:83], v[44:45], v[44:45] op_sel:[0,1]
	v_pk_mov_b32 v[84:85], v[44:45], v[44:45] op_sel:[0,1]
	s_and_saveexec_b64 s[4:5], vcc
	s_cbranch_execz .LBB216_11
; %bb.10:
	v_add_u32_e32 v6, s90, v6
	v_mov_b32_e32 v7, 0
	v_lshlrev_b64 v[6:7], 3, v[6:7]
	v_mov_b32_e32 v9, s15
	v_add_co_u32_e32 v8, vcc, s14, v6
	v_addc_co_u32_e32 v9, vcc, v9, v7, vcc
	v_mov_b32_e32 v11, s17
	v_add_co_u32_e32 v10, vcc, s16, v6
	v_addc_co_u32_e32 v11, vcc, v11, v7, vcc
	;; [unrolled: 3-line block ×3, first 2 shown]
	global_load_dwordx2 v[44:45], v[8:9], off
	global_load_dwordx2 v[82:83], v[10:11], off
	;; [unrolled: 1-line block ×3, first 2 shown]
.LBB216_11:
	s_or_b64 exec, exec, s[4:5]
                                        ; implicit-def: $vgpr56_vgpr57_vgpr58_vgpr59_vgpr60_vgpr61_vgpr62_vgpr63
	s_and_saveexec_b64 s[94:95], s[88:89]
	s_cbranch_execz .LBB216_13
; %bb.12:
	s_getpc_b64 s[4:5]
	s_add_u32 s4, s4, _ZZZZN2at6native28launch_dirichlet_grad_kernelERNS_18TensorIteratorBaseEENKUlvE_clEvENKUlvE_clEvENKUldddE_clEddd@rel32@lo+4
	s_addc_u32 s5, s5, _ZZZZN2at6native28launch_dirichlet_grad_kernelERNS_18TensorIteratorBaseEENKUlvE_clEvENKUlvE_clEvENKUldddE_clEddd@rel32@hi+12
	s_swappc_b64 s[30:31], s[4:5]
	v_readlane_b32 s12, v89, 0
	v_readlane_b32 s13, v89, 1
	v_mov_b32_e32 v56, v0
	v_mov_b32_e32 v57, v1
	v_readlane_b32 s14, v89, 2
	v_readlane_b32 s15, v89, 3
	;; [unrolled: 1-line block ×6, first 2 shown]
.LBB216_13:
	s_or_b64 exec, exec, s[94:95]
	v_or_b32_e32 v88, 0x100, v41
	v_cmp_gt_i32_e32 vcc, s33, v88
	s_and_saveexec_b64 s[94:95], vcc
	s_cbranch_execz .LBB216_15
; %bb.14:
	s_waitcnt vmcnt(2)
	v_mov_b32_e32 v0, v42
	v_mov_b32_e32 v1, v43
	s_waitcnt vmcnt(1)
	v_mov_b32_e32 v2, v46
	v_mov_b32_e32 v3, v47
	;; [unrolled: 3-line block ×3, first 2 shown]
	s_getpc_b64 s[4:5]
	s_add_u32 s4, s4, _ZZZZN2at6native28launch_dirichlet_grad_kernelERNS_18TensorIteratorBaseEENKUlvE_clEvENKUlvE_clEvENKUldddE_clEddd@rel32@lo+4
	s_addc_u32 s5, s5, _ZZZZN2at6native28launch_dirichlet_grad_kernelERNS_18TensorIteratorBaseEENKUlvE_clEvENKUlvE_clEvENKUldddE_clEddd@rel32@hi+12
	s_swappc_b64 s[30:31], s[4:5]
	v_readlane_b32 s12, v89, 0
	v_readlane_b32 s13, v89, 1
	v_mov_b32_e32 v58, v0
	v_mov_b32_e32 v59, v1
	v_readlane_b32 s14, v89, 2
	v_readlane_b32 s15, v89, 3
	;; [unrolled: 1-line block ×6, first 2 shown]
.LBB216_15:
	s_or_b64 exec, exec, s[94:95]
	s_waitcnt vmcnt(2)
	v_or_b32_e32 v0, 0x200, v41
	v_cmp_gt_i32_e32 vcc, s33, v0
	s_and_saveexec_b64 s[94:95], vcc
	s_cbranch_execz .LBB216_17
; %bb.16:
	v_mov_b32_e32 v0, v74
	v_mov_b32_e32 v1, v75
	s_waitcnt vmcnt(1)
	v_mov_b32_e32 v2, v76
	v_mov_b32_e32 v3, v77
	s_waitcnt vmcnt(0)
	v_mov_b32_e32 v4, v78
	v_mov_b32_e32 v5, v79
	s_getpc_b64 s[4:5]
	s_add_u32 s4, s4, _ZZZZN2at6native28launch_dirichlet_grad_kernelERNS_18TensorIteratorBaseEENKUlvE_clEvENKUlvE_clEvENKUldddE_clEddd@rel32@lo+4
	s_addc_u32 s5, s5, _ZZZZN2at6native28launch_dirichlet_grad_kernelERNS_18TensorIteratorBaseEENKUlvE_clEvENKUlvE_clEvENKUldddE_clEddd@rel32@hi+12
	s_swappc_b64 s[30:31], s[4:5]
	v_readlane_b32 s12, v89, 0
	v_readlane_b32 s13, v89, 1
	v_mov_b32_e32 v60, v0
	v_mov_b32_e32 v61, v1
	v_readlane_b32 s14, v89, 2
	v_readlane_b32 s15, v89, 3
	;; [unrolled: 1-line block ×6, first 2 shown]
.LBB216_17:
	s_or_b64 exec, exec, s[94:95]
	v_or_b32_e32 v0, 0x300, v41
	v_cmp_gt_i32_e32 vcc, s33, v0
	s_and_saveexec_b64 s[94:95], vcc
	s_cbranch_execnz .LBB216_24
; %bb.18:
	s_or_b64 exec, exec, s[94:95]
	s_and_saveexec_b64 s[4:5], s[88:89]
	s_xor_b64 s[4:5], exec, s[4:5]
	s_cbranch_execnz .LBB216_25
.LBB216_19:
	s_or_b64 exec, exec, s[4:5]
	v_cmp_gt_i32_e32 vcc, s33, v41
	s_and_saveexec_b64 s[4:5], vcc
	s_cbranch_execnz .LBB216_26
.LBB216_20:
	s_or_b64 exec, exec, s[4:5]
	v_cmp_gt_i32_e32 vcc, s33, v41
	s_and_saveexec_b64 s[4:5], vcc
	s_cbranch_execnz .LBB216_27
.LBB216_21:
	s_or_b64 exec, exec, s[4:5]
	v_cmp_gt_i32_e32 vcc, s33, v41
	s_and_saveexec_b64 s[4:5], vcc
	s_cbranch_execz .LBB216_23
.LBB216_22:
	v_add_u32_e32 v0, s90, v41
	v_mov_b32_e32 v1, 0
	v_lshlrev_b64 v[0:1], 3, v[0:1]
	s_waitcnt vmcnt(1)
	v_mov_b32_e32 v2, s13
	v_add_co_u32_e32 v0, vcc, s12, v0
	v_addc_co_u32_e32 v1, vcc, v2, v1, vcc
	global_store_dwordx2 v[0:1], v[62:63], off
.LBB216_23:
	s_endpgm
.LBB216_24:
	v_mov_b32_e32 v0, v44
	v_mov_b32_e32 v1, v45
	s_waitcnt vmcnt(1)
	v_mov_b32_e32 v2, v82
	v_mov_b32_e32 v3, v83
	s_waitcnt vmcnt(0)
	v_mov_b32_e32 v4, v84
	v_mov_b32_e32 v5, v85
	s_getpc_b64 s[4:5]
	s_add_u32 s4, s4, _ZZZZN2at6native28launch_dirichlet_grad_kernelERNS_18TensorIteratorBaseEENKUlvE_clEvENKUlvE_clEvENKUldddE_clEddd@rel32@lo+4
	s_addc_u32 s5, s5, _ZZZZN2at6native28launch_dirichlet_grad_kernelERNS_18TensorIteratorBaseEENKUlvE_clEvENKUlvE_clEvENKUldddE_clEddd@rel32@hi+12
	s_swappc_b64 s[30:31], s[4:5]
	v_readlane_b32 s12, v89, 0
	v_readlane_b32 s13, v89, 1
	v_mov_b32_e32 v62, v0
	v_mov_b32_e32 v63, v1
	v_readlane_b32 s14, v89, 2
	v_readlane_b32 s15, v89, 3
	;; [unrolled: 1-line block ×6, first 2 shown]
	s_or_b64 exec, exec, s[94:95]
	s_and_saveexec_b64 s[4:5], s[88:89]
	s_xor_b64 s[4:5], exec, s[4:5]
	s_cbranch_execz .LBB216_19
.LBB216_25:
	v_mov_b32_e32 v87, 0
	v_lshlrev_b64 v[0:1], 3, v[86:87]
	s_waitcnt vmcnt(1)
	v_mov_b32_e32 v2, s13
	v_add_co_u32_e32 v0, vcc, s12, v0
	v_addc_co_u32_e32 v1, vcc, v2, v1, vcc
	v_mov_b32_e32 v41, v88
	global_store_dwordx2 v[0:1], v[56:57], off
	s_or_b64 exec, exec, s[4:5]
	v_cmp_gt_i32_e32 vcc, s33, v41
	s_and_saveexec_b64 s[4:5], vcc
	s_cbranch_execz .LBB216_20
.LBB216_26:
	v_add_u32_e32 v0, s90, v41
	v_mov_b32_e32 v1, 0
	v_lshlrev_b64 v[0:1], 3, v[0:1]
	s_waitcnt vmcnt(1)
	v_mov_b32_e32 v2, s13
	v_add_co_u32_e32 v0, vcc, s12, v0
	v_addc_co_u32_e32 v1, vcc, v2, v1, vcc
	v_add_u32_e32 v41, 0x100, v41
	global_store_dwordx2 v[0:1], v[58:59], off
	s_or_b64 exec, exec, s[4:5]
	v_cmp_gt_i32_e32 vcc, s33, v41
	s_and_saveexec_b64 s[4:5], vcc
	s_cbranch_execz .LBB216_21
.LBB216_27:
	v_add_u32_e32 v0, s90, v41
	v_mov_b32_e32 v1, 0
	v_lshlrev_b64 v[0:1], 3, v[0:1]
	s_waitcnt vmcnt(1)
	v_mov_b32_e32 v2, s13
	v_add_co_u32_e32 v0, vcc, s12, v0
	v_addc_co_u32_e32 v1, vcc, v2, v1, vcc
	v_add_u32_e32 v41, 0x100, v41
	global_store_dwordx2 v[0:1], v[60:61], off
	s_or_b64 exec, exec, s[4:5]
	v_cmp_gt_i32_e32 vcc, s33, v41
	s_and_saveexec_b64 s[4:5], vcc
	s_cbranch_execnz .LBB216_22
	s_branch .LBB216_23
	.section	.rodata,"a",@progbits
	.p2align	6, 0x0
	.amdhsa_kernel _ZN2at6native29vectorized_elementwise_kernelILi8EZZZNS0_28launch_dirichlet_grad_kernelERNS_18TensorIteratorBaseEENKUlvE_clEvENKUlvE_clEvEUldddE_St5arrayIPcLm4EEEEviT0_T1_
		.amdhsa_group_segment_fixed_size 0
		.amdhsa_private_segment_fixed_size 8
		.amdhsa_kernarg_size 40
		.amdhsa_user_sgpr_count 8
		.amdhsa_user_sgpr_private_segment_buffer 1
		.amdhsa_user_sgpr_dispatch_ptr 0
		.amdhsa_user_sgpr_queue_ptr 0
		.amdhsa_user_sgpr_kernarg_segment_ptr 1
		.amdhsa_user_sgpr_dispatch_id 0
		.amdhsa_user_sgpr_flat_scratch_init 1
		.amdhsa_user_sgpr_kernarg_preload_length 0
		.amdhsa_user_sgpr_kernarg_preload_offset 0
		.amdhsa_user_sgpr_private_segment_size 0
		.amdhsa_uses_dynamic_stack 0
		.amdhsa_system_sgpr_private_segment_wavefront_offset 1
		.amdhsa_system_sgpr_workgroup_id_x 1
		.amdhsa_system_sgpr_workgroup_id_y 0
		.amdhsa_system_sgpr_workgroup_id_z 0
		.amdhsa_system_sgpr_workgroup_info 0
		.amdhsa_system_vgpr_workitem_id 0
		.amdhsa_next_free_vgpr 90
		.amdhsa_next_free_sgpr 96
		.amdhsa_accum_offset 92
		.amdhsa_reserve_vcc 1
		.amdhsa_reserve_flat_scratch 1
		.amdhsa_float_round_mode_32 0
		.amdhsa_float_round_mode_16_64 0
		.amdhsa_float_denorm_mode_32 3
		.amdhsa_float_denorm_mode_16_64 3
		.amdhsa_dx10_clamp 1
		.amdhsa_ieee_mode 1
		.amdhsa_fp16_overflow 0
		.amdhsa_tg_split 0
		.amdhsa_exception_fp_ieee_invalid_op 0
		.amdhsa_exception_fp_denorm_src 0
		.amdhsa_exception_fp_ieee_div_zero 0
		.amdhsa_exception_fp_ieee_overflow 0
		.amdhsa_exception_fp_ieee_underflow 0
		.amdhsa_exception_fp_ieee_inexact 0
		.amdhsa_exception_int_div_zero 0
	.end_amdhsa_kernel
	.section	.text._ZN2at6native29vectorized_elementwise_kernelILi8EZZZNS0_28launch_dirichlet_grad_kernelERNS_18TensorIteratorBaseEENKUlvE_clEvENKUlvE_clEvEUldddE_St5arrayIPcLm4EEEEviT0_T1_,"axG",@progbits,_ZN2at6native29vectorized_elementwise_kernelILi8EZZZNS0_28launch_dirichlet_grad_kernelERNS_18TensorIteratorBaseEENKUlvE_clEvENKUlvE_clEvEUldddE_St5arrayIPcLm4EEEEviT0_T1_,comdat
.Lfunc_end216:
	.size	_ZN2at6native29vectorized_elementwise_kernelILi8EZZZNS0_28launch_dirichlet_grad_kernelERNS_18TensorIteratorBaseEENKUlvE_clEvENKUlvE_clEvEUldddE_St5arrayIPcLm4EEEEviT0_T1_, .Lfunc_end216-_ZN2at6native29vectorized_elementwise_kernelILi8EZZZNS0_28launch_dirichlet_grad_kernelERNS_18TensorIteratorBaseEENKUlvE_clEvENKUlvE_clEvEUldddE_St5arrayIPcLm4EEEEviT0_T1_
                                        ; -- End function
	.section	.AMDGPU.csdata,"",@progbits
; Kernel info:
; codeLenInByte = 1872
; NumSgprs: 102
; NumVgprs: 90
; NumAgprs: 0
; TotalNumVgprs: 90
; ScratchSize: 8
; MemoryBound: 1
; FloatMode: 240
; IeeeMode: 1
; LDSByteSize: 0 bytes/workgroup (compile time only)
; SGPRBlocks: 12
; VGPRBlocks: 11
; NumSGPRsForWavesPerEU: 102
; NumVGPRsForWavesPerEU: 90
; AccumOffset: 92
; Occupancy: 5
; WaveLimiterHint : 0
; COMPUTE_PGM_RSRC2:SCRATCH_EN: 1
; COMPUTE_PGM_RSRC2:USER_SGPR: 8
; COMPUTE_PGM_RSRC2:TRAP_HANDLER: 0
; COMPUTE_PGM_RSRC2:TGID_X_EN: 1
; COMPUTE_PGM_RSRC2:TGID_Y_EN: 0
; COMPUTE_PGM_RSRC2:TGID_Z_EN: 0
; COMPUTE_PGM_RSRC2:TIDIG_COMP_CNT: 0
; COMPUTE_PGM_RSRC3_GFX90A:ACCUM_OFFSET: 22
; COMPUTE_PGM_RSRC3_GFX90A:TG_SPLIT: 0
	.section	.text._ZN2at6native29vectorized_elementwise_kernelILi4EZZZNS0_28launch_dirichlet_grad_kernelERNS_18TensorIteratorBaseEENKUlvE_clEvENKUlvE_clEvEUldddE_St5arrayIPcLm4EEEEviT0_T1_,"axG",@progbits,_ZN2at6native29vectorized_elementwise_kernelILi4EZZZNS0_28launch_dirichlet_grad_kernelERNS_18TensorIteratorBaseEENKUlvE_clEvENKUlvE_clEvEUldddE_St5arrayIPcLm4EEEEviT0_T1_,comdat
	.globl	_ZN2at6native29vectorized_elementwise_kernelILi4EZZZNS0_28launch_dirichlet_grad_kernelERNS_18TensorIteratorBaseEENKUlvE_clEvENKUlvE_clEvEUldddE_St5arrayIPcLm4EEEEviT0_T1_ ; -- Begin function _ZN2at6native29vectorized_elementwise_kernelILi4EZZZNS0_28launch_dirichlet_grad_kernelERNS_18TensorIteratorBaseEENKUlvE_clEvENKUlvE_clEvEUldddE_St5arrayIPcLm4EEEEviT0_T1_
	.p2align	8
	.type	_ZN2at6native29vectorized_elementwise_kernelILi4EZZZNS0_28launch_dirichlet_grad_kernelERNS_18TensorIteratorBaseEENKUlvE_clEvENKUlvE_clEvEUldddE_St5arrayIPcLm4EEEEviT0_T1_,@function
_ZN2at6native29vectorized_elementwise_kernelILi4EZZZNS0_28launch_dirichlet_grad_kernelERNS_18TensorIteratorBaseEENKUlvE_clEvENKUlvE_clEvEUldddE_St5arrayIPcLm4EEEEviT0_T1_: ; @_ZN2at6native29vectorized_elementwise_kernelILi4EZZZNS0_28launch_dirichlet_grad_kernelERNS_18TensorIteratorBaseEENKUlvE_clEvENKUlvE_clEvEUldddE_St5arrayIPcLm4EEEEviT0_T1_
; %bb.0:
	s_add_u32 flat_scratch_lo, s6, s9
	s_load_dword s6, s[4:5], 0x0
	s_load_dwordx8 s[12:19], s[4:5], 0x8
                                        ; implicit-def: $vgpr89 : SGPR spill to VGPR lane
	s_addc_u32 flat_scratch_hi, s7, 0
	s_add_u32 s0, s0, s9
	s_addc_u32 s1, s1, 0
	s_lshl_b32 s90, s8, 10
	s_waitcnt lgkmcnt(0)
	v_writelane_b32 v89, s12, 0
	v_writelane_b32 v89, s13, 1
	;; [unrolled: 1-line block ×5, first 2 shown]
	s_sub_i32 s33, s6, s90
	v_writelane_b32 v89, s17, 5
	v_mov_b32_e32 v41, v0
	s_cmpk_gt_i32 s33, 0x3ff
	s_mov_b64 s[4:5], -1
	v_writelane_b32 v89, s18, 6
	s_mov_b32 s32, 0
	v_writelane_b32 v89, s19, 7
	s_cbranch_scc0 .LBB217_2
; %bb.1:
	s_ashr_i32 s91, s90, 31
	s_lshl_b64 s[88:89], s[90:91], 3
	s_add_u32 s4, s14, s88
	s_addc_u32 s5, s15, s89
	s_add_u32 s6, s16, s88
	v_lshlrev_b32_e32 v46, 5, v41
	s_addc_u32 s7, s17, s89
	global_load_dwordx4 v[42:45], v46, s[4:5]
	global_load_dwordx4 v[56:59], v46, s[6:7]
	s_add_u32 s8, s18, s88
	s_addc_u32 s9, s19, s89
	global_load_dwordx4 v[60:63], v46, s[8:9]
	global_load_dwordx4 v[72:75], v46, s[4:5] offset:16
	global_load_dwordx4 v[76:79], v46, s[6:7] offset:16
	;; [unrolled: 1-line block ×3, first 2 shown]
	s_mov_b32 s92, s90
	s_getpc_b64 s[90:91]
	s_add_u32 s90, s90, _ZZZZN2at6native28launch_dirichlet_grad_kernelERNS_18TensorIteratorBaseEENKUlvE_clEvENKUlvE_clEvENKUldddE_clEddd@rel32@lo+4
	s_addc_u32 s91, s91, _ZZZZN2at6native28launch_dirichlet_grad_kernelERNS_18TensorIteratorBaseEENKUlvE_clEvENKUlvE_clEvENKUldddE_clEddd@rel32@hi+12
	s_waitcnt vmcnt(5)
	v_mov_b32_e32 v0, v42
	v_mov_b32_e32 v1, v43
	s_waitcnt vmcnt(4)
	v_mov_b32_e32 v2, v56
	v_mov_b32_e32 v3, v57
	;; [unrolled: 3-line block ×3, first 2 shown]
	s_swappc_b64 s[30:31], s[90:91]
	v_mov_b32_e32 v42, v0
	v_mov_b32_e32 v43, v1
	v_mov_b32_e32 v0, v44
	v_mov_b32_e32 v1, v45
	v_mov_b32_e32 v2, v58
	v_mov_b32_e32 v3, v59
	v_mov_b32_e32 v4, v62
	v_mov_b32_e32 v5, v63
	s_swappc_b64 s[30:31], s[90:91]
	v_mov_b32_e32 v44, v0
	v_mov_b32_e32 v45, v1
	v_mov_b32_e32 v0, v72
	v_mov_b32_e32 v1, v73
	v_mov_b32_e32 v2, v76
	v_mov_b32_e32 v3, v77
	v_mov_b32_e32 v4, v82
	v_mov_b32_e32 v5, v83
	;; [unrolled: 9-line block ×3, first 2 shown]
	s_swappc_b64 s[30:31], s[90:91]
	v_readlane_b32 s12, v89, 0
	v_readlane_b32 s13, v89, 1
	s_add_u32 s4, s12, s88
	s_addc_u32 s5, s13, s89
	v_readlane_b32 s14, v89, 2
	v_readlane_b32 s15, v89, 3
	v_readlane_b32 s16, v89, 4
	v_readlane_b32 s17, v89, 5
	v_readlane_b32 s18, v89, 6
	v_readlane_b32 s19, v89, 7
	s_mov_b32 s90, s92
	v_mov_b32_e32 v58, v0
	v_mov_b32_e32 v59, v1
	global_store_dwordx4 v46, v[42:45], s[4:5]
	global_store_dwordx4 v46, v[56:59], s[4:5] offset:16
	s_mov_b64 s[4:5], 0
.LBB217_2:
	s_andn2_b64 vcc, exec, s[4:5]
	s_cbranch_vccnz .LBB217_23
; %bb.3:
	v_pk_mov_b32 v[42:43], 0, 0
	v_cmp_gt_i32_e64 s[88:89], s33, v41
	v_or_b32_e32 v86, s90, v41
	v_pk_mov_b32 v[0:1], v[42:43], v[42:43] op_sel:[0,1]
	v_pk_mov_b32 v[2:3], v[42:43], v[42:43] op_sel:[0,1]
	;; [unrolled: 1-line block ×3, first 2 shown]
	v_mov_b32_e32 v6, v41
	s_and_saveexec_b64 s[4:5], s[88:89]
	s_cbranch_execz .LBB217_5
; %bb.4:
	v_mov_b32_e32 v87, 0
	v_lshlrev_b64 v[0:1], 3, v[86:87]
	v_mov_b32_e32 v2, s15
	v_add_co_u32_e32 v6, vcc, s14, v0
	v_addc_co_u32_e32 v7, vcc, v2, v1, vcc
	v_mov_b32_e32 v2, s17
	v_add_co_u32_e32 v8, vcc, s16, v0
	v_addc_co_u32_e32 v9, vcc, v2, v1, vcc
	;; [unrolled: 3-line block ×3, first 2 shown]
	global_load_dwordx2 v[0:1], v[6:7], off
	global_load_dwordx2 v[2:3], v[8:9], off
	;; [unrolled: 1-line block ×3, first 2 shown]
	v_or_b32_e32 v6, 0x100, v41
.LBB217_5:
	s_or_b64 exec, exec, s[4:5]
	v_cmp_gt_i32_e32 vcc, s33, v6
	v_pk_mov_b32 v[46:47], v[42:43], v[42:43] op_sel:[0,1]
	v_pk_mov_b32 v[72:73], v[42:43], v[42:43] op_sel:[0,1]
	s_and_saveexec_b64 s[4:5], vcc
	s_cbranch_execz .LBB217_7
; %bb.6:
	v_add_u32_e32 v8, s90, v6
	v_mov_b32_e32 v9, 0
	v_lshlrev_b64 v[8:9], 3, v[8:9]
	v_mov_b32_e32 v7, s15
	v_add_co_u32_e32 v10, vcc, s14, v8
	v_addc_co_u32_e32 v11, vcc, v7, v9, vcc
	v_mov_b32_e32 v7, s17
	v_add_co_u32_e32 v12, vcc, s16, v8
	v_addc_co_u32_e32 v13, vcc, v7, v9, vcc
	;; [unrolled: 3-line block ×3, first 2 shown]
	global_load_dwordx2 v[42:43], v[10:11], off
	global_load_dwordx2 v[46:47], v[12:13], off
	;; [unrolled: 1-line block ×3, first 2 shown]
	v_add_u32_e32 v6, 0x100, v6
.LBB217_7:
	s_or_b64 exec, exec, s[4:5]
	v_pk_mov_b32 v[44:45], 0, 0
	v_cmp_gt_i32_e32 vcc, s33, v6
	v_pk_mov_b32 v[74:75], v[44:45], v[44:45] op_sel:[0,1]
	v_pk_mov_b32 v[76:77], v[44:45], v[44:45] op_sel:[0,1]
	v_pk_mov_b32 v[78:79], v[44:45], v[44:45] op_sel:[0,1]
	s_and_saveexec_b64 s[4:5], vcc
	s_cbranch_execz .LBB217_9
; %bb.8:
	v_add_u32_e32 v8, s90, v6
	v_mov_b32_e32 v9, 0
	v_lshlrev_b64 v[8:9], 3, v[8:9]
	v_mov_b32_e32 v7, s15
	v_add_co_u32_e32 v10, vcc, s14, v8
	v_addc_co_u32_e32 v11, vcc, v7, v9, vcc
	v_mov_b32_e32 v7, s17
	v_add_co_u32_e32 v12, vcc, s16, v8
	v_addc_co_u32_e32 v13, vcc, v7, v9, vcc
	;; [unrolled: 3-line block ×3, first 2 shown]
	global_load_dwordx2 v[74:75], v[10:11], off
	global_load_dwordx2 v[76:77], v[12:13], off
	global_load_dwordx2 v[78:79], v[8:9], off
	v_add_u32_e32 v6, 0x100, v6
.LBB217_9:
	s_or_b64 exec, exec, s[4:5]
	v_cmp_gt_i32_e32 vcc, s33, v6
	v_pk_mov_b32 v[82:83], v[44:45], v[44:45] op_sel:[0,1]
	v_pk_mov_b32 v[84:85], v[44:45], v[44:45] op_sel:[0,1]
	s_and_saveexec_b64 s[4:5], vcc
	s_cbranch_execz .LBB217_11
; %bb.10:
	v_add_u32_e32 v6, s90, v6
	v_mov_b32_e32 v7, 0
	v_lshlrev_b64 v[6:7], 3, v[6:7]
	v_mov_b32_e32 v9, s15
	v_add_co_u32_e32 v8, vcc, s14, v6
	v_addc_co_u32_e32 v9, vcc, v9, v7, vcc
	v_mov_b32_e32 v11, s17
	v_add_co_u32_e32 v10, vcc, s16, v6
	v_addc_co_u32_e32 v11, vcc, v11, v7, vcc
	;; [unrolled: 3-line block ×3, first 2 shown]
	global_load_dwordx2 v[44:45], v[8:9], off
	global_load_dwordx2 v[82:83], v[10:11], off
	;; [unrolled: 1-line block ×3, first 2 shown]
.LBB217_11:
	s_or_b64 exec, exec, s[4:5]
                                        ; implicit-def: $vgpr56_vgpr57_vgpr58_vgpr59_vgpr60_vgpr61_vgpr62_vgpr63
	s_and_saveexec_b64 s[94:95], s[88:89]
	s_cbranch_execz .LBB217_13
; %bb.12:
	s_getpc_b64 s[4:5]
	s_add_u32 s4, s4, _ZZZZN2at6native28launch_dirichlet_grad_kernelERNS_18TensorIteratorBaseEENKUlvE_clEvENKUlvE_clEvENKUldddE_clEddd@rel32@lo+4
	s_addc_u32 s5, s5, _ZZZZN2at6native28launch_dirichlet_grad_kernelERNS_18TensorIteratorBaseEENKUlvE_clEvENKUlvE_clEvENKUldddE_clEddd@rel32@hi+12
	s_swappc_b64 s[30:31], s[4:5]
	v_readlane_b32 s12, v89, 0
	v_readlane_b32 s13, v89, 1
	v_mov_b32_e32 v56, v0
	v_mov_b32_e32 v57, v1
	v_readlane_b32 s14, v89, 2
	v_readlane_b32 s15, v89, 3
	v_readlane_b32 s16, v89, 4
	v_readlane_b32 s17, v89, 5
	v_readlane_b32 s18, v89, 6
	v_readlane_b32 s19, v89, 7
.LBB217_13:
	s_or_b64 exec, exec, s[94:95]
	v_or_b32_e32 v88, 0x100, v41
	v_cmp_gt_i32_e32 vcc, s33, v88
	s_and_saveexec_b64 s[94:95], vcc
	s_cbranch_execz .LBB217_15
; %bb.14:
	s_waitcnt vmcnt(2)
	v_mov_b32_e32 v0, v42
	v_mov_b32_e32 v1, v43
	s_waitcnt vmcnt(1)
	v_mov_b32_e32 v2, v46
	v_mov_b32_e32 v3, v47
	;; [unrolled: 3-line block ×3, first 2 shown]
	s_getpc_b64 s[4:5]
	s_add_u32 s4, s4, _ZZZZN2at6native28launch_dirichlet_grad_kernelERNS_18TensorIteratorBaseEENKUlvE_clEvENKUlvE_clEvENKUldddE_clEddd@rel32@lo+4
	s_addc_u32 s5, s5, _ZZZZN2at6native28launch_dirichlet_grad_kernelERNS_18TensorIteratorBaseEENKUlvE_clEvENKUlvE_clEvENKUldddE_clEddd@rel32@hi+12
	s_swappc_b64 s[30:31], s[4:5]
	v_readlane_b32 s12, v89, 0
	v_readlane_b32 s13, v89, 1
	v_mov_b32_e32 v58, v0
	v_mov_b32_e32 v59, v1
	v_readlane_b32 s14, v89, 2
	v_readlane_b32 s15, v89, 3
	;; [unrolled: 1-line block ×6, first 2 shown]
.LBB217_15:
	s_or_b64 exec, exec, s[94:95]
	s_waitcnt vmcnt(2)
	v_or_b32_e32 v0, 0x200, v41
	v_cmp_gt_i32_e32 vcc, s33, v0
	s_and_saveexec_b64 s[94:95], vcc
	s_cbranch_execz .LBB217_17
; %bb.16:
	v_mov_b32_e32 v0, v74
	v_mov_b32_e32 v1, v75
	s_waitcnt vmcnt(1)
	v_mov_b32_e32 v2, v76
	v_mov_b32_e32 v3, v77
	s_waitcnt vmcnt(0)
	v_mov_b32_e32 v4, v78
	v_mov_b32_e32 v5, v79
	s_getpc_b64 s[4:5]
	s_add_u32 s4, s4, _ZZZZN2at6native28launch_dirichlet_grad_kernelERNS_18TensorIteratorBaseEENKUlvE_clEvENKUlvE_clEvENKUldddE_clEddd@rel32@lo+4
	s_addc_u32 s5, s5, _ZZZZN2at6native28launch_dirichlet_grad_kernelERNS_18TensorIteratorBaseEENKUlvE_clEvENKUlvE_clEvENKUldddE_clEddd@rel32@hi+12
	s_swappc_b64 s[30:31], s[4:5]
	v_readlane_b32 s12, v89, 0
	v_readlane_b32 s13, v89, 1
	v_mov_b32_e32 v60, v0
	v_mov_b32_e32 v61, v1
	v_readlane_b32 s14, v89, 2
	v_readlane_b32 s15, v89, 3
	;; [unrolled: 1-line block ×6, first 2 shown]
.LBB217_17:
	s_or_b64 exec, exec, s[94:95]
	v_or_b32_e32 v0, 0x300, v41
	v_cmp_gt_i32_e32 vcc, s33, v0
	s_and_saveexec_b64 s[94:95], vcc
	s_cbranch_execnz .LBB217_24
; %bb.18:
	s_or_b64 exec, exec, s[94:95]
	s_and_saveexec_b64 s[4:5], s[88:89]
	s_xor_b64 s[4:5], exec, s[4:5]
	s_cbranch_execnz .LBB217_25
.LBB217_19:
	s_or_b64 exec, exec, s[4:5]
	v_cmp_gt_i32_e32 vcc, s33, v41
	s_and_saveexec_b64 s[4:5], vcc
	s_cbranch_execnz .LBB217_26
.LBB217_20:
	s_or_b64 exec, exec, s[4:5]
	v_cmp_gt_i32_e32 vcc, s33, v41
	s_and_saveexec_b64 s[4:5], vcc
	s_cbranch_execnz .LBB217_27
.LBB217_21:
	s_or_b64 exec, exec, s[4:5]
	v_cmp_gt_i32_e32 vcc, s33, v41
	s_and_saveexec_b64 s[4:5], vcc
	s_cbranch_execz .LBB217_23
.LBB217_22:
	v_add_u32_e32 v0, s90, v41
	v_mov_b32_e32 v1, 0
	v_lshlrev_b64 v[0:1], 3, v[0:1]
	s_waitcnt vmcnt(1)
	v_mov_b32_e32 v2, s13
	v_add_co_u32_e32 v0, vcc, s12, v0
	v_addc_co_u32_e32 v1, vcc, v2, v1, vcc
	global_store_dwordx2 v[0:1], v[62:63], off
.LBB217_23:
	s_endpgm
.LBB217_24:
	v_mov_b32_e32 v0, v44
	v_mov_b32_e32 v1, v45
	s_waitcnt vmcnt(1)
	v_mov_b32_e32 v2, v82
	v_mov_b32_e32 v3, v83
	s_waitcnt vmcnt(0)
	v_mov_b32_e32 v4, v84
	v_mov_b32_e32 v5, v85
	s_getpc_b64 s[4:5]
	s_add_u32 s4, s4, _ZZZZN2at6native28launch_dirichlet_grad_kernelERNS_18TensorIteratorBaseEENKUlvE_clEvENKUlvE_clEvENKUldddE_clEddd@rel32@lo+4
	s_addc_u32 s5, s5, _ZZZZN2at6native28launch_dirichlet_grad_kernelERNS_18TensorIteratorBaseEENKUlvE_clEvENKUlvE_clEvENKUldddE_clEddd@rel32@hi+12
	s_swappc_b64 s[30:31], s[4:5]
	v_readlane_b32 s12, v89, 0
	v_readlane_b32 s13, v89, 1
	v_mov_b32_e32 v62, v0
	v_mov_b32_e32 v63, v1
	v_readlane_b32 s14, v89, 2
	v_readlane_b32 s15, v89, 3
	;; [unrolled: 1-line block ×6, first 2 shown]
	s_or_b64 exec, exec, s[94:95]
	s_and_saveexec_b64 s[4:5], s[88:89]
	s_xor_b64 s[4:5], exec, s[4:5]
	s_cbranch_execz .LBB217_19
.LBB217_25:
	v_mov_b32_e32 v87, 0
	v_lshlrev_b64 v[0:1], 3, v[86:87]
	s_waitcnt vmcnt(1)
	v_mov_b32_e32 v2, s13
	v_add_co_u32_e32 v0, vcc, s12, v0
	v_addc_co_u32_e32 v1, vcc, v2, v1, vcc
	v_mov_b32_e32 v41, v88
	global_store_dwordx2 v[0:1], v[56:57], off
	s_or_b64 exec, exec, s[4:5]
	v_cmp_gt_i32_e32 vcc, s33, v41
	s_and_saveexec_b64 s[4:5], vcc
	s_cbranch_execz .LBB217_20
.LBB217_26:
	v_add_u32_e32 v0, s90, v41
	v_mov_b32_e32 v1, 0
	v_lshlrev_b64 v[0:1], 3, v[0:1]
	s_waitcnt vmcnt(1)
	v_mov_b32_e32 v2, s13
	v_add_co_u32_e32 v0, vcc, s12, v0
	v_addc_co_u32_e32 v1, vcc, v2, v1, vcc
	v_add_u32_e32 v41, 0x100, v41
	global_store_dwordx2 v[0:1], v[58:59], off
	s_or_b64 exec, exec, s[4:5]
	v_cmp_gt_i32_e32 vcc, s33, v41
	s_and_saveexec_b64 s[4:5], vcc
	s_cbranch_execz .LBB217_21
.LBB217_27:
	v_add_u32_e32 v0, s90, v41
	v_mov_b32_e32 v1, 0
	v_lshlrev_b64 v[0:1], 3, v[0:1]
	s_waitcnt vmcnt(1)
	v_mov_b32_e32 v2, s13
	v_add_co_u32_e32 v0, vcc, s12, v0
	v_addc_co_u32_e32 v1, vcc, v2, v1, vcc
	v_add_u32_e32 v41, 0x100, v41
	global_store_dwordx2 v[0:1], v[60:61], off
	s_or_b64 exec, exec, s[4:5]
	v_cmp_gt_i32_e32 vcc, s33, v41
	s_and_saveexec_b64 s[4:5], vcc
	s_cbranch_execnz .LBB217_22
	s_branch .LBB217_23
	.section	.rodata,"a",@progbits
	.p2align	6, 0x0
	.amdhsa_kernel _ZN2at6native29vectorized_elementwise_kernelILi4EZZZNS0_28launch_dirichlet_grad_kernelERNS_18TensorIteratorBaseEENKUlvE_clEvENKUlvE_clEvEUldddE_St5arrayIPcLm4EEEEviT0_T1_
		.amdhsa_group_segment_fixed_size 0
		.amdhsa_private_segment_fixed_size 8
		.amdhsa_kernarg_size 40
		.amdhsa_user_sgpr_count 8
		.amdhsa_user_sgpr_private_segment_buffer 1
		.amdhsa_user_sgpr_dispatch_ptr 0
		.amdhsa_user_sgpr_queue_ptr 0
		.amdhsa_user_sgpr_kernarg_segment_ptr 1
		.amdhsa_user_sgpr_dispatch_id 0
		.amdhsa_user_sgpr_flat_scratch_init 1
		.amdhsa_user_sgpr_kernarg_preload_length 0
		.amdhsa_user_sgpr_kernarg_preload_offset 0
		.amdhsa_user_sgpr_private_segment_size 0
		.amdhsa_uses_dynamic_stack 0
		.amdhsa_system_sgpr_private_segment_wavefront_offset 1
		.amdhsa_system_sgpr_workgroup_id_x 1
		.amdhsa_system_sgpr_workgroup_id_y 0
		.amdhsa_system_sgpr_workgroup_id_z 0
		.amdhsa_system_sgpr_workgroup_info 0
		.amdhsa_system_vgpr_workitem_id 0
		.amdhsa_next_free_vgpr 90
		.amdhsa_next_free_sgpr 96
		.amdhsa_accum_offset 92
		.amdhsa_reserve_vcc 1
		.amdhsa_reserve_flat_scratch 1
		.amdhsa_float_round_mode_32 0
		.amdhsa_float_round_mode_16_64 0
		.amdhsa_float_denorm_mode_32 3
		.amdhsa_float_denorm_mode_16_64 3
		.amdhsa_dx10_clamp 1
		.amdhsa_ieee_mode 1
		.amdhsa_fp16_overflow 0
		.amdhsa_tg_split 0
		.amdhsa_exception_fp_ieee_invalid_op 0
		.amdhsa_exception_fp_denorm_src 0
		.amdhsa_exception_fp_ieee_div_zero 0
		.amdhsa_exception_fp_ieee_overflow 0
		.amdhsa_exception_fp_ieee_underflow 0
		.amdhsa_exception_fp_ieee_inexact 0
		.amdhsa_exception_int_div_zero 0
	.end_amdhsa_kernel
	.section	.text._ZN2at6native29vectorized_elementwise_kernelILi4EZZZNS0_28launch_dirichlet_grad_kernelERNS_18TensorIteratorBaseEENKUlvE_clEvENKUlvE_clEvEUldddE_St5arrayIPcLm4EEEEviT0_T1_,"axG",@progbits,_ZN2at6native29vectorized_elementwise_kernelILi4EZZZNS0_28launch_dirichlet_grad_kernelERNS_18TensorIteratorBaseEENKUlvE_clEvENKUlvE_clEvEUldddE_St5arrayIPcLm4EEEEviT0_T1_,comdat
.Lfunc_end217:
	.size	_ZN2at6native29vectorized_elementwise_kernelILi4EZZZNS0_28launch_dirichlet_grad_kernelERNS_18TensorIteratorBaseEENKUlvE_clEvENKUlvE_clEvEUldddE_St5arrayIPcLm4EEEEviT0_T1_, .Lfunc_end217-_ZN2at6native29vectorized_elementwise_kernelILi4EZZZNS0_28launch_dirichlet_grad_kernelERNS_18TensorIteratorBaseEENKUlvE_clEvENKUlvE_clEvEUldddE_St5arrayIPcLm4EEEEviT0_T1_
                                        ; -- End function
	.section	.AMDGPU.csdata,"",@progbits
; Kernel info:
; codeLenInByte = 1872
; NumSgprs: 102
; NumVgprs: 90
; NumAgprs: 0
; TotalNumVgprs: 90
; ScratchSize: 8
; MemoryBound: 1
; FloatMode: 240
; IeeeMode: 1
; LDSByteSize: 0 bytes/workgroup (compile time only)
; SGPRBlocks: 12
; VGPRBlocks: 11
; NumSGPRsForWavesPerEU: 102
; NumVGPRsForWavesPerEU: 90
; AccumOffset: 92
; Occupancy: 5
; WaveLimiterHint : 0
; COMPUTE_PGM_RSRC2:SCRATCH_EN: 1
; COMPUTE_PGM_RSRC2:USER_SGPR: 8
; COMPUTE_PGM_RSRC2:TRAP_HANDLER: 0
; COMPUTE_PGM_RSRC2:TGID_X_EN: 1
; COMPUTE_PGM_RSRC2:TGID_Y_EN: 0
; COMPUTE_PGM_RSRC2:TGID_Z_EN: 0
; COMPUTE_PGM_RSRC2:TIDIG_COMP_CNT: 0
; COMPUTE_PGM_RSRC3_GFX90A:ACCUM_OFFSET: 22
; COMPUTE_PGM_RSRC3_GFX90A:TG_SPLIT: 0
	.section	.text._ZN2at6native29vectorized_elementwise_kernelILi2EZZZNS0_28launch_dirichlet_grad_kernelERNS_18TensorIteratorBaseEENKUlvE_clEvENKUlvE_clEvEUldddE_St5arrayIPcLm4EEEEviT0_T1_,"axG",@progbits,_ZN2at6native29vectorized_elementwise_kernelILi2EZZZNS0_28launch_dirichlet_grad_kernelERNS_18TensorIteratorBaseEENKUlvE_clEvENKUlvE_clEvEUldddE_St5arrayIPcLm4EEEEviT0_T1_,comdat
	.globl	_ZN2at6native29vectorized_elementwise_kernelILi2EZZZNS0_28launch_dirichlet_grad_kernelERNS_18TensorIteratorBaseEENKUlvE_clEvENKUlvE_clEvEUldddE_St5arrayIPcLm4EEEEviT0_T1_ ; -- Begin function _ZN2at6native29vectorized_elementwise_kernelILi2EZZZNS0_28launch_dirichlet_grad_kernelERNS_18TensorIteratorBaseEENKUlvE_clEvENKUlvE_clEvEUldddE_St5arrayIPcLm4EEEEviT0_T1_
	.p2align	8
	.type	_ZN2at6native29vectorized_elementwise_kernelILi2EZZZNS0_28launch_dirichlet_grad_kernelERNS_18TensorIteratorBaseEENKUlvE_clEvENKUlvE_clEvEUldddE_St5arrayIPcLm4EEEEviT0_T1_,@function
_ZN2at6native29vectorized_elementwise_kernelILi2EZZZNS0_28launch_dirichlet_grad_kernelERNS_18TensorIteratorBaseEENKUlvE_clEvENKUlvE_clEvEUldddE_St5arrayIPcLm4EEEEviT0_T1_: ; @_ZN2at6native29vectorized_elementwise_kernelILi2EZZZNS0_28launch_dirichlet_grad_kernelERNS_18TensorIteratorBaseEENKUlvE_clEvENKUlvE_clEvEUldddE_St5arrayIPcLm4EEEEviT0_T1_
; %bb.0:
	s_add_u32 flat_scratch_lo, s6, s9
	s_load_dword s6, s[4:5], 0x0
	s_load_dwordx8 s[12:19], s[4:5], 0x8
                                        ; implicit-def: $vgpr89 : SGPR spill to VGPR lane
	s_addc_u32 flat_scratch_hi, s7, 0
	s_add_u32 s0, s0, s9
	s_addc_u32 s1, s1, 0
	s_lshl_b32 s90, s8, 10
	s_waitcnt lgkmcnt(0)
	v_writelane_b32 v89, s12, 0
	v_writelane_b32 v89, s13, 1
	;; [unrolled: 1-line block ×5, first 2 shown]
	s_sub_i32 s33, s6, s90
	v_writelane_b32 v89, s17, 5
	v_mov_b32_e32 v41, v0
	s_cmpk_gt_i32 s33, 0x3ff
	s_mov_b64 s[4:5], -1
	v_writelane_b32 v89, s18, 6
	s_mov_b32 s32, 0
	v_writelane_b32 v89, s19, 7
	s_cbranch_scc0 .LBB218_2
; %bb.1:
	s_ashr_i32 s91, s90, 31
	s_lshl_b64 s[88:89], s[90:91], 3
	s_add_u32 s4, s14, s88
	s_addc_u32 s5, s15, s89
	v_lshlrev_b32_e32 v46, 4, v41
	v_mov_b32_e32 v0, s5
	v_add_co_u32_e32 v1, vcc, s4, v46
	v_addc_co_u32_e32 v2, vcc, 0, v0, vcc
	v_add_co_u32_e32 v0, vcc, 0x1000, v1
	s_add_u32 s6, s16, s88
	v_addc_co_u32_e32 v1, vcc, 0, v2, vcc
	s_addc_u32 s7, s17, s89
	global_load_dwordx4 v[42:45], v[0:1], off
	v_mov_b32_e32 v0, s7
	v_add_co_u32_e32 v1, vcc, s6, v46
	s_movk_i32 s8, 0x1000
	v_addc_co_u32_e32 v2, vcc, 0, v0, vcc
	global_load_dwordx4 v[56:59], v46, s[4:5]
	global_load_dwordx4 v[60:63], v46, s[6:7]
	v_add_co_u32_e32 v0, vcc, s8, v1
	s_add_u32 s4, s18, s88
	v_addc_co_u32_e32 v1, vcc, 0, v2, vcc
	s_addc_u32 s5, s19, s89
	global_load_dwordx4 v[72:75], v[0:1], off
	v_mov_b32_e32 v0, s5
	v_add_co_u32_e32 v1, vcc, s4, v46
	v_addc_co_u32_e32 v2, vcc, 0, v0, vcc
	global_load_dwordx4 v[76:79], v46, s[4:5]
	v_add_co_u32_e32 v0, vcc, s8, v1
	v_addc_co_u32_e32 v1, vcc, 0, v2, vcc
	global_load_dwordx4 v[82:85], v[0:1], off
	s_mov_b32 s92, s90
	s_getpc_b64 s[90:91]
	s_add_u32 s90, s90, _ZZZZN2at6native28launch_dirichlet_grad_kernelERNS_18TensorIteratorBaseEENKUlvE_clEvENKUlvE_clEvENKUldddE_clEddd@rel32@lo+4
	s_addc_u32 s91, s91, _ZZZZN2at6native28launch_dirichlet_grad_kernelERNS_18TensorIteratorBaseEENKUlvE_clEvENKUlvE_clEvENKUldddE_clEddd@rel32@hi+12
	s_waitcnt vmcnt(4)
	v_mov_b32_e32 v0, v56
	v_mov_b32_e32 v1, v57
	s_waitcnt vmcnt(3)
	v_mov_b32_e32 v2, v60
	v_mov_b32_e32 v3, v61
	;; [unrolled: 3-line block ×3, first 2 shown]
	s_swappc_b64 s[30:31], s[90:91]
	v_mov_b32_e32 v56, v0
	v_mov_b32_e32 v57, v1
	v_mov_b32_e32 v0, v58
	v_mov_b32_e32 v1, v59
	v_mov_b32_e32 v2, v62
	v_mov_b32_e32 v3, v63
	v_mov_b32_e32 v4, v78
	v_mov_b32_e32 v5, v79
	s_swappc_b64 s[30:31], s[90:91]
	v_mov_b32_e32 v58, v0
	v_mov_b32_e32 v59, v1
	v_mov_b32_e32 v0, v42
	v_mov_b32_e32 v1, v43
	v_mov_b32_e32 v2, v72
	v_mov_b32_e32 v3, v73
	v_mov_b32_e32 v4, v82
	v_mov_b32_e32 v5, v83
	;; [unrolled: 9-line block ×3, first 2 shown]
	s_swappc_b64 s[30:31], s[90:91]
	v_readlane_b32 s12, v89, 0
	v_readlane_b32 s13, v89, 1
	s_add_u32 s4, s12, s88
	s_addc_u32 s5, s13, s89
	v_mov_b32_e32 v44, v0
	v_mov_b32_e32 v45, v1
	;; [unrolled: 1-line block ×3, first 2 shown]
	v_add_co_u32_e32 v1, vcc, s4, v46
	v_addc_co_u32_e32 v2, vcc, 0, v0, vcc
	v_add_co_u32_e32 v0, vcc, 0x1000, v1
	v_addc_co_u32_e32 v1, vcc, 0, v2, vcc
	v_readlane_b32 s14, v89, 2
	v_readlane_b32 s15, v89, 3
	;; [unrolled: 1-line block ×6, first 2 shown]
	s_mov_b32 s90, s92
	global_store_dwordx4 v46, v[56:59], s[4:5]
	global_store_dwordx4 v[0:1], v[42:45], off
	s_mov_b64 s[4:5], 0
.LBB218_2:
	s_andn2_b64 vcc, exec, s[4:5]
	s_cbranch_vccnz .LBB218_23
; %bb.3:
	v_pk_mov_b32 v[42:43], 0, 0
	v_cmp_gt_i32_e64 s[88:89], s33, v41
	v_or_b32_e32 v86, s90, v41
	v_pk_mov_b32 v[0:1], v[42:43], v[42:43] op_sel:[0,1]
	v_pk_mov_b32 v[2:3], v[42:43], v[42:43] op_sel:[0,1]
	;; [unrolled: 1-line block ×3, first 2 shown]
	v_mov_b32_e32 v6, v41
	s_and_saveexec_b64 s[4:5], s[88:89]
	s_cbranch_execz .LBB218_5
; %bb.4:
	v_mov_b32_e32 v87, 0
	v_lshlrev_b64 v[0:1], 3, v[86:87]
	v_mov_b32_e32 v2, s15
	v_add_co_u32_e32 v6, vcc, s14, v0
	v_addc_co_u32_e32 v7, vcc, v2, v1, vcc
	v_mov_b32_e32 v2, s17
	v_add_co_u32_e32 v8, vcc, s16, v0
	v_addc_co_u32_e32 v9, vcc, v2, v1, vcc
	;; [unrolled: 3-line block ×3, first 2 shown]
	global_load_dwordx2 v[0:1], v[6:7], off
	global_load_dwordx2 v[2:3], v[8:9], off
	;; [unrolled: 1-line block ×3, first 2 shown]
	v_or_b32_e32 v6, 0x100, v41
.LBB218_5:
	s_or_b64 exec, exec, s[4:5]
	v_cmp_gt_i32_e32 vcc, s33, v6
	v_pk_mov_b32 v[46:47], v[42:43], v[42:43] op_sel:[0,1]
	v_pk_mov_b32 v[72:73], v[42:43], v[42:43] op_sel:[0,1]
	s_and_saveexec_b64 s[4:5], vcc
	s_cbranch_execz .LBB218_7
; %bb.6:
	v_add_u32_e32 v8, s90, v6
	v_mov_b32_e32 v9, 0
	v_lshlrev_b64 v[8:9], 3, v[8:9]
	v_mov_b32_e32 v7, s15
	v_add_co_u32_e32 v10, vcc, s14, v8
	v_addc_co_u32_e32 v11, vcc, v7, v9, vcc
	v_mov_b32_e32 v7, s17
	v_add_co_u32_e32 v12, vcc, s16, v8
	v_addc_co_u32_e32 v13, vcc, v7, v9, vcc
	;; [unrolled: 3-line block ×3, first 2 shown]
	global_load_dwordx2 v[42:43], v[10:11], off
	global_load_dwordx2 v[46:47], v[12:13], off
	;; [unrolled: 1-line block ×3, first 2 shown]
	v_add_u32_e32 v6, 0x100, v6
.LBB218_7:
	s_or_b64 exec, exec, s[4:5]
	v_pk_mov_b32 v[44:45], 0, 0
	v_cmp_gt_i32_e32 vcc, s33, v6
	v_pk_mov_b32 v[74:75], v[44:45], v[44:45] op_sel:[0,1]
	v_pk_mov_b32 v[76:77], v[44:45], v[44:45] op_sel:[0,1]
	;; [unrolled: 1-line block ×3, first 2 shown]
	s_and_saveexec_b64 s[4:5], vcc
	s_cbranch_execz .LBB218_9
; %bb.8:
	v_add_u32_e32 v8, s90, v6
	v_mov_b32_e32 v9, 0
	v_lshlrev_b64 v[8:9], 3, v[8:9]
	v_mov_b32_e32 v7, s15
	v_add_co_u32_e32 v10, vcc, s14, v8
	v_addc_co_u32_e32 v11, vcc, v7, v9, vcc
	v_mov_b32_e32 v7, s17
	v_add_co_u32_e32 v12, vcc, s16, v8
	v_addc_co_u32_e32 v13, vcc, v7, v9, vcc
	;; [unrolled: 3-line block ×3, first 2 shown]
	global_load_dwordx2 v[74:75], v[10:11], off
	global_load_dwordx2 v[76:77], v[12:13], off
	;; [unrolled: 1-line block ×3, first 2 shown]
	v_add_u32_e32 v6, 0x100, v6
.LBB218_9:
	s_or_b64 exec, exec, s[4:5]
	v_cmp_gt_i32_e32 vcc, s33, v6
	v_pk_mov_b32 v[82:83], v[44:45], v[44:45] op_sel:[0,1]
	v_pk_mov_b32 v[84:85], v[44:45], v[44:45] op_sel:[0,1]
	s_and_saveexec_b64 s[4:5], vcc
	s_cbranch_execz .LBB218_11
; %bb.10:
	v_add_u32_e32 v6, s90, v6
	v_mov_b32_e32 v7, 0
	v_lshlrev_b64 v[6:7], 3, v[6:7]
	v_mov_b32_e32 v9, s15
	v_add_co_u32_e32 v8, vcc, s14, v6
	v_addc_co_u32_e32 v9, vcc, v9, v7, vcc
	v_mov_b32_e32 v11, s17
	v_add_co_u32_e32 v10, vcc, s16, v6
	v_addc_co_u32_e32 v11, vcc, v11, v7, vcc
	;; [unrolled: 3-line block ×3, first 2 shown]
	global_load_dwordx2 v[44:45], v[8:9], off
	global_load_dwordx2 v[82:83], v[10:11], off
	;; [unrolled: 1-line block ×3, first 2 shown]
.LBB218_11:
	s_or_b64 exec, exec, s[4:5]
                                        ; implicit-def: $vgpr56_vgpr57_vgpr58_vgpr59_vgpr60_vgpr61_vgpr62_vgpr63
	s_and_saveexec_b64 s[94:95], s[88:89]
	s_cbranch_execz .LBB218_13
; %bb.12:
	s_getpc_b64 s[4:5]
	s_add_u32 s4, s4, _ZZZZN2at6native28launch_dirichlet_grad_kernelERNS_18TensorIteratorBaseEENKUlvE_clEvENKUlvE_clEvENKUldddE_clEddd@rel32@lo+4
	s_addc_u32 s5, s5, _ZZZZN2at6native28launch_dirichlet_grad_kernelERNS_18TensorIteratorBaseEENKUlvE_clEvENKUlvE_clEvENKUldddE_clEddd@rel32@hi+12
	s_swappc_b64 s[30:31], s[4:5]
	v_readlane_b32 s12, v89, 0
	v_readlane_b32 s13, v89, 1
	v_mov_b32_e32 v56, v0
	v_mov_b32_e32 v57, v1
	v_readlane_b32 s14, v89, 2
	v_readlane_b32 s15, v89, 3
	;; [unrolled: 1-line block ×6, first 2 shown]
.LBB218_13:
	s_or_b64 exec, exec, s[94:95]
	v_or_b32_e32 v88, 0x100, v41
	v_cmp_gt_i32_e32 vcc, s33, v88
	s_and_saveexec_b64 s[94:95], vcc
	s_cbranch_execz .LBB218_15
; %bb.14:
	s_waitcnt vmcnt(2)
	v_mov_b32_e32 v0, v42
	v_mov_b32_e32 v1, v43
	s_waitcnt vmcnt(1)
	v_mov_b32_e32 v2, v46
	v_mov_b32_e32 v3, v47
	;; [unrolled: 3-line block ×3, first 2 shown]
	s_getpc_b64 s[4:5]
	s_add_u32 s4, s4, _ZZZZN2at6native28launch_dirichlet_grad_kernelERNS_18TensorIteratorBaseEENKUlvE_clEvENKUlvE_clEvENKUldddE_clEddd@rel32@lo+4
	s_addc_u32 s5, s5, _ZZZZN2at6native28launch_dirichlet_grad_kernelERNS_18TensorIteratorBaseEENKUlvE_clEvENKUlvE_clEvENKUldddE_clEddd@rel32@hi+12
	s_swappc_b64 s[30:31], s[4:5]
	v_readlane_b32 s12, v89, 0
	v_readlane_b32 s13, v89, 1
	v_mov_b32_e32 v58, v0
	v_mov_b32_e32 v59, v1
	v_readlane_b32 s14, v89, 2
	v_readlane_b32 s15, v89, 3
	;; [unrolled: 1-line block ×6, first 2 shown]
.LBB218_15:
	s_or_b64 exec, exec, s[94:95]
	s_waitcnt vmcnt(2)
	v_or_b32_e32 v0, 0x200, v41
	v_cmp_gt_i32_e32 vcc, s33, v0
	s_and_saveexec_b64 s[94:95], vcc
	s_cbranch_execz .LBB218_17
; %bb.16:
	v_mov_b32_e32 v0, v74
	v_mov_b32_e32 v1, v75
	s_waitcnt vmcnt(1)
	v_mov_b32_e32 v2, v76
	v_mov_b32_e32 v3, v77
	s_waitcnt vmcnt(0)
	v_mov_b32_e32 v4, v78
	v_mov_b32_e32 v5, v79
	s_getpc_b64 s[4:5]
	s_add_u32 s4, s4, _ZZZZN2at6native28launch_dirichlet_grad_kernelERNS_18TensorIteratorBaseEENKUlvE_clEvENKUlvE_clEvENKUldddE_clEddd@rel32@lo+4
	s_addc_u32 s5, s5, _ZZZZN2at6native28launch_dirichlet_grad_kernelERNS_18TensorIteratorBaseEENKUlvE_clEvENKUlvE_clEvENKUldddE_clEddd@rel32@hi+12
	s_swappc_b64 s[30:31], s[4:5]
	v_readlane_b32 s12, v89, 0
	v_readlane_b32 s13, v89, 1
	v_mov_b32_e32 v60, v0
	v_mov_b32_e32 v61, v1
	v_readlane_b32 s14, v89, 2
	v_readlane_b32 s15, v89, 3
	;; [unrolled: 1-line block ×6, first 2 shown]
.LBB218_17:
	s_or_b64 exec, exec, s[94:95]
	v_or_b32_e32 v0, 0x300, v41
	v_cmp_gt_i32_e32 vcc, s33, v0
	s_and_saveexec_b64 s[94:95], vcc
	s_cbranch_execnz .LBB218_24
; %bb.18:
	s_or_b64 exec, exec, s[94:95]
	s_and_saveexec_b64 s[4:5], s[88:89]
	s_xor_b64 s[4:5], exec, s[4:5]
	s_cbranch_execnz .LBB218_25
.LBB218_19:
	s_or_b64 exec, exec, s[4:5]
	v_cmp_gt_i32_e32 vcc, s33, v41
	s_and_saveexec_b64 s[4:5], vcc
	s_cbranch_execnz .LBB218_26
.LBB218_20:
	s_or_b64 exec, exec, s[4:5]
	v_cmp_gt_i32_e32 vcc, s33, v41
	s_and_saveexec_b64 s[4:5], vcc
	s_cbranch_execnz .LBB218_27
.LBB218_21:
	s_or_b64 exec, exec, s[4:5]
	v_cmp_gt_i32_e32 vcc, s33, v41
	s_and_saveexec_b64 s[4:5], vcc
	s_cbranch_execz .LBB218_23
.LBB218_22:
	v_add_u32_e32 v0, s90, v41
	v_mov_b32_e32 v1, 0
	v_lshlrev_b64 v[0:1], 3, v[0:1]
	s_waitcnt vmcnt(1)
	v_mov_b32_e32 v2, s13
	v_add_co_u32_e32 v0, vcc, s12, v0
	v_addc_co_u32_e32 v1, vcc, v2, v1, vcc
	global_store_dwordx2 v[0:1], v[62:63], off
.LBB218_23:
	s_endpgm
.LBB218_24:
	v_mov_b32_e32 v0, v44
	v_mov_b32_e32 v1, v45
	s_waitcnt vmcnt(1)
	v_mov_b32_e32 v2, v82
	v_mov_b32_e32 v3, v83
	s_waitcnt vmcnt(0)
	v_mov_b32_e32 v4, v84
	v_mov_b32_e32 v5, v85
	s_getpc_b64 s[4:5]
	s_add_u32 s4, s4, _ZZZZN2at6native28launch_dirichlet_grad_kernelERNS_18TensorIteratorBaseEENKUlvE_clEvENKUlvE_clEvENKUldddE_clEddd@rel32@lo+4
	s_addc_u32 s5, s5, _ZZZZN2at6native28launch_dirichlet_grad_kernelERNS_18TensorIteratorBaseEENKUlvE_clEvENKUlvE_clEvENKUldddE_clEddd@rel32@hi+12
	s_swappc_b64 s[30:31], s[4:5]
	v_readlane_b32 s12, v89, 0
	v_readlane_b32 s13, v89, 1
	v_mov_b32_e32 v62, v0
	v_mov_b32_e32 v63, v1
	v_readlane_b32 s14, v89, 2
	v_readlane_b32 s15, v89, 3
	;; [unrolled: 1-line block ×6, first 2 shown]
	s_or_b64 exec, exec, s[94:95]
	s_and_saveexec_b64 s[4:5], s[88:89]
	s_xor_b64 s[4:5], exec, s[4:5]
	s_cbranch_execz .LBB218_19
.LBB218_25:
	v_mov_b32_e32 v87, 0
	v_lshlrev_b64 v[0:1], 3, v[86:87]
	s_waitcnt vmcnt(1)
	v_mov_b32_e32 v2, s13
	v_add_co_u32_e32 v0, vcc, s12, v0
	v_addc_co_u32_e32 v1, vcc, v2, v1, vcc
	v_mov_b32_e32 v41, v88
	global_store_dwordx2 v[0:1], v[56:57], off
	s_or_b64 exec, exec, s[4:5]
	v_cmp_gt_i32_e32 vcc, s33, v41
	s_and_saveexec_b64 s[4:5], vcc
	s_cbranch_execz .LBB218_20
.LBB218_26:
	v_add_u32_e32 v0, s90, v41
	v_mov_b32_e32 v1, 0
	v_lshlrev_b64 v[0:1], 3, v[0:1]
	s_waitcnt vmcnt(1)
	v_mov_b32_e32 v2, s13
	v_add_co_u32_e32 v0, vcc, s12, v0
	v_addc_co_u32_e32 v1, vcc, v2, v1, vcc
	v_add_u32_e32 v41, 0x100, v41
	global_store_dwordx2 v[0:1], v[58:59], off
	s_or_b64 exec, exec, s[4:5]
	v_cmp_gt_i32_e32 vcc, s33, v41
	s_and_saveexec_b64 s[4:5], vcc
	s_cbranch_execz .LBB218_21
.LBB218_27:
	v_add_u32_e32 v0, s90, v41
	v_mov_b32_e32 v1, 0
	v_lshlrev_b64 v[0:1], 3, v[0:1]
	s_waitcnt vmcnt(1)
	v_mov_b32_e32 v2, s13
	v_add_co_u32_e32 v0, vcc, s12, v0
	v_addc_co_u32_e32 v1, vcc, v2, v1, vcc
	v_add_u32_e32 v41, 0x100, v41
	global_store_dwordx2 v[0:1], v[60:61], off
	s_or_b64 exec, exec, s[4:5]
	v_cmp_gt_i32_e32 vcc, s33, v41
	s_and_saveexec_b64 s[4:5], vcc
	s_cbranch_execnz .LBB218_22
	s_branch .LBB218_23
	.section	.rodata,"a",@progbits
	.p2align	6, 0x0
	.amdhsa_kernel _ZN2at6native29vectorized_elementwise_kernelILi2EZZZNS0_28launch_dirichlet_grad_kernelERNS_18TensorIteratorBaseEENKUlvE_clEvENKUlvE_clEvEUldddE_St5arrayIPcLm4EEEEviT0_T1_
		.amdhsa_group_segment_fixed_size 0
		.amdhsa_private_segment_fixed_size 8
		.amdhsa_kernarg_size 40
		.amdhsa_user_sgpr_count 8
		.amdhsa_user_sgpr_private_segment_buffer 1
		.amdhsa_user_sgpr_dispatch_ptr 0
		.amdhsa_user_sgpr_queue_ptr 0
		.amdhsa_user_sgpr_kernarg_segment_ptr 1
		.amdhsa_user_sgpr_dispatch_id 0
		.amdhsa_user_sgpr_flat_scratch_init 1
		.amdhsa_user_sgpr_kernarg_preload_length 0
		.amdhsa_user_sgpr_kernarg_preload_offset 0
		.amdhsa_user_sgpr_private_segment_size 0
		.amdhsa_uses_dynamic_stack 0
		.amdhsa_system_sgpr_private_segment_wavefront_offset 1
		.amdhsa_system_sgpr_workgroup_id_x 1
		.amdhsa_system_sgpr_workgroup_id_y 0
		.amdhsa_system_sgpr_workgroup_id_z 0
		.amdhsa_system_sgpr_workgroup_info 0
		.amdhsa_system_vgpr_workitem_id 0
		.amdhsa_next_free_vgpr 90
		.amdhsa_next_free_sgpr 96
		.amdhsa_accum_offset 92
		.amdhsa_reserve_vcc 1
		.amdhsa_reserve_flat_scratch 1
		.amdhsa_float_round_mode_32 0
		.amdhsa_float_round_mode_16_64 0
		.amdhsa_float_denorm_mode_32 3
		.amdhsa_float_denorm_mode_16_64 3
		.amdhsa_dx10_clamp 1
		.amdhsa_ieee_mode 1
		.amdhsa_fp16_overflow 0
		.amdhsa_tg_split 0
		.amdhsa_exception_fp_ieee_invalid_op 0
		.amdhsa_exception_fp_denorm_src 0
		.amdhsa_exception_fp_ieee_div_zero 0
		.amdhsa_exception_fp_ieee_overflow 0
		.amdhsa_exception_fp_ieee_underflow 0
		.amdhsa_exception_fp_ieee_inexact 0
		.amdhsa_exception_int_div_zero 0
	.end_amdhsa_kernel
	.section	.text._ZN2at6native29vectorized_elementwise_kernelILi2EZZZNS0_28launch_dirichlet_grad_kernelERNS_18TensorIteratorBaseEENKUlvE_clEvENKUlvE_clEvEUldddE_St5arrayIPcLm4EEEEviT0_T1_,"axG",@progbits,_ZN2at6native29vectorized_elementwise_kernelILi2EZZZNS0_28launch_dirichlet_grad_kernelERNS_18TensorIteratorBaseEENKUlvE_clEvENKUlvE_clEvEUldddE_St5arrayIPcLm4EEEEviT0_T1_,comdat
.Lfunc_end218:
	.size	_ZN2at6native29vectorized_elementwise_kernelILi2EZZZNS0_28launch_dirichlet_grad_kernelERNS_18TensorIteratorBaseEENKUlvE_clEvENKUlvE_clEvEUldddE_St5arrayIPcLm4EEEEviT0_T1_, .Lfunc_end218-_ZN2at6native29vectorized_elementwise_kernelILi2EZZZNS0_28launch_dirichlet_grad_kernelERNS_18TensorIteratorBaseEENKUlvE_clEvENKUlvE_clEvEUldddE_St5arrayIPcLm4EEEEviT0_T1_
                                        ; -- End function
	.section	.AMDGPU.csdata,"",@progbits
; Kernel info:
; codeLenInByte = 1964
; NumSgprs: 102
; NumVgprs: 90
; NumAgprs: 0
; TotalNumVgprs: 90
; ScratchSize: 8
; MemoryBound: 0
; FloatMode: 240
; IeeeMode: 1
; LDSByteSize: 0 bytes/workgroup (compile time only)
; SGPRBlocks: 12
; VGPRBlocks: 11
; NumSGPRsForWavesPerEU: 102
; NumVGPRsForWavesPerEU: 90
; AccumOffset: 92
; Occupancy: 5
; WaveLimiterHint : 0
; COMPUTE_PGM_RSRC2:SCRATCH_EN: 1
; COMPUTE_PGM_RSRC2:USER_SGPR: 8
; COMPUTE_PGM_RSRC2:TRAP_HANDLER: 0
; COMPUTE_PGM_RSRC2:TGID_X_EN: 1
; COMPUTE_PGM_RSRC2:TGID_Y_EN: 0
; COMPUTE_PGM_RSRC2:TGID_Z_EN: 0
; COMPUTE_PGM_RSRC2:TIDIG_COMP_CNT: 0
; COMPUTE_PGM_RSRC3_GFX90A:ACCUM_OFFSET: 22
; COMPUTE_PGM_RSRC3_GFX90A:TG_SPLIT: 0
	.section	.text._ZN2at6native27unrolled_elementwise_kernelIZZZNS0_28launch_dirichlet_grad_kernelERNS_18TensorIteratorBaseEENKUlvE_clEvENKUlvE_clEvEUldddE_St5arrayIPcLm4EELi4E23TrivialOffsetCalculatorILi3EjESA_ILi1EjENS0_6memory15LoadWithoutCastENSD_16StoreWithoutCastEEEviT_T0_T2_T3_T4_T5_,"axG",@progbits,_ZN2at6native27unrolled_elementwise_kernelIZZZNS0_28launch_dirichlet_grad_kernelERNS_18TensorIteratorBaseEENKUlvE_clEvENKUlvE_clEvEUldddE_St5arrayIPcLm4EELi4E23TrivialOffsetCalculatorILi3EjESA_ILi1EjENS0_6memory15LoadWithoutCastENSD_16StoreWithoutCastEEEviT_T0_T2_T3_T4_T5_,comdat
	.globl	_ZN2at6native27unrolled_elementwise_kernelIZZZNS0_28launch_dirichlet_grad_kernelERNS_18TensorIteratorBaseEENKUlvE_clEvENKUlvE_clEvEUldddE_St5arrayIPcLm4EELi4E23TrivialOffsetCalculatorILi3EjESA_ILi1EjENS0_6memory15LoadWithoutCastENSD_16StoreWithoutCastEEEviT_T0_T2_T3_T4_T5_ ; -- Begin function _ZN2at6native27unrolled_elementwise_kernelIZZZNS0_28launch_dirichlet_grad_kernelERNS_18TensorIteratorBaseEENKUlvE_clEvENKUlvE_clEvEUldddE_St5arrayIPcLm4EELi4E23TrivialOffsetCalculatorILi3EjESA_ILi1EjENS0_6memory15LoadWithoutCastENSD_16StoreWithoutCastEEEviT_T0_T2_T3_T4_T5_
	.p2align	8
	.type	_ZN2at6native27unrolled_elementwise_kernelIZZZNS0_28launch_dirichlet_grad_kernelERNS_18TensorIteratorBaseEENKUlvE_clEvENKUlvE_clEvEUldddE_St5arrayIPcLm4EELi4E23TrivialOffsetCalculatorILi3EjESA_ILi1EjENS0_6memory15LoadWithoutCastENSD_16StoreWithoutCastEEEviT_T0_T2_T3_T4_T5_,@function
_ZN2at6native27unrolled_elementwise_kernelIZZZNS0_28launch_dirichlet_grad_kernelERNS_18TensorIteratorBaseEENKUlvE_clEvENKUlvE_clEvEUldddE_St5arrayIPcLm4EELi4E23TrivialOffsetCalculatorILi3EjESA_ILi1EjENS0_6memory15LoadWithoutCastENSD_16StoreWithoutCastEEEviT_T0_T2_T3_T4_T5_: ; @_ZN2at6native27unrolled_elementwise_kernelIZZZNS0_28launch_dirichlet_grad_kernelERNS_18TensorIteratorBaseEENKUlvE_clEvENKUlvE_clEvEUldddE_St5arrayIPcLm4EELi4E23TrivialOffsetCalculatorILi3EjESA_ILi1EjENS0_6memory15LoadWithoutCastENSD_16StoreWithoutCastEEEviT_T0_T2_T3_T4_T5_
; %bb.0:
	s_add_u32 flat_scratch_lo, s6, s9
	s_load_dword s6, s[4:5], 0x0
	s_load_dwordx8 s[92:99], s[4:5], 0x8
	s_addc_u32 flat_scratch_hi, s7, 0
	s_add_u32 s0, s0, s9
	s_addc_u32 s1, s1, 0
	v_mov_b32_e32 v41, v0
	s_lshl_b32 s33, s8, 10
	v_pk_mov_b32 v[42:43], 0, 0
	s_waitcnt lgkmcnt(0)
	s_sub_i32 s88, s6, s33
	v_or_b32_e32 v86, s33, v41
	v_pk_mov_b32 v[0:1], v[42:43], v[42:43] op_sel:[0,1]
	v_pk_mov_b32 v[2:3], v[42:43], v[42:43] op_sel:[0,1]
	;; [unrolled: 1-line block ×3, first 2 shown]
	v_mov_b32_e32 v6, v41
	s_mov_b32 s32, 0
	v_cmp_gt_i32_e64 s[6:7], s88, v41
	s_mov_b64 s[4:5], exec
                                        ; implicit-def: $vgpr89 : SGPR spill to VGPR lane
	v_writelane_b32 v89, s6, 0
	v_writelane_b32 v89, s7, 1
	s_and_b64 s[6:7], s[4:5], s[6:7]
	s_mov_b64 exec, s[6:7]
	s_cbranch_execz .LBB219_2
; %bb.1:
	v_mov_b32_e32 v87, 0
	v_lshlrev_b64 v[0:1], 3, v[86:87]
	v_mov_b32_e32 v2, s99
	v_add_co_u32_e32 v6, vcc, s98, v0
	v_addc_co_u32_e32 v7, vcc, v2, v1, vcc
	v_mov_b32_e32 v2, s97
	v_add_co_u32_e32 v8, vcc, s96, v0
	v_addc_co_u32_e32 v9, vcc, v2, v1, vcc
	;; [unrolled: 3-line block ×3, first 2 shown]
	global_load_dwordx2 v[0:1], v[10:11], off
	global_load_dwordx2 v[2:3], v[8:9], off
	;; [unrolled: 1-line block ×3, first 2 shown]
	v_or_b32_e32 v6, 0x100, v41
.LBB219_2:
	s_or_b64 exec, exec, s[4:5]
	v_cmp_gt_i32_e32 vcc, s88, v6
	v_pk_mov_b32 v[46:47], v[42:43], v[42:43] op_sel:[0,1]
	v_pk_mov_b32 v[72:73], v[42:43], v[42:43] op_sel:[0,1]
	s_and_saveexec_b64 s[4:5], vcc
	s_cbranch_execz .LBB219_4
; %bb.3:
	v_add_u32_e32 v8, s33, v6
	v_mov_b32_e32 v9, 0
	v_lshlrev_b64 v[8:9], 3, v[8:9]
	v_mov_b32_e32 v7, s99
	v_add_co_u32_e32 v10, vcc, s98, v8
	v_addc_co_u32_e32 v11, vcc, v7, v9, vcc
	v_mov_b32_e32 v7, s97
	v_add_co_u32_e32 v12, vcc, s96, v8
	v_addc_co_u32_e32 v13, vcc, v7, v9, vcc
	;; [unrolled: 3-line block ×3, first 2 shown]
	global_load_dwordx2 v[42:43], v[8:9], off
	global_load_dwordx2 v[46:47], v[12:13], off
	;; [unrolled: 1-line block ×3, first 2 shown]
	v_add_u32_e32 v6, 0x100, v6
.LBB219_4:
	s_or_b64 exec, exec, s[4:5]
	v_pk_mov_b32 v[44:45], 0, 0
	v_cmp_gt_i32_e32 vcc, s88, v6
	v_pk_mov_b32 v[74:75], v[44:45], v[44:45] op_sel:[0,1]
	v_pk_mov_b32 v[76:77], v[44:45], v[44:45] op_sel:[0,1]
	;; [unrolled: 1-line block ×3, first 2 shown]
	s_and_saveexec_b64 s[4:5], vcc
	s_cbranch_execz .LBB219_6
; %bb.5:
	v_add_u32_e32 v8, s33, v6
	v_mov_b32_e32 v9, 0
	v_lshlrev_b64 v[8:9], 3, v[8:9]
	v_mov_b32_e32 v7, s99
	v_add_co_u32_e32 v10, vcc, s98, v8
	v_addc_co_u32_e32 v11, vcc, v7, v9, vcc
	v_mov_b32_e32 v7, s97
	v_add_co_u32_e32 v12, vcc, s96, v8
	v_addc_co_u32_e32 v13, vcc, v7, v9, vcc
	;; [unrolled: 3-line block ×3, first 2 shown]
	global_load_dwordx2 v[74:75], v[8:9], off
	global_load_dwordx2 v[76:77], v[12:13], off
	global_load_dwordx2 v[78:79], v[10:11], off
	v_add_u32_e32 v6, 0x100, v6
.LBB219_6:
	s_or_b64 exec, exec, s[4:5]
	v_cmp_gt_i32_e32 vcc, s88, v6
	v_pk_mov_b32 v[82:83], v[44:45], v[44:45] op_sel:[0,1]
	v_pk_mov_b32 v[84:85], v[44:45], v[44:45] op_sel:[0,1]
	s_and_saveexec_b64 s[4:5], vcc
	s_cbranch_execz .LBB219_8
; %bb.7:
	v_add_u32_e32 v6, s33, v6
	v_mov_b32_e32 v7, 0
	v_lshlrev_b64 v[6:7], 3, v[6:7]
	v_mov_b32_e32 v9, s99
	v_add_co_u32_e32 v8, vcc, s98, v6
	v_addc_co_u32_e32 v9, vcc, v9, v7, vcc
	v_mov_b32_e32 v11, s97
	v_add_co_u32_e32 v10, vcc, s96, v6
	v_addc_co_u32_e32 v11, vcc, v11, v7, vcc
	v_mov_b32_e32 v12, s95
	v_add_co_u32_e32 v6, vcc, s94, v6
	v_addc_co_u32_e32 v7, vcc, v12, v7, vcc
	global_load_dwordx2 v[44:45], v[6:7], off
	global_load_dwordx2 v[82:83], v[10:11], off
	;; [unrolled: 1-line block ×3, first 2 shown]
.LBB219_8:
	s_or_b64 exec, exec, s[4:5]
                                        ; implicit-def: $vgpr56_vgpr57_vgpr58_vgpr59_vgpr60_vgpr61_vgpr62_vgpr63
	s_mov_b64 s[90:91], exec
	v_readlane_b32 s4, v89, 0
	v_readlane_b32 s5, v89, 1
	s_and_b64 s[4:5], s[90:91], s[4:5]
	s_mov_b64 exec, s[4:5]
	s_cbranch_execz .LBB219_10
; %bb.9:
	s_getpc_b64 s[4:5]
	s_add_u32 s4, s4, _ZZZZN2at6native28launch_dirichlet_grad_kernelERNS_18TensorIteratorBaseEENKUlvE_clEvENKUlvE_clEvENKUldddE_clEddd@rel32@lo+4
	s_addc_u32 s5, s5, _ZZZZN2at6native28launch_dirichlet_grad_kernelERNS_18TensorIteratorBaseEENKUlvE_clEvENKUlvE_clEvENKUldddE_clEddd@rel32@hi+12
	s_swappc_b64 s[30:31], s[4:5]
	v_mov_b32_e32 v56, v0
	v_mov_b32_e32 v57, v1
.LBB219_10:
	s_or_b64 exec, exec, s[90:91]
	v_or_b32_e32 v88, 0x100, v41
	v_cmp_gt_i32_e32 vcc, s88, v88
	s_and_saveexec_b64 s[90:91], vcc
	s_cbranch_execz .LBB219_12
; %bb.11:
	s_waitcnt vmcnt(2)
	v_mov_b32_e32 v0, v42
	v_mov_b32_e32 v1, v43
	s_waitcnt vmcnt(1)
	v_mov_b32_e32 v2, v46
	v_mov_b32_e32 v3, v47
	;; [unrolled: 3-line block ×3, first 2 shown]
	s_getpc_b64 s[4:5]
	s_add_u32 s4, s4, _ZZZZN2at6native28launch_dirichlet_grad_kernelERNS_18TensorIteratorBaseEENKUlvE_clEvENKUlvE_clEvENKUldddE_clEddd@rel32@lo+4
	s_addc_u32 s5, s5, _ZZZZN2at6native28launch_dirichlet_grad_kernelERNS_18TensorIteratorBaseEENKUlvE_clEvENKUlvE_clEvENKUldddE_clEddd@rel32@hi+12
	s_swappc_b64 s[30:31], s[4:5]
	v_mov_b32_e32 v58, v0
	v_mov_b32_e32 v59, v1
.LBB219_12:
	s_or_b64 exec, exec, s[90:91]
	s_waitcnt vmcnt(2)
	v_or_b32_e32 v0, 0x200, v41
	v_cmp_gt_i32_e32 vcc, s88, v0
	s_and_saveexec_b64 s[90:91], vcc
	s_cbranch_execz .LBB219_14
; %bb.13:
	v_mov_b32_e32 v0, v74
	v_mov_b32_e32 v1, v75
	s_waitcnt vmcnt(1)
	v_mov_b32_e32 v2, v76
	v_mov_b32_e32 v3, v77
	s_waitcnt vmcnt(0)
	v_mov_b32_e32 v4, v78
	v_mov_b32_e32 v5, v79
	s_getpc_b64 s[4:5]
	s_add_u32 s4, s4, _ZZZZN2at6native28launch_dirichlet_grad_kernelERNS_18TensorIteratorBaseEENKUlvE_clEvENKUlvE_clEvENKUldddE_clEddd@rel32@lo+4
	s_addc_u32 s5, s5, _ZZZZN2at6native28launch_dirichlet_grad_kernelERNS_18TensorIteratorBaseEENKUlvE_clEvENKUlvE_clEvENKUldddE_clEddd@rel32@hi+12
	s_swappc_b64 s[30:31], s[4:5]
	v_mov_b32_e32 v60, v0
	v_mov_b32_e32 v61, v1
.LBB219_14:
	s_or_b64 exec, exec, s[90:91]
	v_or_b32_e32 v0, 0x300, v41
	v_cmp_gt_i32_e32 vcc, s88, v0
	s_and_saveexec_b64 s[90:91], vcc
	s_cbranch_execz .LBB219_16
; %bb.15:
	v_mov_b32_e32 v0, v44
	v_mov_b32_e32 v1, v45
	s_waitcnt vmcnt(1)
	v_mov_b32_e32 v2, v82
	v_mov_b32_e32 v3, v83
	s_waitcnt vmcnt(0)
	v_mov_b32_e32 v4, v84
	v_mov_b32_e32 v5, v85
	s_getpc_b64 s[4:5]
	s_add_u32 s4, s4, _ZZZZN2at6native28launch_dirichlet_grad_kernelERNS_18TensorIteratorBaseEENKUlvE_clEvENKUlvE_clEvENKUldddE_clEddd@rel32@lo+4
	s_addc_u32 s5, s5, _ZZZZN2at6native28launch_dirichlet_grad_kernelERNS_18TensorIteratorBaseEENKUlvE_clEvENKUlvE_clEvENKUldddE_clEddd@rel32@hi+12
	s_swappc_b64 s[30:31], s[4:5]
	v_mov_b32_e32 v62, v0
	v_mov_b32_e32 v63, v1
.LBB219_16:
	s_or_b64 exec, exec, s[90:91]
	s_mov_b64 s[4:5], exec
	v_readlane_b32 s6, v89, 0
	v_readlane_b32 s7, v89, 1
	s_and_b64 s[6:7], s[4:5], s[6:7]
	s_xor_b64 s[4:5], s[6:7], s[4:5]
	s_mov_b64 exec, s[6:7]
	s_cbranch_execnz .LBB219_21
; %bb.17:
	s_or_b64 exec, exec, s[4:5]
	v_cmp_gt_i32_e32 vcc, s88, v41
	s_and_saveexec_b64 s[4:5], vcc
	s_cbranch_execnz .LBB219_22
.LBB219_18:
	s_or_b64 exec, exec, s[4:5]
	v_cmp_gt_i32_e32 vcc, s88, v41
	s_and_saveexec_b64 s[4:5], vcc
	s_cbranch_execnz .LBB219_23
.LBB219_19:
	s_or_b64 exec, exec, s[4:5]
	v_cmp_gt_i32_e32 vcc, s88, v41
	s_and_saveexec_b64 s[4:5], vcc
	s_cbranch_execnz .LBB219_24
.LBB219_20:
	s_endpgm
.LBB219_21:
	v_mov_b32_e32 v87, 0
	v_lshlrev_b64 v[0:1], 3, v[86:87]
	s_waitcnt vmcnt(1)
	v_mov_b32_e32 v2, s93
	v_add_co_u32_e32 v0, vcc, s92, v0
	v_addc_co_u32_e32 v1, vcc, v2, v1, vcc
	v_mov_b32_e32 v41, v88
	global_store_dwordx2 v[0:1], v[56:57], off
	s_or_b64 exec, exec, s[4:5]
	v_cmp_gt_i32_e32 vcc, s88, v41
	s_and_saveexec_b64 s[4:5], vcc
	s_cbranch_execz .LBB219_18
.LBB219_22:
	v_add_u32_e32 v0, s33, v41
	v_mov_b32_e32 v1, 0
	v_lshlrev_b64 v[0:1], 3, v[0:1]
	s_waitcnt vmcnt(1)
	v_add_u32_e32 v2, 0x100, v41
	v_mov_b32_e32 v3, s93
	v_add_co_u32_e32 v0, vcc, s92, v0
	v_addc_co_u32_e32 v1, vcc, v3, v1, vcc
	v_mov_b32_e32 v41, v2
	global_store_dwordx2 v[0:1], v[58:59], off
	s_or_b64 exec, exec, s[4:5]
	v_cmp_gt_i32_e32 vcc, s88, v41
	s_and_saveexec_b64 s[4:5], vcc
	s_cbranch_execz .LBB219_19
.LBB219_23:
	v_add_u32_e32 v0, s33, v41
	v_mov_b32_e32 v1, 0
	v_lshlrev_b64 v[0:1], 3, v[0:1]
	s_waitcnt vmcnt(1)
	v_add_u32_e32 v2, 0x100, v41
	v_mov_b32_e32 v3, s93
	v_add_co_u32_e32 v0, vcc, s92, v0
	v_addc_co_u32_e32 v1, vcc, v3, v1, vcc
	v_mov_b32_e32 v41, v2
	global_store_dwordx2 v[0:1], v[60:61], off
	s_or_b64 exec, exec, s[4:5]
	v_cmp_gt_i32_e32 vcc, s88, v41
	s_and_saveexec_b64 s[4:5], vcc
	s_cbranch_execz .LBB219_20
.LBB219_24:
	v_add_u32_e32 v0, s33, v41
	v_mov_b32_e32 v1, 0
	v_lshlrev_b64 v[0:1], 3, v[0:1]
	s_waitcnt vmcnt(1)
	v_mov_b32_e32 v2, s93
	v_add_co_u32_e32 v0, vcc, s92, v0
	v_addc_co_u32_e32 v1, vcc, v2, v1, vcc
	global_store_dwordx2 v[0:1], v[62:63], off
	s_endpgm
	.section	.rodata,"a",@progbits
	.p2align	6, 0x0
	.amdhsa_kernel _ZN2at6native27unrolled_elementwise_kernelIZZZNS0_28launch_dirichlet_grad_kernelERNS_18TensorIteratorBaseEENKUlvE_clEvENKUlvE_clEvEUldddE_St5arrayIPcLm4EELi4E23TrivialOffsetCalculatorILi3EjESA_ILi1EjENS0_6memory15LoadWithoutCastENSD_16StoreWithoutCastEEEviT_T0_T2_T3_T4_T5_
		.amdhsa_group_segment_fixed_size 0
		.amdhsa_private_segment_fixed_size 8
		.amdhsa_kernarg_size 44
		.amdhsa_user_sgpr_count 8
		.amdhsa_user_sgpr_private_segment_buffer 1
		.amdhsa_user_sgpr_dispatch_ptr 0
		.amdhsa_user_sgpr_queue_ptr 0
		.amdhsa_user_sgpr_kernarg_segment_ptr 1
		.amdhsa_user_sgpr_dispatch_id 0
		.amdhsa_user_sgpr_flat_scratch_init 1
		.amdhsa_user_sgpr_kernarg_preload_length 0
		.amdhsa_user_sgpr_kernarg_preload_offset 0
		.amdhsa_user_sgpr_private_segment_size 0
		.amdhsa_uses_dynamic_stack 0
		.amdhsa_system_sgpr_private_segment_wavefront_offset 1
		.amdhsa_system_sgpr_workgroup_id_x 1
		.amdhsa_system_sgpr_workgroup_id_y 0
		.amdhsa_system_sgpr_workgroup_id_z 0
		.amdhsa_system_sgpr_workgroup_info 0
		.amdhsa_system_vgpr_workitem_id 0
		.amdhsa_next_free_vgpr 90
		.amdhsa_next_free_sgpr 100
		.amdhsa_accum_offset 92
		.amdhsa_reserve_vcc 1
		.amdhsa_reserve_flat_scratch 1
		.amdhsa_float_round_mode_32 0
		.amdhsa_float_round_mode_16_64 0
		.amdhsa_float_denorm_mode_32 3
		.amdhsa_float_denorm_mode_16_64 3
		.amdhsa_dx10_clamp 1
		.amdhsa_ieee_mode 1
		.amdhsa_fp16_overflow 0
		.amdhsa_tg_split 0
		.amdhsa_exception_fp_ieee_invalid_op 0
		.amdhsa_exception_fp_denorm_src 0
		.amdhsa_exception_fp_ieee_div_zero 0
		.amdhsa_exception_fp_ieee_overflow 0
		.amdhsa_exception_fp_ieee_underflow 0
		.amdhsa_exception_fp_ieee_inexact 0
		.amdhsa_exception_int_div_zero 0
	.end_amdhsa_kernel
	.section	.text._ZN2at6native27unrolled_elementwise_kernelIZZZNS0_28launch_dirichlet_grad_kernelERNS_18TensorIteratorBaseEENKUlvE_clEvENKUlvE_clEvEUldddE_St5arrayIPcLm4EELi4E23TrivialOffsetCalculatorILi3EjESA_ILi1EjENS0_6memory15LoadWithoutCastENSD_16StoreWithoutCastEEEviT_T0_T2_T3_T4_T5_,"axG",@progbits,_ZN2at6native27unrolled_elementwise_kernelIZZZNS0_28launch_dirichlet_grad_kernelERNS_18TensorIteratorBaseEENKUlvE_clEvENKUlvE_clEvEUldddE_St5arrayIPcLm4EELi4E23TrivialOffsetCalculatorILi3EjESA_ILi1EjENS0_6memory15LoadWithoutCastENSD_16StoreWithoutCastEEEviT_T0_T2_T3_T4_T5_,comdat
.Lfunc_end219:
	.size	_ZN2at6native27unrolled_elementwise_kernelIZZZNS0_28launch_dirichlet_grad_kernelERNS_18TensorIteratorBaseEENKUlvE_clEvENKUlvE_clEvEUldddE_St5arrayIPcLm4EELi4E23TrivialOffsetCalculatorILi3EjESA_ILi1EjENS0_6memory15LoadWithoutCastENSD_16StoreWithoutCastEEEviT_T0_T2_T3_T4_T5_, .Lfunc_end219-_ZN2at6native27unrolled_elementwise_kernelIZZZNS0_28launch_dirichlet_grad_kernelERNS_18TensorIteratorBaseEENKUlvE_clEvENKUlvE_clEvEUldddE_St5arrayIPcLm4EELi4E23TrivialOffsetCalculatorILi3EjESA_ILi1EjENS0_6memory15LoadWithoutCastENSD_16StoreWithoutCastEEEviT_T0_T2_T3_T4_T5_
                                        ; -- End function
	.section	.AMDGPU.csdata,"",@progbits
; Kernel info:
; codeLenInByte = 1236
; NumSgprs: 106
; NumVgprs: 90
; NumAgprs: 0
; TotalNumVgprs: 90
; ScratchSize: 8
; MemoryBound: 0
; FloatMode: 240
; IeeeMode: 1
; LDSByteSize: 0 bytes/workgroup (compile time only)
; SGPRBlocks: 13
; VGPRBlocks: 11
; NumSGPRsForWavesPerEU: 106
; NumVGPRsForWavesPerEU: 90
; AccumOffset: 92
; Occupancy: 5
; WaveLimiterHint : 0
; COMPUTE_PGM_RSRC2:SCRATCH_EN: 1
; COMPUTE_PGM_RSRC2:USER_SGPR: 8
; COMPUTE_PGM_RSRC2:TRAP_HANDLER: 0
; COMPUTE_PGM_RSRC2:TGID_X_EN: 1
; COMPUTE_PGM_RSRC2:TGID_Y_EN: 0
; COMPUTE_PGM_RSRC2:TGID_Z_EN: 0
; COMPUTE_PGM_RSRC2:TIDIG_COMP_CNT: 0
; COMPUTE_PGM_RSRC3_GFX90A:ACCUM_OFFSET: 22
; COMPUTE_PGM_RSRC3_GFX90A:TG_SPLIT: 0
	.section	.text._ZN2at6native32elementwise_kernel_manual_unrollILi128ELi4EZNS0_22gpu_kernel_impl_nocastIZZZNS0_28launch_dirichlet_grad_kernelERNS_18TensorIteratorBaseEENKUlvE_clEvENKUlvE_clEvEUldddE_EEvS4_RKT_EUlibE_EEviT1_,"axG",@progbits,_ZN2at6native32elementwise_kernel_manual_unrollILi128ELi4EZNS0_22gpu_kernel_impl_nocastIZZZNS0_28launch_dirichlet_grad_kernelERNS_18TensorIteratorBaseEENKUlvE_clEvENKUlvE_clEvEUldddE_EEvS4_RKT_EUlibE_EEviT1_,comdat
	.globl	_ZN2at6native32elementwise_kernel_manual_unrollILi128ELi4EZNS0_22gpu_kernel_impl_nocastIZZZNS0_28launch_dirichlet_grad_kernelERNS_18TensorIteratorBaseEENKUlvE_clEvENKUlvE_clEvEUldddE_EEvS4_RKT_EUlibE_EEviT1_ ; -- Begin function _ZN2at6native32elementwise_kernel_manual_unrollILi128ELi4EZNS0_22gpu_kernel_impl_nocastIZZZNS0_28launch_dirichlet_grad_kernelERNS_18TensorIteratorBaseEENKUlvE_clEvENKUlvE_clEvEUldddE_EEvS4_RKT_EUlibE_EEviT1_
	.p2align	8
	.type	_ZN2at6native32elementwise_kernel_manual_unrollILi128ELi4EZNS0_22gpu_kernel_impl_nocastIZZZNS0_28launch_dirichlet_grad_kernelERNS_18TensorIteratorBaseEENKUlvE_clEvENKUlvE_clEvEUldddE_EEvS4_RKT_EUlibE_EEviT1_,@function
_ZN2at6native32elementwise_kernel_manual_unrollILi128ELi4EZNS0_22gpu_kernel_impl_nocastIZZZNS0_28launch_dirichlet_grad_kernelERNS_18TensorIteratorBaseEENKUlvE_clEvENKUlvE_clEvEUldddE_EEvS4_RKT_EUlibE_EEviT1_: ; @_ZN2at6native32elementwise_kernel_manual_unrollILi128ELi4EZNS0_22gpu_kernel_impl_nocastIZZZNS0_28launch_dirichlet_grad_kernelERNS_18TensorIteratorBaseEENKUlvE_clEvENKUlvE_clEvEUldddE_EEvS4_RKT_EUlibE_EEviT1_
; %bb.0:
	s_load_dword s10, s[4:5], 0x0
	s_load_dword s28, s[4:5], 0x8
	s_add_u32 flat_scratch_lo, s6, s9
	s_addc_u32 flat_scratch_hi, s7, 0
	s_add_u32 s0, s0, s9
	s_mov_b64 s[88:89], s[4:5]
	s_addc_u32 s1, s1, 0
	s_or_b32 s88, s88, 8
	v_lshl_or_b32 v41, s8, 9, v0
	s_waitcnt lgkmcnt(0)
	s_add_i32 s33, s28, -1
	v_or_b32_e32 v0, 0x180, v41
	s_cmp_gt_u32 s33, 1
	v_cmp_le_i32_e32 vcc, s10, v0
	s_cselect_b64 s[8:9], -1, 0
	s_mov_b32 s32, 0
	s_and_saveexec_b64 s[4:5], vcc
	s_xor_b64 s[4:5], exec, s[4:5]
	s_cbranch_execz .LBB220_50
; %bb.1:
                                        ; implicit-def: $vgpr88 : SGPR spill to VGPR lane
	s_cmp_lg_u32 s28, 0
	v_writelane_b32 v88, s4, 0
	v_writelane_b32 v88, s5, 1
	s_cselect_b64 s[4:5], -1, 0
	v_writelane_b32 v88, s4, 2
	s_load_dwordx8 s[36:43], s[88:89], 0xc4
	v_writelane_b32 v88, s5, 3
	s_min_u32 s4, s33, 15
	s_cmp_gt_u32 s28, 1
	v_writelane_b32 v88, s4, 4
	s_cselect_b64 s[4:5], -1, 0
	v_writelane_b32 v88, s4, 5
	v_cmp_gt_i32_e32 vcc, s10, v41
	v_writelane_b32 v88, s5, 6
	s_and_saveexec_b64 s[90:91], vcc
	v_writelane_b32 v88, s28, 7
	v_writelane_b32 v88, s8, 8
	;; [unrolled: 1-line block ×4, first 2 shown]
	s_cbranch_execnz .LBB220_5
; %bb.2:
	s_or_b64 exec, exec, s[90:91]
	v_cmp_gt_i32_e32 vcc, s10, v41
	s_and_saveexec_b64 s[90:91], vcc
	s_cbranch_execnz .LBB220_16
.LBB220_3:
	s_or_b64 exec, exec, s[90:91]
	v_cmp_gt_i32_e32 vcc, s10, v41
	s_and_saveexec_b64 s[90:91], vcc
	s_cbranch_execnz .LBB220_27
.LBB220_4:
	s_or_b64 exec, exec, s[90:91]
	v_cmp_gt_i32_e32 vcc, s10, v41
	s_and_saveexec_b64 s[90:91], vcc
	s_cbranch_execnz .LBB220_38
	s_branch .LBB220_49
.LBB220_5:
	s_andn2_b64 vcc, exec, s[8:9]
	s_cbranch_vccnz .LBB220_12
; %bb.6:
	v_readlane_b32 s4, v88, 2
	v_readlane_b32 s5, v88, 3
	s_andn2_b64 vcc, exec, s[4:5]
	v_mov_b32_e32 v6, 0
	v_mov_b32_e32 v42, 0
	;; [unrolled: 1-line block ×4, first 2 shown]
	s_cbranch_vccnz .LBB220_11
; %bb.7:
	v_readlane_b32 s21, v88, 4
	s_add_i32 s4, s21, 1
	s_and_b32 s20, s4, 30
	s_add_u32 s16, s88, 0xa4
	s_addc_u32 s17, s89, 0
	v_mov_b32_e32 v10, 0
	s_mov_b64 s[18:19], s[88:89]
	v_mov_b32_e32 v0, v41
	v_mov_b32_e32 v8, 0
	;; [unrolled: 1-line block ×4, first 2 shown]
.LBB220_8:                              ; =>This Inner Loop Header: Depth=1
	s_load_dwordx4 s[12:15], s[18:19], 0x4
	s_load_dwordx2 s[24:25], s[18:19], 0x14
	s_mov_b64 s[22:23], s[16:17]
	s_load_dwordx8 s[4:11], s[22:23], 0x20
	s_add_u32 s16, s22, 32
	s_waitcnt lgkmcnt(0)
	v_mul_hi_u32 v1, s13, v0
	v_add_u32_e32 v1, v0, v1
	v_lshrrev_b32_e32 v1, s14, v1
	v_mul_lo_u32 v2, v1, s12
	v_mul_hi_u32 v3, s24, v1
	v_sub_u32_e32 v0, v0, v2
	v_add_u32_e32 v2, v1, v3
	v_mul_lo_u32 v3, v0, s4
	v_mul_lo_u32 v4, v0, s5
	;; [unrolled: 1-line block ×4, first 2 shown]
	v_lshrrev_b32_e32 v0, s25, v2
	s_addc_u32 s17, s23, 0
	v_mul_lo_u32 v2, v0, s15
	s_add_u32 s18, s18, 24
	v_sub_u32_e32 v1, v1, v2
	s_addc_u32 s19, s19, 0
	s_add_i32 s20, s20, -2
	v_mul_lo_u32 v2, v1, s8
	v_mul_lo_u32 v9, v1, s9
	;; [unrolled: 1-line block ×4, first 2 shown]
	s_cmp_lg_u32 s20, 0
	v_add3_u32 v6, v4, v6, v9
	v_add3_u32 v42, v3, v42, v2
	;; [unrolled: 1-line block ×4, first 2 shown]
	s_cbranch_scc1 .LBB220_8
; %bb.9:
	s_bitcmp1_b32 s21, 0
	s_cselect_b64 s[4:5], -1, 0
	s_and_b64 vcc, exec, s[4:5]
	s_cbranch_vccnz .LBB220_11
; %bb.10:
	s_load_dwordx2 s[8:9], s[18:19], 0x4
	s_load_dword s10, s[18:19], 0xc
                                        ; kill: killed $sgpr18 killed $sgpr19
	s_load_dwordx4 s[4:7], s[16:17], 0x20
	s_waitcnt lgkmcnt(0)
	v_mul_hi_u32 v1, s9, v0
	v_add_u32_e32 v1, v0, v1
	v_lshrrev_b32_e32 v1, s10, v1
	v_mul_lo_u32 v1, v1, s8
	v_sub_u32_e32 v0, v0, v1
	v_mad_u64_u32 v[42:43], s[8:9], v0, s4, v[42:43]
	v_mad_u64_u32 v[6:7], s[4:5], v0, s5, v[6:7]
	;; [unrolled: 1-line block ×4, first 2 shown]
.LBB220_11:
	s_cbranch_execz .LBB220_13
	s_branch .LBB220_15
.LBB220_12:
                                        ; implicit-def: $vgpr6
                                        ; implicit-def: $vgpr42
                                        ; implicit-def: $vgpr8
                                        ; implicit-def: $vgpr10
.LBB220_13:
	s_load_dwordx4 s[4:7], s[88:89], 0x4
	s_waitcnt lgkmcnt(0)
	v_mul_hi_u32 v0, s5, v41
	v_add_u32_e32 v0, v41, v0
	v_lshrrev_b32_e32 v0, s6, v0
	v_mul_lo_u32 v1, v0, s4
	v_readlane_b32 s4, v88, 5
	v_sub_u32_e32 v1, v41, v1
	v_readlane_b32 s5, v88, 6
	v_mul_lo_u32 v6, v1, s37
	v_mul_lo_u32 v42, v1, s36
	;; [unrolled: 1-line block ×3, first 2 shown]
	s_andn2_b64 vcc, exec, s[4:5]
	v_mul_lo_u32 v10, v1, s38
	s_cbranch_vccnz .LBB220_15
; %bb.14:
	s_load_dwordx2 s[4:5], s[88:89], 0x14
	s_waitcnt lgkmcnt(0)
	v_mul_hi_u32 v1, s4, v0
	v_add_u32_e32 v1, v0, v1
	v_lshrrev_b32_e32 v1, s5, v1
	v_mul_lo_u32 v1, v1, s7
	v_sub_u32_e32 v0, v0, v1
	v_mad_u64_u32 v[42:43], s[4:5], v0, s40, v[42:43]
	v_mad_u64_u32 v[6:7], s[4:5], v0, s41, v[6:7]
	v_mad_u64_u32 v[10:11], s[4:5], v0, s42, v[10:11]
	v_mad_u64_u32 v[8:9], s[4:5], v0, s43, v[8:9]
.LBB220_15:
	s_load_dwordx8 s[92:99], s[88:89], 0x1c8
	s_getpc_b64 s[4:5]
	s_add_u32 s4, s4, _ZZZZN2at6native28launch_dirichlet_grad_kernelERNS_18TensorIteratorBaseEENKUlvE_clEvENKUlvE_clEvENKUldddE_clEddd@rel32@lo+4
	s_addc_u32 s5, s5, _ZZZZN2at6native28launch_dirichlet_grad_kernelERNS_18TensorIteratorBaseEENKUlvE_clEvENKUlvE_clEvENKUldddE_clEddd@rel32@hi+12
	s_waitcnt lgkmcnt(0)
	global_load_dwordx2 v[0:1], v6, s[94:95]
	global_load_dwordx2 v[2:3], v10, s[96:97]
	global_load_dwordx2 v[4:5], v8, s[98:99]
	s_swappc_b64 s[30:31], s[4:5]
	s_load_dwordx8 s[36:43], s[88:89], 0xc4
	v_readlane_b32 s8, v88, 8
	v_add_u32_e32 v41, 0x80, v41
	v_readlane_b32 s28, v88, 7
	v_readlane_b32 s9, v88, 9
	;; [unrolled: 1-line block ×3, first 2 shown]
	global_store_dwordx2 v42, v[0:1], s[92:93]
	s_or_b64 exec, exec, s[90:91]
	v_cmp_gt_i32_e32 vcc, s10, v41
	s_and_saveexec_b64 s[90:91], vcc
	s_cbranch_execz .LBB220_3
.LBB220_16:
	s_andn2_b64 vcc, exec, s[8:9]
	s_cbranch_vccnz .LBB220_23
; %bb.17:
	v_readlane_b32 s4, v88, 2
	v_readlane_b32 s5, v88, 3
	s_andn2_b64 vcc, exec, s[4:5]
	v_mov_b32_e32 v6, 0
	v_mov_b32_e32 v42, 0
	;; [unrolled: 1-line block ×4, first 2 shown]
	s_cbranch_vccnz .LBB220_22
; %bb.18:
	v_readlane_b32 s21, v88, 4
	s_add_i32 s4, s21, 1
	s_and_b32 s20, s4, 30
	s_add_u32 s16, s88, 0xa4
	s_addc_u32 s17, s89, 0
	v_mov_b32_e32 v10, 0
	s_mov_b64 s[18:19], s[88:89]
	v_mov_b32_e32 v0, v41
	v_mov_b32_e32 v8, 0
	v_mov_b32_e32 v42, 0
	v_mov_b32_e32 v6, 0
.LBB220_19:                             ; =>This Inner Loop Header: Depth=1
	s_load_dwordx4 s[12:15], s[18:19], 0x4
	s_load_dwordx2 s[24:25], s[18:19], 0x14
	s_mov_b64 s[22:23], s[16:17]
	s_load_dwordx8 s[4:11], s[22:23], 0x20
	s_add_u32 s16, s22, 32
	s_waitcnt lgkmcnt(0)
	v_mul_hi_u32 v1, s13, v0
	v_add_u32_e32 v1, v0, v1
	v_lshrrev_b32_e32 v1, s14, v1
	v_mul_lo_u32 v2, v1, s12
	v_mul_hi_u32 v3, s24, v1
	v_sub_u32_e32 v0, v0, v2
	v_add_u32_e32 v2, v1, v3
	v_mul_lo_u32 v3, v0, s4
	v_mul_lo_u32 v4, v0, s5
	;; [unrolled: 1-line block ×4, first 2 shown]
	v_lshrrev_b32_e32 v0, s25, v2
	s_addc_u32 s17, s23, 0
	v_mul_lo_u32 v2, v0, s15
	s_add_u32 s18, s18, 24
	v_sub_u32_e32 v1, v1, v2
	s_addc_u32 s19, s19, 0
	s_add_i32 s20, s20, -2
	v_mul_lo_u32 v2, v1, s8
	v_mul_lo_u32 v9, v1, s9
	;; [unrolled: 1-line block ×4, first 2 shown]
	s_cmp_eq_u32 s20, 0
	v_add3_u32 v6, v4, v6, v9
	v_add3_u32 v42, v3, v42, v2
	;; [unrolled: 1-line block ×4, first 2 shown]
	s_cbranch_scc0 .LBB220_19
; %bb.20:
	s_bitcmp1_b32 s21, 0
	s_cselect_b64 s[4:5], -1, 0
	s_and_b64 vcc, exec, s[4:5]
	s_cbranch_vccnz .LBB220_22
; %bb.21:
	s_load_dwordx2 s[8:9], s[18:19], 0x4
	s_load_dword s10, s[18:19], 0xc
                                        ; kill: killed $sgpr18 killed $sgpr19
	s_load_dwordx4 s[4:7], s[16:17], 0x20
	s_waitcnt lgkmcnt(0)
	v_mul_hi_u32 v1, s9, v0
	v_add_u32_e32 v1, v0, v1
	v_lshrrev_b32_e32 v1, s10, v1
	v_mul_lo_u32 v1, v1, s8
	v_sub_u32_e32 v0, v0, v1
	v_mad_u64_u32 v[42:43], s[8:9], v0, s4, v[42:43]
	v_mad_u64_u32 v[6:7], s[4:5], v0, s5, v[6:7]
	;; [unrolled: 1-line block ×4, first 2 shown]
.LBB220_22:
	s_cbranch_execz .LBB220_24
	s_branch .LBB220_26
.LBB220_23:
                                        ; implicit-def: $vgpr6
                                        ; implicit-def: $vgpr42
                                        ; implicit-def: $vgpr8
                                        ; implicit-def: $vgpr10
.LBB220_24:
	s_load_dwordx4 s[4:7], s[88:89], 0x4
	s_waitcnt lgkmcnt(0)
	v_mul_hi_u32 v0, s5, v41
	v_add_u32_e32 v0, v41, v0
	v_lshrrev_b32_e32 v0, s6, v0
	v_mul_lo_u32 v1, v0, s4
	v_readlane_b32 s4, v88, 5
	v_sub_u32_e32 v1, v41, v1
	v_readlane_b32 s5, v88, 6
	v_mul_lo_u32 v6, v1, s37
	v_mul_lo_u32 v42, v1, s36
	;; [unrolled: 1-line block ×3, first 2 shown]
	s_andn2_b64 vcc, exec, s[4:5]
	v_mul_lo_u32 v10, v1, s38
	s_cbranch_vccnz .LBB220_26
; %bb.25:
	s_load_dwordx2 s[4:5], s[88:89], 0x14
	s_waitcnt lgkmcnt(0)
	v_mul_hi_u32 v1, s4, v0
	v_add_u32_e32 v1, v0, v1
	v_lshrrev_b32_e32 v1, s5, v1
	v_mul_lo_u32 v1, v1, s7
	v_sub_u32_e32 v0, v0, v1
	v_mad_u64_u32 v[42:43], s[4:5], v0, s40, v[42:43]
	v_mad_u64_u32 v[6:7], s[4:5], v0, s41, v[6:7]
	;; [unrolled: 1-line block ×4, first 2 shown]
.LBB220_26:
	s_load_dwordx8 s[92:99], s[88:89], 0x1c8
	s_getpc_b64 s[4:5]
	s_add_u32 s4, s4, _ZZZZN2at6native28launch_dirichlet_grad_kernelERNS_18TensorIteratorBaseEENKUlvE_clEvENKUlvE_clEvENKUldddE_clEddd@rel32@lo+4
	s_addc_u32 s5, s5, _ZZZZN2at6native28launch_dirichlet_grad_kernelERNS_18TensorIteratorBaseEENKUlvE_clEvENKUlvE_clEvENKUldddE_clEddd@rel32@hi+12
	s_waitcnt lgkmcnt(0)
	global_load_dwordx2 v[0:1], v6, s[94:95]
	global_load_dwordx2 v[2:3], v10, s[96:97]
	global_load_dwordx2 v[4:5], v8, s[98:99]
	s_swappc_b64 s[30:31], s[4:5]
	s_load_dwordx8 s[36:43], s[88:89], 0xc4
	v_readlane_b32 s8, v88, 8
	v_add_u32_e32 v41, 0x80, v41
	v_readlane_b32 s28, v88, 7
	v_readlane_b32 s9, v88, 9
	;; [unrolled: 1-line block ×3, first 2 shown]
	global_store_dwordx2 v42, v[0:1], s[92:93]
	s_or_b64 exec, exec, s[90:91]
	v_cmp_gt_i32_e32 vcc, s10, v41
	s_and_saveexec_b64 s[90:91], vcc
	s_cbranch_execz .LBB220_4
.LBB220_27:
	s_andn2_b64 vcc, exec, s[8:9]
	s_cbranch_vccnz .LBB220_34
; %bb.28:
	v_readlane_b32 s4, v88, 2
	v_readlane_b32 s5, v88, 3
	s_andn2_b64 vcc, exec, s[4:5]
	v_mov_b32_e32 v6, 0
	v_mov_b32_e32 v42, 0
	;; [unrolled: 1-line block ×4, first 2 shown]
	s_cbranch_vccnz .LBB220_33
; %bb.29:
	v_readlane_b32 s21, v88, 4
	s_add_i32 s4, s21, 1
	s_and_b32 s20, s4, 30
	s_add_u32 s16, s88, 0xa4
	s_addc_u32 s17, s89, 0
	v_mov_b32_e32 v10, 0
	s_mov_b64 s[18:19], s[88:89]
	v_mov_b32_e32 v0, v41
	v_mov_b32_e32 v8, 0
	;; [unrolled: 1-line block ×4, first 2 shown]
.LBB220_30:                             ; =>This Inner Loop Header: Depth=1
	s_load_dwordx4 s[12:15], s[18:19], 0x4
	s_load_dwordx2 s[24:25], s[18:19], 0x14
	s_mov_b64 s[22:23], s[16:17]
	s_load_dwordx8 s[4:11], s[22:23], 0x20
	s_add_u32 s16, s22, 32
	s_waitcnt lgkmcnt(0)
	v_mul_hi_u32 v1, s13, v0
	v_add_u32_e32 v1, v0, v1
	v_lshrrev_b32_e32 v1, s14, v1
	v_mul_lo_u32 v2, v1, s12
	v_mul_hi_u32 v3, s24, v1
	v_sub_u32_e32 v0, v0, v2
	v_add_u32_e32 v2, v1, v3
	v_mul_lo_u32 v3, v0, s4
	v_mul_lo_u32 v4, v0, s5
	;; [unrolled: 1-line block ×4, first 2 shown]
	v_lshrrev_b32_e32 v0, s25, v2
	s_addc_u32 s17, s23, 0
	v_mul_lo_u32 v2, v0, s15
	s_add_u32 s18, s18, 24
	v_sub_u32_e32 v1, v1, v2
	s_addc_u32 s19, s19, 0
	s_add_i32 s20, s20, -2
	v_mul_lo_u32 v2, v1, s8
	v_mul_lo_u32 v9, v1, s9
	;; [unrolled: 1-line block ×4, first 2 shown]
	s_cmp_eq_u32 s20, 0
	v_add3_u32 v6, v4, v6, v9
	v_add3_u32 v42, v3, v42, v2
	;; [unrolled: 1-line block ×4, first 2 shown]
	s_cbranch_scc0 .LBB220_30
; %bb.31:
	s_bitcmp1_b32 s21, 0
	s_cselect_b64 s[4:5], -1, 0
	s_and_b64 vcc, exec, s[4:5]
	s_cbranch_vccnz .LBB220_33
; %bb.32:
	s_load_dwordx2 s[8:9], s[18:19], 0x4
	s_load_dword s10, s[18:19], 0xc
                                        ; kill: killed $sgpr18 killed $sgpr19
	s_load_dwordx4 s[4:7], s[16:17], 0x20
	s_waitcnt lgkmcnt(0)
	v_mul_hi_u32 v1, s9, v0
	v_add_u32_e32 v1, v0, v1
	v_lshrrev_b32_e32 v1, s10, v1
	v_mul_lo_u32 v1, v1, s8
	v_sub_u32_e32 v0, v0, v1
	v_mad_u64_u32 v[42:43], s[8:9], v0, s4, v[42:43]
	v_mad_u64_u32 v[6:7], s[4:5], v0, s5, v[6:7]
	;; [unrolled: 1-line block ×4, first 2 shown]
.LBB220_33:
	s_cbranch_execz .LBB220_35
	s_branch .LBB220_37
.LBB220_34:
                                        ; implicit-def: $vgpr6
                                        ; implicit-def: $vgpr42
                                        ; implicit-def: $vgpr8
                                        ; implicit-def: $vgpr10
.LBB220_35:
	s_load_dwordx4 s[4:7], s[88:89], 0x4
	s_waitcnt lgkmcnt(0)
	v_mul_hi_u32 v0, s5, v41
	v_add_u32_e32 v0, v41, v0
	v_lshrrev_b32_e32 v0, s6, v0
	v_mul_lo_u32 v1, v0, s4
	v_readlane_b32 s4, v88, 5
	v_sub_u32_e32 v1, v41, v1
	v_readlane_b32 s5, v88, 6
	v_mul_lo_u32 v6, v1, s37
	v_mul_lo_u32 v42, v1, s36
	;; [unrolled: 1-line block ×3, first 2 shown]
	s_andn2_b64 vcc, exec, s[4:5]
	v_mul_lo_u32 v10, v1, s38
	s_cbranch_vccnz .LBB220_37
; %bb.36:
	s_load_dwordx2 s[4:5], s[88:89], 0x14
	s_waitcnt lgkmcnt(0)
	v_mul_hi_u32 v1, s4, v0
	v_add_u32_e32 v1, v0, v1
	v_lshrrev_b32_e32 v1, s5, v1
	v_mul_lo_u32 v1, v1, s7
	v_sub_u32_e32 v0, v0, v1
	v_mad_u64_u32 v[42:43], s[4:5], v0, s40, v[42:43]
	v_mad_u64_u32 v[6:7], s[4:5], v0, s41, v[6:7]
	;; [unrolled: 1-line block ×4, first 2 shown]
.LBB220_37:
	s_load_dwordx8 s[92:99], s[88:89], 0x1c8
	s_getpc_b64 s[4:5]
	s_add_u32 s4, s4, _ZZZZN2at6native28launch_dirichlet_grad_kernelERNS_18TensorIteratorBaseEENKUlvE_clEvENKUlvE_clEvENKUldddE_clEddd@rel32@lo+4
	s_addc_u32 s5, s5, _ZZZZN2at6native28launch_dirichlet_grad_kernelERNS_18TensorIteratorBaseEENKUlvE_clEvENKUlvE_clEvENKUldddE_clEddd@rel32@hi+12
	s_waitcnt lgkmcnt(0)
	global_load_dwordx2 v[0:1], v6, s[94:95]
	global_load_dwordx2 v[2:3], v10, s[96:97]
	global_load_dwordx2 v[4:5], v8, s[98:99]
	s_swappc_b64 s[30:31], s[4:5]
	s_load_dwordx8 s[36:43], s[88:89], 0xc4
	v_readlane_b32 s8, v88, 8
	v_add_u32_e32 v41, 0x80, v41
	v_readlane_b32 s28, v88, 7
	v_readlane_b32 s9, v88, 9
	;; [unrolled: 1-line block ×3, first 2 shown]
	global_store_dwordx2 v42, v[0:1], s[92:93]
	s_or_b64 exec, exec, s[90:91]
	v_cmp_gt_i32_e32 vcc, s10, v41
	s_and_saveexec_b64 s[90:91], vcc
	s_cbranch_execz .LBB220_49
.LBB220_38:
	s_andn2_b64 vcc, exec, s[8:9]
	s_cbranch_vccnz .LBB220_45
; %bb.39:
	v_readlane_b32 s4, v88, 2
	v_readlane_b32 s5, v88, 3
	s_andn2_b64 vcc, exec, s[4:5]
	v_mov_b32_e32 v6, 0
	v_mov_b32_e32 v42, 0
	;; [unrolled: 1-line block ×4, first 2 shown]
	s_cbranch_vccnz .LBB220_44
; %bb.40:
	v_readlane_b32 s21, v88, 4
	s_add_i32 s4, s21, 1
	s_and_b32 s20, s4, 30
	s_add_u32 s18, s88, 0xa4
	s_addc_u32 s19, s89, 0
	v_mov_b32_e32 v10, 0
	s_mov_b64 s[16:17], s[88:89]
	v_mov_b32_e32 v0, v41
	v_mov_b32_e32 v8, 0
	;; [unrolled: 1-line block ×4, first 2 shown]
.LBB220_41:                             ; =>This Inner Loop Header: Depth=1
	s_load_dwordx4 s[12:15], s[16:17], 0x4
	s_load_dwordx2 s[24:25], s[16:17], 0x14
	s_mov_b64 s[22:23], s[18:19]
	s_load_dwordx8 s[4:11], s[22:23], 0x20
	s_add_u32 s18, s22, 32
	s_waitcnt lgkmcnt(0)
	v_mul_hi_u32 v1, s13, v0
	v_add_u32_e32 v1, v0, v1
	v_lshrrev_b32_e32 v1, s14, v1
	v_mul_lo_u32 v2, v1, s12
	v_mul_hi_u32 v3, s24, v1
	v_sub_u32_e32 v0, v0, v2
	v_add_u32_e32 v2, v1, v3
	v_mul_lo_u32 v3, v0, s4
	v_mul_lo_u32 v4, v0, s5
	;; [unrolled: 1-line block ×4, first 2 shown]
	v_lshrrev_b32_e32 v0, s25, v2
	s_addc_u32 s19, s23, 0
	v_mul_lo_u32 v2, v0, s15
	s_add_u32 s16, s16, 24
	v_sub_u32_e32 v1, v1, v2
	s_addc_u32 s17, s17, 0
	s_add_i32 s20, s20, -2
	v_mul_lo_u32 v2, v1, s8
	v_mul_lo_u32 v9, v1, s9
	;; [unrolled: 1-line block ×4, first 2 shown]
	s_cmp_eq_u32 s20, 0
	v_add3_u32 v6, v4, v6, v9
	v_add3_u32 v42, v3, v42, v2
	;; [unrolled: 1-line block ×4, first 2 shown]
	s_cbranch_scc0 .LBB220_41
; %bb.42:
	s_bitcmp1_b32 s21, 0
	s_cselect_b64 s[4:5], -1, 0
	s_and_b64 vcc, exec, s[4:5]
	s_cbranch_vccnz .LBB220_44
; %bb.43:
	s_load_dwordx2 s[8:9], s[16:17], 0x4
	s_load_dword s10, s[16:17], 0xc
	s_load_dwordx4 s[4:7], s[18:19], 0x20
	s_waitcnt lgkmcnt(0)
	v_mul_hi_u32 v1, s9, v0
	v_add_u32_e32 v1, v0, v1
	v_lshrrev_b32_e32 v1, s10, v1
	v_mul_lo_u32 v1, v1, s8
	v_sub_u32_e32 v0, v0, v1
	v_mad_u64_u32 v[42:43], s[8:9], v0, s4, v[42:43]
	v_mad_u64_u32 v[6:7], s[4:5], v0, s5, v[6:7]
	;; [unrolled: 1-line block ×4, first 2 shown]
.LBB220_44:
	s_cbranch_execz .LBB220_46
	s_branch .LBB220_48
.LBB220_45:
                                        ; implicit-def: $vgpr6
                                        ; implicit-def: $vgpr42
                                        ; implicit-def: $vgpr8
                                        ; implicit-def: $vgpr10
.LBB220_46:
	s_load_dwordx4 s[4:7], s[88:89], 0x4
	s_waitcnt lgkmcnt(0)
	v_mul_hi_u32 v0, s5, v41
	v_add_u32_e32 v0, v41, v0
	v_lshrrev_b32_e32 v0, s6, v0
	v_mul_lo_u32 v1, v0, s4
	v_readlane_b32 s4, v88, 5
	v_sub_u32_e32 v1, v41, v1
	v_readlane_b32 s5, v88, 6
	v_mul_lo_u32 v6, v1, s37
	v_mul_lo_u32 v42, v1, s36
	;; [unrolled: 1-line block ×3, first 2 shown]
	s_andn2_b64 vcc, exec, s[4:5]
	v_mul_lo_u32 v10, v1, s38
	s_cbranch_vccnz .LBB220_48
; %bb.47:
	s_load_dwordx2 s[4:5], s[88:89], 0x14
	s_waitcnt lgkmcnt(0)
	v_mul_hi_u32 v1, s4, v0
	v_add_u32_e32 v1, v0, v1
	v_lshrrev_b32_e32 v1, s5, v1
	v_mul_lo_u32 v1, v1, s7
	v_sub_u32_e32 v0, v0, v1
	v_mad_u64_u32 v[42:43], s[4:5], v0, s40, v[42:43]
	v_mad_u64_u32 v[6:7], s[4:5], v0, s41, v[6:7]
	;; [unrolled: 1-line block ×4, first 2 shown]
.LBB220_48:
	s_load_dwordx8 s[92:99], s[88:89], 0x1c8
	s_getpc_b64 s[4:5]
	s_add_u32 s4, s4, _ZZZZN2at6native28launch_dirichlet_grad_kernelERNS_18TensorIteratorBaseEENKUlvE_clEvENKUlvE_clEvENKUldddE_clEddd@rel32@lo+4
	s_addc_u32 s5, s5, _ZZZZN2at6native28launch_dirichlet_grad_kernelERNS_18TensorIteratorBaseEENKUlvE_clEvENKUlvE_clEvENKUldddE_clEddd@rel32@hi+12
	s_waitcnt lgkmcnt(0)
	global_load_dwordx2 v[0:1], v6, s[94:95]
	global_load_dwordx2 v[2:3], v10, s[96:97]
	;; [unrolled: 1-line block ×3, first 2 shown]
	s_swappc_b64 s[30:31], s[4:5]
	v_readlane_b32 s8, v88, 8
	v_readlane_b32 s28, v88, 7
	;; [unrolled: 1-line block ×3, first 2 shown]
	global_store_dwordx2 v42, v[0:1], s[92:93]
.LBB220_49:
	s_or_b64 exec, exec, s[90:91]
	v_readlane_b32 s4, v88, 0
	v_readlane_b32 s5, v88, 1
                                        ; implicit-def: $vgpr0
                                        ; implicit-def: $vgpr41
.LBB220_50:
	s_andn2_saveexec_b64 s[4:5], s[4:5]
	s_cbranch_execz .LBB220_57
; %bb.51:
	v_cndmask_b32_e64 v1, 0, 1, s[8:9]
	v_cmp_ne_u32_e64 s[4:5], 1, v1
	s_andn2_b64 vcc, exec, s[8:9]
	s_cbranch_vccnz .LBB220_58
; %bb.52:
	s_cmp_lg_u32 s28, 0
	v_mov_b32_e32 v6, 0
	v_mov_b32_e32 v56, 0
	v_mov_b32_e32 v10, 0
	v_mov_b32_e32 v8, 0
	s_cbranch_scc0 .LBB220_59
; %bb.53:
	s_min_u32 s22, s33, 15
	s_add_i32 s6, s22, 1
	s_and_b32 s23, s6, 30
	s_add_u32 s20, s88, 0xa4
	s_addc_u32 s21, s89, 0
	v_mov_b32_e32 v8, 0
	s_mov_b64 s[6:7], s[88:89]
	v_mov_b32_e32 v1, v41
	v_mov_b32_e32 v10, 0
	;; [unrolled: 1-line block ×4, first 2 shown]
.LBB220_54:                             ; =>This Inner Loop Header: Depth=1
	s_load_dwordx4 s[16:19], s[6:7], 0x4
	s_load_dwordx2 s[26:27], s[6:7], 0x14
	s_mov_b64 s[24:25], s[20:21]
	s_load_dwordx8 s[8:15], s[24:25], 0x20
	s_add_u32 s20, s24, 32
	s_waitcnt lgkmcnt(0)
	v_mul_hi_u32 v2, s17, v1
	v_add_u32_e32 v2, v1, v2
	v_lshrrev_b32_e32 v2, s18, v2
	v_mul_lo_u32 v3, v2, s16
	v_mul_hi_u32 v4, s26, v2
	v_sub_u32_e32 v1, v1, v3
	v_add_u32_e32 v3, v2, v4
	v_mul_lo_u32 v4, v1, s8
	v_mul_lo_u32 v5, v1, s9
	;; [unrolled: 1-line block ×4, first 2 shown]
	v_lshrrev_b32_e32 v1, s27, v3
	s_addc_u32 s21, s25, 0
	v_mul_lo_u32 v3, v1, s19
	s_add_u32 s6, s6, 24
	v_sub_u32_e32 v2, v2, v3
	s_addc_u32 s7, s7, 0
	s_add_i32 s23, s23, -2
	v_mul_lo_u32 v3, v2, s12
	v_mul_lo_u32 v11, v2, s13
	;; [unrolled: 1-line block ×4, first 2 shown]
	s_cmp_lg_u32 s23, 0
	v_add3_u32 v6, v5, v6, v11
	v_add3_u32 v56, v4, v56, v3
	;; [unrolled: 1-line block ×4, first 2 shown]
	s_cbranch_scc1 .LBB220_54
; %bb.55:
	s_bitcmp1_b32 s22, 0
	s_cselect_b64 s[8:9], -1, 0
	s_and_b64 vcc, exec, s[8:9]
	s_cbranch_vccnz .LBB220_59
; %bb.56:
	s_load_dwordx2 s[12:13], s[6:7], 0x4
	s_load_dword s14, s[6:7], 0xc
	s_load_dwordx4 s[8:11], s[20:21], 0x20
	s_waitcnt lgkmcnt(0)
	v_mul_hi_u32 v2, s13, v1
	v_add_u32_e32 v2, v1, v2
	v_lshrrev_b32_e32 v2, s14, v2
	v_mul_lo_u32 v2, v2, s12
	v_sub_u32_e32 v1, v1, v2
	v_mad_u64_u32 v[56:57], s[6:7], v1, s8, v[56:57]
	v_mad_u64_u32 v[6:7], s[6:7], v1, s9, v[6:7]
	;; [unrolled: 1-line block ×4, first 2 shown]
	s_cbranch_execz .LBB220_60
	s_branch .LBB220_62
.LBB220_57:
	s_endpgm
.LBB220_58:
                                        ; implicit-def: $vgpr6
                                        ; implicit-def: $vgpr56
                                        ; implicit-def: $vgpr10
                                        ; implicit-def: $vgpr8
	s_branch .LBB220_60
.LBB220_59:
	s_cbranch_execnz .LBB220_62
.LBB220_60:
	s_load_dwordx4 s[8:11], s[88:89], 0x4
	s_load_dwordx4 s[12:15], s[88:89], 0xc4
	s_cmp_lt_u32 s28, 2
	s_waitcnt lgkmcnt(0)
	v_mul_hi_u32 v1, s9, v41
	v_add_u32_e32 v1, v41, v1
	v_lshrrev_b32_e32 v1, s10, v1
	v_mul_lo_u32 v2, v1, s8
	v_sub_u32_e32 v2, v41, v2
	v_mul_lo_u32 v6, v2, s13
	v_mul_lo_u32 v56, v2, s12
	;; [unrolled: 1-line block ×4, first 2 shown]
	s_cbranch_scc1 .LBB220_62
; %bb.61:
	s_load_dwordx4 s[8:11], s[88:89], 0x10
	s_load_dwordx4 s[12:15], s[88:89], 0xd4
	s_waitcnt lgkmcnt(0)
	v_mul_hi_u32 v2, s9, v1
	v_add_u32_e32 v2, v1, v2
	v_lshrrev_b32_e32 v2, s10, v2
	v_mul_lo_u32 v2, v2, s8
	v_sub_u32_e32 v1, v1, v2
	v_mad_u64_u32 v[56:57], s[6:7], v1, s12, v[56:57]
	v_mad_u64_u32 v[6:7], s[6:7], v1, s13, v[6:7]
	;; [unrolled: 1-line block ×4, first 2 shown]
.LBB220_62:
	s_and_b64 vcc, exec, s[4:5]
	v_add_u32_e32 v1, 0x80, v41
	s_cbranch_vccnz .LBB220_68
; %bb.63:
	s_cmp_lg_u32 s28, 0
	v_mov_b32_e32 v44, 0
	v_mov_b32_e32 v58, 0
	;; [unrolled: 1-line block ×4, first 2 shown]
	s_cbranch_scc0 .LBB220_69
; %bb.64:
	s_min_u32 s22, s33, 15
	s_add_i32 s6, s22, 1
	s_and_b32 s23, s6, 30
	s_add_u32 s20, s88, 0xa4
	s_addc_u32 s21, s89, 0
	v_mov_b32_e32 v46, 0
	s_mov_b64 s[6:7], s[88:89]
	v_mov_b32_e32 v2, v1
	v_mov_b32_e32 v60, 0
	;; [unrolled: 1-line block ×4, first 2 shown]
.LBB220_65:                             ; =>This Inner Loop Header: Depth=1
	s_load_dwordx4 s[16:19], s[6:7], 0x4
	s_load_dwordx2 s[26:27], s[6:7], 0x14
	s_mov_b64 s[24:25], s[20:21]
	s_load_dwordx8 s[8:15], s[24:25], 0x20
	s_add_u32 s20, s24, 32
	s_waitcnt lgkmcnt(0)
	v_mul_hi_u32 v3, s17, v2
	v_add_u32_e32 v3, v2, v3
	v_lshrrev_b32_e32 v3, s18, v3
	v_mul_lo_u32 v4, v3, s16
	v_mul_hi_u32 v5, s26, v3
	v_sub_u32_e32 v2, v2, v4
	v_add_u32_e32 v4, v3, v5
	v_mul_lo_u32 v5, v2, s8
	v_mul_lo_u32 v7, v2, s9
	;; [unrolled: 1-line block ×4, first 2 shown]
	v_lshrrev_b32_e32 v2, s27, v4
	s_addc_u32 s21, s25, 0
	v_mul_lo_u32 v4, v2, s19
	s_add_u32 s6, s6, 24
	v_sub_u32_e32 v3, v3, v4
	s_addc_u32 s7, s7, 0
	s_add_i32 s23, s23, -2
	v_mul_lo_u32 v4, v3, s12
	v_mul_lo_u32 v12, v3, s13
	;; [unrolled: 1-line block ×4, first 2 shown]
	s_cmp_lg_u32 s23, 0
	v_add3_u32 v44, v7, v44, v12
	v_add3_u32 v58, v5, v58, v4
	;; [unrolled: 1-line block ×4, first 2 shown]
	s_cbranch_scc1 .LBB220_65
; %bb.66:
	s_bitcmp1_b32 s22, 0
	s_cselect_b64 s[8:9], -1, 0
	s_and_b64 vcc, exec, s[8:9]
	s_cbranch_vccnz .LBB220_69
; %bb.67:
	s_load_dwordx2 s[12:13], s[6:7], 0x4
	s_load_dword s14, s[6:7], 0xc
	s_load_dwordx4 s[8:11], s[20:21], 0x20
	s_waitcnt lgkmcnt(0)
	v_mul_hi_u32 v3, s13, v2
	v_add_u32_e32 v3, v2, v3
	v_lshrrev_b32_e32 v3, s14, v3
	v_mul_lo_u32 v3, v3, s12
	v_sub_u32_e32 v2, v2, v3
	v_mad_u64_u32 v[58:59], s[6:7], v2, s8, v[58:59]
	v_mad_u64_u32 v[44:45], s[6:7], v2, s9, v[44:45]
	;; [unrolled: 1-line block ×4, first 2 shown]
	s_cbranch_execz .LBB220_70
	s_branch .LBB220_72
.LBB220_68:
                                        ; implicit-def: $vgpr44
                                        ; implicit-def: $vgpr58
                                        ; implicit-def: $vgpr60
                                        ; implicit-def: $vgpr46
	s_branch .LBB220_70
.LBB220_69:
	s_cbranch_execnz .LBB220_72
.LBB220_70:
	s_load_dwordx4 s[8:11], s[88:89], 0x4
	s_load_dwordx4 s[12:15], s[88:89], 0xc4
	s_cmp_lt_u32 s28, 2
	s_waitcnt lgkmcnt(0)
	v_mul_hi_u32 v2, s9, v1
	v_add_u32_e32 v2, v1, v2
	v_lshrrev_b32_e32 v2, s10, v2
	v_mul_lo_u32 v3, v2, s8
	v_sub_u32_e32 v1, v1, v3
	v_mul_lo_u32 v44, v1, s13
	v_mul_lo_u32 v58, v1, s12
	;; [unrolled: 1-line block ×4, first 2 shown]
	s_cbranch_scc1 .LBB220_72
; %bb.71:
	s_load_dwordx4 s[8:11], s[88:89], 0x10
	s_load_dwordx4 s[12:15], s[88:89], 0xd4
	s_waitcnt lgkmcnt(0)
	v_mul_hi_u32 v1, s9, v2
	v_add_u32_e32 v1, v2, v1
	v_lshrrev_b32_e32 v1, s10, v1
	v_mul_lo_u32 v1, v1, s8
	v_sub_u32_e32 v1, v2, v1
	v_mad_u64_u32 v[58:59], s[6:7], v1, s12, v[58:59]
	v_mad_u64_u32 v[44:45], s[6:7], v1, s13, v[44:45]
	;; [unrolled: 1-line block ×4, first 2 shown]
.LBB220_72:
	s_and_b64 vcc, exec, s[4:5]
	v_add_u32_e32 v1, 0x100, v41
	s_cbranch_vccnz .LBB220_78
; %bb.73:
	s_cmp_lg_u32 s28, 0
	v_mov_b32_e32 v72, 0
	v_mov_b32_e32 v62, 0
	;; [unrolled: 1-line block ×4, first 2 shown]
	s_cbranch_scc0 .LBB220_79
; %bb.74:
	s_min_u32 s22, s33, 15
	s_add_i32 s6, s22, 1
	s_and_b32 s23, s6, 30
	s_add_u32 s20, s88, 0xa4
	s_addc_u32 s21, s89, 0
	v_mov_b32_e32 v74, 0
	s_mov_b64 s[6:7], s[88:89]
	v_mov_b32_e32 v2, v1
	v_mov_b32_e32 v76, 0
	;; [unrolled: 1-line block ×4, first 2 shown]
.LBB220_75:                             ; =>This Inner Loop Header: Depth=1
	s_load_dwordx4 s[16:19], s[6:7], 0x4
	s_load_dwordx2 s[26:27], s[6:7], 0x14
	s_mov_b64 s[24:25], s[20:21]
	s_load_dwordx8 s[8:15], s[24:25], 0x20
	s_add_u32 s20, s24, 32
	s_waitcnt lgkmcnt(0)
	v_mul_hi_u32 v3, s17, v2
	v_add_u32_e32 v3, v2, v3
	v_lshrrev_b32_e32 v3, s18, v3
	v_mul_lo_u32 v4, v3, s16
	v_mul_hi_u32 v5, s26, v3
	v_sub_u32_e32 v2, v2, v4
	v_add_u32_e32 v4, v3, v5
	v_mul_lo_u32 v5, v2, s8
	v_mul_lo_u32 v7, v2, s9
	;; [unrolled: 1-line block ×4, first 2 shown]
	v_lshrrev_b32_e32 v2, s27, v4
	s_addc_u32 s21, s25, 0
	v_mul_lo_u32 v4, v2, s19
	s_add_u32 s6, s6, 24
	v_sub_u32_e32 v3, v3, v4
	s_addc_u32 s7, s7, 0
	s_add_i32 s23, s23, -2
	v_mul_lo_u32 v4, v3, s12
	v_mul_lo_u32 v12, v3, s13
	;; [unrolled: 1-line block ×4, first 2 shown]
	s_cmp_lg_u32 s23, 0
	v_add3_u32 v72, v7, v72, v12
	v_add3_u32 v62, v5, v62, v4
	;; [unrolled: 1-line block ×4, first 2 shown]
	s_cbranch_scc1 .LBB220_75
; %bb.76:
	s_bitcmp1_b32 s22, 0
	s_cselect_b64 s[8:9], -1, 0
	s_and_b64 vcc, exec, s[8:9]
	s_cbranch_vccnz .LBB220_79
; %bb.77:
	s_load_dwordx2 s[12:13], s[6:7], 0x4
	s_load_dword s14, s[6:7], 0xc
	s_load_dwordx4 s[8:11], s[20:21], 0x20
	s_waitcnt lgkmcnt(0)
	v_mul_hi_u32 v3, s13, v2
	v_add_u32_e32 v3, v2, v3
	v_lshrrev_b32_e32 v3, s14, v3
	v_mul_lo_u32 v3, v3, s12
	v_sub_u32_e32 v2, v2, v3
	v_mad_u64_u32 v[62:63], s[6:7], v2, s8, v[62:63]
	v_mad_u64_u32 v[72:73], s[6:7], v2, s9, v[72:73]
	;; [unrolled: 1-line block ×4, first 2 shown]
	s_cbranch_execz .LBB220_80
	s_branch .LBB220_82
.LBB220_78:
                                        ; implicit-def: $vgpr72
                                        ; implicit-def: $vgpr62
                                        ; implicit-def: $vgpr76
                                        ; implicit-def: $vgpr74
	s_branch .LBB220_80
.LBB220_79:
	s_cbranch_execnz .LBB220_82
.LBB220_80:
	s_load_dwordx4 s[8:11], s[88:89], 0x4
	s_load_dwordx4 s[12:15], s[88:89], 0xc4
	s_cmp_lt_u32 s28, 2
	s_waitcnt lgkmcnt(0)
	v_mul_hi_u32 v2, s9, v1
	v_add_u32_e32 v2, v1, v2
	v_lshrrev_b32_e32 v2, s10, v2
	v_mul_lo_u32 v3, v2, s8
	v_sub_u32_e32 v1, v1, v3
	v_mul_lo_u32 v72, v1, s13
	v_mul_lo_u32 v62, v1, s12
	;; [unrolled: 1-line block ×4, first 2 shown]
	s_cbranch_scc1 .LBB220_82
; %bb.81:
	s_load_dwordx4 s[8:11], s[88:89], 0x10
	s_load_dwordx4 s[12:15], s[88:89], 0xd4
	s_waitcnt lgkmcnt(0)
	v_mul_hi_u32 v1, s9, v2
	v_add_u32_e32 v1, v2, v1
	v_lshrrev_b32_e32 v1, s10, v1
	v_mul_lo_u32 v1, v1, s8
	v_sub_u32_e32 v1, v2, v1
	v_mad_u64_u32 v[62:63], s[6:7], v1, s12, v[62:63]
	v_mad_u64_u32 v[72:73], s[6:7], v1, s13, v[72:73]
	;; [unrolled: 1-line block ×4, first 2 shown]
.LBB220_82:
	s_and_b64 vcc, exec, s[4:5]
	s_cbranch_vccnz .LBB220_88
; %bb.83:
	s_cmp_lg_u32 s28, 0
	v_mov_b32_e32 v82, 0
	v_mov_b32_e32 v78, 0
	v_mov_b32_e32 v86, 0
	v_mov_b32_e32 v84, 0
	s_cbranch_scc0 .LBB220_89
; %bb.84:
	s_min_u32 s20, s33, 15
	s_add_i32 s4, s20, 1
	s_and_b32 s21, s4, 30
	s_add_u32 s18, s88, 0xa4
	s_addc_u32 s19, s89, 0
	v_mov_b32_e32 v84, 0
	s_mov_b64 s[16:17], s[88:89]
	v_mov_b32_e32 v1, v0
	v_mov_b32_e32 v86, 0
	;; [unrolled: 1-line block ×4, first 2 shown]
.LBB220_85:                             ; =>This Inner Loop Header: Depth=1
	s_load_dwordx4 s[12:15], s[16:17], 0x4
	s_load_dwordx2 s[24:25], s[16:17], 0x14
	s_mov_b64 s[22:23], s[18:19]
	s_load_dwordx8 s[4:11], s[22:23], 0x20
	s_add_u32 s18, s22, 32
	s_waitcnt lgkmcnt(0)
	v_mul_hi_u32 v2, s13, v1
	v_add_u32_e32 v2, v1, v2
	v_lshrrev_b32_e32 v2, s14, v2
	v_mul_lo_u32 v3, v2, s12
	v_mul_hi_u32 v4, s24, v2
	v_sub_u32_e32 v1, v1, v3
	v_add_u32_e32 v3, v2, v4
	v_mul_lo_u32 v4, v1, s4
	v_mul_lo_u32 v5, v1, s5
	;; [unrolled: 1-line block ×4, first 2 shown]
	v_lshrrev_b32_e32 v1, s25, v3
	s_addc_u32 s19, s23, 0
	v_mul_lo_u32 v3, v1, s15
	s_add_u32 s16, s16, 24
	v_sub_u32_e32 v2, v2, v3
	s_addc_u32 s17, s17, 0
	s_add_i32 s21, s21, -2
	v_mul_lo_u32 v3, v2, s8
	v_mul_lo_u32 v11, v2, s9
	;; [unrolled: 1-line block ×4, first 2 shown]
	s_cmp_lg_u32 s21, 0
	v_add3_u32 v82, v5, v82, v11
	v_add3_u32 v78, v4, v78, v3
	;; [unrolled: 1-line block ×4, first 2 shown]
	s_cbranch_scc1 .LBB220_85
; %bb.86:
	s_bitcmp1_b32 s20, 0
	s_cselect_b64 s[4:5], -1, 0
	s_and_b64 vcc, exec, s[4:5]
	s_cbranch_vccnz .LBB220_89
; %bb.87:
	s_load_dwordx2 s[8:9], s[16:17], 0x4
	s_load_dword s10, s[16:17], 0xc
	s_load_dwordx4 s[4:7], s[18:19], 0x20
	s_waitcnt lgkmcnt(0)
	v_mul_hi_u32 v2, s9, v1
	v_add_u32_e32 v2, v1, v2
	v_lshrrev_b32_e32 v2, s10, v2
	v_mul_lo_u32 v2, v2, s8
	v_sub_u32_e32 v1, v1, v2
	v_mad_u64_u32 v[78:79], s[8:9], v1, s4, v[78:79]
	v_mad_u64_u32 v[82:83], s[4:5], v1, s5, v[82:83]
	;; [unrolled: 1-line block ×4, first 2 shown]
	s_cbranch_execz .LBB220_90
	s_branch .LBB220_92
.LBB220_88:
                                        ; implicit-def: $vgpr82
                                        ; implicit-def: $vgpr78
                                        ; implicit-def: $vgpr86
                                        ; implicit-def: $vgpr84
	s_branch .LBB220_90
.LBB220_89:
	s_cbranch_execnz .LBB220_92
.LBB220_90:
	s_load_dwordx4 s[4:7], s[88:89], 0x4
	s_load_dwordx4 s[8:11], s[88:89], 0xc4
	s_cmp_lt_u32 s28, 2
	s_waitcnt lgkmcnt(0)
	v_mul_hi_u32 v1, s5, v0
	v_add_u32_e32 v1, v0, v1
	v_lshrrev_b32_e32 v1, s6, v1
	v_mul_lo_u32 v2, v1, s4
	v_sub_u32_e32 v0, v0, v2
	v_mul_lo_u32 v82, v0, s9
	v_mul_lo_u32 v78, v0, s8
	;; [unrolled: 1-line block ×4, first 2 shown]
	s_cbranch_scc1 .LBB220_92
; %bb.91:
	s_load_dwordx4 s[4:7], s[88:89], 0x10
	s_load_dwordx4 s[8:11], s[88:89], 0xd4
	s_waitcnt lgkmcnt(0)
	v_mul_hi_u32 v0, s5, v1
	v_add_u32_e32 v0, v1, v0
	v_lshrrev_b32_e32 v0, s6, v0
	v_mul_lo_u32 v0, v0, s4
	v_sub_u32_e32 v0, v1, v0
	v_mad_u64_u32 v[78:79], s[4:5], v0, s8, v[78:79]
	v_mad_u64_u32 v[82:83], s[4:5], v0, s9, v[82:83]
	;; [unrolled: 1-line block ×4, first 2 shown]
.LBB220_92:
	s_load_dwordx8 s[88:95], s[88:89], 0x1c8
	s_getpc_b64 s[96:97]
	s_add_u32 s96, s96, _ZZZZN2at6native28launch_dirichlet_grad_kernelERNS_18TensorIteratorBaseEENKUlvE_clEvENKUlvE_clEvENKUldddE_clEddd@rel32@lo+4
	s_addc_u32 s97, s97, _ZZZZN2at6native28launch_dirichlet_grad_kernelERNS_18TensorIteratorBaseEENKUlvE_clEvENKUlvE_clEvENKUldddE_clEddd@rel32@hi+12
	s_waitcnt lgkmcnt(0)
	global_load_dwordx2 v[0:1], v6, s[90:91]
	global_load_dwordx2 v[2:3], v8, s[92:93]
	global_load_dwordx2 v[4:5], v10, s[94:95]
	s_swappc_b64 s[30:31], s[96:97]
	v_mov_b32_e32 v42, v0
	v_mov_b32_e32 v43, v1
	global_load_dwordx2 v[0:1], v44, s[90:91]
	global_load_dwordx2 v[2:3], v46, s[92:93]
	global_load_dwordx2 v[4:5], v60, s[94:95]
	s_swappc_b64 s[30:31], s[96:97]
	v_mov_b32_e32 v44, v0
	v_mov_b32_e32 v45, v1
	;; [unrolled: 6-line block ×3, first 2 shown]
	global_load_dwordx2 v[0:1], v82, s[90:91]
	global_load_dwordx2 v[2:3], v84, s[92:93]
	;; [unrolled: 1-line block ×3, first 2 shown]
	s_swappc_b64 s[30:31], s[96:97]
	global_store_dwordx2 v56, v[42:43], s[88:89]
	global_store_dwordx2 v58, v[44:45], s[88:89]
	;; [unrolled: 1-line block ×4, first 2 shown]
	s_endpgm
	.section	.rodata,"a",@progbits
	.p2align	6, 0x0
	.amdhsa_kernel _ZN2at6native32elementwise_kernel_manual_unrollILi128ELi4EZNS0_22gpu_kernel_impl_nocastIZZZNS0_28launch_dirichlet_grad_kernelERNS_18TensorIteratorBaseEENKUlvE_clEvENKUlvE_clEvEUldddE_EEvS4_RKT_EUlibE_EEviT1_
		.amdhsa_group_segment_fixed_size 0
		.amdhsa_private_segment_fixed_size 8
		.amdhsa_kernarg_size 504
		.amdhsa_user_sgpr_count 8
		.amdhsa_user_sgpr_private_segment_buffer 1
		.amdhsa_user_sgpr_dispatch_ptr 0
		.amdhsa_user_sgpr_queue_ptr 0
		.amdhsa_user_sgpr_kernarg_segment_ptr 1
		.amdhsa_user_sgpr_dispatch_id 0
		.amdhsa_user_sgpr_flat_scratch_init 1
		.amdhsa_user_sgpr_kernarg_preload_length 0
		.amdhsa_user_sgpr_kernarg_preload_offset 0
		.amdhsa_user_sgpr_private_segment_size 0
		.amdhsa_uses_dynamic_stack 0
		.amdhsa_system_sgpr_private_segment_wavefront_offset 1
		.amdhsa_system_sgpr_workgroup_id_x 1
		.amdhsa_system_sgpr_workgroup_id_y 0
		.amdhsa_system_sgpr_workgroup_id_z 0
		.amdhsa_system_sgpr_workgroup_info 0
		.amdhsa_system_vgpr_workitem_id 0
		.amdhsa_next_free_vgpr 89
		.amdhsa_next_free_sgpr 100
		.amdhsa_accum_offset 92
		.amdhsa_reserve_vcc 1
		.amdhsa_reserve_flat_scratch 1
		.amdhsa_float_round_mode_32 0
		.amdhsa_float_round_mode_16_64 0
		.amdhsa_float_denorm_mode_32 3
		.amdhsa_float_denorm_mode_16_64 3
		.amdhsa_dx10_clamp 1
		.amdhsa_ieee_mode 1
		.amdhsa_fp16_overflow 0
		.amdhsa_tg_split 0
		.amdhsa_exception_fp_ieee_invalid_op 0
		.amdhsa_exception_fp_denorm_src 0
		.amdhsa_exception_fp_ieee_div_zero 0
		.amdhsa_exception_fp_ieee_overflow 0
		.amdhsa_exception_fp_ieee_underflow 0
		.amdhsa_exception_fp_ieee_inexact 0
		.amdhsa_exception_int_div_zero 0
	.end_amdhsa_kernel
	.section	.text._ZN2at6native32elementwise_kernel_manual_unrollILi128ELi4EZNS0_22gpu_kernel_impl_nocastIZZZNS0_28launch_dirichlet_grad_kernelERNS_18TensorIteratorBaseEENKUlvE_clEvENKUlvE_clEvEUldddE_EEvS4_RKT_EUlibE_EEviT1_,"axG",@progbits,_ZN2at6native32elementwise_kernel_manual_unrollILi128ELi4EZNS0_22gpu_kernel_impl_nocastIZZZNS0_28launch_dirichlet_grad_kernelERNS_18TensorIteratorBaseEENKUlvE_clEvENKUlvE_clEvEUldddE_EEvS4_RKT_EUlibE_EEviT1_,comdat
.Lfunc_end220:
	.size	_ZN2at6native32elementwise_kernel_manual_unrollILi128ELi4EZNS0_22gpu_kernel_impl_nocastIZZZNS0_28launch_dirichlet_grad_kernelERNS_18TensorIteratorBaseEENKUlvE_clEvENKUlvE_clEvEUldddE_EEvS4_RKT_EUlibE_EEviT1_, .Lfunc_end220-_ZN2at6native32elementwise_kernel_manual_unrollILi128ELi4EZNS0_22gpu_kernel_impl_nocastIZZZNS0_28launch_dirichlet_grad_kernelERNS_18TensorIteratorBaseEENKUlvE_clEvENKUlvE_clEvEUldddE_EEvS4_RKT_EUlibE_EEviT1_
                                        ; -- End function
	.section	.AMDGPU.csdata,"",@progbits
; Kernel info:
; codeLenInByte = 5716
; NumSgprs: 106
; NumVgprs: 89
; NumAgprs: 0
; TotalNumVgprs: 89
; ScratchSize: 8
; MemoryBound: 0
; FloatMode: 240
; IeeeMode: 1
; LDSByteSize: 0 bytes/workgroup (compile time only)
; SGPRBlocks: 13
; VGPRBlocks: 11
; NumSGPRsForWavesPerEU: 106
; NumVGPRsForWavesPerEU: 89
; AccumOffset: 92
; Occupancy: 5
; WaveLimiterHint : 1
; COMPUTE_PGM_RSRC2:SCRATCH_EN: 1
; COMPUTE_PGM_RSRC2:USER_SGPR: 8
; COMPUTE_PGM_RSRC2:TRAP_HANDLER: 0
; COMPUTE_PGM_RSRC2:TGID_X_EN: 1
; COMPUTE_PGM_RSRC2:TGID_Y_EN: 0
; COMPUTE_PGM_RSRC2:TGID_Z_EN: 0
; COMPUTE_PGM_RSRC2:TIDIG_COMP_CNT: 0
; COMPUTE_PGM_RSRC3_GFX90A:ACCUM_OFFSET: 22
; COMPUTE_PGM_RSRC3_GFX90A:TG_SPLIT: 0
	.section	.text._ZN2at6native32elementwise_kernel_manual_unrollILi128ELi4EZNS0_15gpu_kernel_implIZZZNS0_28launch_dirichlet_grad_kernelERNS_18TensorIteratorBaseEENKUlvE_clEvENKUlvE_clEvEUldddE_EEvS4_RKT_EUlibE_EEviT1_,"axG",@progbits,_ZN2at6native32elementwise_kernel_manual_unrollILi128ELi4EZNS0_15gpu_kernel_implIZZZNS0_28launch_dirichlet_grad_kernelERNS_18TensorIteratorBaseEENKUlvE_clEvENKUlvE_clEvEUldddE_EEvS4_RKT_EUlibE_EEviT1_,comdat
	.globl	_ZN2at6native32elementwise_kernel_manual_unrollILi128ELi4EZNS0_15gpu_kernel_implIZZZNS0_28launch_dirichlet_grad_kernelERNS_18TensorIteratorBaseEENKUlvE_clEvENKUlvE_clEvEUldddE_EEvS4_RKT_EUlibE_EEviT1_ ; -- Begin function _ZN2at6native32elementwise_kernel_manual_unrollILi128ELi4EZNS0_15gpu_kernel_implIZZZNS0_28launch_dirichlet_grad_kernelERNS_18TensorIteratorBaseEENKUlvE_clEvENKUlvE_clEvEUldddE_EEvS4_RKT_EUlibE_EEviT1_
	.p2align	8
	.type	_ZN2at6native32elementwise_kernel_manual_unrollILi128ELi4EZNS0_15gpu_kernel_implIZZZNS0_28launch_dirichlet_grad_kernelERNS_18TensorIteratorBaseEENKUlvE_clEvENKUlvE_clEvEUldddE_EEvS4_RKT_EUlibE_EEviT1_,@function
_ZN2at6native32elementwise_kernel_manual_unrollILi128ELi4EZNS0_15gpu_kernel_implIZZZNS0_28launch_dirichlet_grad_kernelERNS_18TensorIteratorBaseEENKUlvE_clEvENKUlvE_clEvEUldddE_EEvS4_RKT_EUlibE_EEviT1_: ; @_ZN2at6native32elementwise_kernel_manual_unrollILi128ELi4EZNS0_15gpu_kernel_implIZZZNS0_28launch_dirichlet_grad_kernelERNS_18TensorIteratorBaseEENKUlvE_clEvENKUlvE_clEvEUldddE_EEvS4_RKT_EUlibE_EEviT1_
; %bb.0:
	v_mov_b32_e32 v1, 0
	global_load_dword v41, v1, s[4:5] offset:57
	s_load_dwordx4 s[44:47], s[4:5], 0x28
	s_load_dword s33, s[4:5], 0x0
	s_load_dwordx8 s[36:43], s[4:5], 0x8
	s_add_u32 flat_scratch_lo, s6, s9
	s_addc_u32 flat_scratch_hi, s7, 0
	v_lshl_or_b32 v76, s8, 9, v0
	s_add_u32 s0, s0, s9
	v_or_b32_e32 v0, 0x180, v76
	s_addc_u32 s1, s1, 0
	s_mov_b64 s[50:51], 0
	s_waitcnt lgkmcnt(0)
	v_cmp_le_i32_e32 vcc, s33, v0
	s_mov_b64 s[90:91], 0
	s_mov_b32 s32, 0
	s_waitcnt vmcnt(0)
	v_lshrrev_b32_e32 v72, 8, v41
	v_lshrrev_b32_e32 v77, 24, v41
	s_and_saveexec_b64 s[4:5], vcc
	s_xor_b64 s[4:5], exec, s[4:5]
                                        ; implicit-def: $vgpr78 : SGPR spill to VGPR lane
	v_writelane_b32 v78, s4, 0
	v_writelane_b32 v78, s5, 1
	s_cbranch_execz .LBB221_2070
; %bb.1:
	s_mov_b64 s[6:7], 0
	v_cmp_gt_i32_e32 vcc, s33, v76
	s_mov_b64 s[4:5], -1
	s_mov_b64 s[20:21], 0
	v_writelane_b32 v78, s6, 2
	s_mov_b64 s[48:49], 0
	s_mov_b64 s[34:35], 0
	s_mov_b64 s[30:31], 0
	v_writelane_b32 v78, s7, 3
	s_and_saveexec_b64 s[24:25], vcc
	s_cbranch_execz .LBB221_273
; %bb.2:
	v_mul_lo_u32 v0, v76, s45
	v_ashrrev_i32_e32 v1, 31, v0
	v_mov_b32_e32 v3, s39
	v_add_co_u32_e32 v2, vcc, s38, v0
	v_mov_b32_e32 v0, 11
	v_addc_co_u32_e32 v3, vcc, v3, v1, vcc
	v_cmp_lt_i16_sdwa s[4:5], v72, v0 src0_sel:BYTE_0 src1_sel:DWORD
	s_and_b64 vcc, exec, s[4:5]
	s_cbranch_vccnz .LBB221_9
; %bb.3:
	v_mov_b32_e32 v0, 25
	v_cmp_gt_i16_sdwa s[4:5], v72, v0 src0_sel:BYTE_0 src1_sel:DWORD
	s_and_b64 vcc, exec, s[4:5]
	s_cbranch_vccz .LBB221_18
; %bb.4:
	v_mov_b32_e32 v0, 28
	v_cmp_gt_i16_sdwa s[4:5], v72, v0 src0_sel:BYTE_0 src1_sel:DWORD
	s_and_b64 vcc, exec, s[4:5]
	s_cbranch_vccz .LBB221_28
	;; [unrolled: 5-line block ×4, first 2 shown]
; %bb.7:
	v_mov_b32_e32 v0, 46
	v_cmp_eq_u16_sdwa s[4:5], v72, v0 src0_sel:BYTE_0 src1_sel:DWORD
	s_mov_b64 s[6:7], 0
	s_and_b64 vcc, exec, s[4:5]
	s_cbranch_vccz .LBB221_37
; %bb.8:
	global_load_dword v0, v[2:3], off
	s_mov_b64 s[4:5], -1
	s_mov_b64 s[92:93], 0
	s_waitcnt vmcnt(0)
	v_lshlrev_b32_e32 v0, 16, v0
	v_cvt_f64_f32_e32 v[0:1], v0
	s_branch .LBB221_39
.LBB221_9:
	s_mov_b64 s[92:93], 0
                                        ; implicit-def: $vgpr0_vgpr1
	s_mov_b64 s[4:5], 0
	s_cbranch_execnz .LBB221_105
.LBB221_10:
	s_andn2_b64 vcc, exec, s[4:5]
	s_cbranch_vccnz .LBB221_152
.LBB221_11:
	v_mul_lo_u32 v2, v76, s46
	v_ashrrev_i32_e32 v3, 31, v2
	v_mov_b32_e32 v5, s41
	v_add_co_u32_e32 v4, vcc, s40, v2
	s_movk_i32 s4, 0xff
	v_addc_co_u32_e32 v5, vcc, v5, v3, vcc
	v_and_b32_sdwa v6, v41, s4 dst_sel:DWORD dst_unused:UNUSED_PAD src0_sel:WORD_1 src1_sel:DWORD
	v_cmp_gt_i16_e32 vcc, 11, v6
	s_cbranch_vccnz .LBB221_19
; %bb.12:
	v_cmp_lt_i16_e32 vcc, 25, v6
	s_cbranch_vccz .LBB221_29
; %bb.13:
	v_cmp_lt_i16_e32 vcc, 28, v6
	s_cbranch_vccz .LBB221_32
	;; [unrolled: 3-line block ×4, first 2 shown]
; %bb.16:
	v_cmp_eq_u16_e32 vcc, 46, v6
	s_mov_b64 s[6:7], 0
	s_cbranch_vccz .LBB221_154
; %bb.17:
	global_load_dword v2, v[4:5], off
	s_mov_b64 s[4:5], -1
	s_mov_b64 s[94:95], 0
	s_waitcnt vmcnt(0)
	v_lshlrev_b32_e32 v2, 16, v2
	v_cvt_f64_f32_e32 v[2:3], v2
	s_branch .LBB221_156
.LBB221_18:
	s_mov_b64 s[92:93], 0
	s_mov_b64 s[4:5], 0
                                        ; implicit-def: $vgpr0_vgpr1
	s_cbranch_execnz .LBB221_70
	s_branch .LBB221_104
.LBB221_19:
	s_mov_b64 s[94:95], 0
                                        ; implicit-def: $vgpr2_vgpr3
	s_mov_b64 s[4:5], 0
	s_cbranch_execnz .LBB221_222
.LBB221_20:
	s_andn2_b64 vcc, exec, s[4:5]
	s_cbranch_vccnz .LBB221_270
.LBB221_21:
	v_mul_lo_u32 v4, v76, s47
	v_ashrrev_i32_e32 v5, 31, v4
	v_mov_b32_e32 v7, s43
	v_add_co_u32_e32 v6, vcc, s42, v4
	v_addc_co_u32_e32 v7, vcc, v7, v5, vcc
	v_cmp_gt_i16_e32 vcc, 11, v77
	s_cbranch_vccnz .LBB221_30
; %bb.22:
	v_cmp_lt_i16_e32 vcc, 25, v77
	s_cbranch_vccz .LBB221_33
; %bb.23:
	v_cmp_lt_i16_e32 vcc, 28, v77
	s_cbranch_vccz .LBB221_36
	;; [unrolled: 3-line block ×4, first 2 shown]
; %bb.26:
	v_cmp_eq_u16_e32 vcc, 46, v77
	s_mov_b64 s[6:7], 0
	s_cbranch_vccz .LBB221_415
; %bb.27:
	global_load_dword v4, v[6:7], off
	s_mov_b64 s[4:5], -1
	s_mov_b64 s[96:97], 0
	s_waitcnt vmcnt(0)
	v_lshlrev_b32_e32 v4, 16, v4
	v_cvt_f64_f32_e32 v[4:5], v4
	s_branch .LBB221_417
.LBB221_28:
	s_mov_b64 s[6:7], -1
	s_mov_b64 s[92:93], 0
	s_mov_b64 s[4:5], 0
                                        ; implicit-def: $vgpr0_vgpr1
	s_branch .LBB221_51
.LBB221_29:
	s_mov_b64 s[6:7], -1
	s_mov_b64 s[94:95], 0
	s_mov_b64 s[4:5], 0
                                        ; implicit-def: $vgpr2_vgpr3
	s_branch .LBB221_186
.LBB221_30:
	s_mov_b64 s[6:7], -1
	s_mov_b64 s[96:97], 0
                                        ; implicit-def: $vgpr4_vgpr5
	s_mov_b64 s[4:5], 0
	s_branch .LBB221_486
.LBB221_31:
	s_mov_b64 s[6:7], -1
	s_mov_b64 s[92:93], 0
	s_mov_b64 s[4:5], 0
                                        ; implicit-def: $vgpr0_vgpr1
	s_branch .LBB221_46
.LBB221_32:
	s_mov_b64 s[6:7], -1
	s_mov_b64 s[94:95], 0
	s_mov_b64 s[4:5], 0
                                        ; implicit-def: $vgpr2_vgpr3
	s_branch .LBB221_167
.LBB221_33:
	s_mov_b64 s[6:7], -1
	s_mov_b64 s[96:97], 0
	s_mov_b64 s[4:5], 0
                                        ; implicit-def: $vgpr4_vgpr5
	s_branch .LBB221_450
.LBB221_34:
	s_mov_b64 s[6:7], -1
	s_mov_b64 s[92:93], 0
	s_branch .LBB221_38
.LBB221_35:
	s_mov_b64 s[6:7], -1
	s_mov_b64 s[94:95], 0
	s_mov_b64 s[4:5], 0
                                        ; implicit-def: $vgpr2_vgpr3
	s_branch .LBB221_162
.LBB221_36:
	s_mov_b64 s[6:7], -1
	s_mov_b64 s[96:97], 0
	s_mov_b64 s[4:5], 0
                                        ; implicit-def: $vgpr4_vgpr5
	s_branch .LBB221_431
.LBB221_37:
	s_mov_b64 s[92:93], -1
.LBB221_38:
	s_mov_b64 s[4:5], 0
                                        ; implicit-def: $vgpr0_vgpr1
.LBB221_39:
	s_and_b64 vcc, exec, s[6:7]
	s_cbranch_vccz .LBB221_45
; %bb.40:
	v_mov_b32_e32 v0, 44
	v_cmp_eq_u16_sdwa s[6:7], v72, v0 src0_sel:BYTE_0 src1_sel:DWORD
	s_and_b64 vcc, exec, s[6:7]
	s_cbranch_vccz .LBB221_44
; %bb.41:
	global_load_ubyte v4, v[2:3], off
	s_movk_i32 s6, 0xff
	v_bfrev_b32_e32 v5, 4
	v_mov_b32_e32 v6, 0x7ff80000
	v_bfrev_b32_e32 v7, 28
	s_mov_b64 s[4:5], -1
	s_mov_b64 s[92:93], 0
	s_waitcnt vmcnt(0)
	v_lshlrev_b32_e32 v0, 23, v4
	v_cvt_f64_f32_e32 v[0:1], v0
	v_cmp_ne_u32_e32 vcc, s6, v4
	v_cndmask_b32_e32 v0, v5, v0, vcc
	v_cndmask_b32_e32 v1, v6, v1, vcc
	v_cmp_ne_u32_e32 vcc, 0, v4
	v_cndmask_b32_e32 v1, v7, v1, vcc
	v_cndmask_b32_e32 v0, 0, v0, vcc
	s_branch .LBB221_45
.LBB221_42:
	s_mov_b64 s[6:7], -1
	s_mov_b64 s[94:95], 0
	s_branch .LBB221_155
.LBB221_43:
	s_mov_b64 s[6:7], -1
	s_mov_b64 s[96:97], 0
	s_mov_b64 s[4:5], 0
                                        ; implicit-def: $vgpr4_vgpr5
	s_branch .LBB221_426
.LBB221_44:
	s_mov_b64 s[92:93], -1
                                        ; implicit-def: $vgpr0_vgpr1
.LBB221_45:
	s_mov_b64 s[6:7], 0
.LBB221_46:
	s_and_b64 vcc, exec, s[6:7]
	s_cbranch_vccz .LBB221_50
; %bb.47:
	v_mov_b32_e32 v0, 29
	v_cmp_eq_u16_sdwa s[6:7], v72, v0 src0_sel:BYTE_0 src1_sel:DWORD
	s_and_b64 vcc, exec, s[6:7]
	s_cbranch_vccz .LBB221_49
; %bb.48:
	global_load_dwordx2 v[0:1], v[2:3], off
	s_mov_b64 s[4:5], -1
	s_mov_b64 s[92:93], 0
	s_mov_b64 s[6:7], 0
	s_waitcnt vmcnt(0)
	v_cvt_f64_u32_e32 v[4:5], v1
	v_cvt_f64_u32_e32 v[0:1], v0
	v_ldexp_f64 v[4:5], v[4:5], 32
	v_add_f64 v[0:1], v[4:5], v[0:1]
	s_branch .LBB221_51
.LBB221_49:
	s_mov_b64 s[92:93], -1
                                        ; implicit-def: $vgpr0_vgpr1
.LBB221_50:
	s_mov_b64 s[6:7], 0
.LBB221_51:
	s_and_b64 vcc, exec, s[6:7]
	s_cbranch_vccz .LBB221_69
; %bb.52:
	v_mov_b32_e32 v0, 27
	v_cmp_lt_i16_sdwa s[4:5], v72, v0 src0_sel:BYTE_0 src1_sel:DWORD
	s_and_b64 vcc, exec, s[4:5]
	s_cbranch_vccnz .LBB221_55
; %bb.53:
	v_cmp_gt_i16_sdwa s[4:5], v72, v0 src0_sel:BYTE_0 src1_sel:DWORD
	s_and_b64 vcc, exec, s[4:5]
	s_cbranch_vccz .LBB221_56
; %bb.54:
	global_load_dword v0, v[2:3], off
	s_mov_b64 s[4:5], 0
	s_waitcnt vmcnt(0)
	v_cvt_f64_u32_e32 v[0:1], v0
	s_branch .LBB221_57
.LBB221_55:
	s_mov_b64 s[4:5], -1
                                        ; implicit-def: $vgpr0_vgpr1
	s_branch .LBB221_60
.LBB221_56:
	s_mov_b64 s[4:5], -1
                                        ; implicit-def: $vgpr0_vgpr1
.LBB221_57:
	s_andn2_b64 vcc, exec, s[4:5]
	s_cbranch_vccnz .LBB221_59
; %bb.58:
	global_load_ushort v0, v[2:3], off
	s_waitcnt vmcnt(0)
	v_cvt_f64_u32_e32 v[0:1], v0
.LBB221_59:
	s_mov_b64 s[4:5], 0
.LBB221_60:
	s_andn2_b64 vcc, exec, s[4:5]
	s_cbranch_vccnz .LBB221_68
; %bb.61:
	global_load_ubyte v4, v[2:3], off
	s_movk_i32 s4, 0x7f
                                        ; implicit-def: $sgpr6_sgpr7
	s_waitcnt vmcnt(0)
	v_cmp_lt_i16_e32 vcc, s4, v4
	s_mov_b64 s[4:5], 0
	s_and_saveexec_b64 s[8:9], vcc
	s_xor_b64 s[8:9], exec, s[8:9]
	s_cbranch_execz .LBB221_81
; %bb.62:
	s_movk_i32 s4, 0x80
	v_cmp_eq_u16_e32 vcc, s4, v4
	s_mov_b64 s[10:11], -1
                                        ; implicit-def: $sgpr6_sgpr7
	s_and_saveexec_b64 s[4:5], vcc
; %bb.63:
	s_mov_b32 s7, 0x7ff80000
	s_brev_b32 s6, 4
	s_xor_b64 s[10:11], exec, -1
; %bb.64:
	s_or_b64 exec, exec, s[4:5]
	s_and_b64 s[4:5], s[10:11], exec
	s_or_saveexec_b64 s[8:9], s[8:9]
	v_pk_mov_b32 v[0:1], s[6:7], s[6:7] op_sel:[0,1]
	s_xor_b64 exec, exec, s[8:9]
	s_cbranch_execnz .LBB221_82
.LBB221_65:
	s_or_b64 exec, exec, s[8:9]
	s_and_saveexec_b64 s[6:7], s[4:5]
	s_cbranch_execz .LBB221_67
.LBB221_66:
	v_and_b32_e32 v1, 0xffff, v4
	v_lshlrev_b32_e32 v0, 24, v4
	v_and_b32_e32 v4, 7, v1
	v_ffbh_u32_e32 v6, v4
	v_min_u32_e32 v6, 32, v6
	v_subrev_u32_e32 v7, 28, v6
	v_bfe_u32 v5, v1, 3, 4
	v_lshlrev_b32_e32 v1, v7, v1
	v_sub_u32_e32 v6, 29, v6
	v_and_b32_e32 v1, 7, v1
	v_cmp_eq_u32_e32 vcc, 0, v5
	v_cndmask_b32_e32 v5, v5, v6, vcc
	v_cndmask_b32_e32 v1, v4, v1, vcc
	v_mov_b32_e32 v4, 0x3b800000
	v_lshlrev_b32_e32 v1, 20, v1
	v_and_b32_e32 v0, 0x80000000, v0
	v_lshl_add_u32 v4, v5, 23, v4
	v_or3_b32 v0, v0, v4, v1
	v_cvt_f64_f32_e32 v[0:1], v0
.LBB221_67:
	s_or_b64 exec, exec, s[6:7]
.LBB221_68:
	s_mov_b64 s[4:5], -1
.LBB221_69:
	s_branch .LBB221_104
.LBB221_70:
	v_mov_b32_e32 v0, 22
	v_cmp_gt_i16_sdwa s[6:7], v72, v0 src0_sel:BYTE_0 src1_sel:DWORD
	s_and_b64 vcc, exec, s[6:7]
	s_cbranch_vccz .LBB221_80
; %bb.71:
	v_mov_b32_e32 v0, 24
	v_cmp_lt_i16_sdwa s[4:5], v72, v0 src0_sel:BYTE_0 src1_sel:DWORD
	s_and_b64 vcc, exec, s[4:5]
	s_cbranch_vccnz .LBB221_83
; %bb.72:
	v_cmp_gt_i16_sdwa s[4:5], v72, v0 src0_sel:BYTE_0 src1_sel:DWORD
	s_and_b64 vcc, exec, s[4:5]
	s_cbranch_vccz .LBB221_84
; %bb.73:
	global_load_ubyte v4, v[2:3], off
	s_movk_i32 s4, 0x7f
                                        ; implicit-def: $sgpr6_sgpr7
	s_waitcnt vmcnt(0)
	v_cmp_lt_i16_e32 vcc, s4, v4
	s_mov_b64 s[4:5], 0
	s_and_saveexec_b64 s[8:9], vcc
	s_xor_b64 s[8:9], exec, s[8:9]
	s_cbranch_execz .LBB221_96
; %bb.74:
	s_movk_i32 s4, 0x80
	v_cmp_eq_u16_e32 vcc, s4, v4
	s_mov_b64 s[10:11], -1
                                        ; implicit-def: $sgpr6_sgpr7
	s_and_saveexec_b64 s[4:5], vcc
; %bb.75:
	s_mov_b32 s7, 0x7ff80000
	s_brev_b32 s6, 4
	s_xor_b64 s[10:11], exec, -1
; %bb.76:
	s_or_b64 exec, exec, s[4:5]
	s_and_b64 s[4:5], s[10:11], exec
	s_or_saveexec_b64 s[8:9], s[8:9]
	v_pk_mov_b32 v[0:1], s[6:7], s[6:7] op_sel:[0,1]
	s_xor_b64 exec, exec, s[8:9]
	s_cbranch_execnz .LBB221_97
.LBB221_77:
	s_or_b64 exec, exec, s[8:9]
	s_and_saveexec_b64 s[6:7], s[4:5]
	s_cbranch_execz .LBB221_79
.LBB221_78:
	v_and_b32_e32 v1, 0xffff, v4
	v_lshlrev_b32_e32 v0, 24, v4
	v_and_b32_e32 v4, 3, v1
	v_ffbh_u32_e32 v6, v4
	v_min_u32_e32 v6, 32, v6
	v_subrev_u32_e32 v7, 29, v6
	v_bfe_u32 v5, v1, 2, 5
	v_lshlrev_b32_e32 v1, v7, v1
	v_sub_u32_e32 v6, 30, v6
	v_and_b32_e32 v1, 3, v1
	v_cmp_eq_u32_e32 vcc, 0, v5
	v_cndmask_b32_e32 v5, v5, v6, vcc
	v_cndmask_b32_e32 v1, v4, v1, vcc
	v_mov_b32_e32 v4, 0x37800000
	v_lshlrev_b32_e32 v1, 21, v1
	v_and_b32_e32 v0, 0x80000000, v0
	v_lshl_add_u32 v4, v5, 23, v4
	v_or3_b32 v0, v0, v4, v1
	v_cvt_f64_f32_e32 v[0:1], v0
.LBB221_79:
	s_or_b64 exec, exec, s[6:7]
	s_mov_b64 s[4:5], 0
	s_branch .LBB221_85
.LBB221_80:
	s_mov_b64 s[6:7], -1
                                        ; implicit-def: $vgpr0_vgpr1
	s_branch .LBB221_91
.LBB221_81:
	s_or_saveexec_b64 s[8:9], s[8:9]
	v_pk_mov_b32 v[0:1], s[6:7], s[6:7] op_sel:[0,1]
	s_xor_b64 exec, exec, s[8:9]
	s_cbranch_execz .LBB221_65
.LBB221_82:
	v_cmp_ne_u16_e32 vcc, 0, v4
	s_andn2_b64 s[4:5], s[4:5], exec
	s_and_b64 s[6:7], vcc, exec
	v_pk_mov_b32 v[0:1], 0, 0
	s_or_b64 s[4:5], s[4:5], s[6:7]
	s_or_b64 exec, exec, s[8:9]
	s_and_saveexec_b64 s[6:7], s[4:5]
	s_cbranch_execnz .LBB221_66
	s_branch .LBB221_67
.LBB221_83:
	s_mov_b64 s[4:5], -1
                                        ; implicit-def: $vgpr0_vgpr1
	s_branch .LBB221_88
.LBB221_84:
	s_mov_b64 s[4:5], -1
                                        ; implicit-def: $vgpr0_vgpr1
.LBB221_85:
	s_and_b64 vcc, exec, s[4:5]
	s_cbranch_vccz .LBB221_87
; %bb.86:
	global_load_ubyte v0, v[2:3], off
	s_mov_b32 s4, 0x7f800000
	s_waitcnt vmcnt(0)
	v_lshlrev_b32_e32 v0, 24, v0
	v_and_b32_e32 v1, 0x7f000000, v0
	v_ffbh_u32_e32 v4, v1
	v_min_u32_e32 v4, 32, v4
	v_sub_u32_e64 v4, v4, 4 clamp
	v_lshlrev_b32_e32 v6, v4, v1
	v_lshlrev_b32_e32 v4, 23, v4
	v_lshrrev_b32_e32 v6, 4, v6
	v_add_u32_e32 v5, 0x1000000, v1
	v_sub_u32_e32 v4, v6, v4
	v_ashrrev_i32_e32 v5, 8, v5
	v_add_u32_e32 v4, 0x3c000000, v4
	v_and_or_b32 v4, v5, s4, v4
	v_cmp_ne_u32_e32 vcc, 0, v1
	v_cndmask_b32_e32 v1, 0, v4, vcc
	s_brev_b32 s4, 1
	v_and_or_b32 v0, v0, s4, v1
	v_cvt_f64_f32_e32 v[0:1], v0
.LBB221_87:
	s_mov_b64 s[4:5], 0
.LBB221_88:
	s_andn2_b64 vcc, exec, s[4:5]
	s_cbranch_vccnz .LBB221_90
; %bb.89:
	global_load_ubyte v0, v[2:3], off
	s_movk_i32 s4, 0x7f00
	s_brev_b32 s5, 16
	s_waitcnt vmcnt(0)
	v_lshlrev_b16_e32 v1, 8, v0
	v_lshlrev_b32_e32 v0, 25, v0
	v_lshrrev_b32_e32 v4, 4, v0
	v_and_or_b32 v5, v1, s4, 0.5
	v_or_b32_e32 v4, 0x70000000, v4
	v_add_f32_e32 v5, -0.5, v5
	v_mul_f32_e32 v4, 0x7800000, v4
	v_cmp_gt_u32_e32 vcc, s5, v0
	v_bfe_i32 v1, v1, 0, 16
	v_cndmask_b32_e32 v0, v4, v5, vcc
	s_brev_b32 s4, 1
	v_and_or_b32 v0, v1, s4, v0
	v_cvt_f64_f32_e32 v[0:1], v0
.LBB221_90:
	s_mov_b64 s[6:7], 0
	s_mov_b64 s[4:5], -1
.LBB221_91:
	s_andn2_b64 vcc, exec, s[6:7]
	s_cbranch_vccnz .LBB221_104
; %bb.92:
	v_mov_b32_e32 v0, 14
	v_cmp_gt_i16_sdwa s[6:7], v72, v0 src0_sel:BYTE_0 src1_sel:DWORD
	s_and_b64 vcc, exec, s[6:7]
	s_cbranch_vccz .LBB221_95
; %bb.93:
	v_mov_b32_e32 v0, 15
	v_cmp_eq_u16_sdwa s[6:7], v72, v0 src0_sel:BYTE_0 src1_sel:DWORD
	s_and_b64 vcc, exec, s[6:7]
	s_cbranch_vccz .LBB221_98
; %bb.94:
	global_load_ushort v0, v[2:3], off
	s_mov_b64 s[4:5], -1
	s_mov_b64 s[92:93], 0
	s_waitcnt vmcnt(0)
	v_lshlrev_b32_e32 v0, 16, v0
	v_cvt_f64_f32_e32 v[0:1], v0
	s_branch .LBB221_99
.LBB221_95:
	s_mov_b64 s[6:7], -1
                                        ; implicit-def: $vgpr0_vgpr1
	s_branch .LBB221_100
.LBB221_96:
	s_or_saveexec_b64 s[8:9], s[8:9]
	v_pk_mov_b32 v[0:1], s[6:7], s[6:7] op_sel:[0,1]
	s_xor_b64 exec, exec, s[8:9]
	s_cbranch_execz .LBB221_77
.LBB221_97:
	v_cmp_ne_u16_e32 vcc, 0, v4
	s_andn2_b64 s[4:5], s[4:5], exec
	s_and_b64 s[6:7], vcc, exec
	v_pk_mov_b32 v[0:1], 0, 0
	s_or_b64 s[4:5], s[4:5], s[6:7]
	s_or_b64 exec, exec, s[8:9]
	s_and_saveexec_b64 s[6:7], s[4:5]
	s_cbranch_execnz .LBB221_78
	s_branch .LBB221_79
.LBB221_98:
	s_mov_b64 s[92:93], -1
                                        ; implicit-def: $vgpr0_vgpr1
.LBB221_99:
	s_mov_b64 s[6:7], 0
.LBB221_100:
	s_and_b64 vcc, exec, s[6:7]
	s_cbranch_vccz .LBB221_104
; %bb.101:
	v_mov_b32_e32 v0, 11
	v_cmp_eq_u16_sdwa s[6:7], v72, v0 src0_sel:BYTE_0 src1_sel:DWORD
	s_and_b64 vcc, exec, s[6:7]
	s_cbranch_vccz .LBB221_103
; %bb.102:
	global_load_ubyte v1, v[2:3], off
	v_mov_b32_e32 v4, 0x3ff00000
	v_mov_b32_e32 v0, 0
	s_mov_b64 s[4:5], -1
	s_mov_b64 s[92:93], 0
	s_waitcnt vmcnt(0)
	v_cmp_ne_u16_e32 vcc, 0, v1
	v_cndmask_b32_e32 v1, 0, v4, vcc
	s_branch .LBB221_104
.LBB221_103:
	s_mov_b64 s[92:93], -1
                                        ; implicit-def: $vgpr0_vgpr1
.LBB221_104:
	s_branch .LBB221_10
.LBB221_105:
	v_mov_b32_e32 v0, 5
	v_cmp_lt_i16_sdwa s[4:5], v72, v0 src0_sel:BYTE_0 src1_sel:DWORD
	s_and_b64 vcc, exec, s[4:5]
	s_cbranch_vccnz .LBB221_110
; %bb.106:
	v_mov_b32_e32 v0, 8
	v_cmp_lt_i16_sdwa s[4:5], v72, v0 src0_sel:BYTE_0 src1_sel:DWORD
	s_and_b64 vcc, exec, s[4:5]
	s_cbranch_vccnz .LBB221_111
; %bb.107:
	;; [unrolled: 5-line block ×3, first 2 shown]
	v_cmp_gt_i16_sdwa s[4:5], v72, v0 src0_sel:BYTE_0 src1_sel:DWORD
	s_and_b64 vcc, exec, s[4:5]
	s_cbranch_vccz .LBB221_113
; %bb.109:
	global_load_dwordx2 v[0:1], v[2:3], off
	s_mov_b64 s[4:5], 0
	s_branch .LBB221_114
.LBB221_110:
                                        ; implicit-def: $vgpr0_vgpr1
	s_branch .LBB221_132
.LBB221_111:
	s_mov_b64 s[4:5], -1
                                        ; implicit-def: $vgpr0_vgpr1
	s_branch .LBB221_120
.LBB221_112:
	s_mov_b64 s[4:5], -1
                                        ; implicit-def: $vgpr0_vgpr1
	s_branch .LBB221_117
.LBB221_113:
	s_mov_b64 s[4:5], -1
                                        ; implicit-def: $vgpr0_vgpr1
.LBB221_114:
	s_andn2_b64 vcc, exec, s[4:5]
	s_cbranch_vccnz .LBB221_116
; %bb.115:
	global_load_dword v0, v[2:3], off
	s_waitcnt vmcnt(0)
	v_cvt_f64_f32_e32 v[0:1], v0
.LBB221_116:
	s_mov_b64 s[4:5], 0
.LBB221_117:
	s_andn2_b64 vcc, exec, s[4:5]
	s_cbranch_vccnz .LBB221_119
; %bb.118:
	global_load_dword v0, v[2:3], off
	s_waitcnt vmcnt(0)
	v_cvt_f32_f16_e32 v0, v0
	v_cvt_f64_f32_e32 v[0:1], v0
.LBB221_119:
	s_mov_b64 s[4:5], 0
.LBB221_120:
	s_andn2_b64 vcc, exec, s[4:5]
	s_cbranch_vccnz .LBB221_131
; %bb.121:
	s_waitcnt vmcnt(0)
	v_mov_b32_e32 v0, 6
	v_cmp_lt_i16_sdwa s[4:5], v72, v0 src0_sel:BYTE_0 src1_sel:DWORD
	s_and_b64 vcc, exec, s[4:5]
	s_cbranch_vccnz .LBB221_124
; %bb.122:
	v_cmp_gt_i16_sdwa s[4:5], v72, v0 src0_sel:BYTE_0 src1_sel:DWORD
	s_and_b64 vcc, exec, s[4:5]
	s_cbranch_vccz .LBB221_125
; %bb.123:
	global_load_dwordx2 v[0:1], v[2:3], off
	s_mov_b64 s[4:5], 0
	s_branch .LBB221_126
.LBB221_124:
	s_mov_b64 s[4:5], -1
                                        ; implicit-def: $vgpr0_vgpr1
	s_branch .LBB221_129
.LBB221_125:
	s_mov_b64 s[4:5], -1
                                        ; implicit-def: $vgpr0_vgpr1
.LBB221_126:
	s_andn2_b64 vcc, exec, s[4:5]
	s_cbranch_vccnz .LBB221_128
; %bb.127:
	global_load_dword v0, v[2:3], off
	s_waitcnt vmcnt(0)
	v_cvt_f64_f32_e32 v[0:1], v0
.LBB221_128:
	s_mov_b64 s[4:5], 0
.LBB221_129:
	s_andn2_b64 vcc, exec, s[4:5]
	s_cbranch_vccnz .LBB221_131
; %bb.130:
	global_load_ushort v0, v[2:3], off
	s_waitcnt vmcnt(0)
	v_cvt_f32_f16_e32 v0, v0
	v_cvt_f64_f32_e32 v[0:1], v0
.LBB221_131:
	s_cbranch_execnz .LBB221_151
.LBB221_132:
	s_waitcnt vmcnt(0)
	v_mov_b32_e32 v0, 2
	v_cmp_lt_i16_sdwa s[4:5], v72, v0 src0_sel:BYTE_0 src1_sel:DWORD
	s_and_b64 vcc, exec, s[4:5]
	s_cbranch_vccnz .LBB221_136
; %bb.133:
	v_mov_b32_e32 v0, 3
	v_cmp_lt_i16_sdwa s[4:5], v72, v0 src0_sel:BYTE_0 src1_sel:DWORD
	s_and_b64 vcc, exec, s[4:5]
	s_cbranch_vccnz .LBB221_137
; %bb.134:
	v_cmp_gt_i16_sdwa s[4:5], v72, v0 src0_sel:BYTE_0 src1_sel:DWORD
	s_and_b64 vcc, exec, s[4:5]
	s_cbranch_vccz .LBB221_138
; %bb.135:
	global_load_dwordx2 v[0:1], v[2:3], off
	s_mov_b64 s[4:5], 0
	s_waitcnt vmcnt(0)
	v_cvt_f64_i32_e32 v[4:5], v1
	v_cvt_f64_u32_e32 v[0:1], v0
	v_ldexp_f64 v[4:5], v[4:5], 32
	v_add_f64 v[0:1], v[4:5], v[0:1]
	s_branch .LBB221_139
.LBB221_136:
	s_mov_b64 s[4:5], -1
                                        ; implicit-def: $vgpr0_vgpr1
	s_branch .LBB221_145
.LBB221_137:
	s_mov_b64 s[4:5], -1
                                        ; implicit-def: $vgpr0_vgpr1
	s_branch .LBB221_142
.LBB221_138:
	s_mov_b64 s[4:5], -1
                                        ; implicit-def: $vgpr0_vgpr1
.LBB221_139:
	s_andn2_b64 vcc, exec, s[4:5]
	s_cbranch_vccnz .LBB221_141
; %bb.140:
	global_load_dword v0, v[2:3], off
	s_waitcnt vmcnt(0)
	v_cvt_f64_i32_e32 v[0:1], v0
.LBB221_141:
	s_mov_b64 s[4:5], 0
.LBB221_142:
	s_andn2_b64 vcc, exec, s[4:5]
	s_cbranch_vccnz .LBB221_144
; %bb.143:
	global_load_sshort v0, v[2:3], off
	s_waitcnt vmcnt(0)
	v_cvt_f64_i32_e32 v[0:1], v0
.LBB221_144:
	s_mov_b64 s[4:5], 0
.LBB221_145:
	s_andn2_b64 vcc, exec, s[4:5]
	s_cbranch_vccnz .LBB221_151
; %bb.146:
	v_mov_b32_e32 v0, 0
	v_cmp_gt_i16_sdwa s[4:5], v72, v0 src0_sel:BYTE_0 src1_sel:DWORD
	s_and_b64 vcc, exec, s[4:5]
	s_cbranch_vccz .LBB221_148
; %bb.147:
	global_load_sbyte v0, v[2:3], off
	s_mov_b64 s[4:5], 0
	s_waitcnt vmcnt(0)
	v_cvt_f64_i32_e32 v[0:1], v0
	s_branch .LBB221_149
.LBB221_148:
	s_mov_b64 s[4:5], -1
                                        ; implicit-def: $vgpr0_vgpr1
.LBB221_149:
	s_andn2_b64 vcc, exec, s[4:5]
	s_cbranch_vccnz .LBB221_151
; %bb.150:
	global_load_ubyte v0, v[2:3], off
	s_waitcnt vmcnt(0)
	v_cvt_f64_u32_e32 v[0:1], v0
.LBB221_151:
	s_branch .LBB221_11
.LBB221_152:
	s_mov_b64 s[4:5], 0
	s_mov_b64 s[96:97], 0
	;; [unrolled: 1-line block ×3, first 2 shown]
.LBB221_153:
                                        ; implicit-def: $vgpr76
	s_branch .LBB221_271
.LBB221_154:
	s_mov_b64 s[94:95], -1
.LBB221_155:
	s_mov_b64 s[4:5], 0
                                        ; implicit-def: $vgpr2_vgpr3
.LBB221_156:
	s_and_b64 vcc, exec, s[6:7]
	s_cbranch_vccz .LBB221_161
; %bb.157:
	v_cmp_eq_u16_e32 vcc, 44, v6
	s_cbranch_vccz .LBB221_160
; %bb.158:
	global_load_ubyte v7, v[4:5], off
	s_movk_i32 s6, 0xff
	v_bfrev_b32_e32 v8, 4
	v_mov_b32_e32 v9, 0x7ff80000
	v_bfrev_b32_e32 v10, 28
	s_mov_b64 s[4:5], -1
	s_mov_b64 s[94:95], 0
	s_waitcnt vmcnt(0)
	v_lshlrev_b32_e32 v2, 23, v7
	v_cvt_f64_f32_e32 v[2:3], v2
	v_cmp_ne_u32_e32 vcc, s6, v7
	v_cndmask_b32_e32 v2, v8, v2, vcc
	v_cndmask_b32_e32 v3, v9, v3, vcc
	v_cmp_ne_u32_e32 vcc, 0, v7
	v_cndmask_b32_e32 v3, v10, v3, vcc
	v_cndmask_b32_e32 v2, 0, v2, vcc
	s_branch .LBB221_161
.LBB221_159:
	s_mov_b64 s[6:7], -1
	s_mov_b64 s[96:97], 0
	s_branch .LBB221_416
.LBB221_160:
	s_mov_b64 s[94:95], -1
                                        ; implicit-def: $vgpr2_vgpr3
.LBB221_161:
	s_mov_b64 s[6:7], 0
.LBB221_162:
	s_and_b64 vcc, exec, s[6:7]
	s_cbranch_vccz .LBB221_166
; %bb.163:
	v_cmp_eq_u16_e32 vcc, 29, v6
	s_cbranch_vccz .LBB221_165
; %bb.164:
	global_load_dwordx2 v[2:3], v[4:5], off
	s_mov_b64 s[4:5], -1
	s_mov_b64 s[94:95], 0
	s_mov_b64 s[6:7], 0
	s_waitcnt vmcnt(0)
	v_cvt_f64_u32_e32 v[8:9], v3
	v_cvt_f64_u32_e32 v[2:3], v2
	v_ldexp_f64 v[8:9], v[8:9], 32
	v_add_f64 v[2:3], v[8:9], v[2:3]
	s_branch .LBB221_167
.LBB221_165:
	s_mov_b64 s[94:95], -1
                                        ; implicit-def: $vgpr2_vgpr3
.LBB221_166:
	s_mov_b64 s[6:7], 0
.LBB221_167:
	s_and_b64 vcc, exec, s[6:7]
	s_cbranch_vccz .LBB221_185
; %bb.168:
	v_cmp_gt_i16_e32 vcc, 27, v6
	s_cbranch_vccnz .LBB221_171
; %bb.169:
	v_cmp_lt_i16_e32 vcc, 27, v6
	s_cbranch_vccz .LBB221_172
; %bb.170:
	global_load_dword v2, v[4:5], off
	s_mov_b64 s[4:5], 0
	s_waitcnt vmcnt(0)
	v_cvt_f64_u32_e32 v[2:3], v2
	s_branch .LBB221_173
.LBB221_171:
	s_mov_b64 s[4:5], -1
                                        ; implicit-def: $vgpr2_vgpr3
	s_branch .LBB221_176
.LBB221_172:
	s_mov_b64 s[4:5], -1
                                        ; implicit-def: $vgpr2_vgpr3
.LBB221_173:
	s_andn2_b64 vcc, exec, s[4:5]
	s_cbranch_vccnz .LBB221_175
; %bb.174:
	global_load_ushort v2, v[4:5], off
	s_waitcnt vmcnt(0)
	v_cvt_f64_u32_e32 v[2:3], v2
.LBB221_175:
	s_mov_b64 s[4:5], 0
.LBB221_176:
	s_andn2_b64 vcc, exec, s[4:5]
	s_cbranch_vccnz .LBB221_184
; %bb.177:
	global_load_ubyte v7, v[4:5], off
	s_movk_i32 s4, 0x7f
                                        ; implicit-def: $sgpr6_sgpr7
	s_waitcnt vmcnt(0)
	v_cmp_lt_i16_e32 vcc, s4, v7
	s_mov_b64 s[4:5], 0
	s_and_saveexec_b64 s[8:9], vcc
	s_xor_b64 s[8:9], exec, s[8:9]
	s_cbranch_execz .LBB221_198
; %bb.178:
	s_movk_i32 s4, 0x80
	v_cmp_eq_u16_e32 vcc, s4, v7
	s_mov_b64 s[10:11], -1
                                        ; implicit-def: $sgpr6_sgpr7
	s_and_saveexec_b64 s[4:5], vcc
; %bb.179:
	s_mov_b32 s7, 0x7ff80000
	s_brev_b32 s6, 4
	s_xor_b64 s[10:11], exec, -1
; %bb.180:
	s_or_b64 exec, exec, s[4:5]
	s_and_b64 s[4:5], s[10:11], exec
	s_or_saveexec_b64 s[8:9], s[8:9]
	v_pk_mov_b32 v[2:3], s[6:7], s[6:7] op_sel:[0,1]
	s_xor_b64 exec, exec, s[8:9]
	s_cbranch_execnz .LBB221_199
.LBB221_181:
	s_or_b64 exec, exec, s[8:9]
	s_and_saveexec_b64 s[6:7], s[4:5]
	s_cbranch_execz .LBB221_183
.LBB221_182:
	v_and_b32_e32 v3, 0xffff, v7
	v_lshlrev_b32_e32 v2, 24, v7
	v_and_b32_e32 v7, 7, v3
	v_ffbh_u32_e32 v9, v7
	v_min_u32_e32 v9, 32, v9
	v_subrev_u32_e32 v10, 28, v9
	v_bfe_u32 v8, v3, 3, 4
	v_lshlrev_b32_e32 v3, v10, v3
	v_sub_u32_e32 v9, 29, v9
	v_and_b32_e32 v3, 7, v3
	v_cmp_eq_u32_e32 vcc, 0, v8
	v_cndmask_b32_e32 v8, v8, v9, vcc
	v_cndmask_b32_e32 v3, v7, v3, vcc
	v_mov_b32_e32 v7, 0x3b800000
	v_lshlrev_b32_e32 v3, 20, v3
	v_and_b32_e32 v2, 0x80000000, v2
	v_lshl_add_u32 v7, v8, 23, v7
	v_or3_b32 v2, v2, v7, v3
	v_cvt_f64_f32_e32 v[2:3], v2
.LBB221_183:
	s_or_b64 exec, exec, s[6:7]
.LBB221_184:
	s_mov_b64 s[4:5], -1
.LBB221_185:
	s_mov_b64 s[6:7], 0
.LBB221_186:
	s_and_b64 vcc, exec, s[6:7]
	s_cbranch_vccz .LBB221_221
; %bb.187:
	v_cmp_lt_i16_e32 vcc, 22, v6
	s_cbranch_vccz .LBB221_197
; %bb.188:
	v_cmp_gt_i16_e32 vcc, 24, v6
	s_cbranch_vccnz .LBB221_200
; %bb.189:
	v_cmp_lt_i16_e32 vcc, 24, v6
	s_cbranch_vccz .LBB221_201
; %bb.190:
	global_load_ubyte v7, v[4:5], off
	s_movk_i32 s4, 0x7f
                                        ; implicit-def: $sgpr6_sgpr7
	s_waitcnt vmcnt(0)
	v_cmp_lt_i16_e32 vcc, s4, v7
	s_mov_b64 s[4:5], 0
	s_and_saveexec_b64 s[8:9], vcc
	s_xor_b64 s[8:9], exec, s[8:9]
	s_cbranch_execz .LBB221_213
; %bb.191:
	s_movk_i32 s4, 0x80
	v_cmp_eq_u16_e32 vcc, s4, v7
	s_mov_b64 s[10:11], -1
                                        ; implicit-def: $sgpr6_sgpr7
	s_and_saveexec_b64 s[4:5], vcc
; %bb.192:
	s_mov_b32 s7, 0x7ff80000
	s_brev_b32 s6, 4
	s_xor_b64 s[10:11], exec, -1
; %bb.193:
	s_or_b64 exec, exec, s[4:5]
	s_and_b64 s[4:5], s[10:11], exec
	s_or_saveexec_b64 s[8:9], s[8:9]
	v_pk_mov_b32 v[2:3], s[6:7], s[6:7] op_sel:[0,1]
	s_xor_b64 exec, exec, s[8:9]
	s_cbranch_execnz .LBB221_214
.LBB221_194:
	s_or_b64 exec, exec, s[8:9]
	s_and_saveexec_b64 s[6:7], s[4:5]
	s_cbranch_execz .LBB221_196
.LBB221_195:
	v_and_b32_e32 v3, 0xffff, v7
	v_lshlrev_b32_e32 v2, 24, v7
	v_and_b32_e32 v7, 3, v3
	v_ffbh_u32_e32 v9, v7
	v_min_u32_e32 v9, 32, v9
	v_subrev_u32_e32 v10, 29, v9
	v_bfe_u32 v8, v3, 2, 5
	v_lshlrev_b32_e32 v3, v10, v3
	v_sub_u32_e32 v9, 30, v9
	v_and_b32_e32 v3, 3, v3
	v_cmp_eq_u32_e32 vcc, 0, v8
	v_cndmask_b32_e32 v8, v8, v9, vcc
	v_cndmask_b32_e32 v3, v7, v3, vcc
	v_mov_b32_e32 v7, 0x37800000
	v_lshlrev_b32_e32 v3, 21, v3
	v_and_b32_e32 v2, 0x80000000, v2
	v_lshl_add_u32 v7, v8, 23, v7
	v_or3_b32 v2, v2, v7, v3
	v_cvt_f64_f32_e32 v[2:3], v2
.LBB221_196:
	s_or_b64 exec, exec, s[6:7]
	s_mov_b64 s[4:5], 0
	s_branch .LBB221_202
.LBB221_197:
	s_mov_b64 s[6:7], -1
                                        ; implicit-def: $vgpr2_vgpr3
	s_branch .LBB221_208
.LBB221_198:
	s_or_saveexec_b64 s[8:9], s[8:9]
	v_pk_mov_b32 v[2:3], s[6:7], s[6:7] op_sel:[0,1]
	s_xor_b64 exec, exec, s[8:9]
	s_cbranch_execz .LBB221_181
.LBB221_199:
	v_cmp_ne_u16_e32 vcc, 0, v7
	s_andn2_b64 s[4:5], s[4:5], exec
	s_and_b64 s[6:7], vcc, exec
	v_pk_mov_b32 v[2:3], 0, 0
	s_or_b64 s[4:5], s[4:5], s[6:7]
	s_or_b64 exec, exec, s[8:9]
	s_and_saveexec_b64 s[6:7], s[4:5]
	s_cbranch_execnz .LBB221_182
	s_branch .LBB221_183
.LBB221_200:
	s_mov_b64 s[4:5], -1
                                        ; implicit-def: $vgpr2_vgpr3
	s_branch .LBB221_205
.LBB221_201:
	s_mov_b64 s[4:5], -1
                                        ; implicit-def: $vgpr2_vgpr3
.LBB221_202:
	s_and_b64 vcc, exec, s[4:5]
	s_cbranch_vccz .LBB221_204
; %bb.203:
	global_load_ubyte v2, v[4:5], off
	s_mov_b32 s4, 0x7f800000
	s_waitcnt vmcnt(0)
	v_lshlrev_b32_e32 v2, 24, v2
	v_and_b32_e32 v3, 0x7f000000, v2
	v_ffbh_u32_e32 v7, v3
	v_min_u32_e32 v7, 32, v7
	v_sub_u32_e64 v7, v7, 4 clamp
	v_lshlrev_b32_e32 v9, v7, v3
	v_lshlrev_b32_e32 v7, 23, v7
	v_lshrrev_b32_e32 v9, 4, v9
	v_add_u32_e32 v8, 0x1000000, v3
	v_sub_u32_e32 v7, v9, v7
	v_ashrrev_i32_e32 v8, 8, v8
	v_add_u32_e32 v7, 0x3c000000, v7
	v_and_or_b32 v7, v8, s4, v7
	v_cmp_ne_u32_e32 vcc, 0, v3
	v_cndmask_b32_e32 v3, 0, v7, vcc
	s_brev_b32 s4, 1
	v_and_or_b32 v2, v2, s4, v3
	v_cvt_f64_f32_e32 v[2:3], v2
.LBB221_204:
	s_mov_b64 s[4:5], 0
.LBB221_205:
	s_andn2_b64 vcc, exec, s[4:5]
	s_cbranch_vccnz .LBB221_207
; %bb.206:
	global_load_ubyte v2, v[4:5], off
	s_movk_i32 s4, 0x7f00
	s_brev_b32 s5, 16
	s_waitcnt vmcnt(0)
	v_lshlrev_b16_e32 v3, 8, v2
	v_lshlrev_b32_e32 v2, 25, v2
	v_lshrrev_b32_e32 v7, 4, v2
	v_and_or_b32 v8, v3, s4, 0.5
	v_or_b32_e32 v7, 0x70000000, v7
	v_add_f32_e32 v8, -0.5, v8
	v_mul_f32_e32 v7, 0x7800000, v7
	v_cmp_gt_u32_e32 vcc, s5, v2
	v_bfe_i32 v3, v3, 0, 16
	v_cndmask_b32_e32 v2, v7, v8, vcc
	s_brev_b32 s4, 1
	v_and_or_b32 v2, v3, s4, v2
	v_cvt_f64_f32_e32 v[2:3], v2
.LBB221_207:
	s_mov_b64 s[6:7], 0
	s_mov_b64 s[4:5], -1
.LBB221_208:
	s_andn2_b64 vcc, exec, s[6:7]
	s_cbranch_vccnz .LBB221_221
; %bb.209:
	v_cmp_lt_i16_e32 vcc, 14, v6
	s_cbranch_vccz .LBB221_212
; %bb.210:
	v_cmp_eq_u16_e32 vcc, 15, v6
	s_cbranch_vccz .LBB221_215
; %bb.211:
	global_load_ushort v2, v[4:5], off
	s_mov_b64 s[4:5], -1
	s_mov_b64 s[94:95], 0
	s_waitcnt vmcnt(0)
	v_lshlrev_b32_e32 v2, 16, v2
	v_cvt_f64_f32_e32 v[2:3], v2
	s_branch .LBB221_216
.LBB221_212:
	s_mov_b64 s[6:7], -1
                                        ; implicit-def: $vgpr2_vgpr3
	s_branch .LBB221_217
.LBB221_213:
	s_or_saveexec_b64 s[8:9], s[8:9]
	v_pk_mov_b32 v[2:3], s[6:7], s[6:7] op_sel:[0,1]
	s_xor_b64 exec, exec, s[8:9]
	s_cbranch_execz .LBB221_194
.LBB221_214:
	v_cmp_ne_u16_e32 vcc, 0, v7
	s_andn2_b64 s[4:5], s[4:5], exec
	s_and_b64 s[6:7], vcc, exec
	v_pk_mov_b32 v[2:3], 0, 0
	s_or_b64 s[4:5], s[4:5], s[6:7]
	s_or_b64 exec, exec, s[8:9]
	s_and_saveexec_b64 s[6:7], s[4:5]
	s_cbranch_execnz .LBB221_195
	s_branch .LBB221_196
.LBB221_215:
	s_mov_b64 s[94:95], -1
                                        ; implicit-def: $vgpr2_vgpr3
.LBB221_216:
	s_mov_b64 s[6:7], 0
.LBB221_217:
	s_and_b64 vcc, exec, s[6:7]
	s_cbranch_vccz .LBB221_221
; %bb.218:
	v_cmp_eq_u16_e32 vcc, 11, v6
	s_cbranch_vccz .LBB221_220
; %bb.219:
	global_load_ubyte v3, v[4:5], off
	v_mov_b32_e32 v7, 0x3ff00000
	v_mov_b32_e32 v2, 0
	s_mov_b64 s[4:5], -1
	s_mov_b64 s[94:95], 0
	s_waitcnt vmcnt(0)
	v_cmp_ne_u16_e32 vcc, 0, v3
	v_cndmask_b32_e32 v3, 0, v7, vcc
	s_branch .LBB221_221
.LBB221_220:
	s_mov_b64 s[94:95], -1
                                        ; implicit-def: $vgpr2_vgpr3
.LBB221_221:
	s_branch .LBB221_20
.LBB221_222:
	v_cmp_gt_i16_e32 vcc, 5, v6
	s_cbranch_vccnz .LBB221_227
; %bb.223:
	v_cmp_gt_i16_e32 vcc, 8, v6
	s_cbranch_vccnz .LBB221_228
; %bb.224:
	;; [unrolled: 3-line block ×3, first 2 shown]
	v_cmp_lt_i16_e32 vcc, 9, v6
	s_cbranch_vccz .LBB221_230
; %bb.226:
	global_load_dwordx2 v[2:3], v[4:5], off
	s_mov_b64 s[4:5], 0
	s_branch .LBB221_231
.LBB221_227:
	s_mov_b64 s[4:5], -1
                                        ; implicit-def: $vgpr2_vgpr3
	s_branch .LBB221_249
.LBB221_228:
	s_mov_b64 s[4:5], -1
                                        ; implicit-def: $vgpr2_vgpr3
	s_branch .LBB221_237
.LBB221_229:
	s_mov_b64 s[4:5], -1
                                        ; implicit-def: $vgpr2_vgpr3
	s_branch .LBB221_234
.LBB221_230:
	s_mov_b64 s[4:5], -1
                                        ; implicit-def: $vgpr2_vgpr3
.LBB221_231:
	s_andn2_b64 vcc, exec, s[4:5]
	s_cbranch_vccnz .LBB221_233
; %bb.232:
	global_load_dword v2, v[4:5], off
	s_waitcnt vmcnt(0)
	v_cvt_f64_f32_e32 v[2:3], v2
.LBB221_233:
	s_mov_b64 s[4:5], 0
.LBB221_234:
	s_andn2_b64 vcc, exec, s[4:5]
	s_cbranch_vccnz .LBB221_236
; %bb.235:
	global_load_dword v2, v[4:5], off
	s_waitcnt vmcnt(0)
	v_cvt_f32_f16_e32 v2, v2
	v_cvt_f64_f32_e32 v[2:3], v2
.LBB221_236:
	s_mov_b64 s[4:5], 0
.LBB221_237:
	s_andn2_b64 vcc, exec, s[4:5]
	s_cbranch_vccnz .LBB221_248
; %bb.238:
	v_cmp_gt_i16_e32 vcc, 6, v6
	s_cbranch_vccnz .LBB221_241
; %bb.239:
	v_cmp_lt_i16_e32 vcc, 6, v6
	s_cbranch_vccz .LBB221_242
; %bb.240:
	global_load_dwordx2 v[2:3], v[4:5], off
	s_mov_b64 s[4:5], 0
	s_branch .LBB221_243
.LBB221_241:
	s_mov_b64 s[4:5], -1
                                        ; implicit-def: $vgpr2_vgpr3
	s_branch .LBB221_246
.LBB221_242:
	s_mov_b64 s[4:5], -1
                                        ; implicit-def: $vgpr2_vgpr3
.LBB221_243:
	s_andn2_b64 vcc, exec, s[4:5]
	s_cbranch_vccnz .LBB221_245
; %bb.244:
	global_load_dword v2, v[4:5], off
	s_waitcnt vmcnt(0)
	v_cvt_f64_f32_e32 v[2:3], v2
.LBB221_245:
	s_mov_b64 s[4:5], 0
.LBB221_246:
	s_andn2_b64 vcc, exec, s[4:5]
	s_cbranch_vccnz .LBB221_248
; %bb.247:
	global_load_ushort v2, v[4:5], off
	s_waitcnt vmcnt(0)
	v_cvt_f32_f16_e32 v2, v2
	v_cvt_f64_f32_e32 v[2:3], v2
.LBB221_248:
	s_mov_b64 s[4:5], 0
.LBB221_249:
	s_andn2_b64 vcc, exec, s[4:5]
	s_cbranch_vccnz .LBB221_269
; %bb.250:
	v_cmp_gt_i16_e32 vcc, 2, v6
	s_cbranch_vccnz .LBB221_254
; %bb.251:
	v_cmp_gt_i16_e32 vcc, 3, v6
	s_cbranch_vccnz .LBB221_255
; %bb.252:
	v_cmp_lt_i16_e32 vcc, 3, v6
	s_cbranch_vccz .LBB221_256
; %bb.253:
	global_load_dwordx2 v[2:3], v[4:5], off
	s_mov_b64 s[4:5], 0
	s_waitcnt vmcnt(0)
	v_cvt_f64_i32_e32 v[8:9], v3
	v_cvt_f64_u32_e32 v[2:3], v2
	v_ldexp_f64 v[8:9], v[8:9], 32
	v_add_f64 v[2:3], v[8:9], v[2:3]
	s_branch .LBB221_257
.LBB221_254:
	s_mov_b64 s[4:5], -1
                                        ; implicit-def: $vgpr2_vgpr3
	s_branch .LBB221_263
.LBB221_255:
	s_mov_b64 s[4:5], -1
                                        ; implicit-def: $vgpr2_vgpr3
	s_branch .LBB221_260
.LBB221_256:
	s_mov_b64 s[4:5], -1
                                        ; implicit-def: $vgpr2_vgpr3
.LBB221_257:
	s_andn2_b64 vcc, exec, s[4:5]
	s_cbranch_vccnz .LBB221_259
; %bb.258:
	global_load_dword v2, v[4:5], off
	s_waitcnt vmcnt(0)
	v_cvt_f64_i32_e32 v[2:3], v2
.LBB221_259:
	s_mov_b64 s[4:5], 0
.LBB221_260:
	s_andn2_b64 vcc, exec, s[4:5]
	s_cbranch_vccnz .LBB221_262
; %bb.261:
	global_load_sshort v2, v[4:5], off
	s_waitcnt vmcnt(0)
	v_cvt_f64_i32_e32 v[2:3], v2
.LBB221_262:
	s_mov_b64 s[4:5], 0
.LBB221_263:
	s_andn2_b64 vcc, exec, s[4:5]
	s_cbranch_vccnz .LBB221_269
; %bb.264:
	v_cmp_lt_i16_e32 vcc, 0, v6
	s_cbranch_vccz .LBB221_266
; %bb.265:
	global_load_sbyte v2, v[4:5], off
	s_mov_b64 s[4:5], 0
	s_waitcnt vmcnt(0)
	v_cvt_f64_i32_e32 v[2:3], v2
	s_branch .LBB221_267
.LBB221_266:
	s_mov_b64 s[4:5], -1
                                        ; implicit-def: $vgpr2_vgpr3
.LBB221_267:
	s_andn2_b64 vcc, exec, s[4:5]
	s_cbranch_vccnz .LBB221_269
; %bb.268:
	global_load_ubyte v2, v[4:5], off
	s_waitcnt vmcnt(0)
	v_cvt_f64_u32_e32 v[2:3], v2
.LBB221_269:
	s_branch .LBB221_21
.LBB221_270:
	s_mov_b64 s[4:5], 0
                                        ; implicit-def: $vgpr76
	s_mov_b64 s[96:97], 0
.LBB221_271:
	s_mov_b64 s[6:7], 0
.LBB221_272:
	s_and_b64 s[30:31], s[4:5], exec
	s_and_b64 s[4:5], s[92:93], exec
	v_writelane_b32 v78, s4, 2
	s_and_b64 s[34:35], s[96:97], exec
	s_and_b64 s[48:49], s[94:95], exec
	v_writelane_b32 v78, s5, 3
	s_orn2_b64 s[4:5], s[6:7], exec
.LBB221_273:
	s_or_b64 exec, exec, s[24:25]
	s_mov_b64 s[8:9], 0
	s_mov_b64 s[6:7], 0
                                        ; implicit-def: $vgpr2
                                        ; implicit-def: $vgpr0_vgpr1
                                        ; implicit-def: $vgpr6_vgpr7
	s_and_saveexec_b64 s[22:23], s[4:5]
	s_cbranch_execz .LBB221_1644
; %bb.274:
	v_writelane_b32 v78, s22, 18
	v_writelane_b32 v78, s23, 19
	v_readlane_b32 s6, v78, 2
	v_readlane_b32 s7, v78, 3
	s_mov_b64 s[4:5], -1
	v_writelane_b32 v78, s6, 20
	s_mov_b64 s[92:93], s[48:49]
	s_mov_b64 s[94:95], s[34:35]
	;; [unrolled: 1-line block ×3, first 2 shown]
	v_cmp_gt_i32_e32 vcc, s33, v76
	v_writelane_b32 v78, s7, 21
	s_mov_b64 s[6:7], exec
	v_writelane_b32 v78, s6, 22
	v_writelane_b32 v78, s7, 23
	s_and_b64 s[6:7], s[6:7], vcc
	s_mov_b64 exec, s[6:7]
	s_cbranch_execz .LBB221_1035
; %bb.275:
	s_waitcnt vmcnt(0)
	v_mul_lo_u32 v0, v76, s45
	v_ashrrev_i32_e32 v1, 31, v0
	v_mov_b32_e32 v3, s39
	v_add_co_u32_e32 v2, vcc, s38, v0
	v_mov_b32_e32 v0, 11
	v_addc_co_u32_e32 v3, vcc, v3, v1, vcc
	v_cmp_lt_i16_sdwa s[4:5], v72, v0 src0_sel:BYTE_0 src1_sel:DWORD
	s_and_b64 vcc, exec, s[4:5]
	s_cbranch_vccnz .LBB221_282
; %bb.276:
	v_mov_b32_e32 v0, 25
	v_cmp_gt_i16_sdwa s[4:5], v72, v0 src0_sel:BYTE_0 src1_sel:DWORD
	s_and_b64 vcc, exec, s[4:5]
	s_cbranch_vccz .LBB221_291
; %bb.277:
	v_mov_b32_e32 v0, 28
	v_cmp_gt_i16_sdwa s[4:5], v72, v0 src0_sel:BYTE_0 src1_sel:DWORD
	s_and_b64 vcc, exec, s[4:5]
	s_cbranch_vccz .LBB221_293
	;; [unrolled: 5-line block ×4, first 2 shown]
; %bb.280:
	v_mov_b32_e32 v0, 46
	v_cmp_eq_u16_sdwa s[4:5], v72, v0 src0_sel:BYTE_0 src1_sel:DWORD
	s_mov_b64 s[6:7], 0
	s_and_b64 vcc, exec, s[4:5]
	s_cbranch_vccz .LBB221_299
; %bb.281:
	global_load_dword v0, v[2:3], off
	s_mov_b64 s[4:5], -1
	s_mov_b64 s[94:95], 0
	s_waitcnt vmcnt(0)
	v_lshlrev_b32_e32 v0, 16, v0
	v_cvt_f64_f32_e32 v[0:1], v0
	s_branch .LBB221_300
.LBB221_282:
	v_readlane_b32 s94, v78, 2
	s_mov_b64 s[4:5], 0
                                        ; implicit-def: $vgpr0_vgpr1
	v_readlane_b32 s95, v78, 3
	s_cbranch_execnz .LBB221_366
.LBB221_283:
	s_andn2_b64 vcc, exec, s[4:5]
	s_cbranch_vccnz .LBB221_414
.LBB221_284:
	v_mul_lo_u32 v2, v76, s46
	v_ashrrev_i32_e32 v3, 31, v2
	v_mov_b32_e32 v5, s41
	v_add_co_u32_e32 v4, vcc, s40, v2
	s_movk_i32 s4, 0xff
	v_addc_co_u32_e32 v5, vcc, v5, v3, vcc
	v_and_b32_sdwa v6, v41, s4 dst_sel:DWORD dst_unused:UNUSED_PAD src0_sel:WORD_1 src1_sel:DWORD
	v_cmp_gt_i16_e32 vcc, 11, v6
	s_cbranch_vccnz .LBB221_292
; %bb.285:
	v_cmp_lt_i16_e32 vcc, 25, v6
	s_cbranch_vccz .LBB221_294
; %bb.286:
	v_cmp_lt_i16_e32 vcc, 28, v6
	s_cbranch_vccz .LBB221_296
	;; [unrolled: 3-line block ×4, first 2 shown]
; %bb.289:
	v_cmp_eq_u16_e32 vcc, 46, v6
	s_mov_b64 s[6:7], 0
	s_cbranch_vccz .LBB221_420
; %bb.290:
	global_load_dword v2, v[4:5], off
	s_mov_b64 s[8:9], 0
	v_writelane_b32 v78, s8, 24
	s_mov_b64 s[4:5], -1
	v_writelane_b32 v78, s9, 25
	s_waitcnt vmcnt(0)
	v_lshlrev_b32_e32 v2, 16, v2
	v_cvt_f64_f32_e32 v[2:3], v2
	s_branch .LBB221_421
.LBB221_291:
	v_readlane_b32 s94, v78, 2
	s_mov_b64 s[6:7], -1
	s_mov_b64 s[4:5], 0
	v_readlane_b32 s95, v78, 3
                                        ; implicit-def: $vgpr0_vgpr1
	s_branch .LBB221_330
.LBB221_292:
	v_writelane_b32 v78, s48, 24
	s_mov_b64 s[6:7], -1
	s_mov_b64 s[4:5], 0
                                        ; implicit-def: $vgpr2_vgpr3
	v_writelane_b32 v78, s49, 25
	s_branch .LBB221_613
.LBB221_293:
	v_readlane_b32 s94, v78, 2
	s_mov_b64 s[6:7], -1
	s_mov_b64 s[4:5], 0
	v_readlane_b32 s95, v78, 3
                                        ; implicit-def: $vgpr0_vgpr1
	s_branch .LBB221_311
.LBB221_294:
	s_mov_b64 s[6:7], -1
	s_mov_b64 s[4:5], 0
	v_writelane_b32 v78, s48, 24
                                        ; implicit-def: $vgpr2_vgpr3
	v_writelane_b32 v78, s49, 25
	s_branch .LBB221_576
.LBB221_295:
	v_readlane_b32 s94, v78, 2
	s_mov_b64 s[6:7], -1
	s_mov_b64 s[4:5], 0
	v_readlane_b32 s95, v78, 3
                                        ; implicit-def: $vgpr0_vgpr1
	s_branch .LBB221_306
.LBB221_296:
	s_mov_b64 s[6:7], -1
	s_mov_b64 s[4:5], 0
	v_writelane_b32 v78, s48, 24
                                        ; implicit-def: $vgpr2_vgpr3
	v_writelane_b32 v78, s49, 25
	s_branch .LBB221_557
.LBB221_297:
	v_readlane_b32 s94, v78, 2
	s_mov_b64 s[6:7], -1
	s_mov_b64 s[4:5], 0
	v_readlane_b32 s95, v78, 3
                                        ; implicit-def: $vgpr0_vgpr1
	s_branch .LBB221_300
.LBB221_298:
	s_mov_b64 s[6:7], -1
	s_mov_b64 s[4:5], 0
	v_writelane_b32 v78, s48, 24
                                        ; implicit-def: $vgpr2_vgpr3
	v_writelane_b32 v78, s49, 25
	s_branch .LBB221_551
.LBB221_299:
	s_mov_b64 s[94:95], -1
                                        ; implicit-def: $vgpr0_vgpr1
	s_mov_b64 s[4:5], 0
.LBB221_300:
	s_and_b64 vcc, exec, s[6:7]
	s_cbranch_vccz .LBB221_305
; %bb.301:
	v_mov_b32_e32 v0, 44
	v_cmp_eq_u16_sdwa s[6:7], v72, v0 src0_sel:BYTE_0 src1_sel:DWORD
	s_and_b64 vcc, exec, s[6:7]
	s_cbranch_vccz .LBB221_304
; %bb.302:
	global_load_ubyte v4, v[2:3], off
	s_movk_i32 s6, 0xff
	v_bfrev_b32_e32 v5, 4
	v_mov_b32_e32 v6, 0x7ff80000
	v_bfrev_b32_e32 v7, 28
	s_mov_b64 s[4:5], -1
	s_mov_b64 s[94:95], 0
	s_waitcnt vmcnt(0)
	v_lshlrev_b32_e32 v0, 23, v4
	v_cvt_f64_f32_e32 v[0:1], v0
	v_cmp_ne_u32_e32 vcc, s6, v4
	v_cndmask_b32_e32 v0, v5, v0, vcc
	v_cndmask_b32_e32 v1, v6, v1, vcc
	v_cmp_ne_u32_e32 vcc, 0, v4
	v_cndmask_b32_e32 v1, v7, v1, vcc
	v_cndmask_b32_e32 v0, 0, v0, vcc
	s_branch .LBB221_305
.LBB221_303:
	s_mov_b64 s[6:7], -1
	s_mov_b64 s[4:5], 0
	v_writelane_b32 v78, s48, 24
	v_writelane_b32 v78, s49, 25
                                        ; implicit-def: $vgpr2_vgpr3
	s_branch .LBB221_421
.LBB221_304:
	s_mov_b64 s[94:95], -1
                                        ; implicit-def: $vgpr0_vgpr1
.LBB221_305:
	s_mov_b64 s[6:7], 0
.LBB221_306:
	s_and_b64 vcc, exec, s[6:7]
	s_cbranch_vccz .LBB221_310
; %bb.307:
	v_mov_b32_e32 v0, 29
	v_cmp_eq_u16_sdwa s[6:7], v72, v0 src0_sel:BYTE_0 src1_sel:DWORD
	s_and_b64 vcc, exec, s[6:7]
	s_cbranch_vccz .LBB221_309
; %bb.308:
	global_load_dwordx2 v[0:1], v[2:3], off
	s_mov_b64 s[4:5], -1
	s_mov_b64 s[94:95], 0
	s_mov_b64 s[6:7], 0
	s_waitcnt vmcnt(0)
	v_cvt_f64_u32_e32 v[4:5], v1
	v_cvt_f64_u32_e32 v[0:1], v0
	v_ldexp_f64 v[4:5], v[4:5], 32
	v_add_f64 v[0:1], v[4:5], v[0:1]
	s_branch .LBB221_311
.LBB221_309:
	s_mov_b64 s[94:95], -1
                                        ; implicit-def: $vgpr0_vgpr1
.LBB221_310:
	s_mov_b64 s[6:7], 0
.LBB221_311:
	s_and_b64 vcc, exec, s[6:7]
	s_cbranch_vccz .LBB221_329
; %bb.312:
	v_mov_b32_e32 v0, 27
	v_cmp_lt_i16_sdwa s[4:5], v72, v0 src0_sel:BYTE_0 src1_sel:DWORD
	s_and_b64 vcc, exec, s[4:5]
	s_cbranch_vccnz .LBB221_315
; %bb.313:
	v_cmp_gt_i16_sdwa s[4:5], v72, v0 src0_sel:BYTE_0 src1_sel:DWORD
	s_and_b64 vcc, exec, s[4:5]
	s_cbranch_vccz .LBB221_316
; %bb.314:
	global_load_dword v0, v[2:3], off
	s_mov_b64 s[4:5], 0
	s_waitcnt vmcnt(0)
	v_cvt_f64_u32_e32 v[0:1], v0
	s_branch .LBB221_317
.LBB221_315:
	s_mov_b64 s[4:5], -1
                                        ; implicit-def: $vgpr0_vgpr1
	s_branch .LBB221_320
.LBB221_316:
	s_mov_b64 s[4:5], -1
                                        ; implicit-def: $vgpr0_vgpr1
.LBB221_317:
	s_andn2_b64 vcc, exec, s[4:5]
	s_cbranch_vccnz .LBB221_319
; %bb.318:
	global_load_ushort v0, v[2:3], off
	s_waitcnt vmcnt(0)
	v_cvt_f64_u32_e32 v[0:1], v0
.LBB221_319:
	s_mov_b64 s[4:5], 0
.LBB221_320:
	s_andn2_b64 vcc, exec, s[4:5]
	s_cbranch_vccnz .LBB221_328
; %bb.321:
	global_load_ubyte v4, v[2:3], off
	s_movk_i32 s4, 0x7f
                                        ; implicit-def: $sgpr6_sgpr7
	s_waitcnt vmcnt(0)
	v_cmp_lt_i16_e32 vcc, s4, v4
	s_mov_b64 s[4:5], 0
	s_and_saveexec_b64 s[8:9], vcc
	s_xor_b64 s[8:9], exec, s[8:9]
	s_cbranch_execz .LBB221_342
; %bb.322:
	s_movk_i32 s4, 0x80
	v_cmp_eq_u16_e32 vcc, s4, v4
	s_mov_b64 s[10:11], -1
                                        ; implicit-def: $sgpr6_sgpr7
	s_and_saveexec_b64 s[4:5], vcc
; %bb.323:
	s_mov_b32 s7, 0x7ff80000
	s_brev_b32 s6, 4
	s_xor_b64 s[10:11], exec, -1
; %bb.324:
	s_or_b64 exec, exec, s[4:5]
	s_and_b64 s[4:5], s[10:11], exec
	s_or_saveexec_b64 s[8:9], s[8:9]
	v_pk_mov_b32 v[0:1], s[6:7], s[6:7] op_sel:[0,1]
	s_xor_b64 exec, exec, s[8:9]
	s_cbranch_execnz .LBB221_343
.LBB221_325:
	s_or_b64 exec, exec, s[8:9]
	s_and_saveexec_b64 s[6:7], s[4:5]
	s_cbranch_execz .LBB221_327
.LBB221_326:
	v_and_b32_e32 v1, 0xffff, v4
	v_lshlrev_b32_e32 v0, 24, v4
	v_and_b32_e32 v4, 7, v1
	v_ffbh_u32_e32 v6, v4
	v_min_u32_e32 v6, 32, v6
	v_subrev_u32_e32 v7, 28, v6
	v_bfe_u32 v5, v1, 3, 4
	v_lshlrev_b32_e32 v1, v7, v1
	v_sub_u32_e32 v6, 29, v6
	v_and_b32_e32 v1, 7, v1
	v_cmp_eq_u32_e32 vcc, 0, v5
	v_cndmask_b32_e32 v5, v5, v6, vcc
	v_cndmask_b32_e32 v1, v4, v1, vcc
	v_mov_b32_e32 v4, 0x3b800000
	v_lshlrev_b32_e32 v1, 20, v1
	v_and_b32_e32 v0, 0x80000000, v0
	v_lshl_add_u32 v4, v5, 23, v4
	v_or3_b32 v0, v0, v4, v1
	v_cvt_f64_f32_e32 v[0:1], v0
.LBB221_327:
	s_or_b64 exec, exec, s[6:7]
.LBB221_328:
	s_mov_b64 s[4:5], -1
.LBB221_329:
	s_mov_b64 s[6:7], 0
.LBB221_330:
	s_and_b64 vcc, exec, s[6:7]
	s_cbranch_vccz .LBB221_365
; %bb.331:
	v_mov_b32_e32 v0, 22
	v_cmp_gt_i16_sdwa s[6:7], v72, v0 src0_sel:BYTE_0 src1_sel:DWORD
	s_and_b64 vcc, exec, s[6:7]
	s_cbranch_vccz .LBB221_341
; %bb.332:
	v_mov_b32_e32 v0, 24
	v_cmp_lt_i16_sdwa s[4:5], v72, v0 src0_sel:BYTE_0 src1_sel:DWORD
	s_and_b64 vcc, exec, s[4:5]
	s_cbranch_vccnz .LBB221_344
; %bb.333:
	v_cmp_gt_i16_sdwa s[4:5], v72, v0 src0_sel:BYTE_0 src1_sel:DWORD
	s_and_b64 vcc, exec, s[4:5]
	s_cbranch_vccz .LBB221_345
; %bb.334:
	global_load_ubyte v4, v[2:3], off
	s_movk_i32 s4, 0x7f
                                        ; implicit-def: $sgpr6_sgpr7
	s_waitcnt vmcnt(0)
	v_cmp_lt_i16_e32 vcc, s4, v4
	s_mov_b64 s[4:5], 0
	s_and_saveexec_b64 s[8:9], vcc
	s_xor_b64 s[8:9], exec, s[8:9]
	s_cbranch_execz .LBB221_357
; %bb.335:
	s_movk_i32 s4, 0x80
	v_cmp_eq_u16_e32 vcc, s4, v4
	s_mov_b64 s[10:11], -1
                                        ; implicit-def: $sgpr6_sgpr7
	s_and_saveexec_b64 s[4:5], vcc
; %bb.336:
	s_mov_b32 s7, 0x7ff80000
	s_brev_b32 s6, 4
	s_xor_b64 s[10:11], exec, -1
; %bb.337:
	s_or_b64 exec, exec, s[4:5]
	s_and_b64 s[4:5], s[10:11], exec
	s_or_saveexec_b64 s[8:9], s[8:9]
	v_pk_mov_b32 v[0:1], s[6:7], s[6:7] op_sel:[0,1]
	s_xor_b64 exec, exec, s[8:9]
	s_cbranch_execnz .LBB221_358
.LBB221_338:
	s_or_b64 exec, exec, s[8:9]
	s_and_saveexec_b64 s[6:7], s[4:5]
	s_cbranch_execz .LBB221_340
.LBB221_339:
	v_and_b32_e32 v1, 0xffff, v4
	v_lshlrev_b32_e32 v0, 24, v4
	v_and_b32_e32 v4, 3, v1
	v_ffbh_u32_e32 v6, v4
	v_min_u32_e32 v6, 32, v6
	v_subrev_u32_e32 v7, 29, v6
	v_bfe_u32 v5, v1, 2, 5
	v_lshlrev_b32_e32 v1, v7, v1
	v_sub_u32_e32 v6, 30, v6
	v_and_b32_e32 v1, 3, v1
	v_cmp_eq_u32_e32 vcc, 0, v5
	v_cndmask_b32_e32 v5, v5, v6, vcc
	v_cndmask_b32_e32 v1, v4, v1, vcc
	v_mov_b32_e32 v4, 0x37800000
	v_lshlrev_b32_e32 v1, 21, v1
	v_and_b32_e32 v0, 0x80000000, v0
	v_lshl_add_u32 v4, v5, 23, v4
	v_or3_b32 v0, v0, v4, v1
	v_cvt_f64_f32_e32 v[0:1], v0
.LBB221_340:
	s_or_b64 exec, exec, s[6:7]
	s_mov_b64 s[4:5], 0
	s_branch .LBB221_346
.LBB221_341:
	s_mov_b64 s[6:7], -1
                                        ; implicit-def: $vgpr0_vgpr1
	s_branch .LBB221_352
.LBB221_342:
	s_or_saveexec_b64 s[8:9], s[8:9]
	v_pk_mov_b32 v[0:1], s[6:7], s[6:7] op_sel:[0,1]
	s_xor_b64 exec, exec, s[8:9]
	s_cbranch_execz .LBB221_325
.LBB221_343:
	v_cmp_ne_u16_e32 vcc, 0, v4
	s_andn2_b64 s[4:5], s[4:5], exec
	s_and_b64 s[6:7], vcc, exec
	v_pk_mov_b32 v[0:1], 0, 0
	s_or_b64 s[4:5], s[4:5], s[6:7]
	s_or_b64 exec, exec, s[8:9]
	s_and_saveexec_b64 s[6:7], s[4:5]
	s_cbranch_execnz .LBB221_326
	s_branch .LBB221_327
.LBB221_344:
	s_mov_b64 s[4:5], -1
                                        ; implicit-def: $vgpr0_vgpr1
	s_branch .LBB221_349
.LBB221_345:
	s_mov_b64 s[4:5], -1
                                        ; implicit-def: $vgpr0_vgpr1
.LBB221_346:
	s_and_b64 vcc, exec, s[4:5]
	s_cbranch_vccz .LBB221_348
; %bb.347:
	global_load_ubyte v0, v[2:3], off
	s_mov_b32 s4, 0x7f800000
	s_waitcnt vmcnt(0)
	v_lshlrev_b32_e32 v0, 24, v0
	v_and_b32_e32 v1, 0x7f000000, v0
	v_ffbh_u32_e32 v4, v1
	v_min_u32_e32 v4, 32, v4
	v_sub_u32_e64 v4, v4, 4 clamp
	v_lshlrev_b32_e32 v6, v4, v1
	v_lshlrev_b32_e32 v4, 23, v4
	v_lshrrev_b32_e32 v6, 4, v6
	v_add_u32_e32 v5, 0x1000000, v1
	v_sub_u32_e32 v4, v6, v4
	v_ashrrev_i32_e32 v5, 8, v5
	v_add_u32_e32 v4, 0x3c000000, v4
	v_and_or_b32 v4, v5, s4, v4
	v_cmp_ne_u32_e32 vcc, 0, v1
	v_cndmask_b32_e32 v1, 0, v4, vcc
	s_brev_b32 s4, 1
	v_and_or_b32 v0, v0, s4, v1
	v_cvt_f64_f32_e32 v[0:1], v0
.LBB221_348:
	s_mov_b64 s[4:5], 0
.LBB221_349:
	s_andn2_b64 vcc, exec, s[4:5]
	s_cbranch_vccnz .LBB221_351
; %bb.350:
	global_load_ubyte v0, v[2:3], off
	s_movk_i32 s4, 0x7f00
	s_brev_b32 s5, 16
	s_waitcnt vmcnt(0)
	v_lshlrev_b16_e32 v1, 8, v0
	v_lshlrev_b32_e32 v0, 25, v0
	v_lshrrev_b32_e32 v4, 4, v0
	v_and_or_b32 v5, v1, s4, 0.5
	v_or_b32_e32 v4, 0x70000000, v4
	v_add_f32_e32 v5, -0.5, v5
	v_mul_f32_e32 v4, 0x7800000, v4
	v_cmp_gt_u32_e32 vcc, s5, v0
	v_bfe_i32 v1, v1, 0, 16
	v_cndmask_b32_e32 v0, v4, v5, vcc
	s_brev_b32 s4, 1
	v_and_or_b32 v0, v1, s4, v0
	v_cvt_f64_f32_e32 v[0:1], v0
.LBB221_351:
	s_mov_b64 s[6:7], 0
	s_mov_b64 s[4:5], -1
.LBB221_352:
	s_andn2_b64 vcc, exec, s[6:7]
	s_cbranch_vccnz .LBB221_365
; %bb.353:
	v_mov_b32_e32 v0, 14
	v_cmp_gt_i16_sdwa s[6:7], v72, v0 src0_sel:BYTE_0 src1_sel:DWORD
	s_and_b64 vcc, exec, s[6:7]
	s_cbranch_vccz .LBB221_356
; %bb.354:
	v_mov_b32_e32 v0, 15
	v_cmp_eq_u16_sdwa s[6:7], v72, v0 src0_sel:BYTE_0 src1_sel:DWORD
	s_and_b64 vcc, exec, s[6:7]
	s_cbranch_vccz .LBB221_359
; %bb.355:
	global_load_ushort v0, v[2:3], off
	s_mov_b64 s[4:5], -1
	s_mov_b64 s[94:95], 0
	s_waitcnt vmcnt(0)
	v_lshlrev_b32_e32 v0, 16, v0
	v_cvt_f64_f32_e32 v[0:1], v0
	s_branch .LBB221_360
.LBB221_356:
	s_mov_b64 s[6:7], -1
                                        ; implicit-def: $vgpr0_vgpr1
	s_branch .LBB221_361
.LBB221_357:
	s_or_saveexec_b64 s[8:9], s[8:9]
	v_pk_mov_b32 v[0:1], s[6:7], s[6:7] op_sel:[0,1]
	s_xor_b64 exec, exec, s[8:9]
	s_cbranch_execz .LBB221_338
.LBB221_358:
	v_cmp_ne_u16_e32 vcc, 0, v4
	s_andn2_b64 s[4:5], s[4:5], exec
	s_and_b64 s[6:7], vcc, exec
	v_pk_mov_b32 v[0:1], 0, 0
	s_or_b64 s[4:5], s[4:5], s[6:7]
	s_or_b64 exec, exec, s[8:9]
	s_and_saveexec_b64 s[6:7], s[4:5]
	s_cbranch_execnz .LBB221_339
	s_branch .LBB221_340
.LBB221_359:
	s_mov_b64 s[94:95], -1
                                        ; implicit-def: $vgpr0_vgpr1
.LBB221_360:
	s_mov_b64 s[6:7], 0
.LBB221_361:
	s_and_b64 vcc, exec, s[6:7]
	s_cbranch_vccz .LBB221_365
; %bb.362:
	v_mov_b32_e32 v0, 11
	v_cmp_eq_u16_sdwa s[6:7], v72, v0 src0_sel:BYTE_0 src1_sel:DWORD
	s_and_b64 vcc, exec, s[6:7]
	s_cbranch_vccz .LBB221_364
; %bb.363:
	global_load_ubyte v1, v[2:3], off
	v_mov_b32_e32 v4, 0x3ff00000
	v_mov_b32_e32 v0, 0
	s_mov_b64 s[4:5], -1
	s_mov_b64 s[94:95], 0
	s_waitcnt vmcnt(0)
	v_cmp_ne_u16_e32 vcc, 0, v1
	v_cndmask_b32_e32 v1, 0, v4, vcc
	s_branch .LBB221_365
.LBB221_364:
	s_mov_b64 s[94:95], -1
                                        ; implicit-def: $vgpr0_vgpr1
.LBB221_365:
	s_branch .LBB221_283
.LBB221_366:
	v_mov_b32_e32 v0, 5
	v_cmp_lt_i16_sdwa s[4:5], v72, v0 src0_sel:BYTE_0 src1_sel:DWORD
	s_and_b64 vcc, exec, s[4:5]
	s_cbranch_vccnz .LBB221_371
; %bb.367:
	v_mov_b32_e32 v0, 8
	v_cmp_lt_i16_sdwa s[4:5], v72, v0 src0_sel:BYTE_0 src1_sel:DWORD
	s_and_b64 vcc, exec, s[4:5]
	s_cbranch_vccnz .LBB221_372
; %bb.368:
	;; [unrolled: 5-line block ×3, first 2 shown]
	v_cmp_gt_i16_sdwa s[4:5], v72, v0 src0_sel:BYTE_0 src1_sel:DWORD
	s_and_b64 vcc, exec, s[4:5]
	s_cbranch_vccz .LBB221_374
; %bb.370:
	global_load_dwordx2 v[0:1], v[2:3], off
	s_mov_b64 s[4:5], 0
	s_branch .LBB221_375
.LBB221_371:
	s_mov_b64 s[4:5], -1
                                        ; implicit-def: $vgpr0_vgpr1
	s_branch .LBB221_393
.LBB221_372:
	s_mov_b64 s[4:5], -1
                                        ; implicit-def: $vgpr0_vgpr1
	s_branch .LBB221_381
.LBB221_373:
	s_mov_b64 s[4:5], -1
                                        ; implicit-def: $vgpr0_vgpr1
	s_branch .LBB221_378
.LBB221_374:
	s_mov_b64 s[4:5], -1
                                        ; implicit-def: $vgpr0_vgpr1
.LBB221_375:
	s_andn2_b64 vcc, exec, s[4:5]
	s_cbranch_vccnz .LBB221_377
; %bb.376:
	global_load_dword v0, v[2:3], off
	s_waitcnt vmcnt(0)
	v_cvt_f64_f32_e32 v[0:1], v0
.LBB221_377:
	s_mov_b64 s[4:5], 0
.LBB221_378:
	s_andn2_b64 vcc, exec, s[4:5]
	s_cbranch_vccnz .LBB221_380
; %bb.379:
	global_load_dword v0, v[2:3], off
	s_waitcnt vmcnt(0)
	v_cvt_f32_f16_e32 v0, v0
	v_cvt_f64_f32_e32 v[0:1], v0
.LBB221_380:
	s_mov_b64 s[4:5], 0
.LBB221_381:
	s_andn2_b64 vcc, exec, s[4:5]
	s_cbranch_vccnz .LBB221_392
; %bb.382:
	s_waitcnt vmcnt(0)
	v_mov_b32_e32 v0, 6
	v_cmp_lt_i16_sdwa s[4:5], v72, v0 src0_sel:BYTE_0 src1_sel:DWORD
	s_and_b64 vcc, exec, s[4:5]
	s_cbranch_vccnz .LBB221_385
; %bb.383:
	v_cmp_gt_i16_sdwa s[4:5], v72, v0 src0_sel:BYTE_0 src1_sel:DWORD
	s_and_b64 vcc, exec, s[4:5]
	s_cbranch_vccz .LBB221_386
; %bb.384:
	global_load_dwordx2 v[0:1], v[2:3], off
	s_mov_b64 s[4:5], 0
	s_branch .LBB221_387
.LBB221_385:
	s_mov_b64 s[4:5], -1
                                        ; implicit-def: $vgpr0_vgpr1
	s_branch .LBB221_390
.LBB221_386:
	s_mov_b64 s[4:5], -1
                                        ; implicit-def: $vgpr0_vgpr1
.LBB221_387:
	s_andn2_b64 vcc, exec, s[4:5]
	s_cbranch_vccnz .LBB221_389
; %bb.388:
	global_load_dword v0, v[2:3], off
	s_waitcnt vmcnt(0)
	v_cvt_f64_f32_e32 v[0:1], v0
.LBB221_389:
	s_mov_b64 s[4:5], 0
.LBB221_390:
	s_andn2_b64 vcc, exec, s[4:5]
	s_cbranch_vccnz .LBB221_392
; %bb.391:
	global_load_ushort v0, v[2:3], off
	s_waitcnt vmcnt(0)
	v_cvt_f32_f16_e32 v0, v0
	v_cvt_f64_f32_e32 v[0:1], v0
.LBB221_392:
	s_mov_b64 s[4:5], 0
.LBB221_393:
	s_andn2_b64 vcc, exec, s[4:5]
	s_cbranch_vccnz .LBB221_413
; %bb.394:
	s_waitcnt vmcnt(0)
	v_mov_b32_e32 v0, 2
	v_cmp_lt_i16_sdwa s[4:5], v72, v0 src0_sel:BYTE_0 src1_sel:DWORD
	s_and_b64 vcc, exec, s[4:5]
	s_cbranch_vccnz .LBB221_398
; %bb.395:
	v_mov_b32_e32 v0, 3
	v_cmp_lt_i16_sdwa s[4:5], v72, v0 src0_sel:BYTE_0 src1_sel:DWORD
	s_and_b64 vcc, exec, s[4:5]
	s_cbranch_vccnz .LBB221_399
; %bb.396:
	v_cmp_gt_i16_sdwa s[4:5], v72, v0 src0_sel:BYTE_0 src1_sel:DWORD
	s_and_b64 vcc, exec, s[4:5]
	s_cbranch_vccz .LBB221_400
; %bb.397:
	global_load_dwordx2 v[0:1], v[2:3], off
	s_mov_b64 s[4:5], 0
	s_waitcnt vmcnt(0)
	v_cvt_f64_i32_e32 v[4:5], v1
	v_cvt_f64_u32_e32 v[0:1], v0
	v_ldexp_f64 v[4:5], v[4:5], 32
	v_add_f64 v[0:1], v[4:5], v[0:1]
	s_branch .LBB221_401
.LBB221_398:
	s_mov_b64 s[4:5], -1
                                        ; implicit-def: $vgpr0_vgpr1
	s_branch .LBB221_407
.LBB221_399:
	s_mov_b64 s[4:5], -1
                                        ; implicit-def: $vgpr0_vgpr1
	s_branch .LBB221_404
.LBB221_400:
	s_mov_b64 s[4:5], -1
                                        ; implicit-def: $vgpr0_vgpr1
.LBB221_401:
	s_andn2_b64 vcc, exec, s[4:5]
	s_cbranch_vccnz .LBB221_403
; %bb.402:
	global_load_dword v0, v[2:3], off
	s_waitcnt vmcnt(0)
	v_cvt_f64_i32_e32 v[0:1], v0
.LBB221_403:
	s_mov_b64 s[4:5], 0
.LBB221_404:
	s_andn2_b64 vcc, exec, s[4:5]
	s_cbranch_vccnz .LBB221_406
; %bb.405:
	global_load_sshort v0, v[2:3], off
	s_waitcnt vmcnt(0)
	v_cvt_f64_i32_e32 v[0:1], v0
.LBB221_406:
	s_mov_b64 s[4:5], 0
.LBB221_407:
	s_andn2_b64 vcc, exec, s[4:5]
	s_cbranch_vccnz .LBB221_413
; %bb.408:
	v_mov_b32_e32 v0, 0
	v_cmp_gt_i16_sdwa s[4:5], v72, v0 src0_sel:BYTE_0 src1_sel:DWORD
	s_and_b64 vcc, exec, s[4:5]
	s_cbranch_vccz .LBB221_410
; %bb.409:
	global_load_sbyte v0, v[2:3], off
	s_mov_b64 s[4:5], 0
	s_waitcnt vmcnt(0)
	v_cvt_f64_i32_e32 v[0:1], v0
	s_branch .LBB221_411
.LBB221_410:
	s_mov_b64 s[4:5], -1
                                        ; implicit-def: $vgpr0_vgpr1
.LBB221_411:
	s_andn2_b64 vcc, exec, s[4:5]
	s_cbranch_vccnz .LBB221_413
; %bb.412:
	global_load_ubyte v0, v[2:3], off
	s_waitcnt vmcnt(0)
	v_cvt_f64_u32_e32 v[0:1], v0
.LBB221_413:
	s_branch .LBB221_284
.LBB221_414:
	s_mov_b64 s[10:11], s[94:95]
	s_mov_b64 s[6:7], 0
                                        ; implicit-def: $vgpr76
	s_mov_b64 s[4:5], s[30:31]
	s_mov_b64 s[14:15], s[34:35]
	;; [unrolled: 1-line block ×3, first 2 shown]
	s_branch .LBB221_1034
.LBB221_415:
	s_mov_b64 s[96:97], -1
.LBB221_416:
	s_mov_b64 s[4:5], 0
                                        ; implicit-def: $vgpr4_vgpr5
.LBB221_417:
	s_and_b64 vcc, exec, s[6:7]
	s_cbranch_vccz .LBB221_425
; %bb.418:
	v_cmp_eq_u16_e32 vcc, 44, v77
	s_cbranch_vccz .LBB221_424
; %bb.419:
	global_load_ubyte v8, v[6:7], off
	s_movk_i32 s6, 0xff
	v_bfrev_b32_e32 v9, 4
	v_mov_b32_e32 v10, 0x7ff80000
	v_bfrev_b32_e32 v11, 28
	s_mov_b64 s[4:5], -1
	s_mov_b64 s[96:97], 0
	s_waitcnt vmcnt(0)
	v_lshlrev_b32_e32 v4, 23, v8
	v_cvt_f64_f32_e32 v[4:5], v4
	v_cmp_ne_u32_e32 vcc, s6, v8
	v_cndmask_b32_e32 v4, v9, v4, vcc
	v_cndmask_b32_e32 v5, v10, v5, vcc
	v_cmp_ne_u32_e32 vcc, 0, v8
	v_cndmask_b32_e32 v5, v11, v5, vcc
	v_cndmask_b32_e32 v4, 0, v4, vcc
	s_branch .LBB221_425
.LBB221_420:
	s_mov_b64 s[4:5], -1
	v_writelane_b32 v78, s4, 24
	v_writelane_b32 v78, s5, 25
                                        ; implicit-def: $vgpr2_vgpr3
	s_mov_b64 s[4:5], 0
.LBB221_421:
	s_and_b64 vcc, exec, s[6:7]
	s_cbranch_vccz .LBB221_550
; %bb.422:
	v_cmp_eq_u16_e32 vcc, 44, v6
	s_cbranch_vccz .LBB221_548
; %bb.423:
	global_load_ubyte v7, v[4:5], off
	s_movk_i32 s6, 0xff
	v_bfrev_b32_e32 v8, 4
	v_mov_b32_e32 v9, 0x7ff80000
	v_bfrev_b32_e32 v10, 28
	s_mov_b64 s[4:5], -1
	s_waitcnt vmcnt(0)
	v_lshlrev_b32_e32 v2, 23, v7
	v_cvt_f64_f32_e32 v[2:3], v2
	v_cmp_ne_u32_e32 vcc, s6, v7
	v_cndmask_b32_e32 v2, v8, v2, vcc
	v_cndmask_b32_e32 v3, v9, v3, vcc
	v_cmp_ne_u32_e32 vcc, 0, v7
	v_cndmask_b32_e32 v3, v10, v3, vcc
	v_cndmask_b32_e32 v2, 0, v2, vcc
	s_mov_b64 s[6:7], 0
	s_branch .LBB221_549
.LBB221_424:
	s_mov_b64 s[96:97], -1
                                        ; implicit-def: $vgpr4_vgpr5
.LBB221_425:
	s_mov_b64 s[6:7], 0
.LBB221_426:
	s_and_b64 vcc, exec, s[6:7]
	s_cbranch_vccz .LBB221_430
; %bb.427:
	v_cmp_eq_u16_e32 vcc, 29, v77
	s_cbranch_vccz .LBB221_429
; %bb.428:
	global_load_dwordx2 v[4:5], v[6:7], off
	s_mov_b64 s[4:5], -1
	s_mov_b64 s[96:97], 0
	s_mov_b64 s[6:7], 0
	s_waitcnt vmcnt(0)
	v_cvt_f64_u32_e32 v[8:9], v5
	v_cvt_f64_u32_e32 v[4:5], v4
	v_ldexp_f64 v[8:9], v[8:9], 32
	v_add_f64 v[4:5], v[8:9], v[4:5]
	s_branch .LBB221_431
.LBB221_429:
	s_mov_b64 s[96:97], -1
                                        ; implicit-def: $vgpr4_vgpr5
.LBB221_430:
	s_mov_b64 s[6:7], 0
.LBB221_431:
	s_and_b64 vcc, exec, s[6:7]
	s_cbranch_vccz .LBB221_449
; %bb.432:
	v_cmp_gt_i16_e32 vcc, 27, v77
	s_cbranch_vccnz .LBB221_435
; %bb.433:
	v_cmp_lt_i16_e32 vcc, 27, v77
	s_cbranch_vccz .LBB221_436
; %bb.434:
	global_load_dword v4, v[6:7], off
	s_mov_b64 s[4:5], 0
	s_waitcnt vmcnt(0)
	v_cvt_f64_u32_e32 v[4:5], v4
	s_branch .LBB221_437
.LBB221_435:
	s_mov_b64 s[4:5], -1
                                        ; implicit-def: $vgpr4_vgpr5
	s_branch .LBB221_440
.LBB221_436:
	s_mov_b64 s[4:5], -1
                                        ; implicit-def: $vgpr4_vgpr5
.LBB221_437:
	s_andn2_b64 vcc, exec, s[4:5]
	s_cbranch_vccnz .LBB221_439
; %bb.438:
	global_load_ushort v4, v[6:7], off
	s_waitcnt vmcnt(0)
	v_cvt_f64_u32_e32 v[4:5], v4
.LBB221_439:
	s_mov_b64 s[4:5], 0
.LBB221_440:
	s_andn2_b64 vcc, exec, s[4:5]
	s_cbranch_vccnz .LBB221_448
; %bb.441:
	global_load_ubyte v8, v[6:7], off
	s_movk_i32 s4, 0x7f
                                        ; implicit-def: $sgpr6_sgpr7
	s_waitcnt vmcnt(0)
	v_cmp_lt_i16_e32 vcc, s4, v8
	s_mov_b64 s[4:5], 0
	s_and_saveexec_b64 s[8:9], vcc
	s_xor_b64 s[8:9], exec, s[8:9]
	s_cbranch_execz .LBB221_462
; %bb.442:
	s_movk_i32 s4, 0x80
	v_cmp_eq_u16_e32 vcc, s4, v8
	s_mov_b64 s[10:11], -1
                                        ; implicit-def: $sgpr6_sgpr7
	s_and_saveexec_b64 s[4:5], vcc
; %bb.443:
	s_mov_b32 s7, 0x7ff80000
	s_brev_b32 s6, 4
	s_xor_b64 s[10:11], exec, -1
; %bb.444:
	s_or_b64 exec, exec, s[4:5]
	s_and_b64 s[4:5], s[10:11], exec
	s_or_saveexec_b64 s[8:9], s[8:9]
	v_pk_mov_b32 v[4:5], s[6:7], s[6:7] op_sel:[0,1]
	s_xor_b64 exec, exec, s[8:9]
	s_cbranch_execnz .LBB221_463
.LBB221_445:
	s_or_b64 exec, exec, s[8:9]
	s_and_saveexec_b64 s[6:7], s[4:5]
	s_cbranch_execz .LBB221_447
.LBB221_446:
	v_and_b32_e32 v5, 0xffff, v8
	v_lshlrev_b32_e32 v4, 24, v8
	v_and_b32_e32 v8, 7, v5
	v_ffbh_u32_e32 v10, v8
	v_min_u32_e32 v10, 32, v10
	v_subrev_u32_e32 v11, 28, v10
	v_bfe_u32 v9, v5, 3, 4
	v_lshlrev_b32_e32 v5, v11, v5
	v_sub_u32_e32 v10, 29, v10
	v_and_b32_e32 v5, 7, v5
	v_cmp_eq_u32_e32 vcc, 0, v9
	v_cndmask_b32_e32 v9, v9, v10, vcc
	v_cndmask_b32_e32 v5, v8, v5, vcc
	v_mov_b32_e32 v8, 0x3b800000
	v_lshlrev_b32_e32 v5, 20, v5
	v_and_b32_e32 v4, 0x80000000, v4
	v_lshl_add_u32 v8, v9, 23, v8
	v_or3_b32 v4, v4, v8, v5
	v_cvt_f64_f32_e32 v[4:5], v4
.LBB221_447:
	s_or_b64 exec, exec, s[6:7]
.LBB221_448:
	s_mov_b64 s[4:5], -1
.LBB221_449:
	s_mov_b64 s[6:7], 0
.LBB221_450:
	s_and_b64 vcc, exec, s[6:7]
	s_cbranch_vccz .LBB221_485
; %bb.451:
	v_cmp_lt_i16_e32 vcc, 22, v77
	s_cbranch_vccz .LBB221_461
; %bb.452:
	v_cmp_gt_i16_e32 vcc, 24, v77
	s_cbranch_vccnz .LBB221_464
; %bb.453:
	v_cmp_lt_i16_e32 vcc, 24, v77
	s_cbranch_vccz .LBB221_465
; %bb.454:
	global_load_ubyte v8, v[6:7], off
	s_movk_i32 s4, 0x7f
                                        ; implicit-def: $sgpr6_sgpr7
	s_waitcnt vmcnt(0)
	v_cmp_lt_i16_e32 vcc, s4, v8
	s_mov_b64 s[4:5], 0
	s_and_saveexec_b64 s[8:9], vcc
	s_xor_b64 s[8:9], exec, s[8:9]
	s_cbranch_execz .LBB221_477
; %bb.455:
	s_movk_i32 s4, 0x80
	v_cmp_eq_u16_e32 vcc, s4, v8
	s_mov_b64 s[10:11], -1
                                        ; implicit-def: $sgpr6_sgpr7
	s_and_saveexec_b64 s[4:5], vcc
; %bb.456:
	s_mov_b32 s7, 0x7ff80000
	s_brev_b32 s6, 4
	s_xor_b64 s[10:11], exec, -1
; %bb.457:
	s_or_b64 exec, exec, s[4:5]
	s_and_b64 s[4:5], s[10:11], exec
	s_or_saveexec_b64 s[8:9], s[8:9]
	v_pk_mov_b32 v[4:5], s[6:7], s[6:7] op_sel:[0,1]
	s_xor_b64 exec, exec, s[8:9]
	s_cbranch_execnz .LBB221_478
.LBB221_458:
	s_or_b64 exec, exec, s[8:9]
	s_and_saveexec_b64 s[6:7], s[4:5]
	s_cbranch_execz .LBB221_460
.LBB221_459:
	v_and_b32_e32 v5, 0xffff, v8
	v_lshlrev_b32_e32 v4, 24, v8
	v_and_b32_e32 v8, 3, v5
	v_ffbh_u32_e32 v10, v8
	v_min_u32_e32 v10, 32, v10
	v_subrev_u32_e32 v11, 29, v10
	v_bfe_u32 v9, v5, 2, 5
	v_lshlrev_b32_e32 v5, v11, v5
	v_sub_u32_e32 v10, 30, v10
	v_and_b32_e32 v5, 3, v5
	v_cmp_eq_u32_e32 vcc, 0, v9
	v_cndmask_b32_e32 v9, v9, v10, vcc
	v_cndmask_b32_e32 v5, v8, v5, vcc
	v_mov_b32_e32 v8, 0x37800000
	v_lshlrev_b32_e32 v5, 21, v5
	v_and_b32_e32 v4, 0x80000000, v4
	v_lshl_add_u32 v8, v9, 23, v8
	v_or3_b32 v4, v4, v8, v5
	v_cvt_f64_f32_e32 v[4:5], v4
.LBB221_460:
	s_or_b64 exec, exec, s[6:7]
	s_mov_b64 s[4:5], 0
	s_branch .LBB221_466
.LBB221_461:
	s_mov_b64 s[6:7], -1
                                        ; implicit-def: $vgpr4_vgpr5
	s_branch .LBB221_472
.LBB221_462:
	s_or_saveexec_b64 s[8:9], s[8:9]
	v_pk_mov_b32 v[4:5], s[6:7], s[6:7] op_sel:[0,1]
	s_xor_b64 exec, exec, s[8:9]
	s_cbranch_execz .LBB221_445
.LBB221_463:
	v_cmp_ne_u16_e32 vcc, 0, v8
	s_andn2_b64 s[4:5], s[4:5], exec
	s_and_b64 s[6:7], vcc, exec
	v_pk_mov_b32 v[4:5], 0, 0
	s_or_b64 s[4:5], s[4:5], s[6:7]
	s_or_b64 exec, exec, s[8:9]
	s_and_saveexec_b64 s[6:7], s[4:5]
	s_cbranch_execnz .LBB221_446
	s_branch .LBB221_447
.LBB221_464:
	s_mov_b64 s[4:5], -1
                                        ; implicit-def: $vgpr4_vgpr5
	s_branch .LBB221_469
.LBB221_465:
	s_mov_b64 s[4:5], -1
                                        ; implicit-def: $vgpr4_vgpr5
.LBB221_466:
	s_and_b64 vcc, exec, s[4:5]
	s_cbranch_vccz .LBB221_468
; %bb.467:
	global_load_ubyte v4, v[6:7], off
	s_mov_b32 s4, 0x7f800000
	s_waitcnt vmcnt(0)
	v_lshlrev_b32_e32 v4, 24, v4
	v_and_b32_e32 v5, 0x7f000000, v4
	v_ffbh_u32_e32 v8, v5
	v_min_u32_e32 v8, 32, v8
	v_sub_u32_e64 v8, v8, 4 clamp
	v_lshlrev_b32_e32 v10, v8, v5
	v_lshlrev_b32_e32 v8, 23, v8
	v_lshrrev_b32_e32 v10, 4, v10
	v_add_u32_e32 v9, 0x1000000, v5
	v_sub_u32_e32 v8, v10, v8
	v_ashrrev_i32_e32 v9, 8, v9
	v_add_u32_e32 v8, 0x3c000000, v8
	v_and_or_b32 v8, v9, s4, v8
	v_cmp_ne_u32_e32 vcc, 0, v5
	v_cndmask_b32_e32 v5, 0, v8, vcc
	s_brev_b32 s4, 1
	v_and_or_b32 v4, v4, s4, v5
	v_cvt_f64_f32_e32 v[4:5], v4
.LBB221_468:
	s_mov_b64 s[4:5], 0
.LBB221_469:
	s_andn2_b64 vcc, exec, s[4:5]
	s_cbranch_vccnz .LBB221_471
; %bb.470:
	global_load_ubyte v4, v[6:7], off
	s_movk_i32 s4, 0x7f00
	s_brev_b32 s5, 16
	s_waitcnt vmcnt(0)
	v_lshlrev_b16_e32 v5, 8, v4
	v_lshlrev_b32_e32 v4, 25, v4
	v_lshrrev_b32_e32 v8, 4, v4
	v_and_or_b32 v9, v5, s4, 0.5
	v_or_b32_e32 v8, 0x70000000, v8
	v_add_f32_e32 v9, -0.5, v9
	v_mul_f32_e32 v8, 0x7800000, v8
	v_cmp_gt_u32_e32 vcc, s5, v4
	v_bfe_i32 v5, v5, 0, 16
	v_cndmask_b32_e32 v4, v8, v9, vcc
	s_brev_b32 s4, 1
	v_and_or_b32 v4, v5, s4, v4
	v_cvt_f64_f32_e32 v[4:5], v4
.LBB221_471:
	s_mov_b64 s[6:7], 0
	s_mov_b64 s[4:5], -1
.LBB221_472:
	s_andn2_b64 vcc, exec, s[6:7]
	s_cbranch_vccnz .LBB221_485
; %bb.473:
	v_cmp_lt_i16_e32 vcc, 14, v77
	s_cbranch_vccz .LBB221_476
; %bb.474:
	v_cmp_eq_u16_e32 vcc, 15, v77
	s_cbranch_vccz .LBB221_479
; %bb.475:
	global_load_ushort v4, v[6:7], off
	s_mov_b64 s[4:5], -1
	s_mov_b64 s[96:97], 0
	s_waitcnt vmcnt(0)
	v_lshlrev_b32_e32 v4, 16, v4
	v_cvt_f64_f32_e32 v[4:5], v4
	s_branch .LBB221_480
.LBB221_476:
	s_mov_b64 s[6:7], -1
                                        ; implicit-def: $vgpr4_vgpr5
	s_branch .LBB221_481
.LBB221_477:
	s_or_saveexec_b64 s[8:9], s[8:9]
	v_pk_mov_b32 v[4:5], s[6:7], s[6:7] op_sel:[0,1]
	s_xor_b64 exec, exec, s[8:9]
	s_cbranch_execz .LBB221_458
.LBB221_478:
	v_cmp_ne_u16_e32 vcc, 0, v8
	s_andn2_b64 s[4:5], s[4:5], exec
	s_and_b64 s[6:7], vcc, exec
	v_pk_mov_b32 v[4:5], 0, 0
	s_or_b64 s[4:5], s[4:5], s[6:7]
	s_or_b64 exec, exec, s[8:9]
	s_and_saveexec_b64 s[6:7], s[4:5]
	s_cbranch_execnz .LBB221_459
	s_branch .LBB221_460
.LBB221_479:
	s_mov_b64 s[96:97], -1
                                        ; implicit-def: $vgpr4_vgpr5
.LBB221_480:
	s_mov_b64 s[6:7], 0
.LBB221_481:
	s_and_b64 vcc, exec, s[6:7]
	s_cbranch_vccz .LBB221_485
; %bb.482:
	v_cmp_eq_u16_e32 vcc, 11, v77
	s_cbranch_vccz .LBB221_484
; %bb.483:
	global_load_ubyte v5, v[6:7], off
	v_mov_b32_e32 v8, 0x3ff00000
	v_mov_b32_e32 v4, 0
	s_mov_b64 s[4:5], -1
	s_mov_b64 s[96:97], 0
	s_waitcnt vmcnt(0)
	v_cmp_ne_u16_e32 vcc, 0, v5
	v_cndmask_b32_e32 v5, 0, v8, vcc
	s_branch .LBB221_485
.LBB221_484:
	s_mov_b64 s[96:97], -1
                                        ; implicit-def: $vgpr4_vgpr5
.LBB221_485:
	s_mov_b64 s[6:7], 0
.LBB221_486:
	s_and_b64 vcc, exec, s[6:7]
	s_cbranch_vccz .LBB221_535
; %bb.487:
	v_cmp_gt_i16_e32 vcc, 5, v77
	s_cbranch_vccnz .LBB221_492
; %bb.488:
	v_cmp_gt_i16_e32 vcc, 8, v77
	s_cbranch_vccnz .LBB221_493
	;; [unrolled: 3-line block ×3, first 2 shown]
; %bb.490:
	v_cmp_lt_i16_e32 vcc, 9, v77
	s_cbranch_vccz .LBB221_495
; %bb.491:
	global_load_dwordx2 v[4:5], v[6:7], off
	s_mov_b64 s[4:5], 0
	s_branch .LBB221_496
.LBB221_492:
	s_mov_b64 s[4:5], -1
                                        ; implicit-def: $vgpr4_vgpr5
	s_branch .LBB221_514
.LBB221_493:
	s_mov_b64 s[4:5], -1
                                        ; implicit-def: $vgpr4_vgpr5
	s_branch .LBB221_502
.LBB221_494:
	s_mov_b64 s[4:5], -1
                                        ; implicit-def: $vgpr4_vgpr5
	s_branch .LBB221_499
.LBB221_495:
	s_mov_b64 s[4:5], -1
                                        ; implicit-def: $vgpr4_vgpr5
.LBB221_496:
	s_andn2_b64 vcc, exec, s[4:5]
	s_cbranch_vccnz .LBB221_498
; %bb.497:
	global_load_dword v4, v[6:7], off
	s_waitcnt vmcnt(0)
	v_cvt_f64_f32_e32 v[4:5], v4
.LBB221_498:
	s_mov_b64 s[4:5], 0
.LBB221_499:
	s_andn2_b64 vcc, exec, s[4:5]
	s_cbranch_vccnz .LBB221_501
; %bb.500:
	global_load_dword v4, v[6:7], off
	s_waitcnt vmcnt(0)
	v_cvt_f32_f16_e32 v4, v4
	v_cvt_f64_f32_e32 v[4:5], v4
.LBB221_501:
	s_mov_b64 s[4:5], 0
.LBB221_502:
	s_andn2_b64 vcc, exec, s[4:5]
	s_cbranch_vccnz .LBB221_513
; %bb.503:
	v_cmp_gt_i16_e32 vcc, 6, v77
	s_cbranch_vccnz .LBB221_506
; %bb.504:
	v_cmp_lt_i16_e32 vcc, 6, v77
	s_cbranch_vccz .LBB221_507
; %bb.505:
	global_load_dwordx2 v[4:5], v[6:7], off
	s_mov_b64 s[4:5], 0
	s_branch .LBB221_508
.LBB221_506:
	s_mov_b64 s[4:5], -1
                                        ; implicit-def: $vgpr4_vgpr5
	s_branch .LBB221_511
.LBB221_507:
	s_mov_b64 s[4:5], -1
                                        ; implicit-def: $vgpr4_vgpr5
.LBB221_508:
	s_andn2_b64 vcc, exec, s[4:5]
	s_cbranch_vccnz .LBB221_510
; %bb.509:
	global_load_dword v4, v[6:7], off
	s_waitcnt vmcnt(0)
	v_cvt_f64_f32_e32 v[4:5], v4
.LBB221_510:
	s_mov_b64 s[4:5], 0
.LBB221_511:
	s_andn2_b64 vcc, exec, s[4:5]
	s_cbranch_vccnz .LBB221_513
; %bb.512:
	global_load_ushort v4, v[6:7], off
	s_waitcnt vmcnt(0)
	v_cvt_f32_f16_e32 v4, v4
	v_cvt_f64_f32_e32 v[4:5], v4
.LBB221_513:
	s_mov_b64 s[4:5], 0
.LBB221_514:
	s_andn2_b64 vcc, exec, s[4:5]
	s_cbranch_vccnz .LBB221_534
; %bb.515:
	v_cmp_gt_i16_e32 vcc, 2, v77
	s_cbranch_vccnz .LBB221_519
; %bb.516:
	v_cmp_gt_i16_e32 vcc, 3, v77
	s_cbranch_vccnz .LBB221_520
; %bb.517:
	v_cmp_lt_i16_e32 vcc, 3, v77
	s_cbranch_vccz .LBB221_521
; %bb.518:
	global_load_dwordx2 v[4:5], v[6:7], off
	s_mov_b64 s[4:5], 0
	s_waitcnt vmcnt(0)
	v_cvt_f64_i32_e32 v[8:9], v5
	v_cvt_f64_u32_e32 v[4:5], v4
	v_ldexp_f64 v[8:9], v[8:9], 32
	v_add_f64 v[4:5], v[8:9], v[4:5]
	s_branch .LBB221_522
.LBB221_519:
	s_mov_b64 s[4:5], -1
                                        ; implicit-def: $vgpr4_vgpr5
	s_branch .LBB221_528
.LBB221_520:
	s_mov_b64 s[4:5], -1
                                        ; implicit-def: $vgpr4_vgpr5
	s_branch .LBB221_525
.LBB221_521:
	s_mov_b64 s[4:5], -1
                                        ; implicit-def: $vgpr4_vgpr5
.LBB221_522:
	s_andn2_b64 vcc, exec, s[4:5]
	s_cbranch_vccnz .LBB221_524
; %bb.523:
	global_load_dword v4, v[6:7], off
	s_waitcnt vmcnt(0)
	v_cvt_f64_i32_e32 v[4:5], v4
.LBB221_524:
	s_mov_b64 s[4:5], 0
.LBB221_525:
	s_andn2_b64 vcc, exec, s[4:5]
	s_cbranch_vccnz .LBB221_527
; %bb.526:
	global_load_sshort v4, v[6:7], off
	s_waitcnt vmcnt(0)
	v_cvt_f64_i32_e32 v[4:5], v4
.LBB221_527:
	s_mov_b64 s[4:5], 0
.LBB221_528:
	s_andn2_b64 vcc, exec, s[4:5]
	s_cbranch_vccnz .LBB221_534
; %bb.529:
	v_cmp_lt_i16_e32 vcc, 0, v77
	s_cbranch_vccz .LBB221_531
; %bb.530:
	global_load_sbyte v4, v[6:7], off
	s_mov_b64 s[4:5], 0
	s_waitcnt vmcnt(0)
	v_cvt_f64_i32_e32 v[4:5], v4
	s_branch .LBB221_532
.LBB221_531:
	s_mov_b64 s[4:5], -1
                                        ; implicit-def: $vgpr4_vgpr5
.LBB221_532:
	s_andn2_b64 vcc, exec, s[4:5]
	s_cbranch_vccnz .LBB221_534
; %bb.533:
	global_load_ubyte v4, v[6:7], off
	s_waitcnt vmcnt(0)
	v_cvt_f64_u32_e32 v[4:5], v4
.LBB221_534:
	s_mov_b64 s[4:5], -1
.LBB221_535:
	s_andn2_b64 vcc, exec, s[4:5]
	s_cbranch_vccnz .LBB221_543
; %bb.536:
	v_writelane_b32 v78, s24, 16
	v_writelane_b32 v78, s25, 17
	;; [unrolled: 1-line block ×9, first 2 shown]
	s_mov_b64 s[90:91], s[46:47]
	s_getpc_b64 s[4:5]
	s_add_u32 s4, s4, _ZZZZN2at6native28launch_dirichlet_grad_kernelERNS_18TensorIteratorBaseEENKUlvE_clEvENKUlvE_clEvENKUldddE_clEddd@rel32@lo+4
	s_addc_u32 s5, s5, _ZZZZN2at6native28launch_dirichlet_grad_kernelERNS_18TensorIteratorBaseEENKUlvE_clEvENKUlvE_clEvENKUldddE_clEddd@rel32@hi+12
	v_writelane_b32 v78, s43, 11
	s_mov_b64 s[88:89], s[44:45]
	s_swappc_b64 s[30:31], s[4:5]
	s_mov_b64 s[44:45], s[88:89]
	v_readlane_b32 s36, v78, 4
	v_readlane_b32 s37, v78, 5
	v_mul_lo_u32 v2, v76, s44
	v_ashrrev_i32_e32 v3, 31, v2
	v_mov_b32_e32 v5, s37
	v_add_co_u32_e32 v4, vcc, s36, v2
	v_mov_b32_e32 v2, 11
	v_addc_co_u32_e32 v5, vcc, v5, v3, vcc
	v_cmp_lt_i16_sdwa s[4:5], v41, v2 src0_sel:BYTE_0 src1_sel:DWORD
	s_mov_b64 s[46:47], s[90:91]
	v_readlane_b32 s38, v78, 6
	v_readlane_b32 s39, v78, 7
	;; [unrolled: 1-line block ×6, first 2 shown]
	s_and_b64 vcc, exec, s[4:5]
	s_cbranch_vccnz .LBB221_544
; %bb.537:
	v_mov_b32_e32 v2, 25
	v_cmp_gt_i16_sdwa s[4:5], v41, v2 src0_sel:BYTE_0 src1_sel:DWORD
	s_and_b64 vcc, exec, s[4:5]
	s_cbranch_vccz .LBB221_545
; %bb.538:
	v_mov_b32_e32 v2, 28
	v_cmp_gt_i16_sdwa s[4:5], v41, v2 src0_sel:BYTE_0 src1_sel:DWORD
	v_readlane_b32 s24, v78, 16
	s_and_b64 vcc, exec, s[4:5]
	s_mov_b64 s[50:51], 0
	s_mov_b64 s[20:21], 0
	v_readlane_b32 s25, v78, 17
	s_cbranch_vccz .LBB221_546
; %bb.539:
	v_mov_b32_e32 v2, 43
	v_cmp_gt_i16_sdwa s[4:5], v41, v2 src0_sel:BYTE_0 src1_sel:DWORD
	s_and_b64 vcc, exec, s[4:5]
	s_cbranch_vccz .LBB221_547
; %bb.540:
	v_mov_b32_e32 v2, 45
	v_cmp_gt_i16_sdwa s[4:5], v41, v2 src0_sel:BYTE_0 src1_sel:DWORD
	s_and_b64 vcc, exec, s[4:5]
	s_cbranch_vccz .LBB221_676
; %bb.541:
	v_mov_b32_e32 v2, 46
	v_cmp_eq_u16_sdwa s[6:7], v41, v2 src0_sel:BYTE_0 src1_sel:DWORD
	s_mov_b64 s[8:9], 0
	s_mov_b64 s[4:5], -1
	s_and_b64 vcc, exec, s[6:7]
	s_mov_b64 s[6:7], 0
	s_cbranch_vccz .LBB221_677
; %bb.542:
	v_cvt_f32_f64_e32 v2, v[0:1]
	v_bfe_u32 v3, v2, 16, 1
	s_movk_i32 s4, 0x7fff
	v_add3_u32 v3, v2, v3, s4
	v_lshrrev_b32_e32 v3, 16, v3
	v_mov_b32_e32 v6, 0x7fc0
	v_cmp_o_f32_e32 vcc, v2, v2
	v_cndmask_b32_e32 v2, v6, v3, vcc
	global_store_dword v[4:5], v2, off
	s_mov_b64 s[6:7], -1
	s_mov_b64 s[4:5], 0
	s_branch .LBB221_677
.LBB221_543:
	s_mov_b64 s[4:5], 0
	s_branch .LBB221_153
.LBB221_544:
	v_readlane_b32 s24, v78, 16
	s_mov_b64 s[8:9], -1
	s_mov_b64 s[4:5], 0
	s_mov_b64 s[6:7], 0
	;; [unrolled: 1-line block ×4, first 2 shown]
	v_readlane_b32 s25, v78, 17
	s_branch .LBB221_746
.LBB221_545:
	v_readlane_b32 s24, v78, 16
	s_mov_b64 s[8:9], -1
	s_mov_b64 s[4:5], 0
	s_mov_b64 s[6:7], 0
	;; [unrolled: 1-line block ×4, first 2 shown]
	v_readlane_b32 s25, v78, 17
	s_branch .LBB221_704
.LBB221_546:
	s_mov_b64 s[8:9], -1
	s_mov_b64 s[4:5], 0
	s_mov_b64 s[6:7], 0
	s_branch .LBB221_687
.LBB221_547:
	s_mov_b64 s[8:9], -1
	s_mov_b64 s[4:5], 0
	s_mov_b64 s[6:7], 0
	s_branch .LBB221_683
.LBB221_548:
	s_mov_b64 s[6:7], -1
                                        ; implicit-def: $vgpr2_vgpr3
.LBB221_549:
	v_writelane_b32 v78, s6, 24
	v_writelane_b32 v78, s7, 25
.LBB221_550:
	s_mov_b64 s[6:7], 0
.LBB221_551:
	s_and_b64 vcc, exec, s[6:7]
	s_cbranch_vccz .LBB221_556
; %bb.552:
	v_cmp_eq_u16_e32 vcc, 29, v6
	s_cbranch_vccz .LBB221_554
; %bb.553:
	global_load_dwordx2 v[2:3], v[4:5], off
	s_mov_b64 s[4:5], -1
	s_mov_b64 s[6:7], 0
	s_waitcnt vmcnt(0)
	v_cvt_f64_u32_e32 v[8:9], v3
	v_cvt_f64_u32_e32 v[2:3], v2
	v_ldexp_f64 v[8:9], v[8:9], 32
	v_add_f64 v[2:3], v[8:9], v[2:3]
	s_branch .LBB221_555
.LBB221_554:
	s_mov_b64 s[6:7], -1
                                        ; implicit-def: $vgpr2_vgpr3
.LBB221_555:
	v_writelane_b32 v78, s6, 24
	v_writelane_b32 v78, s7, 25
.LBB221_556:
	s_mov_b64 s[6:7], 0
.LBB221_557:
	s_and_b64 vcc, exec, s[6:7]
	s_cbranch_vccz .LBB221_575
; %bb.558:
	v_cmp_gt_i16_e32 vcc, 27, v6
	s_cbranch_vccnz .LBB221_561
; %bb.559:
	v_cmp_lt_i16_e32 vcc, 27, v6
	s_cbranch_vccz .LBB221_562
; %bb.560:
	global_load_dword v2, v[4:5], off
	s_mov_b64 s[4:5], 0
	s_waitcnt vmcnt(0)
	v_cvt_f64_u32_e32 v[2:3], v2
	s_branch .LBB221_563
.LBB221_561:
	s_mov_b64 s[4:5], -1
                                        ; implicit-def: $vgpr2_vgpr3
	s_branch .LBB221_566
.LBB221_562:
	s_mov_b64 s[4:5], -1
                                        ; implicit-def: $vgpr2_vgpr3
.LBB221_563:
	s_andn2_b64 vcc, exec, s[4:5]
	s_cbranch_vccnz .LBB221_565
; %bb.564:
	global_load_ushort v2, v[4:5], off
	s_waitcnt vmcnt(0)
	v_cvt_f64_u32_e32 v[2:3], v2
.LBB221_565:
	s_mov_b64 s[4:5], 0
.LBB221_566:
	s_andn2_b64 vcc, exec, s[4:5]
	s_cbranch_vccnz .LBB221_574
; %bb.567:
	global_load_ubyte v7, v[4:5], off
	s_movk_i32 s4, 0x7f
                                        ; implicit-def: $sgpr6_sgpr7
	s_waitcnt vmcnt(0)
	v_cmp_lt_i16_e32 vcc, s4, v7
	s_mov_b64 s[4:5], 0
	s_and_saveexec_b64 s[8:9], vcc
	s_xor_b64 s[8:9], exec, s[8:9]
	s_cbranch_execz .LBB221_588
; %bb.568:
	s_movk_i32 s4, 0x80
	v_cmp_eq_u16_e32 vcc, s4, v7
	s_mov_b64 s[10:11], -1
                                        ; implicit-def: $sgpr6_sgpr7
	s_and_saveexec_b64 s[4:5], vcc
; %bb.569:
	s_mov_b32 s7, 0x7ff80000
	s_brev_b32 s6, 4
	s_xor_b64 s[10:11], exec, -1
; %bb.570:
	s_or_b64 exec, exec, s[4:5]
	s_and_b64 s[4:5], s[10:11], exec
	s_or_saveexec_b64 s[8:9], s[8:9]
	v_pk_mov_b32 v[2:3], s[6:7], s[6:7] op_sel:[0,1]
	s_xor_b64 exec, exec, s[8:9]
	s_cbranch_execnz .LBB221_589
.LBB221_571:
	s_or_b64 exec, exec, s[8:9]
	s_and_saveexec_b64 s[6:7], s[4:5]
	s_cbranch_execz .LBB221_573
.LBB221_572:
	v_and_b32_e32 v3, 0xffff, v7
	v_lshlrev_b32_e32 v2, 24, v7
	v_and_b32_e32 v7, 7, v3
	v_ffbh_u32_e32 v9, v7
	v_min_u32_e32 v9, 32, v9
	v_subrev_u32_e32 v10, 28, v9
	v_bfe_u32 v8, v3, 3, 4
	v_lshlrev_b32_e32 v3, v10, v3
	v_sub_u32_e32 v9, 29, v9
	v_and_b32_e32 v3, 7, v3
	v_cmp_eq_u32_e32 vcc, 0, v8
	v_cndmask_b32_e32 v8, v8, v9, vcc
	v_cndmask_b32_e32 v3, v7, v3, vcc
	v_mov_b32_e32 v7, 0x3b800000
	v_lshlrev_b32_e32 v3, 20, v3
	v_and_b32_e32 v2, 0x80000000, v2
	v_lshl_add_u32 v7, v8, 23, v7
	v_or3_b32 v2, v2, v7, v3
	v_cvt_f64_f32_e32 v[2:3], v2
.LBB221_573:
	s_or_b64 exec, exec, s[6:7]
.LBB221_574:
	s_mov_b64 s[4:5], -1
.LBB221_575:
	s_mov_b64 s[6:7], 0
.LBB221_576:
	s_and_b64 vcc, exec, s[6:7]
	s_cbranch_vccz .LBB221_612
; %bb.577:
	v_cmp_lt_i16_e32 vcc, 22, v6
	s_cbranch_vccz .LBB221_587
; %bb.578:
	v_cmp_gt_i16_e32 vcc, 24, v6
	s_cbranch_vccnz .LBB221_590
; %bb.579:
	v_cmp_lt_i16_e32 vcc, 24, v6
	s_cbranch_vccz .LBB221_591
; %bb.580:
	global_load_ubyte v7, v[4:5], off
	s_movk_i32 s4, 0x7f
                                        ; implicit-def: $sgpr6_sgpr7
	s_waitcnt vmcnt(0)
	v_cmp_lt_i16_e32 vcc, s4, v7
	s_mov_b64 s[4:5], 0
	s_and_saveexec_b64 s[8:9], vcc
	s_xor_b64 s[8:9], exec, s[8:9]
	s_cbranch_execz .LBB221_603
; %bb.581:
	s_movk_i32 s4, 0x80
	v_cmp_eq_u16_e32 vcc, s4, v7
	s_mov_b64 s[10:11], -1
                                        ; implicit-def: $sgpr6_sgpr7
	s_and_saveexec_b64 s[4:5], vcc
; %bb.582:
	s_mov_b32 s7, 0x7ff80000
	s_brev_b32 s6, 4
	s_xor_b64 s[10:11], exec, -1
; %bb.583:
	s_or_b64 exec, exec, s[4:5]
	s_and_b64 s[4:5], s[10:11], exec
	s_or_saveexec_b64 s[8:9], s[8:9]
	v_pk_mov_b32 v[2:3], s[6:7], s[6:7] op_sel:[0,1]
	s_xor_b64 exec, exec, s[8:9]
	s_cbranch_execnz .LBB221_604
.LBB221_584:
	s_or_b64 exec, exec, s[8:9]
	s_and_saveexec_b64 s[6:7], s[4:5]
	s_cbranch_execz .LBB221_586
.LBB221_585:
	v_and_b32_e32 v3, 0xffff, v7
	v_lshlrev_b32_e32 v2, 24, v7
	v_and_b32_e32 v7, 3, v3
	v_ffbh_u32_e32 v9, v7
	v_min_u32_e32 v9, 32, v9
	v_subrev_u32_e32 v10, 29, v9
	v_bfe_u32 v8, v3, 2, 5
	v_lshlrev_b32_e32 v3, v10, v3
	v_sub_u32_e32 v9, 30, v9
	v_and_b32_e32 v3, 3, v3
	v_cmp_eq_u32_e32 vcc, 0, v8
	v_cndmask_b32_e32 v8, v8, v9, vcc
	v_cndmask_b32_e32 v3, v7, v3, vcc
	v_mov_b32_e32 v7, 0x37800000
	v_lshlrev_b32_e32 v3, 21, v3
	v_and_b32_e32 v2, 0x80000000, v2
	v_lshl_add_u32 v7, v8, 23, v7
	v_or3_b32 v2, v2, v7, v3
	v_cvt_f64_f32_e32 v[2:3], v2
.LBB221_586:
	s_or_b64 exec, exec, s[6:7]
	s_mov_b64 s[4:5], 0
	s_branch .LBB221_592
.LBB221_587:
	s_mov_b64 s[6:7], -1
                                        ; implicit-def: $vgpr2_vgpr3
	s_branch .LBB221_598
.LBB221_588:
	s_or_saveexec_b64 s[8:9], s[8:9]
	v_pk_mov_b32 v[2:3], s[6:7], s[6:7] op_sel:[0,1]
	s_xor_b64 exec, exec, s[8:9]
	s_cbranch_execz .LBB221_571
.LBB221_589:
	v_cmp_ne_u16_e32 vcc, 0, v7
	s_andn2_b64 s[4:5], s[4:5], exec
	s_and_b64 s[6:7], vcc, exec
	v_pk_mov_b32 v[2:3], 0, 0
	s_or_b64 s[4:5], s[4:5], s[6:7]
	s_or_b64 exec, exec, s[8:9]
	s_and_saveexec_b64 s[6:7], s[4:5]
	s_cbranch_execnz .LBB221_572
	s_branch .LBB221_573
.LBB221_590:
	s_mov_b64 s[4:5], -1
                                        ; implicit-def: $vgpr2_vgpr3
	s_branch .LBB221_595
.LBB221_591:
	s_mov_b64 s[4:5], -1
                                        ; implicit-def: $vgpr2_vgpr3
.LBB221_592:
	s_and_b64 vcc, exec, s[4:5]
	s_cbranch_vccz .LBB221_594
; %bb.593:
	global_load_ubyte v2, v[4:5], off
	s_mov_b32 s4, 0x7f800000
	s_waitcnt vmcnt(0)
	v_lshlrev_b32_e32 v2, 24, v2
	v_and_b32_e32 v3, 0x7f000000, v2
	v_ffbh_u32_e32 v7, v3
	v_min_u32_e32 v7, 32, v7
	v_sub_u32_e64 v7, v7, 4 clamp
	v_lshlrev_b32_e32 v9, v7, v3
	v_lshlrev_b32_e32 v7, 23, v7
	v_lshrrev_b32_e32 v9, 4, v9
	v_add_u32_e32 v8, 0x1000000, v3
	v_sub_u32_e32 v7, v9, v7
	v_ashrrev_i32_e32 v8, 8, v8
	v_add_u32_e32 v7, 0x3c000000, v7
	v_and_or_b32 v7, v8, s4, v7
	v_cmp_ne_u32_e32 vcc, 0, v3
	v_cndmask_b32_e32 v3, 0, v7, vcc
	s_brev_b32 s4, 1
	v_and_or_b32 v2, v2, s4, v3
	v_cvt_f64_f32_e32 v[2:3], v2
.LBB221_594:
	s_mov_b64 s[4:5], 0
.LBB221_595:
	s_andn2_b64 vcc, exec, s[4:5]
	s_cbranch_vccnz .LBB221_597
; %bb.596:
	global_load_ubyte v2, v[4:5], off
	s_movk_i32 s4, 0x7f00
	s_brev_b32 s5, 16
	s_waitcnt vmcnt(0)
	v_lshlrev_b16_e32 v3, 8, v2
	v_lshlrev_b32_e32 v2, 25, v2
	v_lshrrev_b32_e32 v7, 4, v2
	v_and_or_b32 v8, v3, s4, 0.5
	v_or_b32_e32 v7, 0x70000000, v7
	v_add_f32_e32 v8, -0.5, v8
	v_mul_f32_e32 v7, 0x7800000, v7
	v_cmp_gt_u32_e32 vcc, s5, v2
	v_bfe_i32 v3, v3, 0, 16
	v_cndmask_b32_e32 v2, v7, v8, vcc
	s_brev_b32 s4, 1
	v_and_or_b32 v2, v3, s4, v2
	v_cvt_f64_f32_e32 v[2:3], v2
.LBB221_597:
	s_mov_b64 s[6:7], 0
	s_mov_b64 s[4:5], -1
.LBB221_598:
	s_andn2_b64 vcc, exec, s[6:7]
	s_cbranch_vccnz .LBB221_610
; %bb.599:
	v_cmp_lt_i16_e32 vcc, 14, v6
	s_cbranch_vccz .LBB221_602
; %bb.600:
	v_cmp_eq_u16_e32 vcc, 15, v6
	s_cbranch_vccz .LBB221_605
; %bb.601:
	global_load_ushort v2, v[4:5], off
	s_mov_b64 s[6:7], 0
	v_writelane_b32 v78, s6, 24
	s_mov_b64 s[4:5], -1
	v_writelane_b32 v78, s7, 25
	s_waitcnt vmcnt(0)
	v_lshlrev_b32_e32 v2, 16, v2
	v_cvt_f64_f32_e32 v[2:3], v2
	s_branch .LBB221_606
.LBB221_602:
	s_mov_b64 s[6:7], -1
                                        ; implicit-def: $vgpr2_vgpr3
	s_branch .LBB221_607
.LBB221_603:
	s_or_saveexec_b64 s[8:9], s[8:9]
	v_pk_mov_b32 v[2:3], s[6:7], s[6:7] op_sel:[0,1]
	s_xor_b64 exec, exec, s[8:9]
	s_cbranch_execz .LBB221_584
.LBB221_604:
	v_cmp_ne_u16_e32 vcc, 0, v7
	s_andn2_b64 s[4:5], s[4:5], exec
	s_and_b64 s[6:7], vcc, exec
	v_pk_mov_b32 v[2:3], 0, 0
	s_or_b64 s[4:5], s[4:5], s[6:7]
	s_or_b64 exec, exec, s[8:9]
	s_and_saveexec_b64 s[6:7], s[4:5]
	s_cbranch_execnz .LBB221_585
	s_branch .LBB221_586
.LBB221_605:
	s_mov_b64 s[6:7], -1
	v_writelane_b32 v78, s6, 24
	v_writelane_b32 v78, s7, 25
                                        ; implicit-def: $vgpr2_vgpr3
.LBB221_606:
	s_mov_b64 s[6:7], 0
.LBB221_607:
	s_and_b64 vcc, exec, s[6:7]
	s_cbranch_vccz .LBB221_610
; %bb.608:
	v_cmp_eq_u16_e32 vcc, 11, v6
	s_cbranch_vccz .LBB221_622
; %bb.609:
	global_load_ubyte v3, v[4:5], off
	v_mov_b32_e32 v7, 0x3ff00000
	v_mov_b32_e32 v2, 0
	s_mov_b64 s[4:5], -1
	s_mov_b64 s[6:7], 0
	s_waitcnt vmcnt(0)
	v_cmp_ne_u16_e32 vcc, 0, v3
	v_cndmask_b32_e32 v3, 0, v7, vcc
	s_branch .LBB221_611
.LBB221_610:
	v_readlane_b32 s6, v78, 24
	v_readlane_b32 s7, v78, 25
.LBB221_611:
	v_writelane_b32 v78, s6, 24
	v_writelane_b32 v78, s7, 25
.LBB221_612:
	s_mov_b64 s[6:7], 0
.LBB221_613:
	s_and_b64 vcc, exec, s[6:7]
	s_cbranch_vccz .LBB221_663
; %bb.614:
	v_cmp_gt_i16_e32 vcc, 5, v6
	s_cbranch_vccnz .LBB221_619
; %bb.615:
	v_cmp_gt_i16_e32 vcc, 8, v6
	s_cbranch_vccnz .LBB221_620
	;; [unrolled: 3-line block ×3, first 2 shown]
; %bb.617:
	v_cmp_lt_i16_e32 vcc, 9, v6
	s_cbranch_vccz .LBB221_623
; %bb.618:
	global_load_dwordx2 v[2:3], v[4:5], off
	s_mov_b64 s[4:5], 0
	s_branch .LBB221_624
.LBB221_619:
	s_mov_b64 s[4:5], -1
                                        ; implicit-def: $vgpr2_vgpr3
	s_branch .LBB221_642
.LBB221_620:
	s_mov_b64 s[4:5], -1
                                        ; implicit-def: $vgpr2_vgpr3
	s_branch .LBB221_630
.LBB221_621:
	s_mov_b64 s[4:5], -1
                                        ; implicit-def: $vgpr2_vgpr3
	s_branch .LBB221_627
.LBB221_622:
	s_mov_b64 s[6:7], -1
                                        ; implicit-def: $vgpr2_vgpr3
	s_branch .LBB221_611
.LBB221_623:
	s_mov_b64 s[4:5], -1
                                        ; implicit-def: $vgpr2_vgpr3
.LBB221_624:
	s_andn2_b64 vcc, exec, s[4:5]
	s_cbranch_vccnz .LBB221_626
; %bb.625:
	global_load_dword v2, v[4:5], off
	s_waitcnt vmcnt(0)
	v_cvt_f64_f32_e32 v[2:3], v2
.LBB221_626:
	s_mov_b64 s[4:5], 0
.LBB221_627:
	s_andn2_b64 vcc, exec, s[4:5]
	s_cbranch_vccnz .LBB221_629
; %bb.628:
	global_load_dword v2, v[4:5], off
	s_waitcnt vmcnt(0)
	v_cvt_f32_f16_e32 v2, v2
	v_cvt_f64_f32_e32 v[2:3], v2
.LBB221_629:
	s_mov_b64 s[4:5], 0
.LBB221_630:
	s_andn2_b64 vcc, exec, s[4:5]
	s_cbranch_vccnz .LBB221_641
; %bb.631:
	v_cmp_gt_i16_e32 vcc, 6, v6
	s_cbranch_vccnz .LBB221_634
; %bb.632:
	v_cmp_lt_i16_e32 vcc, 6, v6
	s_cbranch_vccz .LBB221_635
; %bb.633:
	global_load_dwordx2 v[2:3], v[4:5], off
	s_mov_b64 s[4:5], 0
	s_branch .LBB221_636
.LBB221_634:
	s_mov_b64 s[4:5], -1
                                        ; implicit-def: $vgpr2_vgpr3
	s_branch .LBB221_639
.LBB221_635:
	s_mov_b64 s[4:5], -1
                                        ; implicit-def: $vgpr2_vgpr3
.LBB221_636:
	s_andn2_b64 vcc, exec, s[4:5]
	s_cbranch_vccnz .LBB221_638
; %bb.637:
	global_load_dword v2, v[4:5], off
	s_waitcnt vmcnt(0)
	v_cvt_f64_f32_e32 v[2:3], v2
.LBB221_638:
	s_mov_b64 s[4:5], 0
.LBB221_639:
	s_andn2_b64 vcc, exec, s[4:5]
	s_cbranch_vccnz .LBB221_641
; %bb.640:
	global_load_ushort v2, v[4:5], off
	s_waitcnt vmcnt(0)
	v_cvt_f32_f16_e32 v2, v2
	v_cvt_f64_f32_e32 v[2:3], v2
.LBB221_641:
	s_mov_b64 s[4:5], 0
.LBB221_642:
	s_andn2_b64 vcc, exec, s[4:5]
	s_cbranch_vccnz .LBB221_662
; %bb.643:
	v_cmp_gt_i16_e32 vcc, 2, v6
	s_cbranch_vccnz .LBB221_647
; %bb.644:
	v_cmp_gt_i16_e32 vcc, 3, v6
	s_cbranch_vccnz .LBB221_648
; %bb.645:
	v_cmp_lt_i16_e32 vcc, 3, v6
	s_cbranch_vccz .LBB221_649
; %bb.646:
	global_load_dwordx2 v[2:3], v[4:5], off
	s_mov_b64 s[4:5], 0
	s_waitcnt vmcnt(0)
	v_cvt_f64_i32_e32 v[8:9], v3
	v_cvt_f64_u32_e32 v[2:3], v2
	v_ldexp_f64 v[8:9], v[8:9], 32
	v_add_f64 v[2:3], v[8:9], v[2:3]
	s_branch .LBB221_650
.LBB221_647:
	s_mov_b64 s[4:5], -1
                                        ; implicit-def: $vgpr2_vgpr3
	s_branch .LBB221_656
.LBB221_648:
	s_mov_b64 s[4:5], -1
                                        ; implicit-def: $vgpr2_vgpr3
	s_branch .LBB221_653
.LBB221_649:
	s_mov_b64 s[4:5], -1
                                        ; implicit-def: $vgpr2_vgpr3
.LBB221_650:
	s_andn2_b64 vcc, exec, s[4:5]
	s_cbranch_vccnz .LBB221_652
; %bb.651:
	global_load_dword v2, v[4:5], off
	s_waitcnt vmcnt(0)
	v_cvt_f64_i32_e32 v[2:3], v2
.LBB221_652:
	s_mov_b64 s[4:5], 0
.LBB221_653:
	s_andn2_b64 vcc, exec, s[4:5]
	s_cbranch_vccnz .LBB221_655
; %bb.654:
	global_load_sshort v2, v[4:5], off
	s_waitcnt vmcnt(0)
	v_cvt_f64_i32_e32 v[2:3], v2
.LBB221_655:
	s_mov_b64 s[4:5], 0
.LBB221_656:
	s_andn2_b64 vcc, exec, s[4:5]
	s_cbranch_vccnz .LBB221_662
; %bb.657:
	v_cmp_lt_i16_e32 vcc, 0, v6
	s_cbranch_vccz .LBB221_659
; %bb.658:
	global_load_sbyte v2, v[4:5], off
	s_mov_b64 s[4:5], 0
	s_waitcnt vmcnt(0)
	v_cvt_f64_i32_e32 v[2:3], v2
	s_branch .LBB221_660
.LBB221_659:
	s_mov_b64 s[4:5], -1
                                        ; implicit-def: $vgpr2_vgpr3
.LBB221_660:
	s_andn2_b64 vcc, exec, s[4:5]
	s_cbranch_vccnz .LBB221_662
; %bb.661:
	global_load_ubyte v2, v[4:5], off
	s_waitcnt vmcnt(0)
	v_cvt_f64_u32_e32 v[2:3], v2
.LBB221_662:
	s_mov_b64 s[4:5], -1
.LBB221_663:
	s_andn2_b64 vcc, exec, s[4:5]
	s_cbranch_vccnz .LBB221_671
; %bb.664:
	v_mul_lo_u32 v4, v76, s47
	v_ashrrev_i32_e32 v5, 31, v4
	v_mov_b32_e32 v7, s43
	v_add_co_u32_e32 v6, vcc, s42, v4
	v_addc_co_u32_e32 v7, vcc, v7, v5, vcc
	v_cmp_gt_i16_e32 vcc, 11, v77
	s_cbranch_vccnz .LBB221_672
; %bb.665:
	v_cmp_lt_i16_e32 vcc, 25, v77
	s_cbranch_vccz .LBB221_673
; %bb.666:
	v_cmp_lt_i16_e32 vcc, 28, v77
	s_cbranch_vccz .LBB221_674
	;; [unrolled: 3-line block ×4, first 2 shown]
; %bb.669:
	v_cmp_eq_u16_e32 vcc, 46, v77
	s_mov_b64 s[6:7], 0
	s_cbranch_vccz .LBB221_791
; %bb.670:
	global_load_dword v4, v[6:7], off
	s_mov_b64 s[8:9], 0
	v_writelane_b32 v78, s8, 26
	s_mov_b64 s[4:5], -1
	v_writelane_b32 v78, s9, 27
	s_waitcnt vmcnt(0)
	v_lshlrev_b32_e32 v4, 16, v4
	v_cvt_f64_f32_e32 v[4:5], v4
	s_branch .LBB221_792
.LBB221_671:
	s_mov_b64 s[6:7], 0
	s_mov_b64 s[4:5], s[30:31]
	v_writelane_b32 v78, s34, 26
                                        ; implicit-def: $vgpr76
	v_writelane_b32 v78, s35, 27
	s_branch .LBB221_1033
.LBB221_672:
	v_writelane_b32 v78, s34, 26
	s_mov_b64 s[6:7], -1
	s_mov_b64 s[4:5], 0
                                        ; implicit-def: $vgpr4_vgpr5
	v_writelane_b32 v78, s35, 27
	s_branch .LBB221_859
.LBB221_673:
	s_mov_b64 s[6:7], -1
	s_mov_b64 s[4:5], 0
	v_writelane_b32 v78, s34, 26
                                        ; implicit-def: $vgpr4_vgpr5
	v_writelane_b32 v78, s35, 27
	s_branch .LBB221_823
.LBB221_674:
	s_mov_b64 s[6:7], -1
	s_mov_b64 s[4:5], 0
	v_writelane_b32 v78, s34, 26
                                        ; implicit-def: $vgpr4_vgpr5
	v_writelane_b32 v78, s35, 27
	s_branch .LBB221_804
.LBB221_675:
	s_mov_b64 s[6:7], -1
	s_mov_b64 s[4:5], 0
	v_writelane_b32 v78, s34, 26
                                        ; implicit-def: $vgpr4_vgpr5
	v_writelane_b32 v78, s35, 27
	s_branch .LBB221_799
.LBB221_676:
	s_mov_b64 s[8:9], -1
	s_mov_b64 s[4:5], 0
	s_mov_b64 s[6:7], 0
.LBB221_677:
	s_and_b64 vcc, exec, s[8:9]
	s_cbranch_vccz .LBB221_682
; %bb.678:
	v_mov_b32_e32 v2, 44
	v_cmp_eq_u16_sdwa s[8:9], v41, v2 src0_sel:BYTE_0 src1_sel:DWORD
	s_mov_b64 s[4:5], -1
	s_and_b64 vcc, exec, s[8:9]
	s_cbranch_vccz .LBB221_682
; %bb.679:
	v_cvt_f32_f64_e32 v2, v[0:1]
	v_bfe_u32 v3, v2, 23, 8
	s_movk_i32 s4, 0xff
	v_cmp_ne_u32_e32 vcc, s4, v3
	v_mov_b32_e32 v6, 0xff
	s_and_saveexec_b64 s[6:7], vcc
; %bb.680:
	s_mov_b32 s4, 0x3fffff
	v_lshrrev_b32_e32 v6, 23, v2
	v_and_b32_e32 v7, 0x400000, v2
	v_and_or_b32 v2, v2, s4, v3
	v_cmp_ne_u32_e32 vcc, 0, v7
	v_cmp_ne_u32_e64 s[4:5], 0, v2
	s_and_b64 s[4:5], vcc, s[4:5]
	v_cndmask_b32_e64 v2, 0, 1, s[4:5]
	v_add_u32_e32 v6, v6, v2
; %bb.681:
	s_or_b64 exec, exec, s[6:7]
	s_mov_b64 s[6:7], -1
	s_mov_b64 s[4:5], 0
	global_store_byte v[4:5], v6, off
.LBB221_682:
	s_mov_b64 s[8:9], 0
.LBB221_683:
	s_and_b64 vcc, exec, s[8:9]
	s_cbranch_vccz .LBB221_686
; %bb.684:
	v_mov_b32_e32 v2, 29
	v_cmp_eq_u16_sdwa s[8:9], v41, v2 src0_sel:BYTE_0 src1_sel:DWORD
	s_mov_b64 s[4:5], -1
	s_and_b64 vcc, exec, s[8:9]
	s_cbranch_vccz .LBB221_686
; %bb.685:
	v_trunc_f64_e32 v[2:3], v[0:1]
	s_movk_i32 s4, 0xffe0
	v_ldexp_f64 v[6:7], v[2:3], s4
	v_floor_f64_e32 v[6:7], v[6:7]
	v_fmac_f64_e32 v[2:3], 0xc1f00000, v[6:7]
	v_cvt_u32_f64_e32 v9, v[6:7]
	v_cvt_u32_f64_e32 v8, v[2:3]
	global_store_dwordx2 v[4:5], v[8:9], off
	s_mov_b64 s[6:7], -1
	s_mov_b64 s[4:5], 0
.LBB221_686:
	s_mov_b64 s[8:9], 0
.LBB221_687:
	s_and_b64 vcc, exec, s[8:9]
	s_cbranch_vccz .LBB221_703
; %bb.688:
	v_mov_b32_e32 v2, 27
	v_cmp_lt_i16_sdwa s[8:9], v41, v2 src0_sel:BYTE_0 src1_sel:DWORD
	s_mov_b64 s[6:7], -1
	s_and_b64 vcc, exec, s[8:9]
	s_cbranch_vccnz .LBB221_694
; %bb.689:
	v_cmp_gt_i16_sdwa s[8:9], v41, v2 src0_sel:BYTE_0 src1_sel:DWORD
	s_and_b64 vcc, exec, s[8:9]
	v_cvt_u32_f64_e32 v2, v[0:1]
	s_cbranch_vccz .LBB221_691
; %bb.690:
	s_mov_b64 s[6:7], 0
	global_store_dword v[4:5], v2, off
.LBB221_691:
	s_andn2_b64 vcc, exec, s[6:7]
	s_cbranch_vccnz .LBB221_693
; %bb.692:
	global_store_short v[4:5], v2, off
.LBB221_693:
	s_mov_b64 s[6:7], 0
.LBB221_694:
	s_andn2_b64 vcc, exec, s[6:7]
	s_cbranch_vccnz .LBB221_702
; %bb.695:
	v_cvt_f32_f64_e32 v2, v[0:1]
	v_and_b32_e32 v3, 0x7fffffff, v2
	s_mov_b32 s6, 0x43800000
	v_cmp_gt_u32_e32 vcc, s6, v3
	v_mov_b32_e32 v6, 0x80
	s_and_saveexec_b64 s[6:7], vcc
	s_cbranch_execz .LBB221_701
; %bb.696:
	s_mov_b32 s8, 0x3bffffff
	v_cmp_lt_u32_e32 vcc, s8, v3
	s_mov_b64 s[8:9], 0
                                        ; implicit-def: $vgpr3
	s_and_saveexec_b64 s[10:11], vcc
	s_xor_b64 s[10:11], exec, s[10:11]
	s_cbranch_execz .LBB221_789
; %bb.697:
	v_bfe_u32 v3, v2, 20, 1
	s_mov_b32 s12, 0x487ffff
	v_add3_u32 v3, v2, v3, s12
	s_mov_b64 s[8:9], exec
	v_lshrrev_b32_e32 v3, 20, v3
	s_or_saveexec_b64 s[10:11], s[10:11]
                                        ; implicit-def: $sgpr12
	s_xor_b64 exec, exec, s[10:11]
	s_cbranch_execnz .LBB221_790
.LBB221_698:
	s_or_b64 exec, exec, s[10:11]
	v_mov_b32_e32 v6, s12
	s_and_saveexec_b64 s[10:11], s[8:9]
.LBB221_699:
	v_lshrrev_b32_e32 v2, 24, v2
	s_movk_i32 s8, 0x80
	v_and_or_b32 v6, v2, s8, v3
.LBB221_700:
	s_or_b64 exec, exec, s[10:11]
.LBB221_701:
	s_or_b64 exec, exec, s[6:7]
	global_store_byte v[4:5], v6, off
.LBB221_702:
	s_mov_b64 s[6:7], -1
.LBB221_703:
	s_mov_b64 s[8:9], 0
.LBB221_704:
	s_and_b64 vcc, exec, s[8:9]
	s_cbranch_vccz .LBB221_745
; %bb.705:
	v_mov_b32_e32 v2, 22
	v_cmp_gt_i16_sdwa s[10:11], v41, v2 src0_sel:BYTE_0 src1_sel:DWORD
	s_mov_b64 s[8:9], -1
	s_and_b64 vcc, exec, s[10:11]
	s_cbranch_vccz .LBB221_737
; %bb.706:
	v_mov_b32_e32 v2, 24
	v_cmp_lt_i16_sdwa s[8:9], v41, v2 src0_sel:BYTE_0 src1_sel:DWORD
	s_mov_b64 s[6:7], -1
	s_and_b64 vcc, exec, s[8:9]
	s_cbranch_vccnz .LBB221_726
; %bb.707:
	v_cmp_gt_i16_sdwa s[8:9], v41, v2 src0_sel:BYTE_0 src1_sel:DWORD
	s_and_b64 vcc, exec, s[8:9]
	s_cbranch_vccz .LBB221_715
; %bb.708:
	v_cvt_f32_f64_e32 v2, v[0:1]
	v_and_b32_e32 v3, 0x7fffffff, v2
	s_mov_b32 s6, 0x47800000
	v_cmp_gt_u32_e32 vcc, s6, v3
	v_mov_b32_e32 v6, 0x80
	s_and_saveexec_b64 s[6:7], vcc
	s_cbranch_execz .LBB221_714
; %bb.709:
	s_mov_b32 s8, 0x37ffffff
	v_cmp_lt_u32_e32 vcc, s8, v3
	s_mov_b64 s[8:9], 0
                                        ; implicit-def: $vgpr3
	s_and_saveexec_b64 s[10:11], vcc
	s_xor_b64 s[10:11], exec, s[10:11]
	s_cbranch_execz .LBB221_795
; %bb.710:
	v_bfe_u32 v3, v2, 21, 1
	s_mov_b32 s12, 0x88fffff
	v_add3_u32 v3, v2, v3, s12
	s_mov_b64 s[8:9], exec
	v_lshrrev_b32_e32 v3, 21, v3
	s_or_saveexec_b64 s[10:11], s[10:11]
                                        ; implicit-def: $sgpr12
	s_xor_b64 exec, exec, s[10:11]
	s_cbranch_execnz .LBB221_796
.LBB221_711:
	s_or_b64 exec, exec, s[10:11]
	v_mov_b32_e32 v6, s12
	s_and_saveexec_b64 s[10:11], s[8:9]
.LBB221_712:
	v_lshrrev_b32_e32 v2, 24, v2
	s_movk_i32 s8, 0x80
	v_and_or_b32 v6, v2, s8, v3
.LBB221_713:
	s_or_b64 exec, exec, s[10:11]
.LBB221_714:
	s_or_b64 exec, exec, s[6:7]
	s_mov_b64 s[6:7], 0
	global_store_byte v[4:5], v6, off
.LBB221_715:
	s_and_b64 vcc, exec, s[6:7]
	s_cbranch_vccz .LBB221_725
; %bb.716:
	v_cvt_f32_f64_e32 v2, v[0:1]
	v_and_b32_e32 v6, 0x7fffffff, v2
	s_mov_b32 s6, 0x43f00000
	v_cmp_gt_u32_e32 vcc, s6, v6
                                        ; implicit-def: $vgpr3
	s_and_saveexec_b64 s[6:7], vcc
	s_xor_b64 s[6:7], exec, s[6:7]
	s_cbranch_execz .LBB221_722
; %bb.717:
	s_mov_b32 s8, 0x3c7fffff
	v_cmp_lt_u32_e32 vcc, s8, v6
                                        ; implicit-def: $vgpr3
	s_and_saveexec_b64 s[8:9], vcc
	s_xor_b64 s[8:9], exec, s[8:9]
; %bb.718:
	v_bfe_u32 v3, v2, 20, 1
	s_mov_b32 s10, 0x407ffff
	v_add3_u32 v3, v2, v3, s10
	v_lshrrev_b32_e32 v6, 20, v3
	v_and_b32_e32 v3, 0xff00000, v3
	s_mov_b32 s10, 0x7f00000
	v_mov_b32_e32 v7, 0x7e
	v_cmp_ne_u32_e32 vcc, s10, v3
	v_cndmask_b32_e32 v3, v7, v6, vcc
; %bb.719:
	s_andn2_saveexec_b64 s[8:9], s[8:9]
; %bb.720:
	s_mov_b32 s10, 0x46800000
	v_add_f32_e64 v3, |v2|, s10
; %bb.721:
	s_or_b64 exec, exec, s[8:9]
                                        ; implicit-def: $vgpr6
.LBB221_722:
	s_andn2_saveexec_b64 s[6:7], s[6:7]
; %bb.723:
	s_mov_b32 s8, 0x7f800000
	v_mov_b32_e32 v3, 0x7e
	v_mov_b32_e32 v7, 0x7f
	v_cmp_lt_u32_e32 vcc, s8, v6
	v_cndmask_b32_e32 v3, v3, v7, vcc
; %bb.724:
	s_or_b64 exec, exec, s[6:7]
	v_lshrrev_b32_e32 v2, 24, v2
	s_movk_i32 s6, 0x80
	v_and_or_b32 v2, v2, s6, v3
	global_store_byte v[4:5], v2, off
.LBB221_725:
	s_mov_b64 s[6:7], 0
.LBB221_726:
	s_andn2_b64 vcc, exec, s[6:7]
	s_cbranch_vccnz .LBB221_736
; %bb.727:
	v_cvt_f32_f64_e32 v2, v[0:1]
	v_and_b32_e32 v6, 0x7fffffff, v2
	s_mov_b32 s6, 0x47800000
	v_cmp_gt_u32_e32 vcc, s6, v6
                                        ; implicit-def: $vgpr3
	s_and_saveexec_b64 s[6:7], vcc
	s_xor_b64 s[6:7], exec, s[6:7]
	s_cbranch_execz .LBB221_733
; %bb.728:
	s_mov_b32 s8, 0x387fffff
	v_cmp_lt_u32_e32 vcc, s8, v6
                                        ; implicit-def: $vgpr3
	s_and_saveexec_b64 s[8:9], vcc
	s_xor_b64 s[8:9], exec, s[8:9]
; %bb.729:
	v_bfe_u32 v3, v2, 21, 1
	s_mov_b32 s10, 0x80fffff
	v_add3_u32 v3, v2, v3, s10
	v_lshrrev_b32_e32 v3, 21, v3
; %bb.730:
	s_andn2_saveexec_b64 s[8:9], s[8:9]
; %bb.731:
	s_mov_b32 s10, 0x43000000
	v_add_f32_e64 v3, |v2|, s10
; %bb.732:
	s_or_b64 exec, exec, s[8:9]
                                        ; implicit-def: $vgpr6
.LBB221_733:
	s_andn2_saveexec_b64 s[6:7], s[6:7]
; %bb.734:
	s_mov_b32 s8, 0x7f800000
	v_mov_b32_e32 v3, 0x7c
	v_mov_b32_e32 v7, 0x7f
	v_cmp_lt_u32_e32 vcc, s8, v6
	v_cndmask_b32_e32 v3, v3, v7, vcc
; %bb.735:
	s_or_b64 exec, exec, s[6:7]
	v_lshrrev_b32_e32 v2, 24, v2
	s_movk_i32 s6, 0x80
	v_and_or_b32 v2, v2, s6, v3
	global_store_byte v[4:5], v2, off
.LBB221_736:
	s_mov_b64 s[8:9], 0
	s_mov_b64 s[6:7], -1
.LBB221_737:
	s_andn2_b64 vcc, exec, s[8:9]
	s_cbranch_vccnz .LBB221_745
; %bb.738:
	v_mov_b32_e32 v2, 14
	v_cmp_gt_i16_sdwa s[10:11], v41, v2 src0_sel:BYTE_0 src1_sel:DWORD
	s_mov_b64 s[8:9], -1
	s_and_b64 vcc, exec, s[10:11]
	s_cbranch_vccz .LBB221_742
; %bb.739:
	v_mov_b32_e32 v2, 15
	v_cmp_eq_u16_sdwa s[8:9], v41, v2 src0_sel:BYTE_0 src1_sel:DWORD
	s_mov_b64 s[4:5], -1
	s_and_b64 vcc, exec, s[8:9]
	s_cbranch_vccz .LBB221_741
; %bb.740:
	v_cvt_f32_f64_e32 v2, v[0:1]
	v_bfe_u32 v3, v2, 16, 1
	s_movk_i32 s4, 0x7fff
	v_add3_u32 v3, v2, v3, s4
	v_lshrrev_b32_e32 v3, 16, v3
	v_mov_b32_e32 v6, 0x7fc0
	v_cmp_o_f32_e32 vcc, v2, v2
	v_cndmask_b32_e32 v2, v6, v3, vcc
	global_store_short v[4:5], v2, off
	s_mov_b64 s[6:7], -1
	s_mov_b64 s[4:5], 0
.LBB221_741:
	s_mov_b64 s[8:9], 0
.LBB221_742:
	s_and_b64 vcc, exec, s[8:9]
	s_cbranch_vccz .LBB221_745
; %bb.743:
	v_mov_b32_e32 v2, 11
	v_cmp_eq_u16_sdwa s[8:9], v41, v2 src0_sel:BYTE_0 src1_sel:DWORD
	s_mov_b64 s[4:5], -1
	s_and_b64 vcc, exec, s[8:9]
	s_cbranch_vccz .LBB221_745
; %bb.744:
	v_cmp_neq_f64_e32 vcc, 0, v[0:1]
	s_mov_b64 s[4:5], 0
	v_cndmask_b32_e64 v2, 0, 1, vcc
	s_mov_b64 s[6:7], -1
	global_store_byte v[4:5], v2, off
.LBB221_745:
	s_mov_b64 s[8:9], 0
.LBB221_746:
	s_and_b64 vcc, exec, s[8:9]
	s_cbranch_vccz .LBB221_785
; %bb.747:
	v_mov_b32_e32 v2, 5
	v_cmp_lt_i16_sdwa s[8:9], v41, v2 src0_sel:BYTE_0 src1_sel:DWORD
	s_mov_b64 s[6:7], -1
	s_and_b64 vcc, exec, s[8:9]
	s_cbranch_vccnz .LBB221_768
; %bb.748:
	v_mov_b32_e32 v2, 8
	v_cmp_lt_i16_sdwa s[8:9], v41, v2 src0_sel:BYTE_0 src1_sel:DWORD
	s_and_b64 vcc, exec, s[8:9]
	s_cbranch_vccnz .LBB221_758
; %bb.749:
	v_mov_b32_e32 v2, 9
	v_cmp_lt_i16_sdwa s[8:9], v41, v2 src0_sel:BYTE_0 src1_sel:DWORD
	s_and_b64 vcc, exec, s[8:9]
	s_cbranch_vccnz .LBB221_755
; %bb.750:
	v_cmp_gt_i16_sdwa s[8:9], v41, v2 src0_sel:BYTE_0 src1_sel:DWORD
	s_and_b64 vcc, exec, s[8:9]
	s_cbranch_vccz .LBB221_752
; %bb.751:
	v_mov_b32_e32 v2, 0
	v_mov_b32_e32 v3, v2
	global_store_dwordx4 v[4:5], v[0:3], off
	s_mov_b64 s[6:7], 0
.LBB221_752:
	s_andn2_b64 vcc, exec, s[6:7]
	s_cbranch_vccnz .LBB221_754
; %bb.753:
	v_cvt_f32_f64_e32 v2, v[0:1]
	v_mov_b32_e32 v3, 0
	global_store_dwordx2 v[4:5], v[2:3], off
.LBB221_754:
	s_mov_b64 s[6:7], 0
.LBB221_755:
	s_andn2_b64 vcc, exec, s[6:7]
	s_cbranch_vccnz .LBB221_757
; %bb.756:
	v_cvt_f32_f64_e32 v2, v[0:1]
	v_cvt_f16_f32_e32 v2, v2
	global_store_dword v[4:5], v2, off
.LBB221_757:
	s_mov_b64 s[6:7], 0
.LBB221_758:
	s_andn2_b64 vcc, exec, s[6:7]
	s_cbranch_vccnz .LBB221_767
; %bb.759:
	v_mov_b32_e32 v2, 6
	v_cmp_lt_i16_sdwa s[8:9], v41, v2 src0_sel:BYTE_0 src1_sel:DWORD
	s_mov_b64 s[6:7], -1
	s_and_b64 vcc, exec, s[8:9]
	s_cbranch_vccnz .LBB221_765
; %bb.760:
	v_cmp_gt_i16_sdwa s[8:9], v41, v2 src0_sel:BYTE_0 src1_sel:DWORD
	s_and_b64 vcc, exec, s[8:9]
	s_cbranch_vccz .LBB221_762
; %bb.761:
	global_store_dwordx2 v[4:5], v[0:1], off
	s_mov_b64 s[6:7], 0
.LBB221_762:
	s_andn2_b64 vcc, exec, s[6:7]
	s_cbranch_vccnz .LBB221_764
; %bb.763:
	v_cvt_f32_f64_e32 v2, v[0:1]
	global_store_dword v[4:5], v2, off
.LBB221_764:
	s_mov_b64 s[6:7], 0
.LBB221_765:
	s_andn2_b64 vcc, exec, s[6:7]
	s_cbranch_vccnz .LBB221_767
; %bb.766:
	v_cvt_f32_f64_e32 v2, v[0:1]
	v_cvt_f16_f32_e32 v2, v2
	global_store_short v[4:5], v2, off
.LBB221_767:
	s_mov_b64 s[6:7], 0
.LBB221_768:
	s_andn2_b64 vcc, exec, s[6:7]
	s_cbranch_vccnz .LBB221_784
; %bb.769:
	v_mov_b32_e32 v2, 2
	v_cmp_lt_i16_sdwa s[8:9], v41, v2 src0_sel:BYTE_0 src1_sel:DWORD
	s_mov_b64 s[6:7], -1
	s_and_b64 vcc, exec, s[8:9]
	s_cbranch_vccnz .LBB221_779
; %bb.770:
	v_mov_b32_e32 v2, 3
	v_cmp_lt_i16_sdwa s[8:9], v41, v2 src0_sel:BYTE_0 src1_sel:DWORD
	s_and_b64 vcc, exec, s[8:9]
	s_cbranch_vccnz .LBB221_776
; %bb.771:
	v_cmp_gt_i16_sdwa s[8:9], v41, v2 src0_sel:BYTE_0 src1_sel:DWORD
	s_and_b64 vcc, exec, s[8:9]
	s_cbranch_vccz .LBB221_773
; %bb.772:
	v_trunc_f64_e32 v[2:3], v[0:1]
	s_movk_i32 s6, 0xffe0
	v_ldexp_f64 v[6:7], v[2:3], s6
	v_floor_f64_e32 v[6:7], v[6:7]
	v_fmac_f64_e32 v[2:3], 0xc1f00000, v[6:7]
	v_cvt_i32_f64_e32 v9, v[6:7]
	v_cvt_u32_f64_e32 v8, v[2:3]
	global_store_dwordx2 v[4:5], v[8:9], off
	s_mov_b64 s[6:7], 0
.LBB221_773:
	s_andn2_b64 vcc, exec, s[6:7]
	s_cbranch_vccnz .LBB221_775
; %bb.774:
	v_cvt_i32_f64_e32 v2, v[0:1]
	global_store_dword v[4:5], v2, off
.LBB221_775:
	s_mov_b64 s[6:7], 0
.LBB221_776:
	s_andn2_b64 vcc, exec, s[6:7]
	s_cbranch_vccnz .LBB221_778
; %bb.777:
	v_cvt_i32_f64_e32 v2, v[0:1]
	global_store_short v[4:5], v2, off
.LBB221_778:
	s_mov_b64 s[6:7], 0
.LBB221_779:
	s_andn2_b64 vcc, exec, s[6:7]
	s_cbranch_vccnz .LBB221_784
; %bb.780:
	v_mov_b32_e32 v2, 0
	v_cmp_gt_i16_sdwa s[8:9], v41, v2 src0_sel:BYTE_0 src1_sel:DWORD
	s_mov_b64 s[6:7], -1
	s_and_b64 vcc, exec, s[8:9]
	s_cbranch_vccz .LBB221_782
; %bb.781:
	v_cvt_i32_f64_e32 v2, v[0:1]
	global_store_byte v[4:5], v2, off
	s_mov_b64 s[6:7], 0
.LBB221_782:
	s_andn2_b64 vcc, exec, s[6:7]
	s_cbranch_vccnz .LBB221_784
; %bb.783:
	v_trunc_f64_e32 v[0:1], v[0:1]
	s_movk_i32 s6, 0xffe0
	v_ldexp_f64 v[2:3], v[0:1], s6
	v_floor_f64_e32 v[2:3], v[2:3]
	v_fmac_f64_e32 v[0:1], 0xc1f00000, v[2:3]
	v_cvt_u32_f64_e32 v0, v[0:1]
	global_store_byte v[4:5], v0, off
.LBB221_784:
	s_mov_b64 s[6:7], -1
.LBB221_785:
	s_andn2_b64 vcc, exec, s[6:7]
	s_cbranch_vccnz .LBB221_787
; %bb.786:
	v_add_u32_e32 v76, 0x80, v76
	s_mov_b64 s[6:7], -1
	s_branch .LBB221_272
.LBB221_787:
	s_mov_b64 s[6:7], 0
                                        ; implicit-def: $vgpr76
	s_branch .LBB221_272
.LBB221_788:
	s_mov_b64 s[6:7], -1
	s_mov_b64 s[4:5], 0
	v_writelane_b32 v78, s34, 26
	v_writelane_b32 v78, s35, 27
                                        ; implicit-def: $vgpr4_vgpr5
	s_branch .LBB221_792
.LBB221_789:
	s_or_saveexec_b64 s[10:11], s[10:11]
                                        ; implicit-def: $sgpr12
	s_xor_b64 exec, exec, s[10:11]
	s_cbranch_execz .LBB221_698
.LBB221_790:
	s_mov_b32 s12, 0x46000000
	v_add_f32_e64 v3, |v2|, s12
	v_and_b32_e32 v3, 0xff, v3
	v_cmp_ne_u32_e32 vcc, 0, v3
	s_andn2_b64 s[8:9], s[8:9], exec
	s_and_b64 s[14:15], vcc, exec
	s_mov_b32 s12, 0
	s_or_b64 s[8:9], s[8:9], s[14:15]
	s_or_b64 exec, exec, s[10:11]
	v_mov_b32_e32 v6, s12
	s_and_saveexec_b64 s[10:11], s[8:9]
	s_cbranch_execnz .LBB221_699
	s_branch .LBB221_700
.LBB221_791:
	s_mov_b64 s[4:5], -1
	v_writelane_b32 v78, s4, 26
	v_writelane_b32 v78, s5, 27
                                        ; implicit-def: $vgpr4_vgpr5
	s_mov_b64 s[4:5], 0
.LBB221_792:
	s_and_b64 vcc, exec, s[6:7]
	s_cbranch_vccz .LBB221_798
; %bb.793:
	v_cmp_eq_u16_e32 vcc, 44, v77
	s_cbranch_vccz .LBB221_797
; %bb.794:
	global_load_ubyte v8, v[6:7], off
	s_movk_i32 s6, 0xff
	v_bfrev_b32_e32 v9, 4
	v_mov_b32_e32 v10, 0x7ff80000
	v_bfrev_b32_e32 v11, 28
	s_mov_b64 s[4:5], -1
	s_waitcnt vmcnt(0)
	v_lshlrev_b32_e32 v4, 23, v8
	v_cvt_f64_f32_e32 v[4:5], v4
	v_cmp_ne_u32_e32 vcc, s6, v8
	v_cndmask_b32_e32 v4, v9, v4, vcc
	v_cndmask_b32_e32 v5, v10, v5, vcc
	v_cmp_ne_u32_e32 vcc, 0, v8
	s_mov_b64 s[6:7], 0
	v_cndmask_b32_e32 v5, v11, v5, vcc
	v_cndmask_b32_e32 v4, 0, v4, vcc
	v_writelane_b32 v78, s6, 26
	v_writelane_b32 v78, s7, 27
	s_branch .LBB221_798
.LBB221_795:
	s_or_saveexec_b64 s[10:11], s[10:11]
                                        ; implicit-def: $sgpr12
	s_xor_b64 exec, exec, s[10:11]
	s_cbranch_execz .LBB221_711
.LBB221_796:
	s_mov_b32 s12, 0x42800000
	v_add_f32_e64 v3, |v2|, s12
	v_and_b32_e32 v3, 0xff, v3
	v_cmp_ne_u32_e32 vcc, 0, v3
	s_andn2_b64 s[8:9], s[8:9], exec
	s_and_b64 s[14:15], vcc, exec
	s_mov_b32 s12, 0
	s_or_b64 s[8:9], s[8:9], s[14:15]
	s_or_b64 exec, exec, s[10:11]
	v_mov_b32_e32 v6, s12
	s_and_saveexec_b64 s[10:11], s[8:9]
	s_cbranch_execnz .LBB221_712
	s_branch .LBB221_713
.LBB221_797:
	s_mov_b64 s[6:7], -1
	v_writelane_b32 v78, s6, 26
	v_writelane_b32 v78, s7, 27
                                        ; implicit-def: $vgpr4_vgpr5
.LBB221_798:
	s_mov_b64 s[6:7], 0
.LBB221_799:
	s_and_b64 vcc, exec, s[6:7]
	s_cbranch_vccz .LBB221_803
; %bb.800:
	v_cmp_eq_u16_e32 vcc, 29, v77
	s_cbranch_vccz .LBB221_802
; %bb.801:
	global_load_dwordx2 v[4:5], v[6:7], off
	s_mov_b64 s[6:7], 0
	v_writelane_b32 v78, s6, 26
	s_mov_b64 s[4:5], -1
	v_writelane_b32 v78, s7, 27
	s_mov_b64 s[6:7], 0
	s_waitcnt vmcnt(0)
	v_cvt_f64_u32_e32 v[8:9], v5
	v_cvt_f64_u32_e32 v[4:5], v4
	v_ldexp_f64 v[8:9], v[8:9], 32
	v_add_f64 v[4:5], v[8:9], v[4:5]
	s_branch .LBB221_804
.LBB221_802:
	s_mov_b64 s[6:7], -1
	v_writelane_b32 v78, s6, 26
	v_writelane_b32 v78, s7, 27
                                        ; implicit-def: $vgpr4_vgpr5
.LBB221_803:
	s_mov_b64 s[6:7], 0
.LBB221_804:
	s_and_b64 vcc, exec, s[6:7]
	s_cbranch_vccz .LBB221_822
; %bb.805:
	v_cmp_gt_i16_e32 vcc, 27, v77
	s_cbranch_vccnz .LBB221_808
; %bb.806:
	v_cmp_lt_i16_e32 vcc, 27, v77
	s_cbranch_vccz .LBB221_809
; %bb.807:
	global_load_dword v4, v[6:7], off
	s_mov_b64 s[4:5], 0
	s_waitcnt vmcnt(0)
	v_cvt_f64_u32_e32 v[4:5], v4
	s_branch .LBB221_810
.LBB221_808:
	s_mov_b64 s[4:5], -1
                                        ; implicit-def: $vgpr4_vgpr5
	s_branch .LBB221_813
.LBB221_809:
	s_mov_b64 s[4:5], -1
                                        ; implicit-def: $vgpr4_vgpr5
.LBB221_810:
	s_andn2_b64 vcc, exec, s[4:5]
	s_cbranch_vccnz .LBB221_812
; %bb.811:
	global_load_ushort v4, v[6:7], off
	s_waitcnt vmcnt(0)
	v_cvt_f64_u32_e32 v[4:5], v4
.LBB221_812:
	s_mov_b64 s[4:5], 0
.LBB221_813:
	s_andn2_b64 vcc, exec, s[4:5]
	s_cbranch_vccnz .LBB221_821
; %bb.814:
	global_load_ubyte v8, v[6:7], off
	s_movk_i32 s4, 0x7f
                                        ; implicit-def: $sgpr6_sgpr7
	s_waitcnt vmcnt(0)
	v_cmp_lt_i16_e32 vcc, s4, v8
	s_mov_b64 s[4:5], 0
	s_and_saveexec_b64 s[8:9], vcc
	s_xor_b64 s[8:9], exec, s[8:9]
	s_cbranch_execz .LBB221_835
; %bb.815:
	s_movk_i32 s4, 0x80
	v_cmp_eq_u16_e32 vcc, s4, v8
	s_mov_b64 s[10:11], -1
                                        ; implicit-def: $sgpr6_sgpr7
	s_and_saveexec_b64 s[4:5], vcc
; %bb.816:
	s_mov_b32 s7, 0x7ff80000
	s_brev_b32 s6, 4
	s_xor_b64 s[10:11], exec, -1
; %bb.817:
	s_or_b64 exec, exec, s[4:5]
	s_and_b64 s[4:5], s[10:11], exec
	s_or_saveexec_b64 s[8:9], s[8:9]
	v_pk_mov_b32 v[4:5], s[6:7], s[6:7] op_sel:[0,1]
	s_xor_b64 exec, exec, s[8:9]
	s_cbranch_execnz .LBB221_836
.LBB221_818:
	s_or_b64 exec, exec, s[8:9]
	s_and_saveexec_b64 s[6:7], s[4:5]
	s_cbranch_execz .LBB221_820
.LBB221_819:
	v_and_b32_e32 v5, 0xffff, v8
	v_lshlrev_b32_e32 v4, 24, v8
	v_and_b32_e32 v8, 7, v5
	v_ffbh_u32_e32 v10, v8
	v_min_u32_e32 v10, 32, v10
	v_subrev_u32_e32 v11, 28, v10
	v_bfe_u32 v9, v5, 3, 4
	v_lshlrev_b32_e32 v5, v11, v5
	v_sub_u32_e32 v10, 29, v10
	v_and_b32_e32 v5, 7, v5
	v_cmp_eq_u32_e32 vcc, 0, v9
	v_cndmask_b32_e32 v9, v9, v10, vcc
	v_cndmask_b32_e32 v5, v8, v5, vcc
	v_mov_b32_e32 v8, 0x3b800000
	v_lshlrev_b32_e32 v5, 20, v5
	v_and_b32_e32 v4, 0x80000000, v4
	v_lshl_add_u32 v8, v9, 23, v8
	v_or3_b32 v4, v4, v8, v5
	v_cvt_f64_f32_e32 v[4:5], v4
.LBB221_820:
	s_or_b64 exec, exec, s[6:7]
.LBB221_821:
	s_mov_b64 s[4:5], -1
.LBB221_822:
	s_mov_b64 s[6:7], 0
.LBB221_823:
	s_and_b64 vcc, exec, s[6:7]
	s_cbranch_vccz .LBB221_858
; %bb.824:
	v_cmp_lt_i16_e32 vcc, 22, v77
	s_cbranch_vccz .LBB221_834
; %bb.825:
	v_cmp_gt_i16_e32 vcc, 24, v77
	s_cbranch_vccnz .LBB221_837
; %bb.826:
	v_cmp_lt_i16_e32 vcc, 24, v77
	s_cbranch_vccz .LBB221_838
; %bb.827:
	global_load_ubyte v8, v[6:7], off
	s_movk_i32 s4, 0x7f
                                        ; implicit-def: $sgpr6_sgpr7
	s_waitcnt vmcnt(0)
	v_cmp_lt_i16_e32 vcc, s4, v8
	s_mov_b64 s[4:5], 0
	s_and_saveexec_b64 s[8:9], vcc
	s_xor_b64 s[8:9], exec, s[8:9]
	s_cbranch_execz .LBB221_850
; %bb.828:
	s_movk_i32 s4, 0x80
	v_cmp_eq_u16_e32 vcc, s4, v8
	s_mov_b64 s[10:11], -1
                                        ; implicit-def: $sgpr6_sgpr7
	s_and_saveexec_b64 s[4:5], vcc
; %bb.829:
	s_mov_b32 s7, 0x7ff80000
	s_brev_b32 s6, 4
	s_xor_b64 s[10:11], exec, -1
; %bb.830:
	s_or_b64 exec, exec, s[4:5]
	s_and_b64 s[4:5], s[10:11], exec
	s_or_saveexec_b64 s[8:9], s[8:9]
	v_pk_mov_b32 v[4:5], s[6:7], s[6:7] op_sel:[0,1]
	s_xor_b64 exec, exec, s[8:9]
	s_cbranch_execnz .LBB221_851
.LBB221_831:
	s_or_b64 exec, exec, s[8:9]
	s_and_saveexec_b64 s[6:7], s[4:5]
	s_cbranch_execz .LBB221_833
.LBB221_832:
	v_and_b32_e32 v5, 0xffff, v8
	v_lshlrev_b32_e32 v4, 24, v8
	v_and_b32_e32 v8, 3, v5
	v_ffbh_u32_e32 v10, v8
	v_min_u32_e32 v10, 32, v10
	v_subrev_u32_e32 v11, 29, v10
	v_bfe_u32 v9, v5, 2, 5
	v_lshlrev_b32_e32 v5, v11, v5
	v_sub_u32_e32 v10, 30, v10
	v_and_b32_e32 v5, 3, v5
	v_cmp_eq_u32_e32 vcc, 0, v9
	v_cndmask_b32_e32 v9, v9, v10, vcc
	v_cndmask_b32_e32 v5, v8, v5, vcc
	v_mov_b32_e32 v8, 0x37800000
	v_lshlrev_b32_e32 v5, 21, v5
	v_and_b32_e32 v4, 0x80000000, v4
	v_lshl_add_u32 v8, v9, 23, v8
	v_or3_b32 v4, v4, v8, v5
	v_cvt_f64_f32_e32 v[4:5], v4
.LBB221_833:
	s_or_b64 exec, exec, s[6:7]
	s_mov_b64 s[4:5], 0
	s_branch .LBB221_839
.LBB221_834:
	s_mov_b64 s[6:7], -1
                                        ; implicit-def: $vgpr4_vgpr5
	s_branch .LBB221_845
.LBB221_835:
	s_or_saveexec_b64 s[8:9], s[8:9]
	v_pk_mov_b32 v[4:5], s[6:7], s[6:7] op_sel:[0,1]
	s_xor_b64 exec, exec, s[8:9]
	s_cbranch_execz .LBB221_818
.LBB221_836:
	v_cmp_ne_u16_e32 vcc, 0, v8
	s_andn2_b64 s[4:5], s[4:5], exec
	s_and_b64 s[6:7], vcc, exec
	v_pk_mov_b32 v[4:5], 0, 0
	s_or_b64 s[4:5], s[4:5], s[6:7]
	s_or_b64 exec, exec, s[8:9]
	s_and_saveexec_b64 s[6:7], s[4:5]
	s_cbranch_execnz .LBB221_819
	s_branch .LBB221_820
.LBB221_837:
	s_mov_b64 s[4:5], -1
                                        ; implicit-def: $vgpr4_vgpr5
	s_branch .LBB221_842
.LBB221_838:
	s_mov_b64 s[4:5], -1
                                        ; implicit-def: $vgpr4_vgpr5
.LBB221_839:
	s_and_b64 vcc, exec, s[4:5]
	s_cbranch_vccz .LBB221_841
; %bb.840:
	global_load_ubyte v4, v[6:7], off
	s_mov_b32 s4, 0x7f800000
	s_waitcnt vmcnt(0)
	v_lshlrev_b32_e32 v4, 24, v4
	v_and_b32_e32 v5, 0x7f000000, v4
	v_ffbh_u32_e32 v8, v5
	v_min_u32_e32 v8, 32, v8
	v_sub_u32_e64 v8, v8, 4 clamp
	v_lshlrev_b32_e32 v10, v8, v5
	v_lshlrev_b32_e32 v8, 23, v8
	v_lshrrev_b32_e32 v10, 4, v10
	v_add_u32_e32 v9, 0x1000000, v5
	v_sub_u32_e32 v8, v10, v8
	v_ashrrev_i32_e32 v9, 8, v9
	v_add_u32_e32 v8, 0x3c000000, v8
	v_and_or_b32 v8, v9, s4, v8
	v_cmp_ne_u32_e32 vcc, 0, v5
	v_cndmask_b32_e32 v5, 0, v8, vcc
	s_brev_b32 s4, 1
	v_and_or_b32 v4, v4, s4, v5
	v_cvt_f64_f32_e32 v[4:5], v4
.LBB221_841:
	s_mov_b64 s[4:5], 0
.LBB221_842:
	s_andn2_b64 vcc, exec, s[4:5]
	s_cbranch_vccnz .LBB221_844
; %bb.843:
	global_load_ubyte v4, v[6:7], off
	s_movk_i32 s4, 0x7f00
	s_brev_b32 s5, 16
	s_waitcnt vmcnt(0)
	v_lshlrev_b16_e32 v5, 8, v4
	v_lshlrev_b32_e32 v4, 25, v4
	v_lshrrev_b32_e32 v8, 4, v4
	v_and_or_b32 v9, v5, s4, 0.5
	v_or_b32_e32 v8, 0x70000000, v8
	v_add_f32_e32 v9, -0.5, v9
	v_mul_f32_e32 v8, 0x7800000, v8
	v_cmp_gt_u32_e32 vcc, s5, v4
	v_bfe_i32 v5, v5, 0, 16
	v_cndmask_b32_e32 v4, v8, v9, vcc
	s_brev_b32 s4, 1
	v_and_or_b32 v4, v5, s4, v4
	v_cvt_f64_f32_e32 v[4:5], v4
.LBB221_844:
	s_mov_b64 s[6:7], 0
	s_mov_b64 s[4:5], -1
.LBB221_845:
	s_andn2_b64 vcc, exec, s[6:7]
	s_cbranch_vccnz .LBB221_858
; %bb.846:
	v_cmp_lt_i16_e32 vcc, 14, v77
	s_cbranch_vccz .LBB221_849
; %bb.847:
	v_cmp_eq_u16_e32 vcc, 15, v77
	s_cbranch_vccz .LBB221_852
; %bb.848:
	global_load_ushort v4, v[6:7], off
	s_mov_b64 s[6:7], 0
	v_writelane_b32 v78, s6, 26
	s_mov_b64 s[4:5], -1
	v_writelane_b32 v78, s7, 27
	s_waitcnt vmcnt(0)
	v_lshlrev_b32_e32 v4, 16, v4
	v_cvt_f64_f32_e32 v[4:5], v4
	s_branch .LBB221_853
.LBB221_849:
	s_mov_b64 s[6:7], -1
                                        ; implicit-def: $vgpr4_vgpr5
	s_branch .LBB221_854
.LBB221_850:
	s_or_saveexec_b64 s[8:9], s[8:9]
	v_pk_mov_b32 v[4:5], s[6:7], s[6:7] op_sel:[0,1]
	s_xor_b64 exec, exec, s[8:9]
	s_cbranch_execz .LBB221_831
.LBB221_851:
	v_cmp_ne_u16_e32 vcc, 0, v8
	s_andn2_b64 s[4:5], s[4:5], exec
	s_and_b64 s[6:7], vcc, exec
	v_pk_mov_b32 v[4:5], 0, 0
	s_or_b64 s[4:5], s[4:5], s[6:7]
	s_or_b64 exec, exec, s[8:9]
	s_and_saveexec_b64 s[6:7], s[4:5]
	s_cbranch_execnz .LBB221_832
	s_branch .LBB221_833
.LBB221_852:
	s_mov_b64 s[6:7], -1
	v_writelane_b32 v78, s6, 26
	v_writelane_b32 v78, s7, 27
                                        ; implicit-def: $vgpr4_vgpr5
.LBB221_853:
	s_mov_b64 s[6:7], 0
.LBB221_854:
	s_and_b64 vcc, exec, s[6:7]
	s_cbranch_vccz .LBB221_858
; %bb.855:
	v_cmp_eq_u16_e32 vcc, 11, v77
	s_cbranch_vccz .LBB221_857
; %bb.856:
	global_load_ubyte v5, v[6:7], off
	v_mov_b32_e32 v8, 0x3ff00000
	s_mov_b64 s[6:7], 0
	v_mov_b32_e32 v4, 0
	s_mov_b64 s[4:5], -1
	v_writelane_b32 v78, s6, 26
	v_writelane_b32 v78, s7, 27
	s_waitcnt vmcnt(0)
	v_cmp_ne_u16_e32 vcc, 0, v5
	v_cndmask_b32_e32 v5, 0, v8, vcc
	s_branch .LBB221_858
.LBB221_857:
	s_mov_b64 s[6:7], -1
	v_writelane_b32 v78, s6, 26
	v_writelane_b32 v78, s7, 27
                                        ; implicit-def: $vgpr4_vgpr5
.LBB221_858:
	s_mov_b64 s[6:7], 0
.LBB221_859:
	s_and_b64 vcc, exec, s[6:7]
	s_cbranch_vccz .LBB221_908
; %bb.860:
	v_cmp_gt_i16_e32 vcc, 5, v77
	s_cbranch_vccnz .LBB221_865
; %bb.861:
	v_cmp_gt_i16_e32 vcc, 8, v77
	s_cbranch_vccnz .LBB221_866
; %bb.862:
	v_cmp_gt_i16_e32 vcc, 9, v77
	s_cbranch_vccnz .LBB221_867
; %bb.863:
	v_cmp_lt_i16_e32 vcc, 9, v77
	s_cbranch_vccz .LBB221_868
; %bb.864:
	global_load_dwordx2 v[4:5], v[6:7], off
	s_mov_b64 s[4:5], 0
	s_branch .LBB221_869
.LBB221_865:
	s_mov_b64 s[4:5], -1
                                        ; implicit-def: $vgpr4_vgpr5
	s_branch .LBB221_887
.LBB221_866:
	s_mov_b64 s[4:5], -1
                                        ; implicit-def: $vgpr4_vgpr5
	s_branch .LBB221_875
.LBB221_867:
	s_mov_b64 s[4:5], -1
                                        ; implicit-def: $vgpr4_vgpr5
	s_branch .LBB221_872
.LBB221_868:
	s_mov_b64 s[4:5], -1
                                        ; implicit-def: $vgpr4_vgpr5
.LBB221_869:
	s_andn2_b64 vcc, exec, s[4:5]
	s_cbranch_vccnz .LBB221_871
; %bb.870:
	global_load_dword v4, v[6:7], off
	s_waitcnt vmcnt(0)
	v_cvt_f64_f32_e32 v[4:5], v4
.LBB221_871:
	s_mov_b64 s[4:5], 0
.LBB221_872:
	s_andn2_b64 vcc, exec, s[4:5]
	s_cbranch_vccnz .LBB221_874
; %bb.873:
	global_load_dword v4, v[6:7], off
	s_waitcnt vmcnt(0)
	v_cvt_f32_f16_e32 v4, v4
	v_cvt_f64_f32_e32 v[4:5], v4
.LBB221_874:
	s_mov_b64 s[4:5], 0
.LBB221_875:
	s_andn2_b64 vcc, exec, s[4:5]
	s_cbranch_vccnz .LBB221_886
; %bb.876:
	v_cmp_gt_i16_e32 vcc, 6, v77
	s_cbranch_vccnz .LBB221_879
; %bb.877:
	v_cmp_lt_i16_e32 vcc, 6, v77
	s_cbranch_vccz .LBB221_880
; %bb.878:
	global_load_dwordx2 v[4:5], v[6:7], off
	s_mov_b64 s[4:5], 0
	s_branch .LBB221_881
.LBB221_879:
	s_mov_b64 s[4:5], -1
                                        ; implicit-def: $vgpr4_vgpr5
	s_branch .LBB221_884
.LBB221_880:
	s_mov_b64 s[4:5], -1
                                        ; implicit-def: $vgpr4_vgpr5
.LBB221_881:
	s_andn2_b64 vcc, exec, s[4:5]
	s_cbranch_vccnz .LBB221_883
; %bb.882:
	global_load_dword v4, v[6:7], off
	s_waitcnt vmcnt(0)
	v_cvt_f64_f32_e32 v[4:5], v4
.LBB221_883:
	s_mov_b64 s[4:5], 0
.LBB221_884:
	s_andn2_b64 vcc, exec, s[4:5]
	s_cbranch_vccnz .LBB221_886
; %bb.885:
	global_load_ushort v4, v[6:7], off
	s_waitcnt vmcnt(0)
	v_cvt_f32_f16_e32 v4, v4
	v_cvt_f64_f32_e32 v[4:5], v4
.LBB221_886:
	s_mov_b64 s[4:5], 0
.LBB221_887:
	s_andn2_b64 vcc, exec, s[4:5]
	s_cbranch_vccnz .LBB221_907
; %bb.888:
	v_cmp_gt_i16_e32 vcc, 2, v77
	s_cbranch_vccnz .LBB221_892
; %bb.889:
	v_cmp_gt_i16_e32 vcc, 3, v77
	s_cbranch_vccnz .LBB221_893
; %bb.890:
	v_cmp_lt_i16_e32 vcc, 3, v77
	s_cbranch_vccz .LBB221_894
; %bb.891:
	global_load_dwordx2 v[4:5], v[6:7], off
	s_mov_b64 s[4:5], 0
	s_waitcnt vmcnt(0)
	v_cvt_f64_i32_e32 v[8:9], v5
	v_cvt_f64_u32_e32 v[4:5], v4
	v_ldexp_f64 v[8:9], v[8:9], 32
	v_add_f64 v[4:5], v[8:9], v[4:5]
	s_branch .LBB221_895
.LBB221_892:
	s_mov_b64 s[4:5], -1
                                        ; implicit-def: $vgpr4_vgpr5
	s_branch .LBB221_901
.LBB221_893:
	s_mov_b64 s[4:5], -1
                                        ; implicit-def: $vgpr4_vgpr5
	s_branch .LBB221_898
.LBB221_894:
	s_mov_b64 s[4:5], -1
                                        ; implicit-def: $vgpr4_vgpr5
.LBB221_895:
	s_andn2_b64 vcc, exec, s[4:5]
	s_cbranch_vccnz .LBB221_897
; %bb.896:
	global_load_dword v4, v[6:7], off
	s_waitcnt vmcnt(0)
	v_cvt_f64_i32_e32 v[4:5], v4
.LBB221_897:
	s_mov_b64 s[4:5], 0
.LBB221_898:
	s_andn2_b64 vcc, exec, s[4:5]
	s_cbranch_vccnz .LBB221_900
; %bb.899:
	global_load_sshort v4, v[6:7], off
	s_waitcnt vmcnt(0)
	v_cvt_f64_i32_e32 v[4:5], v4
.LBB221_900:
	s_mov_b64 s[4:5], 0
.LBB221_901:
	s_andn2_b64 vcc, exec, s[4:5]
	s_cbranch_vccnz .LBB221_907
; %bb.902:
	v_cmp_lt_i16_e32 vcc, 0, v77
	s_cbranch_vccz .LBB221_904
; %bb.903:
	global_load_sbyte v4, v[6:7], off
	s_mov_b64 s[4:5], 0
	s_waitcnt vmcnt(0)
	v_cvt_f64_i32_e32 v[4:5], v4
	s_branch .LBB221_905
.LBB221_904:
	s_mov_b64 s[4:5], -1
                                        ; implicit-def: $vgpr4_vgpr5
.LBB221_905:
	s_andn2_b64 vcc, exec, s[4:5]
	s_cbranch_vccnz .LBB221_907
; %bb.906:
	global_load_ubyte v4, v[6:7], off
	s_waitcnt vmcnt(0)
	v_cvt_f64_u32_e32 v[4:5], v4
.LBB221_907:
	s_mov_b64 s[4:5], -1
.LBB221_908:
	s_andn2_b64 vcc, exec, s[4:5]
	s_cbranch_vccnz .LBB221_916
; %bb.909:
	v_writelane_b32 v78, s48, 28
	v_writelane_b32 v78, s49, 29
	v_readlane_b32 s4, v78, 0
	v_readlane_b32 s5, v78, 1
	v_writelane_b32 v78, s36, 4
	v_writelane_b32 v78, s37, 5
	;; [unrolled: 1-line block ×7, first 2 shown]
	s_mov_b64 s[90:91], s[46:47]
	s_mov_b64 s[96:97], s[34:35]
	;; [unrolled: 1-line block ×3, first 2 shown]
	s_getpc_b64 s[4:5]
	s_add_u32 s4, s4, _ZZZZN2at6native28launch_dirichlet_grad_kernelERNS_18TensorIteratorBaseEENKUlvE_clEvENKUlvE_clEvENKUldddE_clEddd@rel32@lo+4
	s_addc_u32 s5, s5, _ZZZZN2at6native28launch_dirichlet_grad_kernelERNS_18TensorIteratorBaseEENKUlvE_clEvENKUlvE_clEvENKUldddE_clEddd@rel32@hi+12
	v_writelane_b32 v78, s43, 11
	s_mov_b64 s[88:89], s[44:45]
	s_swappc_b64 s[30:31], s[4:5]
	s_mov_b64 s[44:45], s[88:89]
	v_readlane_b32 s36, v78, 4
	v_readlane_b32 s37, v78, 5
	v_mul_lo_u32 v2, v76, s44
	v_ashrrev_i32_e32 v3, 31, v2
	v_mov_b32_e32 v5, s37
	v_add_co_u32_e32 v4, vcc, s36, v2
	v_mov_b32_e32 v2, 11
	v_addc_co_u32_e32 v5, vcc, v5, v3, vcc
	v_cmp_lt_i16_sdwa s[4:5], v41, v2 src0_sel:BYTE_0 src1_sel:DWORD
	s_mov_b64 s[46:47], s[90:91]
	v_readlane_b32 s38, v78, 6
	v_readlane_b32 s39, v78, 7
	;; [unrolled: 1-line block ×6, first 2 shown]
	s_and_b64 vcc, exec, s[4:5]
	s_cbranch_vccnz .LBB221_917
; %bb.910:
	v_mov_b32_e32 v2, 25
	v_cmp_gt_i16_sdwa s[4:5], v41, v2 src0_sel:BYTE_0 src1_sel:DWORD
	s_and_b64 vcc, exec, s[4:5]
	s_mov_b64 s[30:31], s[92:93]
	s_cbranch_vccz .LBB221_918
; %bb.911:
	v_mov_b32_e32 v2, 28
	v_cmp_gt_i16_sdwa s[4:5], v41, v2 src0_sel:BYTE_0 src1_sel:DWORD
	v_readlane_b32 s48, v78, 28
	s_and_b64 vcc, exec, s[4:5]
	s_mov_b64 s[34:35], s[96:97]
	v_readlane_b32 s49, v78, 29
	s_cbranch_vccz .LBB221_919
; %bb.912:
	v_mov_b32_e32 v2, 43
	v_cmp_gt_i16_sdwa s[4:5], v41, v2 src0_sel:BYTE_0 src1_sel:DWORD
	s_and_b64 vcc, exec, s[4:5]
	s_mov_b64 s[50:51], 0
	s_cbranch_vccz .LBB221_920
; %bb.913:
	v_mov_b32_e32 v2, 45
	v_cmp_gt_i16_sdwa s[4:5], v41, v2 src0_sel:BYTE_0 src1_sel:DWORD
	s_and_b64 vcc, exec, s[4:5]
	s_cbranch_vccz .LBB221_921
; %bb.914:
	v_mov_b32_e32 v2, 46
	v_cmp_eq_u16_sdwa s[6:7], v41, v2 src0_sel:BYTE_0 src1_sel:DWORD
	s_mov_b64 s[8:9], 0
	s_mov_b64 s[4:5], -1
	s_and_b64 vcc, exec, s[6:7]
	s_mov_b64 s[6:7], 0
	s_cbranch_vccz .LBB221_922
; %bb.915:
	v_cvt_f32_f64_e32 v2, v[0:1]
	v_bfe_u32 v3, v2, 16, 1
	s_movk_i32 s4, 0x7fff
	v_add3_u32 v3, v2, v3, s4
	v_lshrrev_b32_e32 v3, 16, v3
	v_mov_b32_e32 v6, 0x7fc0
	v_cmp_o_f32_e32 vcc, v2, v2
	v_cndmask_b32_e32 v2, v6, v3, vcc
	global_store_dword v[4:5], v2, off
	s_mov_b64 s[6:7], -1
	s_mov_b64 s[4:5], 0
	s_branch .LBB221_922
.LBB221_916:
	s_mov_b64 s[6:7], 0
                                        ; implicit-def: $vgpr76
	s_mov_b64 s[4:5], s[30:31]
	s_branch .LBB221_1033
.LBB221_917:
	v_readlane_b32 s48, v78, 28
	s_mov_b64 s[8:9], -1
	s_mov_b64 s[6:7], 0
	s_mov_b64 s[30:31], s[92:93]
	;; [unrolled: 1-line block ×5, first 2 shown]
	v_readlane_b32 s49, v78, 29
	s_branch .LBB221_991
.LBB221_918:
	v_readlane_b32 s48, v78, 28
	s_mov_b64 s[8:9], -1
	s_mov_b64 s[6:7], 0
	s_mov_b64 s[4:5], s[30:31]
	;; [unrolled: 1-line block ×4, first 2 shown]
	v_readlane_b32 s49, v78, 29
	s_branch .LBB221_949
.LBB221_919:
	s_mov_b64 s[8:9], -1
	s_mov_b64 s[6:7], 0
	s_mov_b64 s[4:5], s[30:31]
	;; [unrolled: 1-line block ×3, first 2 shown]
	s_branch .LBB221_932
.LBB221_920:
	s_mov_b64 s[8:9], -1
	s_mov_b64 s[6:7], 0
	s_mov_b64 s[4:5], s[30:31]
	s_branch .LBB221_928
.LBB221_921:
	s_mov_b64 s[8:9], -1
	s_mov_b64 s[6:7], 0
	s_mov_b64 s[4:5], s[30:31]
.LBB221_922:
	s_and_b64 vcc, exec, s[8:9]
	s_cbranch_vccz .LBB221_927
; %bb.923:
	v_mov_b32_e32 v2, 44
	v_cmp_eq_u16_sdwa s[8:9], v41, v2 src0_sel:BYTE_0 src1_sel:DWORD
	s_mov_b64 s[4:5], -1
	s_and_b64 vcc, exec, s[8:9]
	s_cbranch_vccz .LBB221_927
; %bb.924:
	v_cvt_f32_f64_e32 v2, v[0:1]
	v_bfe_u32 v3, v2, 23, 8
	s_movk_i32 s4, 0xff
	v_cmp_ne_u32_e32 vcc, s4, v3
	v_mov_b32_e32 v6, 0xff
	s_and_saveexec_b64 s[6:7], vcc
; %bb.925:
	s_mov_b32 s4, 0x3fffff
	v_lshrrev_b32_e32 v6, 23, v2
	v_and_b32_e32 v7, 0x400000, v2
	v_and_or_b32 v2, v2, s4, v3
	v_cmp_ne_u32_e32 vcc, 0, v7
	v_cmp_ne_u32_e64 s[4:5], 0, v2
	s_and_b64 s[4:5], vcc, s[4:5]
	v_cndmask_b32_e64 v2, 0, 1, s[4:5]
	v_add_u32_e32 v6, v6, v2
; %bb.926:
	s_or_b64 exec, exec, s[6:7]
	s_mov_b64 s[6:7], -1
	s_mov_b64 s[4:5], 0
	global_store_byte v[4:5], v6, off
.LBB221_927:
	s_mov_b64 s[8:9], 0
.LBB221_928:
	s_and_b64 vcc, exec, s[8:9]
	s_cbranch_vccz .LBB221_931
; %bb.929:
	v_mov_b32_e32 v2, 29
	v_cmp_eq_u16_sdwa s[8:9], v41, v2 src0_sel:BYTE_0 src1_sel:DWORD
	s_mov_b64 s[4:5], -1
	s_and_b64 vcc, exec, s[8:9]
	s_cbranch_vccz .LBB221_931
; %bb.930:
	v_trunc_f64_e32 v[2:3], v[0:1]
	s_movk_i32 s4, 0xffe0
	v_ldexp_f64 v[6:7], v[2:3], s4
	v_floor_f64_e32 v[6:7], v[6:7]
	v_fmac_f64_e32 v[2:3], 0xc1f00000, v[6:7]
	v_cvt_u32_f64_e32 v9, v[6:7]
	v_cvt_u32_f64_e32 v8, v[2:3]
	global_store_dwordx2 v[4:5], v[8:9], off
	s_mov_b64 s[6:7], -1
	s_mov_b64 s[4:5], 0
.LBB221_931:
	s_mov_b64 s[8:9], 0
.LBB221_932:
	s_and_b64 vcc, exec, s[8:9]
	s_cbranch_vccz .LBB221_948
; %bb.933:
	v_mov_b32_e32 v2, 27
	v_cmp_lt_i16_sdwa s[8:9], v41, v2 src0_sel:BYTE_0 src1_sel:DWORD
	s_mov_b64 s[6:7], -1
	s_and_b64 vcc, exec, s[8:9]
	s_cbranch_vccnz .LBB221_939
; %bb.934:
	v_cmp_gt_i16_sdwa s[8:9], v41, v2 src0_sel:BYTE_0 src1_sel:DWORD
	s_and_b64 vcc, exec, s[8:9]
	v_cvt_u32_f64_e32 v2, v[0:1]
	s_cbranch_vccz .LBB221_936
; %bb.935:
	s_mov_b64 s[6:7], 0
	global_store_dword v[4:5], v2, off
.LBB221_936:
	s_andn2_b64 vcc, exec, s[6:7]
	s_cbranch_vccnz .LBB221_938
; %bb.937:
	global_store_short v[4:5], v2, off
.LBB221_938:
	s_mov_b64 s[6:7], 0
.LBB221_939:
	s_andn2_b64 vcc, exec, s[6:7]
	s_cbranch_vccnz .LBB221_947
; %bb.940:
	v_cvt_f32_f64_e32 v2, v[0:1]
	v_and_b32_e32 v3, 0x7fffffff, v2
	s_mov_b32 s6, 0x43800000
	v_cmp_gt_u32_e32 vcc, s6, v3
	v_mov_b32_e32 v6, 0x80
	s_and_saveexec_b64 s[6:7], vcc
	s_cbranch_execz .LBB221_946
; %bb.941:
	s_mov_b32 s8, 0x3bffffff
	v_cmp_lt_u32_e32 vcc, s8, v3
	s_mov_b64 s[8:9], 0
                                        ; implicit-def: $vgpr3
	s_and_saveexec_b64 s[10:11], vcc
	s_xor_b64 s[10:11], exec, s[10:11]
	s_cbranch_execz .LBB221_1178
; %bb.942:
	v_bfe_u32 v3, v2, 20, 1
	s_mov_b32 s12, 0x487ffff
	v_add3_u32 v3, v2, v3, s12
	s_mov_b64 s[8:9], exec
	v_lshrrev_b32_e32 v3, 20, v3
	s_or_saveexec_b64 s[10:11], s[10:11]
                                        ; implicit-def: $sgpr12
	s_xor_b64 exec, exec, s[10:11]
	s_cbranch_execnz .LBB221_1179
.LBB221_943:
	s_or_b64 exec, exec, s[10:11]
	v_mov_b32_e32 v6, s12
	s_and_saveexec_b64 s[10:11], s[8:9]
.LBB221_944:
	v_lshrrev_b32_e32 v2, 24, v2
	s_movk_i32 s8, 0x80
	v_and_or_b32 v6, v2, s8, v3
.LBB221_945:
	s_or_b64 exec, exec, s[10:11]
.LBB221_946:
	s_or_b64 exec, exec, s[6:7]
	global_store_byte v[4:5], v6, off
.LBB221_947:
	s_mov_b64 s[6:7], -1
.LBB221_948:
	s_mov_b64 s[8:9], 0
.LBB221_949:
	s_and_b64 vcc, exec, s[8:9]
	s_cbranch_vccz .LBB221_990
; %bb.950:
	v_mov_b32_e32 v2, 22
	v_cmp_gt_i16_sdwa s[10:11], v41, v2 src0_sel:BYTE_0 src1_sel:DWORD
	s_mov_b64 s[8:9], -1
	s_and_b64 vcc, exec, s[10:11]
	s_cbranch_vccz .LBB221_982
; %bb.951:
	v_mov_b32_e32 v2, 24
	v_cmp_lt_i16_sdwa s[8:9], v41, v2 src0_sel:BYTE_0 src1_sel:DWORD
	s_mov_b64 s[6:7], -1
	s_and_b64 vcc, exec, s[8:9]
	s_cbranch_vccnz .LBB221_971
; %bb.952:
	v_cmp_gt_i16_sdwa s[8:9], v41, v2 src0_sel:BYTE_0 src1_sel:DWORD
	s_and_b64 vcc, exec, s[8:9]
	s_cbranch_vccz .LBB221_960
; %bb.953:
	v_cvt_f32_f64_e32 v2, v[0:1]
	v_and_b32_e32 v3, 0x7fffffff, v2
	s_mov_b32 s6, 0x47800000
	v_cmp_gt_u32_e32 vcc, s6, v3
	v_mov_b32_e32 v6, 0x80
	s_and_saveexec_b64 s[6:7], vcc
	s_cbranch_execz .LBB221_959
; %bb.954:
	s_mov_b32 s8, 0x37ffffff
	v_cmp_lt_u32_e32 vcc, s8, v3
	s_mov_b64 s[8:9], 0
                                        ; implicit-def: $vgpr3
	s_and_saveexec_b64 s[10:11], vcc
	s_xor_b64 s[10:11], exec, s[10:11]
	s_cbranch_execz .LBB221_1313
; %bb.955:
	v_bfe_u32 v3, v2, 21, 1
	s_mov_b32 s12, 0x88fffff
	v_add3_u32 v3, v2, v3, s12
	s_mov_b64 s[8:9], exec
	v_lshrrev_b32_e32 v3, 21, v3
	s_or_saveexec_b64 s[10:11], s[10:11]
                                        ; implicit-def: $sgpr12
	s_xor_b64 exec, exec, s[10:11]
	s_cbranch_execnz .LBB221_1314
.LBB221_956:
	s_or_b64 exec, exec, s[10:11]
	v_mov_b32_e32 v6, s12
	s_and_saveexec_b64 s[10:11], s[8:9]
.LBB221_957:
	v_lshrrev_b32_e32 v2, 24, v2
	s_movk_i32 s8, 0x80
	v_and_or_b32 v6, v2, s8, v3
.LBB221_958:
	s_or_b64 exec, exec, s[10:11]
.LBB221_959:
	s_or_b64 exec, exec, s[6:7]
	s_mov_b64 s[6:7], 0
	global_store_byte v[4:5], v6, off
.LBB221_960:
	s_and_b64 vcc, exec, s[6:7]
	s_cbranch_vccz .LBB221_970
; %bb.961:
	v_cvt_f32_f64_e32 v2, v[0:1]
	v_and_b32_e32 v6, 0x7fffffff, v2
	s_mov_b32 s6, 0x43f00000
	v_cmp_gt_u32_e32 vcc, s6, v6
                                        ; implicit-def: $vgpr3
	s_and_saveexec_b64 s[6:7], vcc
	s_xor_b64 s[6:7], exec, s[6:7]
	s_cbranch_execz .LBB221_967
; %bb.962:
	s_mov_b32 s8, 0x3c7fffff
	v_cmp_lt_u32_e32 vcc, s8, v6
                                        ; implicit-def: $vgpr3
	s_and_saveexec_b64 s[8:9], vcc
	s_xor_b64 s[8:9], exec, s[8:9]
; %bb.963:
	v_bfe_u32 v3, v2, 20, 1
	s_mov_b32 s10, 0x407ffff
	v_add3_u32 v3, v2, v3, s10
	v_lshrrev_b32_e32 v6, 20, v3
	v_and_b32_e32 v3, 0xff00000, v3
	s_mov_b32 s10, 0x7f00000
	v_mov_b32_e32 v7, 0x7e
	v_cmp_ne_u32_e32 vcc, s10, v3
	v_cndmask_b32_e32 v3, v7, v6, vcc
; %bb.964:
	s_andn2_saveexec_b64 s[8:9], s[8:9]
; %bb.965:
	s_mov_b32 s10, 0x46800000
	v_add_f32_e64 v3, |v2|, s10
; %bb.966:
	s_or_b64 exec, exec, s[8:9]
                                        ; implicit-def: $vgpr6
.LBB221_967:
	s_andn2_saveexec_b64 s[6:7], s[6:7]
; %bb.968:
	s_mov_b32 s8, 0x7f800000
	v_mov_b32_e32 v3, 0x7e
	v_mov_b32_e32 v7, 0x7f
	v_cmp_lt_u32_e32 vcc, s8, v6
	v_cndmask_b32_e32 v3, v3, v7, vcc
; %bb.969:
	s_or_b64 exec, exec, s[6:7]
	v_lshrrev_b32_e32 v2, 24, v2
	s_movk_i32 s6, 0x80
	v_and_or_b32 v2, v2, s6, v3
	global_store_byte v[4:5], v2, off
.LBB221_970:
	s_mov_b64 s[6:7], 0
.LBB221_971:
	s_andn2_b64 vcc, exec, s[6:7]
	s_cbranch_vccnz .LBB221_981
; %bb.972:
	v_cvt_f32_f64_e32 v2, v[0:1]
	v_and_b32_e32 v6, 0x7fffffff, v2
	s_mov_b32 s6, 0x47800000
	v_cmp_gt_u32_e32 vcc, s6, v6
                                        ; implicit-def: $vgpr3
	s_and_saveexec_b64 s[6:7], vcc
	s_xor_b64 s[6:7], exec, s[6:7]
	s_cbranch_execz .LBB221_978
; %bb.973:
	s_mov_b32 s8, 0x387fffff
	v_cmp_lt_u32_e32 vcc, s8, v6
                                        ; implicit-def: $vgpr3
	s_and_saveexec_b64 s[8:9], vcc
	s_xor_b64 s[8:9], exec, s[8:9]
; %bb.974:
	v_bfe_u32 v3, v2, 21, 1
	s_mov_b32 s10, 0x80fffff
	v_add3_u32 v3, v2, v3, s10
	v_lshrrev_b32_e32 v3, 21, v3
; %bb.975:
	s_andn2_saveexec_b64 s[8:9], s[8:9]
; %bb.976:
	s_mov_b32 s10, 0x43000000
	v_add_f32_e64 v3, |v2|, s10
; %bb.977:
	s_or_b64 exec, exec, s[8:9]
                                        ; implicit-def: $vgpr6
.LBB221_978:
	s_andn2_saveexec_b64 s[6:7], s[6:7]
; %bb.979:
	s_mov_b32 s8, 0x7f800000
	v_mov_b32_e32 v3, 0x7c
	v_mov_b32_e32 v7, 0x7f
	v_cmp_lt_u32_e32 vcc, s8, v6
	v_cndmask_b32_e32 v3, v3, v7, vcc
; %bb.980:
	s_or_b64 exec, exec, s[6:7]
	v_lshrrev_b32_e32 v2, 24, v2
	s_movk_i32 s6, 0x80
	v_and_or_b32 v2, v2, s6, v3
	global_store_byte v[4:5], v2, off
.LBB221_981:
	s_mov_b64 s[8:9], 0
	s_mov_b64 s[6:7], -1
.LBB221_982:
	s_andn2_b64 vcc, exec, s[8:9]
	s_cbranch_vccnz .LBB221_990
; %bb.983:
	v_mov_b32_e32 v2, 14
	v_cmp_gt_i16_sdwa s[10:11], v41, v2 src0_sel:BYTE_0 src1_sel:DWORD
	s_mov_b64 s[8:9], -1
	s_and_b64 vcc, exec, s[10:11]
	s_cbranch_vccz .LBB221_987
; %bb.984:
	v_mov_b32_e32 v2, 15
	v_cmp_eq_u16_sdwa s[8:9], v41, v2 src0_sel:BYTE_0 src1_sel:DWORD
	s_mov_b64 s[4:5], -1
	s_and_b64 vcc, exec, s[8:9]
	s_cbranch_vccz .LBB221_986
; %bb.985:
	v_cvt_f32_f64_e32 v2, v[0:1]
	v_bfe_u32 v3, v2, 16, 1
	s_movk_i32 s4, 0x7fff
	v_add3_u32 v3, v2, v3, s4
	v_lshrrev_b32_e32 v3, 16, v3
	v_mov_b32_e32 v6, 0x7fc0
	v_cmp_o_f32_e32 vcc, v2, v2
	v_cndmask_b32_e32 v2, v6, v3, vcc
	global_store_short v[4:5], v2, off
	s_mov_b64 s[6:7], -1
	s_mov_b64 s[4:5], 0
.LBB221_986:
	s_mov_b64 s[8:9], 0
.LBB221_987:
	s_and_b64 vcc, exec, s[8:9]
	s_cbranch_vccz .LBB221_990
; %bb.988:
	v_mov_b32_e32 v2, 11
	v_cmp_eq_u16_sdwa s[8:9], v41, v2 src0_sel:BYTE_0 src1_sel:DWORD
	s_mov_b64 s[4:5], -1
	s_and_b64 vcc, exec, s[8:9]
	s_cbranch_vccz .LBB221_990
; %bb.989:
	v_cmp_neq_f64_e32 vcc, 0, v[0:1]
	s_mov_b64 s[4:5], 0
	v_cndmask_b32_e64 v2, 0, 1, vcc
	s_mov_b64 s[6:7], -1
	global_store_byte v[4:5], v2, off
.LBB221_990:
	s_mov_b64 s[8:9], 0
.LBB221_991:
	s_and_b64 vcc, exec, s[8:9]
	s_cbranch_vccz .LBB221_1030
; %bb.992:
	v_mov_b32_e32 v2, 5
	v_cmp_lt_i16_sdwa s[8:9], v41, v2 src0_sel:BYTE_0 src1_sel:DWORD
	s_mov_b64 s[6:7], -1
	s_and_b64 vcc, exec, s[8:9]
	s_cbranch_vccnz .LBB221_1013
; %bb.993:
	v_mov_b32_e32 v2, 8
	v_cmp_lt_i16_sdwa s[8:9], v41, v2 src0_sel:BYTE_0 src1_sel:DWORD
	s_and_b64 vcc, exec, s[8:9]
	s_cbranch_vccnz .LBB221_1003
; %bb.994:
	v_mov_b32_e32 v2, 9
	v_cmp_lt_i16_sdwa s[8:9], v41, v2 src0_sel:BYTE_0 src1_sel:DWORD
	s_and_b64 vcc, exec, s[8:9]
	s_cbranch_vccnz .LBB221_1000
; %bb.995:
	v_cmp_gt_i16_sdwa s[8:9], v41, v2 src0_sel:BYTE_0 src1_sel:DWORD
	s_and_b64 vcc, exec, s[8:9]
	s_cbranch_vccz .LBB221_997
; %bb.996:
	v_mov_b32_e32 v2, 0
	v_mov_b32_e32 v3, v2
	s_mov_b64 s[6:7], 0
	global_store_dwordx4 v[4:5], v[0:3], off
.LBB221_997:
	s_andn2_b64 vcc, exec, s[6:7]
	s_cbranch_vccnz .LBB221_999
; %bb.998:
	v_cvt_f32_f64_e32 v2, v[0:1]
	v_mov_b32_e32 v3, 0
	global_store_dwordx2 v[4:5], v[2:3], off
.LBB221_999:
	s_mov_b64 s[6:7], 0
.LBB221_1000:
	s_andn2_b64 vcc, exec, s[6:7]
	s_cbranch_vccnz .LBB221_1002
; %bb.1001:
	v_cvt_f32_f64_e32 v2, v[0:1]
	v_cvt_f16_f32_e32 v2, v2
	global_store_dword v[4:5], v2, off
.LBB221_1002:
	s_mov_b64 s[6:7], 0
.LBB221_1003:
	s_andn2_b64 vcc, exec, s[6:7]
	s_cbranch_vccnz .LBB221_1012
; %bb.1004:
	v_mov_b32_e32 v2, 6
	v_cmp_lt_i16_sdwa s[8:9], v41, v2 src0_sel:BYTE_0 src1_sel:DWORD
	s_mov_b64 s[6:7], -1
	s_and_b64 vcc, exec, s[8:9]
	s_cbranch_vccnz .LBB221_1010
; %bb.1005:
	v_cmp_gt_i16_sdwa s[8:9], v41, v2 src0_sel:BYTE_0 src1_sel:DWORD
	s_and_b64 vcc, exec, s[8:9]
	s_cbranch_vccz .LBB221_1007
; %bb.1006:
	s_mov_b64 s[6:7], 0
	global_store_dwordx2 v[4:5], v[0:1], off
.LBB221_1007:
	s_andn2_b64 vcc, exec, s[6:7]
	s_cbranch_vccnz .LBB221_1009
; %bb.1008:
	v_cvt_f32_f64_e32 v2, v[0:1]
	global_store_dword v[4:5], v2, off
.LBB221_1009:
	s_mov_b64 s[6:7], 0
.LBB221_1010:
	s_andn2_b64 vcc, exec, s[6:7]
	s_cbranch_vccnz .LBB221_1012
; %bb.1011:
	v_cvt_f32_f64_e32 v2, v[0:1]
	v_cvt_f16_f32_e32 v2, v2
	global_store_short v[4:5], v2, off
.LBB221_1012:
	s_mov_b64 s[6:7], 0
.LBB221_1013:
	s_andn2_b64 vcc, exec, s[6:7]
	s_cbranch_vccnz .LBB221_1029
; %bb.1014:
	v_mov_b32_e32 v2, 2
	v_cmp_lt_i16_sdwa s[8:9], v41, v2 src0_sel:BYTE_0 src1_sel:DWORD
	s_mov_b64 s[6:7], -1
	s_and_b64 vcc, exec, s[8:9]
	s_cbranch_vccnz .LBB221_1024
; %bb.1015:
	v_mov_b32_e32 v2, 3
	v_cmp_lt_i16_sdwa s[8:9], v41, v2 src0_sel:BYTE_0 src1_sel:DWORD
	s_and_b64 vcc, exec, s[8:9]
	s_cbranch_vccnz .LBB221_1021
; %bb.1016:
	v_cmp_gt_i16_sdwa s[8:9], v41, v2 src0_sel:BYTE_0 src1_sel:DWORD
	s_and_b64 vcc, exec, s[8:9]
	s_cbranch_vccz .LBB221_1018
; %bb.1017:
	v_trunc_f64_e32 v[2:3], v[0:1]
	s_movk_i32 s6, 0xffe0
	v_ldexp_f64 v[6:7], v[2:3], s6
	v_floor_f64_e32 v[6:7], v[6:7]
	v_fmac_f64_e32 v[2:3], 0xc1f00000, v[6:7]
	v_cvt_i32_f64_e32 v9, v[6:7]
	v_cvt_u32_f64_e32 v8, v[2:3]
	s_mov_b64 s[6:7], 0
	global_store_dwordx2 v[4:5], v[8:9], off
.LBB221_1018:
	s_andn2_b64 vcc, exec, s[6:7]
	s_cbranch_vccnz .LBB221_1020
; %bb.1019:
	v_cvt_i32_f64_e32 v2, v[0:1]
	global_store_dword v[4:5], v2, off
.LBB221_1020:
	s_mov_b64 s[6:7], 0
.LBB221_1021:
	s_andn2_b64 vcc, exec, s[6:7]
	s_cbranch_vccnz .LBB221_1023
; %bb.1022:
	v_cvt_i32_f64_e32 v2, v[0:1]
	global_store_short v[4:5], v2, off
.LBB221_1023:
	s_mov_b64 s[6:7], 0
.LBB221_1024:
	s_andn2_b64 vcc, exec, s[6:7]
	s_cbranch_vccnz .LBB221_1029
; %bb.1025:
	v_mov_b32_e32 v2, 0
	v_cmp_gt_i16_sdwa s[8:9], v41, v2 src0_sel:BYTE_0 src1_sel:DWORD
	s_mov_b64 s[6:7], -1
	s_and_b64 vcc, exec, s[8:9]
	s_cbranch_vccz .LBB221_1027
; %bb.1026:
	v_cvt_i32_f64_e32 v2, v[0:1]
	s_mov_b64 s[6:7], 0
	global_store_byte v[4:5], v2, off
.LBB221_1027:
	s_andn2_b64 vcc, exec, s[6:7]
	s_cbranch_vccnz .LBB221_1029
; %bb.1028:
	v_trunc_f64_e32 v[0:1], v[0:1]
	s_movk_i32 s6, 0xffe0
	v_ldexp_f64 v[2:3], v[0:1], s6
	v_floor_f64_e32 v[2:3], v[2:3]
	v_fmac_f64_e32 v[0:1], 0xc1f00000, v[2:3]
	v_cvt_u32_f64_e32 v0, v[0:1]
	global_store_byte v[4:5], v0, off
.LBB221_1029:
	s_mov_b64 s[6:7], -1
.LBB221_1030:
	s_andn2_b64 vcc, exec, s[6:7]
	s_cbranch_vccnz .LBB221_1032
; %bb.1031:
	v_add_u32_e32 v76, 0x80, v76
	s_mov_b64 s[6:7], -1
	s_branch .LBB221_1033
.LBB221_1032:
	s_mov_b64 s[6:7], 0
                                        ; implicit-def: $vgpr76
.LBB221_1033:
	v_readlane_b32 s12, v78, 24
	v_readlane_b32 s14, v78, 26
	s_mov_b64 s[10:11], s[94:95]
	v_readlane_b32 s13, v78, 25
	v_readlane_b32 s15, v78, 27
.LBB221_1034:
	s_andn2_b64 s[8:9], s[30:31], exec
	s_and_b64 s[4:5], s[4:5], exec
	s_or_b64 s[96:97], s[8:9], s[4:5]
	s_andn2_b64 s[4:5], s[34:35], exec
	s_and_b64 s[8:9], s[14:15], exec
	s_or_b64 s[94:95], s[4:5], s[8:9]
	;; [unrolled: 3-line block ×3, first 2 shown]
	v_readlane_b32 s4, v78, 2
	v_readlane_b32 s5, v78, 3
	s_andn2_b64 s[4:5], s[4:5], exec
	s_and_b64 s[8:9], s[10:11], exec
	s_or_b64 s[4:5], s[4:5], s[8:9]
	v_writelane_b32 v78, s4, 20
	v_writelane_b32 v78, s5, 21
	s_orn2_b64 s[4:5], s[6:7], exec
.LBB221_1035:
	v_readlane_b32 s6, v78, 22
	v_readlane_b32 s7, v78, 23
	s_or_b64 exec, exec, s[6:7]
	s_mov_b64 s[10:11], 0
	s_mov_b64 s[8:9], 0
	;; [unrolled: 1-line block ×3, first 2 shown]
                                        ; implicit-def: $vgpr2
                                        ; implicit-def: $vgpr0_vgpr1
                                        ; implicit-def: $vgpr6_vgpr7
	s_and_saveexec_b64 s[24:25], s[4:5]
	v_readlane_b32 s22, v78, 18
	v_readlane_b32 s23, v78, 19
	s_cbranch_execz .LBB221_1643
; %bb.1036:
	v_writelane_b32 v78, s24, 30
	v_writelane_b32 v78, s25, 31
	v_readlane_b32 s4, v78, 20
	s_mov_b64 s[20:21], -1
	v_readlane_b32 s5, v78, 21
	s_mov_b64 s[6:7], s[92:93]
	s_mov_b64 s[8:9], s[94:95]
	;; [unrolled: 1-line block ×3, first 2 shown]
	v_cmp_gt_i32_e32 vcc, s33, v76
	s_mov_b64 s[12:13], exec
	v_writelane_b32 v78, s12, 32
	v_writelane_b32 v78, s13, 33
	s_and_b64 s[12:13], s[12:13], vcc
	s_mov_b64 exec, s[12:13]
	s_cbranch_execz .LBB221_1561
; %bb.1037:
	s_waitcnt vmcnt(0)
	v_mul_lo_u32 v0, v76, s45
	v_ashrrev_i32_e32 v1, 31, v0
	v_mov_b32_e32 v3, s39
	v_add_co_u32_e32 v2, vcc, s38, v0
	v_mov_b32_e32 v0, 11
	v_addc_co_u32_e32 v3, vcc, v3, v1, vcc
	v_cmp_lt_i16_sdwa s[4:5], v72, v0 src0_sel:BYTE_0 src1_sel:DWORD
	s_and_b64 vcc, exec, s[4:5]
	s_cbranch_vccnz .LBB221_1044
; %bb.1038:
	v_mov_b32_e32 v0, 25
	v_cmp_gt_i16_sdwa s[4:5], v72, v0 src0_sel:BYTE_0 src1_sel:DWORD
	s_and_b64 vcc, exec, s[4:5]
	s_cbranch_vccz .LBB221_1045
; %bb.1039:
	v_mov_b32_e32 v0, 28
	v_cmp_gt_i16_sdwa s[4:5], v72, v0 src0_sel:BYTE_0 src1_sel:DWORD
	s_and_b64 vcc, exec, s[4:5]
	s_cbranch_vccz .LBB221_1046
	;; [unrolled: 5-line block ×4, first 2 shown]
; %bb.1042:
	v_mov_b32_e32 v0, 46
	v_cmp_eq_u16_sdwa s[4:5], v72, v0 src0_sel:BYTE_0 src1_sel:DWORD
	s_mov_b64 s[6:7], 0
	s_and_b64 vcc, exec, s[4:5]
	s_cbranch_vccz .LBB221_1049
; %bb.1043:
	global_load_dword v0, v[2:3], off
	s_mov_b64 s[8:9], 0
	v_writelane_b32 v78, s8, 34
	s_mov_b64 s[4:5], -1
	v_writelane_b32 v78, s9, 35
	s_waitcnt vmcnt(0)
	v_lshlrev_b32_e32 v0, 16, v0
	v_cvt_f64_f32_e32 v[0:1], v0
	s_branch .LBB221_1050
.LBB221_1044:
	v_readlane_b32 s8, v78, 20
	v_readlane_b32 s9, v78, 21
	v_writelane_b32 v78, s8, 34
	s_mov_b64 s[6:7], -1
	s_mov_b64 s[4:5], 0
                                        ; implicit-def: $vgpr0_vgpr1
	v_writelane_b32 v78, s9, 35
	s_branch .LBB221_1115
.LBB221_1045:
	v_readlane_b32 s8, v78, 20
	v_readlane_b32 s9, v78, 21
	s_mov_b64 s[6:7], -1
	s_mov_b64 s[4:5], 0
	v_writelane_b32 v78, s8, 34
                                        ; implicit-def: $vgpr0_vgpr1
	v_writelane_b32 v78, s9, 35
	s_branch .LBB221_1079
.LBB221_1046:
	v_readlane_b32 s8, v78, 20
	v_readlane_b32 s9, v78, 21
	s_mov_b64 s[6:7], -1
	s_mov_b64 s[4:5], 0
	v_writelane_b32 v78, s8, 34
                                        ; implicit-def: $vgpr0_vgpr1
	v_writelane_b32 v78, s9, 35
	s_branch .LBB221_1060
.LBB221_1047:
	v_readlane_b32 s8, v78, 20
	v_readlane_b32 s9, v78, 21
	s_mov_b64 s[6:7], -1
	s_mov_b64 s[4:5], 0
	v_writelane_b32 v78, s8, 34
                                        ; implicit-def: $vgpr0_vgpr1
	v_writelane_b32 v78, s9, 35
	s_branch .LBB221_1055
.LBB221_1048:
	v_readlane_b32 s8, v78, 20
	v_readlane_b32 s9, v78, 21
	s_mov_b64 s[6:7], -1
	s_mov_b64 s[4:5], 0
	v_writelane_b32 v78, s8, 34
	v_writelane_b32 v78, s9, 35
                                        ; implicit-def: $vgpr0_vgpr1
	s_branch .LBB221_1050
.LBB221_1049:
	s_mov_b64 s[4:5], -1
	v_writelane_b32 v78, s4, 34
	v_writelane_b32 v78, s5, 35
                                        ; implicit-def: $vgpr0_vgpr1
	s_mov_b64 s[4:5], 0
.LBB221_1050:
	s_and_b64 vcc, exec, s[6:7]
	s_cbranch_vccz .LBB221_1054
; %bb.1051:
	v_mov_b32_e32 v0, 44
	v_cmp_eq_u16_sdwa s[6:7], v72, v0 src0_sel:BYTE_0 src1_sel:DWORD
	s_and_b64 vcc, exec, s[6:7]
	s_cbranch_vccz .LBB221_1053
; %bb.1052:
	global_load_ubyte v4, v[2:3], off
	s_movk_i32 s6, 0xff
	v_bfrev_b32_e32 v5, 4
	v_mov_b32_e32 v6, 0x7ff80000
	v_bfrev_b32_e32 v7, 28
	s_mov_b64 s[4:5], -1
	s_waitcnt vmcnt(0)
	v_lshlrev_b32_e32 v0, 23, v4
	v_cvt_f64_f32_e32 v[0:1], v0
	v_cmp_ne_u32_e32 vcc, s6, v4
	v_cndmask_b32_e32 v0, v5, v0, vcc
	v_cndmask_b32_e32 v1, v6, v1, vcc
	v_cmp_ne_u32_e32 vcc, 0, v4
	s_mov_b64 s[6:7], 0
	v_cndmask_b32_e32 v1, v7, v1, vcc
	v_cndmask_b32_e32 v0, 0, v0, vcc
	v_writelane_b32 v78, s6, 34
	v_writelane_b32 v78, s7, 35
	s_branch .LBB221_1054
.LBB221_1053:
	s_mov_b64 s[6:7], -1
	v_writelane_b32 v78, s6, 34
	v_writelane_b32 v78, s7, 35
                                        ; implicit-def: $vgpr0_vgpr1
.LBB221_1054:
	s_mov_b64 s[6:7], 0
.LBB221_1055:
	s_and_b64 vcc, exec, s[6:7]
	s_cbranch_vccz .LBB221_1059
; %bb.1056:
	v_mov_b32_e32 v0, 29
	v_cmp_eq_u16_sdwa s[6:7], v72, v0 src0_sel:BYTE_0 src1_sel:DWORD
	s_and_b64 vcc, exec, s[6:7]
	s_cbranch_vccz .LBB221_1058
; %bb.1057:
	global_load_dwordx2 v[0:1], v[2:3], off
	s_mov_b64 s[6:7], 0
	v_writelane_b32 v78, s6, 34
	s_mov_b64 s[4:5], -1
	v_writelane_b32 v78, s7, 35
	s_mov_b64 s[6:7], 0
	s_waitcnt vmcnt(0)
	v_cvt_f64_u32_e32 v[4:5], v1
	v_cvt_f64_u32_e32 v[0:1], v0
	v_ldexp_f64 v[4:5], v[4:5], 32
	v_add_f64 v[0:1], v[4:5], v[0:1]
	s_branch .LBB221_1060
.LBB221_1058:
	s_mov_b64 s[6:7], -1
	v_writelane_b32 v78, s6, 34
	v_writelane_b32 v78, s7, 35
                                        ; implicit-def: $vgpr0_vgpr1
.LBB221_1059:
	s_mov_b64 s[6:7], 0
.LBB221_1060:
	s_and_b64 vcc, exec, s[6:7]
	s_cbranch_vccz .LBB221_1078
; %bb.1061:
	v_mov_b32_e32 v0, 27
	v_cmp_lt_i16_sdwa s[4:5], v72, v0 src0_sel:BYTE_0 src1_sel:DWORD
	s_and_b64 vcc, exec, s[4:5]
	s_cbranch_vccnz .LBB221_1064
; %bb.1062:
	v_cmp_gt_i16_sdwa s[4:5], v72, v0 src0_sel:BYTE_0 src1_sel:DWORD
	s_and_b64 vcc, exec, s[4:5]
	s_cbranch_vccz .LBB221_1065
; %bb.1063:
	global_load_dword v0, v[2:3], off
	s_mov_b64 s[4:5], 0
	s_waitcnt vmcnt(0)
	v_cvt_f64_u32_e32 v[0:1], v0
	s_branch .LBB221_1066
.LBB221_1064:
	s_mov_b64 s[4:5], -1
                                        ; implicit-def: $vgpr0_vgpr1
	s_branch .LBB221_1069
.LBB221_1065:
	s_mov_b64 s[4:5], -1
                                        ; implicit-def: $vgpr0_vgpr1
.LBB221_1066:
	s_andn2_b64 vcc, exec, s[4:5]
	s_cbranch_vccnz .LBB221_1068
; %bb.1067:
	global_load_ushort v0, v[2:3], off
	s_waitcnt vmcnt(0)
	v_cvt_f64_u32_e32 v[0:1], v0
.LBB221_1068:
	s_mov_b64 s[4:5], 0
.LBB221_1069:
	s_andn2_b64 vcc, exec, s[4:5]
	s_cbranch_vccnz .LBB221_1077
; %bb.1070:
	global_load_ubyte v4, v[2:3], off
	s_movk_i32 s4, 0x7f
                                        ; implicit-def: $sgpr6_sgpr7
	s_waitcnt vmcnt(0)
	v_cmp_lt_i16_e32 vcc, s4, v4
	s_mov_b64 s[4:5], 0
	s_and_saveexec_b64 s[8:9], vcc
	s_xor_b64 s[8:9], exec, s[8:9]
	s_cbranch_execz .LBB221_1091
; %bb.1071:
	s_movk_i32 s4, 0x80
	v_cmp_eq_u16_e32 vcc, s4, v4
	s_mov_b64 s[10:11], -1
                                        ; implicit-def: $sgpr6_sgpr7
	s_and_saveexec_b64 s[4:5], vcc
; %bb.1072:
	s_mov_b32 s7, 0x7ff80000
	s_brev_b32 s6, 4
	s_xor_b64 s[10:11], exec, -1
; %bb.1073:
	s_or_b64 exec, exec, s[4:5]
	s_and_b64 s[4:5], s[10:11], exec
	s_or_saveexec_b64 s[8:9], s[8:9]
	v_pk_mov_b32 v[0:1], s[6:7], s[6:7] op_sel:[0,1]
	s_xor_b64 exec, exec, s[8:9]
	s_cbranch_execnz .LBB221_1092
.LBB221_1074:
	s_or_b64 exec, exec, s[8:9]
	s_and_saveexec_b64 s[6:7], s[4:5]
	s_cbranch_execz .LBB221_1076
.LBB221_1075:
	v_and_b32_e32 v1, 0xffff, v4
	v_lshlrev_b32_e32 v0, 24, v4
	v_and_b32_e32 v4, 7, v1
	v_ffbh_u32_e32 v6, v4
	v_min_u32_e32 v6, 32, v6
	v_subrev_u32_e32 v7, 28, v6
	v_bfe_u32 v5, v1, 3, 4
	v_lshlrev_b32_e32 v1, v7, v1
	v_sub_u32_e32 v6, 29, v6
	v_and_b32_e32 v1, 7, v1
	v_cmp_eq_u32_e32 vcc, 0, v5
	v_cndmask_b32_e32 v5, v5, v6, vcc
	v_cndmask_b32_e32 v1, v4, v1, vcc
	v_mov_b32_e32 v4, 0x3b800000
	v_lshlrev_b32_e32 v1, 20, v1
	v_and_b32_e32 v0, 0x80000000, v0
	v_lshl_add_u32 v4, v5, 23, v4
	v_or3_b32 v0, v0, v4, v1
	v_cvt_f64_f32_e32 v[0:1], v0
.LBB221_1076:
	s_or_b64 exec, exec, s[6:7]
.LBB221_1077:
	s_mov_b64 s[4:5], -1
.LBB221_1078:
	s_mov_b64 s[6:7], 0
.LBB221_1079:
	s_and_b64 vcc, exec, s[6:7]
	s_cbranch_vccz .LBB221_1114
; %bb.1080:
	v_mov_b32_e32 v0, 22
	v_cmp_gt_i16_sdwa s[6:7], v72, v0 src0_sel:BYTE_0 src1_sel:DWORD
	s_and_b64 vcc, exec, s[6:7]
	s_cbranch_vccz .LBB221_1090
; %bb.1081:
	v_mov_b32_e32 v0, 24
	v_cmp_lt_i16_sdwa s[4:5], v72, v0 src0_sel:BYTE_0 src1_sel:DWORD
	s_and_b64 vcc, exec, s[4:5]
	s_cbranch_vccnz .LBB221_1093
; %bb.1082:
	v_cmp_gt_i16_sdwa s[4:5], v72, v0 src0_sel:BYTE_0 src1_sel:DWORD
	s_and_b64 vcc, exec, s[4:5]
	s_cbranch_vccz .LBB221_1094
; %bb.1083:
	global_load_ubyte v4, v[2:3], off
	s_movk_i32 s4, 0x7f
                                        ; implicit-def: $sgpr6_sgpr7
	s_waitcnt vmcnt(0)
	v_cmp_lt_i16_e32 vcc, s4, v4
	s_mov_b64 s[4:5], 0
	s_and_saveexec_b64 s[8:9], vcc
	s_xor_b64 s[8:9], exec, s[8:9]
	s_cbranch_execz .LBB221_1106
; %bb.1084:
	s_movk_i32 s4, 0x80
	v_cmp_eq_u16_e32 vcc, s4, v4
	s_mov_b64 s[10:11], -1
                                        ; implicit-def: $sgpr6_sgpr7
	s_and_saveexec_b64 s[4:5], vcc
; %bb.1085:
	s_mov_b32 s7, 0x7ff80000
	s_brev_b32 s6, 4
	s_xor_b64 s[10:11], exec, -1
; %bb.1086:
	s_or_b64 exec, exec, s[4:5]
	s_and_b64 s[4:5], s[10:11], exec
	s_or_saveexec_b64 s[8:9], s[8:9]
	v_pk_mov_b32 v[0:1], s[6:7], s[6:7] op_sel:[0,1]
	s_xor_b64 exec, exec, s[8:9]
	s_cbranch_execnz .LBB221_1107
.LBB221_1087:
	s_or_b64 exec, exec, s[8:9]
	s_and_saveexec_b64 s[6:7], s[4:5]
	s_cbranch_execz .LBB221_1089
.LBB221_1088:
	v_and_b32_e32 v1, 0xffff, v4
	v_lshlrev_b32_e32 v0, 24, v4
	v_and_b32_e32 v4, 3, v1
	v_ffbh_u32_e32 v6, v4
	v_min_u32_e32 v6, 32, v6
	v_subrev_u32_e32 v7, 29, v6
	v_bfe_u32 v5, v1, 2, 5
	v_lshlrev_b32_e32 v1, v7, v1
	v_sub_u32_e32 v6, 30, v6
	v_and_b32_e32 v1, 3, v1
	v_cmp_eq_u32_e32 vcc, 0, v5
	v_cndmask_b32_e32 v5, v5, v6, vcc
	v_cndmask_b32_e32 v1, v4, v1, vcc
	v_mov_b32_e32 v4, 0x37800000
	v_lshlrev_b32_e32 v1, 21, v1
	v_and_b32_e32 v0, 0x80000000, v0
	v_lshl_add_u32 v4, v5, 23, v4
	v_or3_b32 v0, v0, v4, v1
	v_cvt_f64_f32_e32 v[0:1], v0
.LBB221_1089:
	s_or_b64 exec, exec, s[6:7]
	s_mov_b64 s[4:5], 0
	s_branch .LBB221_1095
.LBB221_1090:
	s_mov_b64 s[6:7], -1
                                        ; implicit-def: $vgpr0_vgpr1
	s_branch .LBB221_1101
.LBB221_1091:
	s_or_saveexec_b64 s[8:9], s[8:9]
	v_pk_mov_b32 v[0:1], s[6:7], s[6:7] op_sel:[0,1]
	s_xor_b64 exec, exec, s[8:9]
	s_cbranch_execz .LBB221_1074
.LBB221_1092:
	v_cmp_ne_u16_e32 vcc, 0, v4
	s_andn2_b64 s[4:5], s[4:5], exec
	s_and_b64 s[6:7], vcc, exec
	v_pk_mov_b32 v[0:1], 0, 0
	s_or_b64 s[4:5], s[4:5], s[6:7]
	s_or_b64 exec, exec, s[8:9]
	s_and_saveexec_b64 s[6:7], s[4:5]
	s_cbranch_execnz .LBB221_1075
	s_branch .LBB221_1076
.LBB221_1093:
	s_mov_b64 s[4:5], -1
                                        ; implicit-def: $vgpr0_vgpr1
	s_branch .LBB221_1098
.LBB221_1094:
	s_mov_b64 s[4:5], -1
                                        ; implicit-def: $vgpr0_vgpr1
.LBB221_1095:
	s_and_b64 vcc, exec, s[4:5]
	s_cbranch_vccz .LBB221_1097
; %bb.1096:
	global_load_ubyte v0, v[2:3], off
	s_mov_b32 s4, 0x7f800000
	s_waitcnt vmcnt(0)
	v_lshlrev_b32_e32 v0, 24, v0
	v_and_b32_e32 v1, 0x7f000000, v0
	v_ffbh_u32_e32 v4, v1
	v_min_u32_e32 v4, 32, v4
	v_sub_u32_e64 v4, v4, 4 clamp
	v_lshlrev_b32_e32 v6, v4, v1
	v_lshlrev_b32_e32 v4, 23, v4
	v_lshrrev_b32_e32 v6, 4, v6
	v_add_u32_e32 v5, 0x1000000, v1
	v_sub_u32_e32 v4, v6, v4
	v_ashrrev_i32_e32 v5, 8, v5
	v_add_u32_e32 v4, 0x3c000000, v4
	v_and_or_b32 v4, v5, s4, v4
	v_cmp_ne_u32_e32 vcc, 0, v1
	v_cndmask_b32_e32 v1, 0, v4, vcc
	s_brev_b32 s4, 1
	v_and_or_b32 v0, v0, s4, v1
	v_cvt_f64_f32_e32 v[0:1], v0
.LBB221_1097:
	s_mov_b64 s[4:5], 0
.LBB221_1098:
	s_andn2_b64 vcc, exec, s[4:5]
	s_cbranch_vccnz .LBB221_1100
; %bb.1099:
	global_load_ubyte v0, v[2:3], off
	s_movk_i32 s4, 0x7f00
	s_brev_b32 s5, 16
	s_waitcnt vmcnt(0)
	v_lshlrev_b16_e32 v1, 8, v0
	v_lshlrev_b32_e32 v0, 25, v0
	v_lshrrev_b32_e32 v4, 4, v0
	v_and_or_b32 v5, v1, s4, 0.5
	v_or_b32_e32 v4, 0x70000000, v4
	v_add_f32_e32 v5, -0.5, v5
	v_mul_f32_e32 v4, 0x7800000, v4
	v_cmp_gt_u32_e32 vcc, s5, v0
	v_bfe_i32 v1, v1, 0, 16
	v_cndmask_b32_e32 v0, v4, v5, vcc
	s_brev_b32 s4, 1
	v_and_or_b32 v0, v1, s4, v0
	v_cvt_f64_f32_e32 v[0:1], v0
.LBB221_1100:
	s_mov_b64 s[6:7], 0
	s_mov_b64 s[4:5], -1
.LBB221_1101:
	s_andn2_b64 vcc, exec, s[6:7]
	s_cbranch_vccnz .LBB221_1114
; %bb.1102:
	v_mov_b32_e32 v0, 14
	v_cmp_gt_i16_sdwa s[6:7], v72, v0 src0_sel:BYTE_0 src1_sel:DWORD
	s_and_b64 vcc, exec, s[6:7]
	s_cbranch_vccz .LBB221_1105
; %bb.1103:
	v_mov_b32_e32 v0, 15
	v_cmp_eq_u16_sdwa s[6:7], v72, v0 src0_sel:BYTE_0 src1_sel:DWORD
	s_and_b64 vcc, exec, s[6:7]
	s_cbranch_vccz .LBB221_1108
; %bb.1104:
	global_load_ushort v0, v[2:3], off
	s_mov_b64 s[6:7], 0
	v_writelane_b32 v78, s6, 34
	s_mov_b64 s[4:5], -1
	v_writelane_b32 v78, s7, 35
	s_waitcnt vmcnt(0)
	v_lshlrev_b32_e32 v0, 16, v0
	v_cvt_f64_f32_e32 v[0:1], v0
	s_branch .LBB221_1109
.LBB221_1105:
	s_mov_b64 s[6:7], -1
                                        ; implicit-def: $vgpr0_vgpr1
	s_branch .LBB221_1110
.LBB221_1106:
	s_or_saveexec_b64 s[8:9], s[8:9]
	v_pk_mov_b32 v[0:1], s[6:7], s[6:7] op_sel:[0,1]
	s_xor_b64 exec, exec, s[8:9]
	s_cbranch_execz .LBB221_1087
.LBB221_1107:
	v_cmp_ne_u16_e32 vcc, 0, v4
	s_andn2_b64 s[4:5], s[4:5], exec
	s_and_b64 s[6:7], vcc, exec
	v_pk_mov_b32 v[0:1], 0, 0
	s_or_b64 s[4:5], s[4:5], s[6:7]
	s_or_b64 exec, exec, s[8:9]
	s_and_saveexec_b64 s[6:7], s[4:5]
	s_cbranch_execnz .LBB221_1088
	s_branch .LBB221_1089
.LBB221_1108:
	s_mov_b64 s[6:7], -1
	v_writelane_b32 v78, s6, 34
	v_writelane_b32 v78, s7, 35
                                        ; implicit-def: $vgpr0_vgpr1
.LBB221_1109:
	s_mov_b64 s[6:7], 0
.LBB221_1110:
	s_and_b64 vcc, exec, s[6:7]
	s_cbranch_vccz .LBB221_1114
; %bb.1111:
	v_mov_b32_e32 v0, 11
	v_cmp_eq_u16_sdwa s[6:7], v72, v0 src0_sel:BYTE_0 src1_sel:DWORD
	s_and_b64 vcc, exec, s[6:7]
	s_cbranch_vccz .LBB221_1113
; %bb.1112:
	global_load_ubyte v1, v[2:3], off
	v_mov_b32_e32 v4, 0x3ff00000
	s_mov_b64 s[6:7], 0
	v_mov_b32_e32 v0, 0
	s_mov_b64 s[4:5], -1
	v_writelane_b32 v78, s6, 34
	v_writelane_b32 v78, s7, 35
	s_waitcnt vmcnt(0)
	v_cmp_ne_u16_e32 vcc, 0, v1
	v_cndmask_b32_e32 v1, 0, v4, vcc
	s_branch .LBB221_1114
.LBB221_1113:
	s_mov_b64 s[6:7], -1
	v_writelane_b32 v78, s6, 34
	v_writelane_b32 v78, s7, 35
                                        ; implicit-def: $vgpr0_vgpr1
.LBB221_1114:
	s_mov_b64 s[6:7], 0
.LBB221_1115:
	s_and_b64 vcc, exec, s[6:7]
	s_mov_b64 s[6:7], s[92:93]
	s_cbranch_vccz .LBB221_1164
; %bb.1116:
	v_mov_b32_e32 v0, 5
	v_cmp_lt_i16_sdwa s[4:5], v72, v0 src0_sel:BYTE_0 src1_sel:DWORD
	s_and_b64 vcc, exec, s[4:5]
	s_cbranch_vccnz .LBB221_1121
; %bb.1117:
	v_mov_b32_e32 v0, 8
	v_cmp_lt_i16_sdwa s[4:5], v72, v0 src0_sel:BYTE_0 src1_sel:DWORD
	s_and_b64 vcc, exec, s[4:5]
	s_cbranch_vccnz .LBB221_1122
; %bb.1118:
	v_mov_b32_e32 v0, 9
	v_cmp_lt_i16_sdwa s[4:5], v72, v0 src0_sel:BYTE_0 src1_sel:DWORD
	s_and_b64 vcc, exec, s[4:5]
	s_cbranch_vccnz .LBB221_1123
; %bb.1119:
	v_cmp_gt_i16_sdwa s[4:5], v72, v0 src0_sel:BYTE_0 src1_sel:DWORD
	s_and_b64 vcc, exec, s[4:5]
	s_cbranch_vccz .LBB221_1124
; %bb.1120:
	global_load_dwordx2 v[0:1], v[2:3], off
	s_mov_b64 s[4:5], 0
	s_branch .LBB221_1125
.LBB221_1121:
	s_mov_b64 s[4:5], -1
                                        ; implicit-def: $vgpr0_vgpr1
	s_branch .LBB221_1143
.LBB221_1122:
	s_mov_b64 s[4:5], -1
                                        ; implicit-def: $vgpr0_vgpr1
	s_branch .LBB221_1131
.LBB221_1123:
	s_mov_b64 s[4:5], -1
                                        ; implicit-def: $vgpr0_vgpr1
	s_branch .LBB221_1128
.LBB221_1124:
	s_mov_b64 s[4:5], -1
                                        ; implicit-def: $vgpr0_vgpr1
.LBB221_1125:
	s_andn2_b64 vcc, exec, s[4:5]
	s_cbranch_vccnz .LBB221_1127
; %bb.1126:
	global_load_dword v0, v[2:3], off
	s_waitcnt vmcnt(0)
	v_cvt_f64_f32_e32 v[0:1], v0
.LBB221_1127:
	s_mov_b64 s[4:5], 0
.LBB221_1128:
	s_andn2_b64 vcc, exec, s[4:5]
	s_cbranch_vccnz .LBB221_1130
; %bb.1129:
	global_load_dword v0, v[2:3], off
	s_waitcnt vmcnt(0)
	v_cvt_f32_f16_e32 v0, v0
	v_cvt_f64_f32_e32 v[0:1], v0
.LBB221_1130:
	s_mov_b64 s[4:5], 0
.LBB221_1131:
	s_andn2_b64 vcc, exec, s[4:5]
	s_cbranch_vccnz .LBB221_1142
; %bb.1132:
	s_waitcnt vmcnt(0)
	v_mov_b32_e32 v0, 6
	v_cmp_lt_i16_sdwa s[4:5], v72, v0 src0_sel:BYTE_0 src1_sel:DWORD
	s_and_b64 vcc, exec, s[4:5]
	s_cbranch_vccnz .LBB221_1135
; %bb.1133:
	v_cmp_gt_i16_sdwa s[4:5], v72, v0 src0_sel:BYTE_0 src1_sel:DWORD
	s_and_b64 vcc, exec, s[4:5]
	s_cbranch_vccz .LBB221_1136
; %bb.1134:
	global_load_dwordx2 v[0:1], v[2:3], off
	s_mov_b64 s[4:5], 0
	s_branch .LBB221_1137
.LBB221_1135:
	s_mov_b64 s[4:5], -1
                                        ; implicit-def: $vgpr0_vgpr1
	s_branch .LBB221_1140
.LBB221_1136:
	s_mov_b64 s[4:5], -1
                                        ; implicit-def: $vgpr0_vgpr1
.LBB221_1137:
	s_andn2_b64 vcc, exec, s[4:5]
	s_cbranch_vccnz .LBB221_1139
; %bb.1138:
	global_load_dword v0, v[2:3], off
	s_waitcnt vmcnt(0)
	v_cvt_f64_f32_e32 v[0:1], v0
.LBB221_1139:
	s_mov_b64 s[4:5], 0
.LBB221_1140:
	s_andn2_b64 vcc, exec, s[4:5]
	s_cbranch_vccnz .LBB221_1142
; %bb.1141:
	global_load_ushort v0, v[2:3], off
	s_waitcnt vmcnt(0)
	v_cvt_f32_f16_e32 v0, v0
	v_cvt_f64_f32_e32 v[0:1], v0
.LBB221_1142:
	s_mov_b64 s[4:5], 0
.LBB221_1143:
	s_andn2_b64 vcc, exec, s[4:5]
	s_cbranch_vccnz .LBB221_1163
; %bb.1144:
	s_waitcnt vmcnt(0)
	v_mov_b32_e32 v0, 2
	v_cmp_lt_i16_sdwa s[4:5], v72, v0 src0_sel:BYTE_0 src1_sel:DWORD
	s_and_b64 vcc, exec, s[4:5]
	s_cbranch_vccnz .LBB221_1148
; %bb.1145:
	v_mov_b32_e32 v0, 3
	v_cmp_lt_i16_sdwa s[4:5], v72, v0 src0_sel:BYTE_0 src1_sel:DWORD
	s_and_b64 vcc, exec, s[4:5]
	s_cbranch_vccnz .LBB221_1149
; %bb.1146:
	v_cmp_gt_i16_sdwa s[4:5], v72, v0 src0_sel:BYTE_0 src1_sel:DWORD
	s_and_b64 vcc, exec, s[4:5]
	s_cbranch_vccz .LBB221_1150
; %bb.1147:
	global_load_dwordx2 v[0:1], v[2:3], off
	s_mov_b64 s[4:5], 0
	s_waitcnt vmcnt(0)
	v_cvt_f64_i32_e32 v[4:5], v1
	v_cvt_f64_u32_e32 v[0:1], v0
	v_ldexp_f64 v[4:5], v[4:5], 32
	v_add_f64 v[0:1], v[4:5], v[0:1]
	s_branch .LBB221_1151
.LBB221_1148:
	s_mov_b64 s[4:5], -1
                                        ; implicit-def: $vgpr0_vgpr1
	s_branch .LBB221_1157
.LBB221_1149:
	s_mov_b64 s[4:5], -1
                                        ; implicit-def: $vgpr0_vgpr1
	s_branch .LBB221_1154
.LBB221_1150:
	s_mov_b64 s[4:5], -1
                                        ; implicit-def: $vgpr0_vgpr1
.LBB221_1151:
	s_andn2_b64 vcc, exec, s[4:5]
	s_cbranch_vccnz .LBB221_1153
; %bb.1152:
	global_load_dword v0, v[2:3], off
	s_waitcnt vmcnt(0)
	v_cvt_f64_i32_e32 v[0:1], v0
.LBB221_1153:
	s_mov_b64 s[4:5], 0
.LBB221_1154:
	s_andn2_b64 vcc, exec, s[4:5]
	s_cbranch_vccnz .LBB221_1156
; %bb.1155:
	global_load_sshort v0, v[2:3], off
	s_waitcnt vmcnt(0)
	v_cvt_f64_i32_e32 v[0:1], v0
.LBB221_1156:
	s_mov_b64 s[4:5], 0
.LBB221_1157:
	s_andn2_b64 vcc, exec, s[4:5]
	s_cbranch_vccnz .LBB221_1163
; %bb.1158:
	v_mov_b32_e32 v0, 0
	v_cmp_gt_i16_sdwa s[4:5], v72, v0 src0_sel:BYTE_0 src1_sel:DWORD
	s_and_b64 vcc, exec, s[4:5]
	s_cbranch_vccz .LBB221_1160
; %bb.1159:
	global_load_sbyte v0, v[2:3], off
	s_mov_b64 s[4:5], 0
	s_waitcnt vmcnt(0)
	v_cvt_f64_i32_e32 v[0:1], v0
	s_branch .LBB221_1161
.LBB221_1160:
	s_mov_b64 s[4:5], -1
                                        ; implicit-def: $vgpr0_vgpr1
.LBB221_1161:
	s_andn2_b64 vcc, exec, s[4:5]
	s_cbranch_vccnz .LBB221_1163
; %bb.1162:
	global_load_ubyte v0, v[2:3], off
	s_waitcnt vmcnt(0)
	v_cvt_f64_u32_e32 v[0:1], v0
.LBB221_1163:
	s_mov_b64 s[4:5], -1
.LBB221_1164:
	s_andn2_b64 vcc, exec, s[4:5]
	s_cbranch_vccnz .LBB221_1172
; %bb.1165:
	v_mul_lo_u32 v2, v76, s46
	v_ashrrev_i32_e32 v3, 31, v2
	v_mov_b32_e32 v5, s41
	v_add_co_u32_e32 v4, vcc, s40, v2
	s_movk_i32 s4, 0xff
	v_addc_co_u32_e32 v5, vcc, v5, v3, vcc
	v_and_b32_sdwa v6, v41, s4 dst_sel:DWORD dst_unused:UNUSED_PAD src0_sel:WORD_1 src1_sel:DWORD
	v_cmp_gt_i16_e32 vcc, 11, v6
	s_cbranch_vccnz .LBB221_1173
; %bb.1166:
	v_cmp_lt_i16_e32 vcc, 25, v6
	s_cbranch_vccz .LBB221_1174
; %bb.1167:
	v_cmp_lt_i16_e32 vcc, 28, v6
	s_cbranch_vccz .LBB221_1175
	;; [unrolled: 3-line block ×4, first 2 shown]
; %bb.1170:
	v_cmp_eq_u16_e32 vcc, 46, v6
	s_mov_b64 s[6:7], 0
	s_cbranch_vccz .LBB221_1180
; %bb.1171:
	global_load_dword v2, v[4:5], off
	s_mov_b64 s[8:9], 0
	v_writelane_b32 v78, s8, 36
	s_mov_b64 s[4:5], -1
	v_writelane_b32 v78, s9, 37
	s_waitcnt vmcnt(0)
	v_lshlrev_b32_e32 v2, 16, v2
	v_cvt_f64_f32_e32 v[2:3], v2
	s_branch .LBB221_1181
.LBB221_1172:
	s_mov_b64 s[12:13], 0
                                        ; implicit-def: $vgpr76
	s_mov_b64 s[4:5], s[96:97]
	s_mov_b64 s[8:9], s[94:95]
	;; [unrolled: 1-line block ×5, first 2 shown]
	s_branch .LBB221_1560
.LBB221_1173:
	s_mov_b64 s[8:9], s[6:7]
	v_writelane_b32 v78, s8, 36
	s_mov_b64 s[6:7], -1
	s_mov_b64 s[4:5], 0
                                        ; implicit-def: $vgpr2_vgpr3
	v_writelane_b32 v78, s9, 37
	s_branch .LBB221_1249
.LBB221_1174:
	s_mov_b64 s[8:9], s[6:7]
	s_mov_b64 s[6:7], -1
	s_mov_b64 s[4:5], 0
	v_writelane_b32 v78, s8, 36
                                        ; implicit-def: $vgpr2_vgpr3
	v_writelane_b32 v78, s9, 37
	s_branch .LBB221_1212
.LBB221_1175:
	s_mov_b64 s[8:9], s[6:7]
	s_mov_b64 s[6:7], -1
	s_mov_b64 s[4:5], 0
	v_writelane_b32 v78, s8, 36
                                        ; implicit-def: $vgpr2_vgpr3
	v_writelane_b32 v78, s9, 37
	s_branch .LBB221_1193
.LBB221_1176:
	s_mov_b64 s[8:9], s[6:7]
	s_mov_b64 s[6:7], -1
	s_mov_b64 s[4:5], 0
	v_writelane_b32 v78, s8, 36
                                        ; implicit-def: $vgpr2_vgpr3
	v_writelane_b32 v78, s9, 37
	s_branch .LBB221_1187
.LBB221_1177:
	s_mov_b64 s[6:7], -1
	s_mov_b64 s[4:5], 0
	v_writelane_b32 v78, s92, 36
	v_writelane_b32 v78, s93, 37
                                        ; implicit-def: $vgpr2_vgpr3
	s_branch .LBB221_1181
.LBB221_1178:
	s_or_saveexec_b64 s[10:11], s[10:11]
                                        ; implicit-def: $sgpr12
	s_xor_b64 exec, exec, s[10:11]
	s_cbranch_execz .LBB221_943
.LBB221_1179:
	s_mov_b32 s12, 0x46000000
	v_add_f32_e64 v3, |v2|, s12
	v_and_b32_e32 v3, 0xff, v3
	v_cmp_ne_u32_e32 vcc, 0, v3
	s_andn2_b64 s[8:9], s[8:9], exec
	s_and_b64 s[14:15], vcc, exec
	s_mov_b32 s12, 0
	s_or_b64 s[8:9], s[8:9], s[14:15]
	s_or_b64 exec, exec, s[10:11]
	v_mov_b32_e32 v6, s12
	s_and_saveexec_b64 s[10:11], s[8:9]
	s_cbranch_execnz .LBB221_944
	s_branch .LBB221_945
.LBB221_1180:
	s_mov_b64 s[4:5], -1
	v_writelane_b32 v78, s4, 36
	v_writelane_b32 v78, s5, 37
                                        ; implicit-def: $vgpr2_vgpr3
	s_mov_b64 s[4:5], 0
.LBB221_1181:
	s_and_b64 vcc, exec, s[6:7]
	s_cbranch_vccz .LBB221_1186
; %bb.1182:
	v_cmp_eq_u16_e32 vcc, 44, v6
	s_cbranch_vccz .LBB221_1184
; %bb.1183:
	global_load_ubyte v7, v[4:5], off
	s_movk_i32 s6, 0xff
	v_bfrev_b32_e32 v8, 4
	v_mov_b32_e32 v9, 0x7ff80000
	v_bfrev_b32_e32 v10, 28
	s_mov_b64 s[4:5], -1
	s_waitcnt vmcnt(0)
	v_lshlrev_b32_e32 v2, 23, v7
	v_cvt_f64_f32_e32 v[2:3], v2
	v_cmp_ne_u32_e32 vcc, s6, v7
	v_cndmask_b32_e32 v2, v8, v2, vcc
	v_cndmask_b32_e32 v3, v9, v3, vcc
	v_cmp_ne_u32_e32 vcc, 0, v7
	v_cndmask_b32_e32 v3, v10, v3, vcc
	v_cndmask_b32_e32 v2, 0, v2, vcc
	s_mov_b64 s[6:7], 0
	s_branch .LBB221_1185
.LBB221_1184:
	s_mov_b64 s[6:7], -1
                                        ; implicit-def: $vgpr2_vgpr3
.LBB221_1185:
	v_writelane_b32 v78, s6, 36
	v_writelane_b32 v78, s7, 37
.LBB221_1186:
	s_mov_b64 s[6:7], 0
.LBB221_1187:
	s_and_b64 vcc, exec, s[6:7]
	s_cbranch_vccz .LBB221_1192
; %bb.1188:
	v_cmp_eq_u16_e32 vcc, 29, v6
	s_cbranch_vccz .LBB221_1190
; %bb.1189:
	global_load_dwordx2 v[2:3], v[4:5], off
	s_mov_b64 s[4:5], -1
	s_mov_b64 s[6:7], 0
	s_waitcnt vmcnt(0)
	v_cvt_f64_u32_e32 v[8:9], v3
	v_cvt_f64_u32_e32 v[2:3], v2
	v_ldexp_f64 v[8:9], v[8:9], 32
	v_add_f64 v[2:3], v[8:9], v[2:3]
	s_branch .LBB221_1191
.LBB221_1190:
	s_mov_b64 s[6:7], -1
                                        ; implicit-def: $vgpr2_vgpr3
.LBB221_1191:
	v_writelane_b32 v78, s6, 36
	v_writelane_b32 v78, s7, 37
.LBB221_1192:
	s_mov_b64 s[6:7], 0
.LBB221_1193:
	s_and_b64 vcc, exec, s[6:7]
	s_cbranch_vccz .LBB221_1211
; %bb.1194:
	v_cmp_gt_i16_e32 vcc, 27, v6
	s_cbranch_vccnz .LBB221_1197
; %bb.1195:
	v_cmp_lt_i16_e32 vcc, 27, v6
	s_cbranch_vccz .LBB221_1198
; %bb.1196:
	global_load_dword v2, v[4:5], off
	s_mov_b64 s[4:5], 0
	s_waitcnt vmcnt(0)
	v_cvt_f64_u32_e32 v[2:3], v2
	s_branch .LBB221_1199
.LBB221_1197:
	s_mov_b64 s[4:5], -1
                                        ; implicit-def: $vgpr2_vgpr3
	s_branch .LBB221_1202
.LBB221_1198:
	s_mov_b64 s[4:5], -1
                                        ; implicit-def: $vgpr2_vgpr3
.LBB221_1199:
	s_andn2_b64 vcc, exec, s[4:5]
	s_cbranch_vccnz .LBB221_1201
; %bb.1200:
	global_load_ushort v2, v[4:5], off
	s_waitcnt vmcnt(0)
	v_cvt_f64_u32_e32 v[2:3], v2
.LBB221_1201:
	s_mov_b64 s[4:5], 0
.LBB221_1202:
	s_andn2_b64 vcc, exec, s[4:5]
	s_cbranch_vccnz .LBB221_1210
; %bb.1203:
	global_load_ubyte v7, v[4:5], off
	s_movk_i32 s4, 0x7f
                                        ; implicit-def: $sgpr6_sgpr7
	s_waitcnt vmcnt(0)
	v_cmp_lt_i16_e32 vcc, s4, v7
	s_mov_b64 s[4:5], 0
	s_and_saveexec_b64 s[8:9], vcc
	s_xor_b64 s[8:9], exec, s[8:9]
	s_cbranch_execz .LBB221_1224
; %bb.1204:
	s_movk_i32 s4, 0x80
	v_cmp_eq_u16_e32 vcc, s4, v7
	s_mov_b64 s[10:11], -1
                                        ; implicit-def: $sgpr6_sgpr7
	s_and_saveexec_b64 s[4:5], vcc
; %bb.1205:
	s_mov_b32 s7, 0x7ff80000
	s_brev_b32 s6, 4
	s_xor_b64 s[10:11], exec, -1
; %bb.1206:
	s_or_b64 exec, exec, s[4:5]
	s_and_b64 s[4:5], s[10:11], exec
	s_or_saveexec_b64 s[8:9], s[8:9]
	v_pk_mov_b32 v[2:3], s[6:7], s[6:7] op_sel:[0,1]
	s_xor_b64 exec, exec, s[8:9]
	s_cbranch_execnz .LBB221_1225
.LBB221_1207:
	s_or_b64 exec, exec, s[8:9]
	s_and_saveexec_b64 s[6:7], s[4:5]
	s_cbranch_execz .LBB221_1209
.LBB221_1208:
	v_and_b32_e32 v3, 0xffff, v7
	v_lshlrev_b32_e32 v2, 24, v7
	v_and_b32_e32 v7, 7, v3
	v_ffbh_u32_e32 v9, v7
	v_min_u32_e32 v9, 32, v9
	v_subrev_u32_e32 v10, 28, v9
	v_bfe_u32 v8, v3, 3, 4
	v_lshlrev_b32_e32 v3, v10, v3
	v_sub_u32_e32 v9, 29, v9
	v_and_b32_e32 v3, 7, v3
	v_cmp_eq_u32_e32 vcc, 0, v8
	v_cndmask_b32_e32 v8, v8, v9, vcc
	v_cndmask_b32_e32 v3, v7, v3, vcc
	v_mov_b32_e32 v7, 0x3b800000
	v_lshlrev_b32_e32 v3, 20, v3
	v_and_b32_e32 v2, 0x80000000, v2
	v_lshl_add_u32 v7, v8, 23, v7
	v_or3_b32 v2, v2, v7, v3
	v_cvt_f64_f32_e32 v[2:3], v2
.LBB221_1209:
	s_or_b64 exec, exec, s[6:7]
.LBB221_1210:
	s_mov_b64 s[4:5], -1
.LBB221_1211:
	s_mov_b64 s[6:7], 0
.LBB221_1212:
	s_and_b64 vcc, exec, s[6:7]
	s_cbranch_vccz .LBB221_1248
; %bb.1213:
	v_cmp_lt_i16_e32 vcc, 22, v6
	s_cbranch_vccz .LBB221_1223
; %bb.1214:
	v_cmp_gt_i16_e32 vcc, 24, v6
	s_cbranch_vccnz .LBB221_1226
; %bb.1215:
	v_cmp_lt_i16_e32 vcc, 24, v6
	s_cbranch_vccz .LBB221_1227
; %bb.1216:
	global_load_ubyte v7, v[4:5], off
	s_movk_i32 s4, 0x7f
                                        ; implicit-def: $sgpr6_sgpr7
	s_waitcnt vmcnt(0)
	v_cmp_lt_i16_e32 vcc, s4, v7
	s_mov_b64 s[4:5], 0
	s_and_saveexec_b64 s[8:9], vcc
	s_xor_b64 s[8:9], exec, s[8:9]
	s_cbranch_execz .LBB221_1239
; %bb.1217:
	s_movk_i32 s4, 0x80
	v_cmp_eq_u16_e32 vcc, s4, v7
	s_mov_b64 s[10:11], -1
                                        ; implicit-def: $sgpr6_sgpr7
	s_and_saveexec_b64 s[4:5], vcc
; %bb.1218:
	s_mov_b32 s7, 0x7ff80000
	s_brev_b32 s6, 4
	s_xor_b64 s[10:11], exec, -1
; %bb.1219:
	s_or_b64 exec, exec, s[4:5]
	s_and_b64 s[4:5], s[10:11], exec
	s_or_saveexec_b64 s[8:9], s[8:9]
	v_pk_mov_b32 v[2:3], s[6:7], s[6:7] op_sel:[0,1]
	s_xor_b64 exec, exec, s[8:9]
	s_cbranch_execnz .LBB221_1240
.LBB221_1220:
	s_or_b64 exec, exec, s[8:9]
	s_and_saveexec_b64 s[6:7], s[4:5]
	s_cbranch_execz .LBB221_1222
.LBB221_1221:
	v_and_b32_e32 v3, 0xffff, v7
	v_lshlrev_b32_e32 v2, 24, v7
	v_and_b32_e32 v7, 3, v3
	v_ffbh_u32_e32 v9, v7
	v_min_u32_e32 v9, 32, v9
	v_subrev_u32_e32 v10, 29, v9
	v_bfe_u32 v8, v3, 2, 5
	v_lshlrev_b32_e32 v3, v10, v3
	v_sub_u32_e32 v9, 30, v9
	v_and_b32_e32 v3, 3, v3
	v_cmp_eq_u32_e32 vcc, 0, v8
	v_cndmask_b32_e32 v8, v8, v9, vcc
	v_cndmask_b32_e32 v3, v7, v3, vcc
	v_mov_b32_e32 v7, 0x37800000
	v_lshlrev_b32_e32 v3, 21, v3
	v_and_b32_e32 v2, 0x80000000, v2
	v_lshl_add_u32 v7, v8, 23, v7
	v_or3_b32 v2, v2, v7, v3
	v_cvt_f64_f32_e32 v[2:3], v2
.LBB221_1222:
	s_or_b64 exec, exec, s[6:7]
	s_mov_b64 s[4:5], 0
	s_branch .LBB221_1228
.LBB221_1223:
	s_mov_b64 s[6:7], -1
                                        ; implicit-def: $vgpr2_vgpr3
	s_branch .LBB221_1234
.LBB221_1224:
	s_or_saveexec_b64 s[8:9], s[8:9]
	v_pk_mov_b32 v[2:3], s[6:7], s[6:7] op_sel:[0,1]
	s_xor_b64 exec, exec, s[8:9]
	s_cbranch_execz .LBB221_1207
.LBB221_1225:
	v_cmp_ne_u16_e32 vcc, 0, v7
	s_andn2_b64 s[4:5], s[4:5], exec
	s_and_b64 s[6:7], vcc, exec
	v_pk_mov_b32 v[2:3], 0, 0
	s_or_b64 s[4:5], s[4:5], s[6:7]
	s_or_b64 exec, exec, s[8:9]
	s_and_saveexec_b64 s[6:7], s[4:5]
	s_cbranch_execnz .LBB221_1208
	s_branch .LBB221_1209
.LBB221_1226:
	s_mov_b64 s[4:5], -1
                                        ; implicit-def: $vgpr2_vgpr3
	s_branch .LBB221_1231
.LBB221_1227:
	s_mov_b64 s[4:5], -1
                                        ; implicit-def: $vgpr2_vgpr3
.LBB221_1228:
	s_and_b64 vcc, exec, s[4:5]
	s_cbranch_vccz .LBB221_1230
; %bb.1229:
	global_load_ubyte v2, v[4:5], off
	s_mov_b32 s4, 0x7f800000
	s_waitcnt vmcnt(0)
	v_lshlrev_b32_e32 v2, 24, v2
	v_and_b32_e32 v3, 0x7f000000, v2
	v_ffbh_u32_e32 v7, v3
	v_min_u32_e32 v7, 32, v7
	v_sub_u32_e64 v7, v7, 4 clamp
	v_lshlrev_b32_e32 v9, v7, v3
	v_lshlrev_b32_e32 v7, 23, v7
	v_lshrrev_b32_e32 v9, 4, v9
	v_add_u32_e32 v8, 0x1000000, v3
	v_sub_u32_e32 v7, v9, v7
	v_ashrrev_i32_e32 v8, 8, v8
	v_add_u32_e32 v7, 0x3c000000, v7
	v_and_or_b32 v7, v8, s4, v7
	v_cmp_ne_u32_e32 vcc, 0, v3
	v_cndmask_b32_e32 v3, 0, v7, vcc
	s_brev_b32 s4, 1
	v_and_or_b32 v2, v2, s4, v3
	v_cvt_f64_f32_e32 v[2:3], v2
.LBB221_1230:
	s_mov_b64 s[4:5], 0
.LBB221_1231:
	s_andn2_b64 vcc, exec, s[4:5]
	s_cbranch_vccnz .LBB221_1233
; %bb.1232:
	global_load_ubyte v2, v[4:5], off
	s_movk_i32 s4, 0x7f00
	s_brev_b32 s5, 16
	s_waitcnt vmcnt(0)
	v_lshlrev_b16_e32 v3, 8, v2
	v_lshlrev_b32_e32 v2, 25, v2
	v_lshrrev_b32_e32 v7, 4, v2
	v_and_or_b32 v8, v3, s4, 0.5
	v_or_b32_e32 v7, 0x70000000, v7
	v_add_f32_e32 v8, -0.5, v8
	v_mul_f32_e32 v7, 0x7800000, v7
	v_cmp_gt_u32_e32 vcc, s5, v2
	v_bfe_i32 v3, v3, 0, 16
	v_cndmask_b32_e32 v2, v7, v8, vcc
	s_brev_b32 s4, 1
	v_and_or_b32 v2, v3, s4, v2
	v_cvt_f64_f32_e32 v[2:3], v2
.LBB221_1233:
	s_mov_b64 s[6:7], 0
	s_mov_b64 s[4:5], -1
.LBB221_1234:
	s_andn2_b64 vcc, exec, s[6:7]
	s_cbranch_vccnz .LBB221_1246
; %bb.1235:
	v_cmp_lt_i16_e32 vcc, 14, v6
	s_cbranch_vccz .LBB221_1238
; %bb.1236:
	v_cmp_eq_u16_e32 vcc, 15, v6
	s_cbranch_vccz .LBB221_1241
; %bb.1237:
	global_load_ushort v2, v[4:5], off
	s_mov_b64 s[6:7], 0
	v_writelane_b32 v78, s6, 36
	s_mov_b64 s[4:5], -1
	v_writelane_b32 v78, s7, 37
	s_waitcnt vmcnt(0)
	v_lshlrev_b32_e32 v2, 16, v2
	v_cvt_f64_f32_e32 v[2:3], v2
	s_branch .LBB221_1242
.LBB221_1238:
	s_mov_b64 s[6:7], -1
                                        ; implicit-def: $vgpr2_vgpr3
	s_branch .LBB221_1243
.LBB221_1239:
	s_or_saveexec_b64 s[8:9], s[8:9]
	v_pk_mov_b32 v[2:3], s[6:7], s[6:7] op_sel:[0,1]
	s_xor_b64 exec, exec, s[8:9]
	s_cbranch_execz .LBB221_1220
.LBB221_1240:
	v_cmp_ne_u16_e32 vcc, 0, v7
	s_andn2_b64 s[4:5], s[4:5], exec
	s_and_b64 s[6:7], vcc, exec
	v_pk_mov_b32 v[2:3], 0, 0
	s_or_b64 s[4:5], s[4:5], s[6:7]
	s_or_b64 exec, exec, s[8:9]
	s_and_saveexec_b64 s[6:7], s[4:5]
	s_cbranch_execnz .LBB221_1221
	s_branch .LBB221_1222
.LBB221_1241:
	s_mov_b64 s[6:7], -1
	v_writelane_b32 v78, s6, 36
	v_writelane_b32 v78, s7, 37
                                        ; implicit-def: $vgpr2_vgpr3
.LBB221_1242:
	s_mov_b64 s[6:7], 0
.LBB221_1243:
	s_and_b64 vcc, exec, s[6:7]
	s_cbranch_vccz .LBB221_1246
; %bb.1244:
	v_cmp_eq_u16_e32 vcc, 11, v6
	s_cbranch_vccz .LBB221_1258
; %bb.1245:
	global_load_ubyte v3, v[4:5], off
	v_mov_b32_e32 v7, 0x3ff00000
	v_mov_b32_e32 v2, 0
	s_mov_b64 s[4:5], -1
	s_mov_b64 s[6:7], 0
	s_waitcnt vmcnt(0)
	v_cmp_ne_u16_e32 vcc, 0, v3
	v_cndmask_b32_e32 v3, 0, v7, vcc
	s_branch .LBB221_1247
.LBB221_1246:
	v_readlane_b32 s6, v78, 36
	v_readlane_b32 s7, v78, 37
.LBB221_1247:
	v_writelane_b32 v78, s6, 36
	v_writelane_b32 v78, s7, 37
.LBB221_1248:
	s_mov_b64 s[6:7], 0
.LBB221_1249:
	s_and_b64 vcc, exec, s[6:7]
	s_mov_b64 s[6:7], s[94:95]
	s_cbranch_vccz .LBB221_1299
; %bb.1250:
	v_cmp_gt_i16_e32 vcc, 5, v6
	s_cbranch_vccnz .LBB221_1255
; %bb.1251:
	v_cmp_gt_i16_e32 vcc, 8, v6
	s_cbranch_vccnz .LBB221_1256
	;; [unrolled: 3-line block ×3, first 2 shown]
; %bb.1253:
	v_cmp_lt_i16_e32 vcc, 9, v6
	s_cbranch_vccz .LBB221_1259
; %bb.1254:
	global_load_dwordx2 v[2:3], v[4:5], off
	s_mov_b64 s[4:5], 0
	s_branch .LBB221_1260
.LBB221_1255:
	s_mov_b64 s[4:5], -1
                                        ; implicit-def: $vgpr2_vgpr3
	s_branch .LBB221_1278
.LBB221_1256:
	s_mov_b64 s[4:5], -1
                                        ; implicit-def: $vgpr2_vgpr3
	s_branch .LBB221_1266
.LBB221_1257:
	s_mov_b64 s[4:5], -1
                                        ; implicit-def: $vgpr2_vgpr3
	s_branch .LBB221_1263
.LBB221_1258:
	s_mov_b64 s[6:7], -1
                                        ; implicit-def: $vgpr2_vgpr3
	s_branch .LBB221_1247
.LBB221_1259:
	s_mov_b64 s[4:5], -1
                                        ; implicit-def: $vgpr2_vgpr3
.LBB221_1260:
	s_andn2_b64 vcc, exec, s[4:5]
	s_cbranch_vccnz .LBB221_1262
; %bb.1261:
	global_load_dword v2, v[4:5], off
	s_waitcnt vmcnt(0)
	v_cvt_f64_f32_e32 v[2:3], v2
.LBB221_1262:
	s_mov_b64 s[4:5], 0
.LBB221_1263:
	s_andn2_b64 vcc, exec, s[4:5]
	s_cbranch_vccnz .LBB221_1265
; %bb.1264:
	global_load_dword v2, v[4:5], off
	s_waitcnt vmcnt(0)
	v_cvt_f32_f16_e32 v2, v2
	v_cvt_f64_f32_e32 v[2:3], v2
.LBB221_1265:
	s_mov_b64 s[4:5], 0
.LBB221_1266:
	s_andn2_b64 vcc, exec, s[4:5]
	s_cbranch_vccnz .LBB221_1277
; %bb.1267:
	v_cmp_gt_i16_e32 vcc, 6, v6
	s_cbranch_vccnz .LBB221_1270
; %bb.1268:
	v_cmp_lt_i16_e32 vcc, 6, v6
	s_cbranch_vccz .LBB221_1271
; %bb.1269:
	global_load_dwordx2 v[2:3], v[4:5], off
	s_mov_b64 s[4:5], 0
	s_branch .LBB221_1272
.LBB221_1270:
	s_mov_b64 s[4:5], -1
                                        ; implicit-def: $vgpr2_vgpr3
	s_branch .LBB221_1275
.LBB221_1271:
	s_mov_b64 s[4:5], -1
                                        ; implicit-def: $vgpr2_vgpr3
.LBB221_1272:
	s_andn2_b64 vcc, exec, s[4:5]
	s_cbranch_vccnz .LBB221_1274
; %bb.1273:
	global_load_dword v2, v[4:5], off
	s_waitcnt vmcnt(0)
	v_cvt_f64_f32_e32 v[2:3], v2
.LBB221_1274:
	s_mov_b64 s[4:5], 0
.LBB221_1275:
	s_andn2_b64 vcc, exec, s[4:5]
	s_cbranch_vccnz .LBB221_1277
; %bb.1276:
	global_load_ushort v2, v[4:5], off
	s_waitcnt vmcnt(0)
	v_cvt_f32_f16_e32 v2, v2
	v_cvt_f64_f32_e32 v[2:3], v2
.LBB221_1277:
	s_mov_b64 s[4:5], 0
.LBB221_1278:
	s_andn2_b64 vcc, exec, s[4:5]
	s_cbranch_vccnz .LBB221_1298
; %bb.1279:
	v_cmp_gt_i16_e32 vcc, 2, v6
	s_cbranch_vccnz .LBB221_1283
; %bb.1280:
	v_cmp_gt_i16_e32 vcc, 3, v6
	s_cbranch_vccnz .LBB221_1284
; %bb.1281:
	v_cmp_lt_i16_e32 vcc, 3, v6
	s_cbranch_vccz .LBB221_1285
; %bb.1282:
	global_load_dwordx2 v[2:3], v[4:5], off
	s_mov_b64 s[4:5], 0
	s_waitcnt vmcnt(0)
	v_cvt_f64_i32_e32 v[8:9], v3
	v_cvt_f64_u32_e32 v[2:3], v2
	v_ldexp_f64 v[8:9], v[8:9], 32
	v_add_f64 v[2:3], v[8:9], v[2:3]
	s_branch .LBB221_1286
.LBB221_1283:
	s_mov_b64 s[4:5], -1
                                        ; implicit-def: $vgpr2_vgpr3
	s_branch .LBB221_1292
.LBB221_1284:
	s_mov_b64 s[4:5], -1
                                        ; implicit-def: $vgpr2_vgpr3
	s_branch .LBB221_1289
.LBB221_1285:
	s_mov_b64 s[4:5], -1
                                        ; implicit-def: $vgpr2_vgpr3
.LBB221_1286:
	s_andn2_b64 vcc, exec, s[4:5]
	s_cbranch_vccnz .LBB221_1288
; %bb.1287:
	global_load_dword v2, v[4:5], off
	s_waitcnt vmcnt(0)
	v_cvt_f64_i32_e32 v[2:3], v2
.LBB221_1288:
	s_mov_b64 s[4:5], 0
.LBB221_1289:
	s_andn2_b64 vcc, exec, s[4:5]
	s_cbranch_vccnz .LBB221_1291
; %bb.1290:
	global_load_sshort v2, v[4:5], off
	s_waitcnt vmcnt(0)
	v_cvt_f64_i32_e32 v[2:3], v2
.LBB221_1291:
	s_mov_b64 s[4:5], 0
.LBB221_1292:
	s_andn2_b64 vcc, exec, s[4:5]
	s_cbranch_vccnz .LBB221_1298
; %bb.1293:
	v_cmp_lt_i16_e32 vcc, 0, v6
	s_cbranch_vccz .LBB221_1295
; %bb.1294:
	global_load_sbyte v2, v[4:5], off
	s_mov_b64 s[4:5], 0
	s_waitcnt vmcnt(0)
	v_cvt_f64_i32_e32 v[2:3], v2
	s_branch .LBB221_1296
.LBB221_1295:
	s_mov_b64 s[4:5], -1
                                        ; implicit-def: $vgpr2_vgpr3
.LBB221_1296:
	s_andn2_b64 vcc, exec, s[4:5]
	s_cbranch_vccnz .LBB221_1298
; %bb.1297:
	global_load_ubyte v2, v[4:5], off
	s_waitcnt vmcnt(0)
	v_cvt_f64_u32_e32 v[2:3], v2
.LBB221_1298:
	s_mov_b64 s[4:5], -1
.LBB221_1299:
	s_andn2_b64 vcc, exec, s[4:5]
	s_cbranch_vccnz .LBB221_1307
; %bb.1300:
	v_mul_lo_u32 v4, v76, s47
	v_ashrrev_i32_e32 v5, 31, v4
	v_mov_b32_e32 v7, s43
	v_add_co_u32_e32 v6, vcc, s42, v4
	v_addc_co_u32_e32 v7, vcc, v7, v5, vcc
	v_cmp_gt_i16_e32 vcc, 11, v77
	s_cbranch_vccnz .LBB221_1308
; %bb.1301:
	v_cmp_lt_i16_e32 vcc, 25, v77
	s_cbranch_vccz .LBB221_1309
; %bb.1302:
	v_cmp_lt_i16_e32 vcc, 28, v77
	s_cbranch_vccz .LBB221_1310
	;; [unrolled: 3-line block ×4, first 2 shown]
; %bb.1305:
	v_cmp_eq_u16_e32 vcc, 46, v77
	s_mov_b64 s[6:7], 0
	s_cbranch_vccz .LBB221_1315
; %bb.1306:
	global_load_dword v4, v[6:7], off
	s_mov_b64 s[8:9], 0
	v_writelane_b32 v78, s8, 38
	s_mov_b64 s[4:5], -1
	v_writelane_b32 v78, s9, 39
	s_waitcnt vmcnt(0)
	v_lshlrev_b32_e32 v4, 16, v4
	v_cvt_f64_f32_e32 v[4:5], v4
	s_branch .LBB221_1316
.LBB221_1307:
	s_mov_b64 s[12:13], 0
	s_mov_b64 s[4:5], s[96:97]
	v_writelane_b32 v78, s6, 38
                                        ; implicit-def: $vgpr76
	v_writelane_b32 v78, s7, 39
	s_branch .LBB221_1559
.LBB221_1308:
	s_mov_b64 s[8:9], s[6:7]
	v_writelane_b32 v78, s8, 38
	s_mov_b64 s[6:7], -1
	s_mov_b64 s[4:5], 0
                                        ; implicit-def: $vgpr4_vgpr5
	v_writelane_b32 v78, s9, 39
	s_branch .LBB221_1384
.LBB221_1309:
	s_mov_b64 s[8:9], s[6:7]
	s_mov_b64 s[6:7], -1
	s_mov_b64 s[4:5], 0
	v_writelane_b32 v78, s8, 38
                                        ; implicit-def: $vgpr4_vgpr5
	v_writelane_b32 v78, s9, 39
	s_branch .LBB221_1347
.LBB221_1310:
	s_mov_b64 s[8:9], s[6:7]
	s_mov_b64 s[6:7], -1
	s_mov_b64 s[4:5], 0
	v_writelane_b32 v78, s8, 38
                                        ; implicit-def: $vgpr4_vgpr5
	v_writelane_b32 v78, s9, 39
	s_branch .LBB221_1328
.LBB221_1311:
	s_mov_b64 s[8:9], s[6:7]
	s_mov_b64 s[6:7], -1
	s_mov_b64 s[4:5], 0
	v_writelane_b32 v78, s8, 38
                                        ; implicit-def: $vgpr4_vgpr5
	v_writelane_b32 v78, s9, 39
	s_branch .LBB221_1322
.LBB221_1312:
	s_mov_b64 s[6:7], -1
	s_mov_b64 s[4:5], 0
	v_writelane_b32 v78, s94, 38
	v_writelane_b32 v78, s95, 39
                                        ; implicit-def: $vgpr4_vgpr5
	s_branch .LBB221_1316
.LBB221_1313:
	s_or_saveexec_b64 s[10:11], s[10:11]
                                        ; implicit-def: $sgpr12
	s_xor_b64 exec, exec, s[10:11]
	s_cbranch_execz .LBB221_956
.LBB221_1314:
	s_mov_b32 s12, 0x42800000
	v_add_f32_e64 v3, |v2|, s12
	v_and_b32_e32 v3, 0xff, v3
	v_cmp_ne_u32_e32 vcc, 0, v3
	s_andn2_b64 s[8:9], s[8:9], exec
	s_and_b64 s[14:15], vcc, exec
	s_mov_b32 s12, 0
	s_or_b64 s[8:9], s[8:9], s[14:15]
	s_or_b64 exec, exec, s[10:11]
	v_mov_b32_e32 v6, s12
	s_and_saveexec_b64 s[10:11], s[8:9]
	s_cbranch_execnz .LBB221_957
	s_branch .LBB221_958
.LBB221_1315:
	s_mov_b64 s[4:5], -1
	v_writelane_b32 v78, s4, 38
	v_writelane_b32 v78, s5, 39
                                        ; implicit-def: $vgpr4_vgpr5
	s_mov_b64 s[4:5], 0
.LBB221_1316:
	s_and_b64 vcc, exec, s[6:7]
	s_cbranch_vccz .LBB221_1321
; %bb.1317:
	v_cmp_eq_u16_e32 vcc, 44, v77
	s_cbranch_vccz .LBB221_1319
; %bb.1318:
	global_load_ubyte v8, v[6:7], off
	s_movk_i32 s6, 0xff
	v_bfrev_b32_e32 v9, 4
	v_mov_b32_e32 v10, 0x7ff80000
	v_bfrev_b32_e32 v11, 28
	s_mov_b64 s[4:5], -1
	s_waitcnt vmcnt(0)
	v_lshlrev_b32_e32 v4, 23, v8
	v_cvt_f64_f32_e32 v[4:5], v4
	v_cmp_ne_u32_e32 vcc, s6, v8
	v_cndmask_b32_e32 v4, v9, v4, vcc
	v_cndmask_b32_e32 v5, v10, v5, vcc
	v_cmp_ne_u32_e32 vcc, 0, v8
	v_cndmask_b32_e32 v5, v11, v5, vcc
	v_cndmask_b32_e32 v4, 0, v4, vcc
	s_mov_b64 s[6:7], 0
	s_branch .LBB221_1320
.LBB221_1319:
	s_mov_b64 s[6:7], -1
                                        ; implicit-def: $vgpr4_vgpr5
.LBB221_1320:
	v_writelane_b32 v78, s6, 38
	v_writelane_b32 v78, s7, 39
.LBB221_1321:
	s_mov_b64 s[6:7], 0
.LBB221_1322:
	s_and_b64 vcc, exec, s[6:7]
	s_cbranch_vccz .LBB221_1327
; %bb.1323:
	v_cmp_eq_u16_e32 vcc, 29, v77
	s_cbranch_vccz .LBB221_1325
; %bb.1324:
	global_load_dwordx2 v[4:5], v[6:7], off
	s_mov_b64 s[4:5], -1
	s_mov_b64 s[6:7], 0
	s_waitcnt vmcnt(0)
	v_cvt_f64_u32_e32 v[8:9], v5
	v_cvt_f64_u32_e32 v[4:5], v4
	v_ldexp_f64 v[8:9], v[8:9], 32
	v_add_f64 v[4:5], v[8:9], v[4:5]
	s_branch .LBB221_1326
.LBB221_1325:
	s_mov_b64 s[6:7], -1
                                        ; implicit-def: $vgpr4_vgpr5
.LBB221_1326:
	v_writelane_b32 v78, s6, 38
	v_writelane_b32 v78, s7, 39
.LBB221_1327:
	s_mov_b64 s[6:7], 0
.LBB221_1328:
	s_and_b64 vcc, exec, s[6:7]
	s_cbranch_vccz .LBB221_1346
; %bb.1329:
	v_cmp_gt_i16_e32 vcc, 27, v77
	s_cbranch_vccnz .LBB221_1332
; %bb.1330:
	v_cmp_lt_i16_e32 vcc, 27, v77
	s_cbranch_vccz .LBB221_1333
; %bb.1331:
	global_load_dword v4, v[6:7], off
	s_mov_b64 s[4:5], 0
	s_waitcnt vmcnt(0)
	v_cvt_f64_u32_e32 v[4:5], v4
	s_branch .LBB221_1334
.LBB221_1332:
	s_mov_b64 s[4:5], -1
                                        ; implicit-def: $vgpr4_vgpr5
	s_branch .LBB221_1337
.LBB221_1333:
	s_mov_b64 s[4:5], -1
                                        ; implicit-def: $vgpr4_vgpr5
.LBB221_1334:
	s_andn2_b64 vcc, exec, s[4:5]
	s_cbranch_vccnz .LBB221_1336
; %bb.1335:
	global_load_ushort v4, v[6:7], off
	s_waitcnt vmcnt(0)
	v_cvt_f64_u32_e32 v[4:5], v4
.LBB221_1336:
	s_mov_b64 s[4:5], 0
.LBB221_1337:
	s_andn2_b64 vcc, exec, s[4:5]
	s_cbranch_vccnz .LBB221_1345
; %bb.1338:
	global_load_ubyte v8, v[6:7], off
	s_movk_i32 s4, 0x7f
                                        ; implicit-def: $sgpr6_sgpr7
	s_waitcnt vmcnt(0)
	v_cmp_lt_i16_e32 vcc, s4, v8
	s_mov_b64 s[4:5], 0
	s_and_saveexec_b64 s[8:9], vcc
	s_xor_b64 s[8:9], exec, s[8:9]
	s_cbranch_execz .LBB221_1359
; %bb.1339:
	s_movk_i32 s4, 0x80
	v_cmp_eq_u16_e32 vcc, s4, v8
	s_mov_b64 s[10:11], -1
                                        ; implicit-def: $sgpr6_sgpr7
	s_and_saveexec_b64 s[4:5], vcc
; %bb.1340:
	s_mov_b32 s7, 0x7ff80000
	s_brev_b32 s6, 4
	s_xor_b64 s[10:11], exec, -1
; %bb.1341:
	s_or_b64 exec, exec, s[4:5]
	s_and_b64 s[4:5], s[10:11], exec
	s_or_saveexec_b64 s[8:9], s[8:9]
	v_pk_mov_b32 v[4:5], s[6:7], s[6:7] op_sel:[0,1]
	s_xor_b64 exec, exec, s[8:9]
	s_cbranch_execnz .LBB221_1360
.LBB221_1342:
	s_or_b64 exec, exec, s[8:9]
	s_and_saveexec_b64 s[6:7], s[4:5]
	s_cbranch_execz .LBB221_1344
.LBB221_1343:
	v_and_b32_e32 v5, 0xffff, v8
	v_lshlrev_b32_e32 v4, 24, v8
	v_and_b32_e32 v8, 7, v5
	v_ffbh_u32_e32 v10, v8
	v_min_u32_e32 v10, 32, v10
	v_subrev_u32_e32 v11, 28, v10
	v_bfe_u32 v9, v5, 3, 4
	v_lshlrev_b32_e32 v5, v11, v5
	v_sub_u32_e32 v10, 29, v10
	v_and_b32_e32 v5, 7, v5
	v_cmp_eq_u32_e32 vcc, 0, v9
	v_cndmask_b32_e32 v9, v9, v10, vcc
	v_cndmask_b32_e32 v5, v8, v5, vcc
	v_mov_b32_e32 v8, 0x3b800000
	v_lshlrev_b32_e32 v5, 20, v5
	v_and_b32_e32 v4, 0x80000000, v4
	v_lshl_add_u32 v8, v9, 23, v8
	v_or3_b32 v4, v4, v8, v5
	v_cvt_f64_f32_e32 v[4:5], v4
.LBB221_1344:
	s_or_b64 exec, exec, s[6:7]
.LBB221_1345:
	s_mov_b64 s[4:5], -1
.LBB221_1346:
	s_mov_b64 s[6:7], 0
.LBB221_1347:
	s_and_b64 vcc, exec, s[6:7]
	s_cbranch_vccz .LBB221_1383
; %bb.1348:
	v_cmp_lt_i16_e32 vcc, 22, v77
	s_cbranch_vccz .LBB221_1358
; %bb.1349:
	v_cmp_gt_i16_e32 vcc, 24, v77
	s_cbranch_vccnz .LBB221_1361
; %bb.1350:
	v_cmp_lt_i16_e32 vcc, 24, v77
	s_cbranch_vccz .LBB221_1362
; %bb.1351:
	global_load_ubyte v8, v[6:7], off
	s_movk_i32 s4, 0x7f
                                        ; implicit-def: $sgpr6_sgpr7
	s_waitcnt vmcnt(0)
	v_cmp_lt_i16_e32 vcc, s4, v8
	s_mov_b64 s[4:5], 0
	s_and_saveexec_b64 s[8:9], vcc
	s_xor_b64 s[8:9], exec, s[8:9]
	s_cbranch_execz .LBB221_1374
; %bb.1352:
	s_movk_i32 s4, 0x80
	v_cmp_eq_u16_e32 vcc, s4, v8
	s_mov_b64 s[10:11], -1
                                        ; implicit-def: $sgpr6_sgpr7
	s_and_saveexec_b64 s[4:5], vcc
; %bb.1353:
	s_mov_b32 s7, 0x7ff80000
	s_brev_b32 s6, 4
	s_xor_b64 s[10:11], exec, -1
; %bb.1354:
	s_or_b64 exec, exec, s[4:5]
	s_and_b64 s[4:5], s[10:11], exec
	s_or_saveexec_b64 s[8:9], s[8:9]
	v_pk_mov_b32 v[4:5], s[6:7], s[6:7] op_sel:[0,1]
	s_xor_b64 exec, exec, s[8:9]
	s_cbranch_execnz .LBB221_1375
.LBB221_1355:
	s_or_b64 exec, exec, s[8:9]
	s_and_saveexec_b64 s[6:7], s[4:5]
	s_cbranch_execz .LBB221_1357
.LBB221_1356:
	v_and_b32_e32 v5, 0xffff, v8
	v_lshlrev_b32_e32 v4, 24, v8
	v_and_b32_e32 v8, 3, v5
	v_ffbh_u32_e32 v10, v8
	v_min_u32_e32 v10, 32, v10
	v_subrev_u32_e32 v11, 29, v10
	v_bfe_u32 v9, v5, 2, 5
	v_lshlrev_b32_e32 v5, v11, v5
	v_sub_u32_e32 v10, 30, v10
	v_and_b32_e32 v5, 3, v5
	v_cmp_eq_u32_e32 vcc, 0, v9
	v_cndmask_b32_e32 v9, v9, v10, vcc
	v_cndmask_b32_e32 v5, v8, v5, vcc
	v_mov_b32_e32 v8, 0x37800000
	v_lshlrev_b32_e32 v5, 21, v5
	v_and_b32_e32 v4, 0x80000000, v4
	v_lshl_add_u32 v8, v9, 23, v8
	v_or3_b32 v4, v4, v8, v5
	v_cvt_f64_f32_e32 v[4:5], v4
.LBB221_1357:
	s_or_b64 exec, exec, s[6:7]
	s_mov_b64 s[4:5], 0
	s_branch .LBB221_1363
.LBB221_1358:
	s_mov_b64 s[6:7], -1
                                        ; implicit-def: $vgpr4_vgpr5
	s_branch .LBB221_1369
.LBB221_1359:
	s_or_saveexec_b64 s[8:9], s[8:9]
	v_pk_mov_b32 v[4:5], s[6:7], s[6:7] op_sel:[0,1]
	s_xor_b64 exec, exec, s[8:9]
	s_cbranch_execz .LBB221_1342
.LBB221_1360:
	v_cmp_ne_u16_e32 vcc, 0, v8
	s_andn2_b64 s[4:5], s[4:5], exec
	s_and_b64 s[6:7], vcc, exec
	v_pk_mov_b32 v[4:5], 0, 0
	s_or_b64 s[4:5], s[4:5], s[6:7]
	s_or_b64 exec, exec, s[8:9]
	s_and_saveexec_b64 s[6:7], s[4:5]
	s_cbranch_execnz .LBB221_1343
	s_branch .LBB221_1344
.LBB221_1361:
	s_mov_b64 s[4:5], -1
                                        ; implicit-def: $vgpr4_vgpr5
	s_branch .LBB221_1366
.LBB221_1362:
	s_mov_b64 s[4:5], -1
                                        ; implicit-def: $vgpr4_vgpr5
.LBB221_1363:
	s_and_b64 vcc, exec, s[4:5]
	s_cbranch_vccz .LBB221_1365
; %bb.1364:
	global_load_ubyte v4, v[6:7], off
	s_mov_b32 s4, 0x7f800000
	s_waitcnt vmcnt(0)
	v_lshlrev_b32_e32 v4, 24, v4
	v_and_b32_e32 v5, 0x7f000000, v4
	v_ffbh_u32_e32 v8, v5
	v_min_u32_e32 v8, 32, v8
	v_sub_u32_e64 v8, v8, 4 clamp
	v_lshlrev_b32_e32 v10, v8, v5
	v_lshlrev_b32_e32 v8, 23, v8
	v_lshrrev_b32_e32 v10, 4, v10
	v_add_u32_e32 v9, 0x1000000, v5
	v_sub_u32_e32 v8, v10, v8
	v_ashrrev_i32_e32 v9, 8, v9
	v_add_u32_e32 v8, 0x3c000000, v8
	v_and_or_b32 v8, v9, s4, v8
	v_cmp_ne_u32_e32 vcc, 0, v5
	v_cndmask_b32_e32 v5, 0, v8, vcc
	s_brev_b32 s4, 1
	v_and_or_b32 v4, v4, s4, v5
	v_cvt_f64_f32_e32 v[4:5], v4
.LBB221_1365:
	s_mov_b64 s[4:5], 0
.LBB221_1366:
	s_andn2_b64 vcc, exec, s[4:5]
	s_cbranch_vccnz .LBB221_1368
; %bb.1367:
	global_load_ubyte v4, v[6:7], off
	s_movk_i32 s4, 0x7f00
	s_brev_b32 s5, 16
	s_waitcnt vmcnt(0)
	v_lshlrev_b16_e32 v5, 8, v4
	v_lshlrev_b32_e32 v4, 25, v4
	v_lshrrev_b32_e32 v8, 4, v4
	v_and_or_b32 v9, v5, s4, 0.5
	v_or_b32_e32 v8, 0x70000000, v8
	v_add_f32_e32 v9, -0.5, v9
	v_mul_f32_e32 v8, 0x7800000, v8
	v_cmp_gt_u32_e32 vcc, s5, v4
	v_bfe_i32 v5, v5, 0, 16
	v_cndmask_b32_e32 v4, v8, v9, vcc
	s_brev_b32 s4, 1
	v_and_or_b32 v4, v5, s4, v4
	v_cvt_f64_f32_e32 v[4:5], v4
.LBB221_1368:
	s_mov_b64 s[6:7], 0
	s_mov_b64 s[4:5], -1
.LBB221_1369:
	s_andn2_b64 vcc, exec, s[6:7]
	s_cbranch_vccnz .LBB221_1381
; %bb.1370:
	v_cmp_lt_i16_e32 vcc, 14, v77
	s_cbranch_vccz .LBB221_1373
; %bb.1371:
	v_cmp_eq_u16_e32 vcc, 15, v77
	s_cbranch_vccz .LBB221_1376
; %bb.1372:
	global_load_ushort v4, v[6:7], off
	s_mov_b64 s[6:7], 0
	v_writelane_b32 v78, s6, 38
	s_mov_b64 s[4:5], -1
	v_writelane_b32 v78, s7, 39
	s_waitcnt vmcnt(0)
	v_lshlrev_b32_e32 v4, 16, v4
	v_cvt_f64_f32_e32 v[4:5], v4
	s_branch .LBB221_1377
.LBB221_1373:
	s_mov_b64 s[6:7], -1
                                        ; implicit-def: $vgpr4_vgpr5
	s_branch .LBB221_1378
.LBB221_1374:
	s_or_saveexec_b64 s[8:9], s[8:9]
	v_pk_mov_b32 v[4:5], s[6:7], s[6:7] op_sel:[0,1]
	s_xor_b64 exec, exec, s[8:9]
	s_cbranch_execz .LBB221_1355
.LBB221_1375:
	v_cmp_ne_u16_e32 vcc, 0, v8
	s_andn2_b64 s[4:5], s[4:5], exec
	s_and_b64 s[6:7], vcc, exec
	v_pk_mov_b32 v[4:5], 0, 0
	s_or_b64 s[4:5], s[4:5], s[6:7]
	s_or_b64 exec, exec, s[8:9]
	s_and_saveexec_b64 s[6:7], s[4:5]
	s_cbranch_execnz .LBB221_1356
	s_branch .LBB221_1357
.LBB221_1376:
	s_mov_b64 s[6:7], -1
	v_writelane_b32 v78, s6, 38
	v_writelane_b32 v78, s7, 39
                                        ; implicit-def: $vgpr4_vgpr5
.LBB221_1377:
	s_mov_b64 s[6:7], 0
.LBB221_1378:
	s_and_b64 vcc, exec, s[6:7]
	s_cbranch_vccz .LBB221_1381
; %bb.1379:
	v_cmp_eq_u16_e32 vcc, 11, v77
	s_cbranch_vccz .LBB221_1393
; %bb.1380:
	global_load_ubyte v5, v[6:7], off
	v_mov_b32_e32 v8, 0x3ff00000
	v_mov_b32_e32 v4, 0
	s_mov_b64 s[4:5], -1
	s_mov_b64 s[6:7], 0
	s_waitcnt vmcnt(0)
	v_cmp_ne_u16_e32 vcc, 0, v5
	v_cndmask_b32_e32 v5, 0, v8, vcc
	s_branch .LBB221_1382
.LBB221_1381:
	v_readlane_b32 s6, v78, 38
	v_readlane_b32 s7, v78, 39
.LBB221_1382:
	v_writelane_b32 v78, s6, 38
	v_writelane_b32 v78, s7, 39
.LBB221_1383:
	s_mov_b64 s[6:7], 0
.LBB221_1384:
	s_and_b64 vcc, exec, s[6:7]
	s_cbranch_vccz .LBB221_1434
; %bb.1385:
	v_cmp_gt_i16_e32 vcc, 5, v77
	s_cbranch_vccnz .LBB221_1390
; %bb.1386:
	v_cmp_gt_i16_e32 vcc, 8, v77
	s_cbranch_vccnz .LBB221_1391
	;; [unrolled: 3-line block ×3, first 2 shown]
; %bb.1388:
	v_cmp_lt_i16_e32 vcc, 9, v77
	s_cbranch_vccz .LBB221_1394
; %bb.1389:
	global_load_dwordx2 v[4:5], v[6:7], off
	s_mov_b64 s[4:5], 0
	s_branch .LBB221_1395
.LBB221_1390:
	s_mov_b64 s[4:5], -1
                                        ; implicit-def: $vgpr4_vgpr5
	s_branch .LBB221_1413
.LBB221_1391:
	s_mov_b64 s[4:5], -1
                                        ; implicit-def: $vgpr4_vgpr5
	s_branch .LBB221_1401
.LBB221_1392:
	s_mov_b64 s[4:5], -1
                                        ; implicit-def: $vgpr4_vgpr5
	s_branch .LBB221_1398
.LBB221_1393:
	s_mov_b64 s[6:7], -1
                                        ; implicit-def: $vgpr4_vgpr5
	s_branch .LBB221_1382
.LBB221_1394:
	s_mov_b64 s[4:5], -1
                                        ; implicit-def: $vgpr4_vgpr5
.LBB221_1395:
	s_andn2_b64 vcc, exec, s[4:5]
	s_cbranch_vccnz .LBB221_1397
; %bb.1396:
	global_load_dword v4, v[6:7], off
	s_waitcnt vmcnt(0)
	v_cvt_f64_f32_e32 v[4:5], v4
.LBB221_1397:
	s_mov_b64 s[4:5], 0
.LBB221_1398:
	s_andn2_b64 vcc, exec, s[4:5]
	s_cbranch_vccnz .LBB221_1400
; %bb.1399:
	global_load_dword v4, v[6:7], off
	s_waitcnt vmcnt(0)
	v_cvt_f32_f16_e32 v4, v4
	v_cvt_f64_f32_e32 v[4:5], v4
.LBB221_1400:
	s_mov_b64 s[4:5], 0
.LBB221_1401:
	s_andn2_b64 vcc, exec, s[4:5]
	s_cbranch_vccnz .LBB221_1412
; %bb.1402:
	v_cmp_gt_i16_e32 vcc, 6, v77
	s_cbranch_vccnz .LBB221_1405
; %bb.1403:
	v_cmp_lt_i16_e32 vcc, 6, v77
	s_cbranch_vccz .LBB221_1406
; %bb.1404:
	global_load_dwordx2 v[4:5], v[6:7], off
	s_mov_b64 s[4:5], 0
	s_branch .LBB221_1407
.LBB221_1405:
	s_mov_b64 s[4:5], -1
                                        ; implicit-def: $vgpr4_vgpr5
	s_branch .LBB221_1410
.LBB221_1406:
	s_mov_b64 s[4:5], -1
                                        ; implicit-def: $vgpr4_vgpr5
.LBB221_1407:
	s_andn2_b64 vcc, exec, s[4:5]
	s_cbranch_vccnz .LBB221_1409
; %bb.1408:
	global_load_dword v4, v[6:7], off
	s_waitcnt vmcnt(0)
	v_cvt_f64_f32_e32 v[4:5], v4
.LBB221_1409:
	s_mov_b64 s[4:5], 0
.LBB221_1410:
	s_andn2_b64 vcc, exec, s[4:5]
	s_cbranch_vccnz .LBB221_1412
; %bb.1411:
	global_load_ushort v4, v[6:7], off
	s_waitcnt vmcnt(0)
	v_cvt_f32_f16_e32 v4, v4
	v_cvt_f64_f32_e32 v[4:5], v4
.LBB221_1412:
	s_mov_b64 s[4:5], 0
.LBB221_1413:
	s_andn2_b64 vcc, exec, s[4:5]
	s_cbranch_vccnz .LBB221_1433
; %bb.1414:
	v_cmp_gt_i16_e32 vcc, 2, v77
	s_cbranch_vccnz .LBB221_1418
; %bb.1415:
	v_cmp_gt_i16_e32 vcc, 3, v77
	s_cbranch_vccnz .LBB221_1419
; %bb.1416:
	v_cmp_lt_i16_e32 vcc, 3, v77
	s_cbranch_vccz .LBB221_1420
; %bb.1417:
	global_load_dwordx2 v[4:5], v[6:7], off
	s_mov_b64 s[4:5], 0
	s_waitcnt vmcnt(0)
	v_cvt_f64_i32_e32 v[8:9], v5
	v_cvt_f64_u32_e32 v[4:5], v4
	v_ldexp_f64 v[8:9], v[8:9], 32
	v_add_f64 v[4:5], v[8:9], v[4:5]
	s_branch .LBB221_1421
.LBB221_1418:
	s_mov_b64 s[4:5], -1
                                        ; implicit-def: $vgpr4_vgpr5
	s_branch .LBB221_1427
.LBB221_1419:
	s_mov_b64 s[4:5], -1
                                        ; implicit-def: $vgpr4_vgpr5
	s_branch .LBB221_1424
.LBB221_1420:
	s_mov_b64 s[4:5], -1
                                        ; implicit-def: $vgpr4_vgpr5
.LBB221_1421:
	s_andn2_b64 vcc, exec, s[4:5]
	s_cbranch_vccnz .LBB221_1423
; %bb.1422:
	global_load_dword v4, v[6:7], off
	s_waitcnt vmcnt(0)
	v_cvt_f64_i32_e32 v[4:5], v4
.LBB221_1423:
	s_mov_b64 s[4:5], 0
.LBB221_1424:
	s_andn2_b64 vcc, exec, s[4:5]
	s_cbranch_vccnz .LBB221_1426
; %bb.1425:
	global_load_sshort v4, v[6:7], off
	s_waitcnt vmcnt(0)
	v_cvt_f64_i32_e32 v[4:5], v4
.LBB221_1426:
	s_mov_b64 s[4:5], 0
.LBB221_1427:
	s_andn2_b64 vcc, exec, s[4:5]
	s_cbranch_vccnz .LBB221_1433
; %bb.1428:
	v_cmp_lt_i16_e32 vcc, 0, v77
	s_cbranch_vccz .LBB221_1430
; %bb.1429:
	global_load_sbyte v4, v[6:7], off
	s_mov_b64 s[4:5], 0
	s_waitcnt vmcnt(0)
	v_cvt_f64_i32_e32 v[4:5], v4
	s_branch .LBB221_1431
.LBB221_1430:
	s_mov_b64 s[4:5], -1
                                        ; implicit-def: $vgpr4_vgpr5
.LBB221_1431:
	s_andn2_b64 vcc, exec, s[4:5]
	s_cbranch_vccnz .LBB221_1433
; %bb.1432:
	global_load_ubyte v4, v[6:7], off
	s_waitcnt vmcnt(0)
	v_cvt_f64_u32_e32 v[4:5], v4
.LBB221_1433:
	s_mov_b64 s[4:5], -1
.LBB221_1434:
	s_andn2_b64 vcc, exec, s[4:5]
	s_cbranch_vccnz .LBB221_1442
; %bb.1435:
	v_writelane_b32 v78, s48, 28
	v_writelane_b32 v78, s49, 29
	;; [unrolled: 1-line block ×13, first 2 shown]
	s_mov_b64 s[90:91], s[46:47]
	s_getpc_b64 s[4:5]
	s_add_u32 s4, s4, _ZZZZN2at6native28launch_dirichlet_grad_kernelERNS_18TensorIteratorBaseEENKUlvE_clEvENKUlvE_clEvENKUldddE_clEddd@rel32@lo+4
	s_addc_u32 s5, s5, _ZZZZN2at6native28launch_dirichlet_grad_kernelERNS_18TensorIteratorBaseEENKUlvE_clEvENKUlvE_clEvENKUldddE_clEddd@rel32@hi+12
	v_writelane_b32 v78, s43, 11
	s_mov_b64 s[88:89], s[44:45]
	s_swappc_b64 s[30:31], s[4:5]
	s_mov_b64 s[44:45], s[88:89]
	v_readlane_b32 s36, v78, 4
	v_readlane_b32 s37, v78, 5
	v_mul_lo_u32 v2, v76, s44
	v_ashrrev_i32_e32 v3, 31, v2
	v_mov_b32_e32 v5, s37
	v_add_co_u32_e32 v4, vcc, s36, v2
	v_mov_b32_e32 v2, 11
	v_addc_co_u32_e32 v5, vcc, v5, v3, vcc
	v_cmp_lt_i16_sdwa s[4:5], v41, v2 src0_sel:BYTE_0 src1_sel:DWORD
	s_mov_b64 s[46:47], s[90:91]
	v_readlane_b32 s38, v78, 6
	v_readlane_b32 s39, v78, 7
	v_readlane_b32 s40, v78, 8
	v_readlane_b32 s41, v78, 9
	v_readlane_b32 s42, v78, 10
	v_readlane_b32 s43, v78, 11
	s_and_b64 vcc, exec, s[4:5]
	s_cbranch_vccnz .LBB221_1443
; %bb.1436:
	v_mov_b32_e32 v2, 25
	v_cmp_gt_i16_sdwa s[4:5], v41, v2 src0_sel:BYTE_0 src1_sel:DWORD
	s_and_b64 vcc, exec, s[4:5]
	s_cbranch_vccz .LBB221_1444
; %bb.1437:
	v_mov_b32_e32 v2, 28
	v_cmp_gt_i16_sdwa s[4:5], v41, v2 src0_sel:BYTE_0 src1_sel:DWORD
	v_readlane_b32 s30, v78, 42
	v_readlane_b32 s34, v78, 40
	;; [unrolled: 1-line block ×3, first 2 shown]
	s_and_b64 vcc, exec, s[4:5]
	v_readlane_b32 s31, v78, 43
	v_readlane_b32 s35, v78, 41
	;; [unrolled: 1-line block ×3, first 2 shown]
	s_cbranch_vccz .LBB221_1445
; %bb.1438:
	v_mov_b32_e32 v2, 43
	v_cmp_gt_i16_sdwa s[4:5], v41, v2 src0_sel:BYTE_0 src1_sel:DWORD
	s_and_b64 vcc, exec, s[4:5]
	s_cbranch_vccz .LBB221_1446
; %bb.1439:
	v_mov_b32_e32 v2, 45
	v_cmp_gt_i16_sdwa s[4:5], v41, v2 src0_sel:BYTE_0 src1_sel:DWORD
	s_and_b64 vcc, exec, s[4:5]
	s_mov_b64 s[50:51], 0
	s_cbranch_vccz .LBB221_1447
; %bb.1440:
	v_mov_b32_e32 v2, 46
	v_cmp_eq_u16_sdwa s[6:7], v41, v2 src0_sel:BYTE_0 src1_sel:DWORD
	s_mov_b64 s[8:9], 0
	s_mov_b64 s[4:5], -1
	s_and_b64 vcc, exec, s[6:7]
	s_mov_b64 s[6:7], 0
	s_cbranch_vccz .LBB221_1448
; %bb.1441:
	v_cvt_f32_f64_e32 v2, v[0:1]
	v_bfe_u32 v3, v2, 16, 1
	s_movk_i32 s4, 0x7fff
	v_add3_u32 v3, v2, v3, s4
	v_lshrrev_b32_e32 v3, 16, v3
	v_mov_b32_e32 v6, 0x7fc0
	v_cmp_o_f32_e32 vcc, v2, v2
	v_cndmask_b32_e32 v2, v6, v3, vcc
	global_store_dword v[4:5], v2, off
	s_mov_b64 s[6:7], -1
	s_mov_b64 s[4:5], 0
	s_branch .LBB221_1448
.LBB221_1442:
	s_mov_b64 s[12:13], 0
                                        ; implicit-def: $vgpr76
	s_mov_b64 s[4:5], s[96:97]
	s_branch .LBB221_1559
.LBB221_1443:
	v_readlane_b32 s30, v78, 42
	v_readlane_b32 s34, v78, 40
	;; [unrolled: 1-line block ×3, first 2 shown]
	s_mov_b64 s[8:9], -1
	s_mov_b64 s[6:7], 0
	s_mov_b64 s[4:5], s[96:97]
	v_readlane_b32 s31, v78, 43
	s_mov_b64 s[50:51], 0
	v_readlane_b32 s35, v78, 41
	v_readlane_b32 s49, v78, 29
	s_branch .LBB221_1517
.LBB221_1444:
	v_readlane_b32 s30, v78, 42
	v_readlane_b32 s34, v78, 40
	;; [unrolled: 1-line block ×3, first 2 shown]
	s_mov_b64 s[8:9], -1
	s_mov_b64 s[6:7], 0
	s_mov_b64 s[4:5], s[96:97]
	v_readlane_b32 s31, v78, 43
	s_mov_b64 s[50:51], 0
	v_readlane_b32 s35, v78, 41
	v_readlane_b32 s49, v78, 29
	s_branch .LBB221_1475
.LBB221_1445:
	s_mov_b64 s[8:9], -1
	s_mov_b64 s[6:7], 0
	s_mov_b64 s[4:5], s[96:97]
	;; [unrolled: 1-line block ×3, first 2 shown]
	s_branch .LBB221_1458
.LBB221_1446:
	s_mov_b64 s[8:9], -1
	s_mov_b64 s[6:7], 0
	s_mov_b64 s[4:5], s[96:97]
	;; [unrolled: 1-line block ×3, first 2 shown]
	s_branch .LBB221_1454
.LBB221_1447:
	s_mov_b64 s[8:9], -1
	s_mov_b64 s[6:7], 0
	s_mov_b64 s[4:5], s[96:97]
.LBB221_1448:
	s_and_b64 vcc, exec, s[8:9]
	s_cbranch_vccz .LBB221_1453
; %bb.1449:
	v_mov_b32_e32 v2, 44
	v_cmp_eq_u16_sdwa s[8:9], v41, v2 src0_sel:BYTE_0 src1_sel:DWORD
	s_mov_b64 s[4:5], -1
	s_and_b64 vcc, exec, s[8:9]
	s_cbranch_vccz .LBB221_1453
; %bb.1450:
	v_cvt_f32_f64_e32 v2, v[0:1]
	v_bfe_u32 v3, v2, 23, 8
	s_movk_i32 s4, 0xff
	v_cmp_ne_u32_e32 vcc, s4, v3
	v_mov_b32_e32 v6, 0xff
	s_and_saveexec_b64 s[6:7], vcc
; %bb.1451:
	s_mov_b32 s4, 0x3fffff
	v_lshrrev_b32_e32 v6, 23, v2
	v_and_b32_e32 v7, 0x400000, v2
	v_and_or_b32 v2, v2, s4, v3
	v_cmp_ne_u32_e32 vcc, 0, v7
	v_cmp_ne_u32_e64 s[4:5], 0, v2
	s_and_b64 s[4:5], vcc, s[4:5]
	v_cndmask_b32_e64 v2, 0, 1, s[4:5]
	v_add_u32_e32 v6, v6, v2
; %bb.1452:
	s_or_b64 exec, exec, s[6:7]
	s_mov_b64 s[6:7], -1
	s_mov_b64 s[4:5], 0
	global_store_byte v[4:5], v6, off
.LBB221_1453:
	s_mov_b64 s[8:9], 0
.LBB221_1454:
	s_and_b64 vcc, exec, s[8:9]
	s_cbranch_vccz .LBB221_1457
; %bb.1455:
	v_mov_b32_e32 v2, 29
	v_cmp_eq_u16_sdwa s[8:9], v41, v2 src0_sel:BYTE_0 src1_sel:DWORD
	s_mov_b64 s[4:5], -1
	s_and_b64 vcc, exec, s[8:9]
	s_cbranch_vccz .LBB221_1457
; %bb.1456:
	v_trunc_f64_e32 v[2:3], v[0:1]
	s_movk_i32 s4, 0xffe0
	v_ldexp_f64 v[6:7], v[2:3], s4
	v_floor_f64_e32 v[6:7], v[6:7]
	v_fmac_f64_e32 v[2:3], 0xc1f00000, v[6:7]
	v_cvt_u32_f64_e32 v9, v[6:7]
	v_cvt_u32_f64_e32 v8, v[2:3]
	global_store_dwordx2 v[4:5], v[8:9], off
	s_mov_b64 s[6:7], -1
	s_mov_b64 s[4:5], 0
.LBB221_1457:
	s_mov_b64 s[8:9], 0
.LBB221_1458:
	s_and_b64 vcc, exec, s[8:9]
	s_cbranch_vccz .LBB221_1474
; %bb.1459:
	v_mov_b32_e32 v2, 27
	v_cmp_lt_i16_sdwa s[8:9], v41, v2 src0_sel:BYTE_0 src1_sel:DWORD
	s_mov_b64 s[6:7], -1
	s_and_b64 vcc, exec, s[8:9]
	s_cbranch_vccnz .LBB221_1465
; %bb.1460:
	v_cmp_gt_i16_sdwa s[8:9], v41, v2 src0_sel:BYTE_0 src1_sel:DWORD
	s_and_b64 vcc, exec, s[8:9]
	v_cvt_u32_f64_e32 v2, v[0:1]
	s_cbranch_vccz .LBB221_1462
; %bb.1461:
	s_mov_b64 s[6:7], 0
	global_store_dword v[4:5], v2, off
.LBB221_1462:
	s_andn2_b64 vcc, exec, s[6:7]
	s_cbranch_vccnz .LBB221_1464
; %bb.1463:
	global_store_short v[4:5], v2, off
.LBB221_1464:
	s_mov_b64 s[6:7], 0
.LBB221_1465:
	s_andn2_b64 vcc, exec, s[6:7]
	s_cbranch_vccnz .LBB221_1473
; %bb.1466:
	v_cvt_f32_f64_e32 v2, v[0:1]
	v_and_b32_e32 v3, 0x7fffffff, v2
	s_mov_b32 s6, 0x43800000
	v_cmp_gt_u32_e32 vcc, s6, v3
	v_mov_b32_e32 v6, 0x80
	s_and_saveexec_b64 s[6:7], vcc
	s_cbranch_execz .LBB221_1472
; %bb.1467:
	s_mov_b32 s8, 0x3bffffff
	v_cmp_lt_u32_e32 vcc, s8, v3
	s_mov_b64 s[8:9], 0
                                        ; implicit-def: $vgpr3
	s_and_saveexec_b64 s[10:11], vcc
	s_xor_b64 s[10:11], exec, s[10:11]
	s_cbranch_execz .LBB221_2726
; %bb.1468:
	v_bfe_u32 v3, v2, 20, 1
	s_mov_b32 s12, 0x487ffff
	v_add3_u32 v3, v2, v3, s12
	s_mov_b64 s[8:9], exec
	v_lshrrev_b32_e32 v3, 20, v3
	s_or_saveexec_b64 s[10:11], s[10:11]
                                        ; implicit-def: $sgpr12
	s_xor_b64 exec, exec, s[10:11]
	s_cbranch_execnz .LBB221_2727
.LBB221_1469:
	s_or_b64 exec, exec, s[10:11]
	v_mov_b32_e32 v6, s12
	s_and_saveexec_b64 s[10:11], s[8:9]
.LBB221_1470:
	v_lshrrev_b32_e32 v2, 24, v2
	s_movk_i32 s8, 0x80
	v_and_or_b32 v6, v2, s8, v3
.LBB221_1471:
	s_or_b64 exec, exec, s[10:11]
.LBB221_1472:
	s_or_b64 exec, exec, s[6:7]
	global_store_byte v[4:5], v6, off
.LBB221_1473:
	s_mov_b64 s[6:7], -1
.LBB221_1474:
	s_mov_b64 s[8:9], 0
.LBB221_1475:
	s_and_b64 vcc, exec, s[8:9]
	s_cbranch_vccz .LBB221_1516
; %bb.1476:
	v_mov_b32_e32 v2, 22
	v_cmp_gt_i16_sdwa s[10:11], v41, v2 src0_sel:BYTE_0 src1_sel:DWORD
	s_mov_b64 s[8:9], -1
	s_and_b64 vcc, exec, s[10:11]
	s_cbranch_vccz .LBB221_1508
; %bb.1477:
	v_mov_b32_e32 v2, 24
	v_cmp_lt_i16_sdwa s[8:9], v41, v2 src0_sel:BYTE_0 src1_sel:DWORD
	s_mov_b64 s[6:7], -1
	s_and_b64 vcc, exec, s[8:9]
	s_cbranch_vccnz .LBB221_1497
; %bb.1478:
	v_cmp_gt_i16_sdwa s[8:9], v41, v2 src0_sel:BYTE_0 src1_sel:DWORD
	s_and_b64 vcc, exec, s[8:9]
	s_cbranch_vccz .LBB221_1486
; %bb.1479:
	v_cvt_f32_f64_e32 v2, v[0:1]
	v_and_b32_e32 v3, 0x7fffffff, v2
	s_mov_b32 s6, 0x47800000
	v_cmp_gt_u32_e32 vcc, s6, v3
	v_mov_b32_e32 v6, 0x80
	s_and_saveexec_b64 s[6:7], vcc
	s_cbranch_execz .LBB221_1485
; %bb.1480:
	s_mov_b32 s8, 0x37ffffff
	v_cmp_lt_u32_e32 vcc, s8, v3
	s_mov_b64 s[8:9], 0
                                        ; implicit-def: $vgpr3
	s_and_saveexec_b64 s[10:11], vcc
	s_xor_b64 s[10:11], exec, s[10:11]
	s_cbranch_execz .LBB221_2858
; %bb.1481:
	v_bfe_u32 v3, v2, 21, 1
	s_mov_b32 s12, 0x88fffff
	v_add3_u32 v3, v2, v3, s12
	s_mov_b64 s[8:9], exec
	v_lshrrev_b32_e32 v3, 21, v3
	s_or_saveexec_b64 s[10:11], s[10:11]
                                        ; implicit-def: $sgpr12
	s_xor_b64 exec, exec, s[10:11]
	s_cbranch_execnz .LBB221_2859
.LBB221_1482:
	s_or_b64 exec, exec, s[10:11]
	v_mov_b32_e32 v6, s12
	s_and_saveexec_b64 s[10:11], s[8:9]
.LBB221_1483:
	v_lshrrev_b32_e32 v2, 24, v2
	s_movk_i32 s8, 0x80
	v_and_or_b32 v6, v2, s8, v3
.LBB221_1484:
	s_or_b64 exec, exec, s[10:11]
.LBB221_1485:
	s_or_b64 exec, exec, s[6:7]
	s_mov_b64 s[6:7], 0
	global_store_byte v[4:5], v6, off
.LBB221_1486:
	s_and_b64 vcc, exec, s[6:7]
	s_cbranch_vccz .LBB221_1496
; %bb.1487:
	v_cvt_f32_f64_e32 v2, v[0:1]
	v_and_b32_e32 v6, 0x7fffffff, v2
	s_mov_b32 s6, 0x43f00000
	v_cmp_gt_u32_e32 vcc, s6, v6
                                        ; implicit-def: $vgpr3
	s_and_saveexec_b64 s[6:7], vcc
	s_xor_b64 s[6:7], exec, s[6:7]
	s_cbranch_execz .LBB221_1493
; %bb.1488:
	s_mov_b32 s8, 0x3c7fffff
	v_cmp_lt_u32_e32 vcc, s8, v6
                                        ; implicit-def: $vgpr3
	s_and_saveexec_b64 s[8:9], vcc
	s_xor_b64 s[8:9], exec, s[8:9]
; %bb.1489:
	v_bfe_u32 v3, v2, 20, 1
	s_mov_b32 s10, 0x407ffff
	v_add3_u32 v3, v2, v3, s10
	v_lshrrev_b32_e32 v6, 20, v3
	v_and_b32_e32 v3, 0xff00000, v3
	s_mov_b32 s10, 0x7f00000
	v_mov_b32_e32 v7, 0x7e
	v_cmp_ne_u32_e32 vcc, s10, v3
	v_cndmask_b32_e32 v3, v7, v6, vcc
; %bb.1490:
	s_andn2_saveexec_b64 s[8:9], s[8:9]
; %bb.1491:
	s_mov_b32 s10, 0x46800000
	v_add_f32_e64 v3, |v2|, s10
; %bb.1492:
	s_or_b64 exec, exec, s[8:9]
                                        ; implicit-def: $vgpr6
.LBB221_1493:
	s_andn2_saveexec_b64 s[6:7], s[6:7]
; %bb.1494:
	s_mov_b32 s8, 0x7f800000
	v_mov_b32_e32 v3, 0x7e
	v_mov_b32_e32 v7, 0x7f
	v_cmp_lt_u32_e32 vcc, s8, v6
	v_cndmask_b32_e32 v3, v3, v7, vcc
; %bb.1495:
	s_or_b64 exec, exec, s[6:7]
	v_lshrrev_b32_e32 v2, 24, v2
	s_movk_i32 s6, 0x80
	v_and_or_b32 v2, v2, s6, v3
	global_store_byte v[4:5], v2, off
.LBB221_1496:
	s_mov_b64 s[6:7], 0
.LBB221_1497:
	s_andn2_b64 vcc, exec, s[6:7]
	s_cbranch_vccnz .LBB221_1507
; %bb.1498:
	v_cvt_f32_f64_e32 v2, v[0:1]
	v_and_b32_e32 v6, 0x7fffffff, v2
	s_mov_b32 s6, 0x47800000
	v_cmp_gt_u32_e32 vcc, s6, v6
                                        ; implicit-def: $vgpr3
	s_and_saveexec_b64 s[6:7], vcc
	s_xor_b64 s[6:7], exec, s[6:7]
	s_cbranch_execz .LBB221_1504
; %bb.1499:
	s_mov_b32 s8, 0x387fffff
	v_cmp_lt_u32_e32 vcc, s8, v6
                                        ; implicit-def: $vgpr3
	s_and_saveexec_b64 s[8:9], vcc
	s_xor_b64 s[8:9], exec, s[8:9]
; %bb.1500:
	v_bfe_u32 v3, v2, 21, 1
	s_mov_b32 s10, 0x80fffff
	v_add3_u32 v3, v2, v3, s10
	v_lshrrev_b32_e32 v3, 21, v3
; %bb.1501:
	s_andn2_saveexec_b64 s[8:9], s[8:9]
; %bb.1502:
	s_mov_b32 s10, 0x43000000
	v_add_f32_e64 v3, |v2|, s10
; %bb.1503:
	s_or_b64 exec, exec, s[8:9]
                                        ; implicit-def: $vgpr6
.LBB221_1504:
	s_andn2_saveexec_b64 s[6:7], s[6:7]
; %bb.1505:
	s_mov_b32 s8, 0x7f800000
	v_mov_b32_e32 v3, 0x7c
	v_mov_b32_e32 v7, 0x7f
	v_cmp_lt_u32_e32 vcc, s8, v6
	v_cndmask_b32_e32 v3, v3, v7, vcc
; %bb.1506:
	s_or_b64 exec, exec, s[6:7]
	v_lshrrev_b32_e32 v2, 24, v2
	s_movk_i32 s6, 0x80
	v_and_or_b32 v2, v2, s6, v3
	global_store_byte v[4:5], v2, off
.LBB221_1507:
	s_mov_b64 s[8:9], 0
	s_mov_b64 s[6:7], -1
.LBB221_1508:
	s_andn2_b64 vcc, exec, s[8:9]
	s_cbranch_vccnz .LBB221_1516
; %bb.1509:
	v_mov_b32_e32 v2, 14
	v_cmp_gt_i16_sdwa s[10:11], v41, v2 src0_sel:BYTE_0 src1_sel:DWORD
	s_mov_b64 s[8:9], -1
	s_and_b64 vcc, exec, s[10:11]
	s_cbranch_vccz .LBB221_1513
; %bb.1510:
	v_mov_b32_e32 v2, 15
	v_cmp_eq_u16_sdwa s[8:9], v41, v2 src0_sel:BYTE_0 src1_sel:DWORD
	s_mov_b64 s[4:5], -1
	s_and_b64 vcc, exec, s[8:9]
	s_cbranch_vccz .LBB221_1512
; %bb.1511:
	v_cvt_f32_f64_e32 v2, v[0:1]
	v_bfe_u32 v3, v2, 16, 1
	s_movk_i32 s4, 0x7fff
	v_add3_u32 v3, v2, v3, s4
	v_lshrrev_b32_e32 v3, 16, v3
	v_mov_b32_e32 v6, 0x7fc0
	v_cmp_o_f32_e32 vcc, v2, v2
	v_cndmask_b32_e32 v2, v6, v3, vcc
	global_store_short v[4:5], v2, off
	s_mov_b64 s[6:7], -1
	s_mov_b64 s[4:5], 0
.LBB221_1512:
	s_mov_b64 s[8:9], 0
.LBB221_1513:
	s_and_b64 vcc, exec, s[8:9]
	s_cbranch_vccz .LBB221_1516
; %bb.1514:
	v_mov_b32_e32 v2, 11
	v_cmp_eq_u16_sdwa s[8:9], v41, v2 src0_sel:BYTE_0 src1_sel:DWORD
	s_mov_b64 s[4:5], -1
	s_and_b64 vcc, exec, s[8:9]
	s_cbranch_vccz .LBB221_1516
; %bb.1515:
	v_cmp_neq_f64_e32 vcc, 0, v[0:1]
	s_mov_b64 s[4:5], 0
	v_cndmask_b32_e64 v2, 0, 1, vcc
	s_mov_b64 s[6:7], -1
	global_store_byte v[4:5], v2, off
.LBB221_1516:
	s_mov_b64 s[8:9], 0
.LBB221_1517:
	s_and_b64 vcc, exec, s[8:9]
	s_cbranch_vccz .LBB221_1556
; %bb.1518:
	v_mov_b32_e32 v2, 5
	v_cmp_lt_i16_sdwa s[8:9], v41, v2 src0_sel:BYTE_0 src1_sel:DWORD
	s_mov_b64 s[6:7], -1
	s_and_b64 vcc, exec, s[8:9]
	s_cbranch_vccnz .LBB221_1539
; %bb.1519:
	v_mov_b32_e32 v2, 8
	v_cmp_lt_i16_sdwa s[8:9], v41, v2 src0_sel:BYTE_0 src1_sel:DWORD
	s_and_b64 vcc, exec, s[8:9]
	s_cbranch_vccnz .LBB221_1529
; %bb.1520:
	v_mov_b32_e32 v2, 9
	v_cmp_lt_i16_sdwa s[8:9], v41, v2 src0_sel:BYTE_0 src1_sel:DWORD
	s_and_b64 vcc, exec, s[8:9]
	s_cbranch_vccnz .LBB221_1526
; %bb.1521:
	v_cmp_gt_i16_sdwa s[8:9], v41, v2 src0_sel:BYTE_0 src1_sel:DWORD
	s_and_b64 vcc, exec, s[8:9]
	s_cbranch_vccz .LBB221_1523
; %bb.1522:
	v_mov_b32_e32 v2, 0
	v_mov_b32_e32 v3, v2
	s_mov_b64 s[6:7], 0
	global_store_dwordx4 v[4:5], v[0:3], off
.LBB221_1523:
	s_andn2_b64 vcc, exec, s[6:7]
	s_cbranch_vccnz .LBB221_1525
; %bb.1524:
	v_cvt_f32_f64_e32 v2, v[0:1]
	v_mov_b32_e32 v3, 0
	global_store_dwordx2 v[4:5], v[2:3], off
.LBB221_1525:
	s_mov_b64 s[6:7], 0
.LBB221_1526:
	s_andn2_b64 vcc, exec, s[6:7]
	s_cbranch_vccnz .LBB221_1528
; %bb.1527:
	v_cvt_f32_f64_e32 v2, v[0:1]
	v_cvt_f16_f32_e32 v2, v2
	global_store_dword v[4:5], v2, off
.LBB221_1528:
	s_mov_b64 s[6:7], 0
.LBB221_1529:
	s_andn2_b64 vcc, exec, s[6:7]
	s_cbranch_vccnz .LBB221_1538
; %bb.1530:
	v_mov_b32_e32 v2, 6
	v_cmp_lt_i16_sdwa s[8:9], v41, v2 src0_sel:BYTE_0 src1_sel:DWORD
	s_mov_b64 s[6:7], -1
	s_and_b64 vcc, exec, s[8:9]
	s_cbranch_vccnz .LBB221_1536
; %bb.1531:
	v_cmp_gt_i16_sdwa s[8:9], v41, v2 src0_sel:BYTE_0 src1_sel:DWORD
	s_and_b64 vcc, exec, s[8:9]
	s_cbranch_vccz .LBB221_1533
; %bb.1532:
	s_mov_b64 s[6:7], 0
	global_store_dwordx2 v[4:5], v[0:1], off
.LBB221_1533:
	s_andn2_b64 vcc, exec, s[6:7]
	s_cbranch_vccnz .LBB221_1535
; %bb.1534:
	v_cvt_f32_f64_e32 v2, v[0:1]
	global_store_dword v[4:5], v2, off
.LBB221_1535:
	s_mov_b64 s[6:7], 0
.LBB221_1536:
	s_andn2_b64 vcc, exec, s[6:7]
	s_cbranch_vccnz .LBB221_1538
; %bb.1537:
	v_cvt_f32_f64_e32 v2, v[0:1]
	v_cvt_f16_f32_e32 v2, v2
	global_store_short v[4:5], v2, off
.LBB221_1538:
	s_mov_b64 s[6:7], 0
.LBB221_1539:
	s_andn2_b64 vcc, exec, s[6:7]
	s_cbranch_vccnz .LBB221_1555
; %bb.1540:
	v_mov_b32_e32 v2, 2
	v_cmp_lt_i16_sdwa s[8:9], v41, v2 src0_sel:BYTE_0 src1_sel:DWORD
	s_mov_b64 s[6:7], -1
	s_and_b64 vcc, exec, s[8:9]
	s_cbranch_vccnz .LBB221_1550
; %bb.1541:
	v_mov_b32_e32 v2, 3
	v_cmp_lt_i16_sdwa s[8:9], v41, v2 src0_sel:BYTE_0 src1_sel:DWORD
	s_and_b64 vcc, exec, s[8:9]
	s_cbranch_vccnz .LBB221_1547
; %bb.1542:
	v_cmp_gt_i16_sdwa s[8:9], v41, v2 src0_sel:BYTE_0 src1_sel:DWORD
	s_and_b64 vcc, exec, s[8:9]
	s_cbranch_vccz .LBB221_1544
; %bb.1543:
	v_trunc_f64_e32 v[2:3], v[0:1]
	s_movk_i32 s6, 0xffe0
	v_ldexp_f64 v[6:7], v[2:3], s6
	v_floor_f64_e32 v[6:7], v[6:7]
	v_fmac_f64_e32 v[2:3], 0xc1f00000, v[6:7]
	v_cvt_i32_f64_e32 v9, v[6:7]
	v_cvt_u32_f64_e32 v8, v[2:3]
	s_mov_b64 s[6:7], 0
	global_store_dwordx2 v[4:5], v[8:9], off
.LBB221_1544:
	s_andn2_b64 vcc, exec, s[6:7]
	s_cbranch_vccnz .LBB221_1546
; %bb.1545:
	v_cvt_i32_f64_e32 v2, v[0:1]
	global_store_dword v[4:5], v2, off
.LBB221_1546:
	s_mov_b64 s[6:7], 0
.LBB221_1547:
	s_andn2_b64 vcc, exec, s[6:7]
	s_cbranch_vccnz .LBB221_1549
; %bb.1548:
	v_cvt_i32_f64_e32 v2, v[0:1]
	global_store_short v[4:5], v2, off
.LBB221_1549:
	s_mov_b64 s[6:7], 0
.LBB221_1550:
	s_andn2_b64 vcc, exec, s[6:7]
	s_cbranch_vccnz .LBB221_1555
; %bb.1551:
	v_mov_b32_e32 v2, 0
	v_cmp_gt_i16_sdwa s[8:9], v41, v2 src0_sel:BYTE_0 src1_sel:DWORD
	s_mov_b64 s[6:7], -1
	s_and_b64 vcc, exec, s[8:9]
	s_cbranch_vccz .LBB221_1553
; %bb.1552:
	v_cvt_i32_f64_e32 v2, v[0:1]
	s_mov_b64 s[6:7], 0
	global_store_byte v[4:5], v2, off
.LBB221_1553:
	s_andn2_b64 vcc, exec, s[6:7]
	s_cbranch_vccnz .LBB221_1555
; %bb.1554:
	v_trunc_f64_e32 v[0:1], v[0:1]
	s_movk_i32 s6, 0xffe0
	v_ldexp_f64 v[2:3], v[0:1], s6
	v_floor_f64_e32 v[2:3], v[2:3]
	v_fmac_f64_e32 v[0:1], 0xc1f00000, v[2:3]
	v_cvt_u32_f64_e32 v0, v[0:1]
	global_store_byte v[4:5], v0, off
.LBB221_1555:
	s_mov_b64 s[6:7], -1
.LBB221_1556:
	s_andn2_b64 vcc, exec, s[6:7]
	s_cbranch_vccnz .LBB221_1558
; %bb.1557:
	v_add_u32_e32 v76, 0x80, v76
	s_mov_b64 s[12:13], -1
	s_branch .LBB221_1559
.LBB221_1558:
	s_mov_b64 s[12:13], 0
                                        ; implicit-def: $vgpr76
.LBB221_1559:
	v_readlane_b32 s16, v78, 36
	v_readlane_b32 s18, v78, 38
	s_mov_b64 s[14:15], s[92:93]
	s_mov_b64 s[8:9], s[94:95]
	v_readlane_b32 s17, v78, 37
	v_readlane_b32 s19, v78, 39
.LBB221_1560:
	s_andn2_b64 s[6:7], s[96:97], exec
	s_and_b64 s[4:5], s[4:5], exec
	s_or_b64 s[10:11], s[6:7], s[4:5]
	s_andn2_b64 s[4:5], s[8:9], exec
	s_and_b64 s[6:7], s[18:19], exec
	s_or_b64 s[8:9], s[4:5], s[6:7]
	;; [unrolled: 3-line block ×3, first 2 shown]
	v_readlane_b32 s4, v78, 20
	v_readlane_b32 s14, v78, 34
	;; [unrolled: 1-line block ×4, first 2 shown]
	s_andn2_b64 s[4:5], s[4:5], exec
	s_and_b64 s[14:15], s[14:15], exec
	s_or_b64 s[4:5], s[4:5], s[14:15]
	s_orn2_b64 s[20:21], s[12:13], exec
.LBB221_1561:
	v_readlane_b32 s12, v78, 32
	v_readlane_b32 s13, v78, 33
	s_or_b64 exec, exec, s[12:13]
	s_mov_b64 s[14:15], 0
	s_mov_b64 s[16:17], 0
	;; [unrolled: 1-line block ×3, first 2 shown]
                                        ; implicit-def: $vgpr2
                                        ; implicit-def: $vgpr0_vgpr1
                                        ; implicit-def: $vgpr6_vgpr7
	s_and_saveexec_b64 s[12:13], s[20:21]
	v_readlane_b32 s22, v78, 18
	v_readlane_b32 s24, v78, 30
	;; [unrolled: 1-line block ×4, first 2 shown]
	s_cbranch_execz .LBB221_1642
; %bb.1562:
	v_cmp_gt_i32_e32 vcc, s33, v76
	s_mov_b64 s[20:21], 0
	s_mov_b64 s[22:23], s[4:5]
	;; [unrolled: 1-line block ×4, first 2 shown]
                                        ; implicit-def: $vgpr2
                                        ; implicit-def: $vgpr0_vgpr1
                                        ; implicit-def: $vgpr6_vgpr7
	s_and_saveexec_b64 s[14:15], vcc
	s_cbranch_execz .LBB221_1641
; %bb.1563:
	s_waitcnt vmcnt(0)
	v_mul_lo_u32 v0, v76, s45
	v_ashrrev_i32_e32 v1, 31, v0
	v_mov_b32_e32 v2, s39
	v_add_co_u32_e32 v0, vcc, s38, v0
	v_addc_co_u32_e32 v1, vcc, v2, v1, vcc
	v_and_b32_e32 v2, 0xff, v72
	v_cmp_gt_i16_e32 vcc, 11, v2
	s_cbranch_vccnz .LBB221_1570
; %bb.1564:
	v_cmp_lt_i16_e32 vcc, 25, v2
	s_cbranch_vccz .LBB221_1571
; %bb.1565:
	v_cmp_lt_i16_e32 vcc, 28, v2
	s_cbranch_vccz .LBB221_1572
	;; [unrolled: 3-line block ×4, first 2 shown]
; %bb.1568:
	v_cmp_eq_u16_e32 vcc, 46, v2
	s_mov_b64 s[22:23], 0
	s_cbranch_vccz .LBB221_1575
; %bb.1569:
	global_load_dword v3, v[0:1], off
	s_mov_b64 s[20:21], -1
	s_waitcnt vmcnt(0)
	v_lshlrev_b32_e32 v3, 16, v3
	v_cvt_f64_f32_e32 v[6:7], v3
	s_branch .LBB221_1577
.LBB221_1570:
	s_mov_b64 s[22:23], -1
                                        ; implicit-def: $vgpr6_vgpr7
	s_mov_b64 s[16:17], s[4:5]
	s_branch .LBB221_1640
.LBB221_1571:
	s_mov_b64 s[22:23], -1
	s_mov_b64 s[16:17], s[4:5]
                                        ; implicit-def: $vgpr6_vgpr7
	s_branch .LBB221_1606
.LBB221_1572:
	s_mov_b64 s[22:23], -1
	s_mov_b64 s[16:17], s[4:5]
                                        ; implicit-def: $vgpr6_vgpr7
	s_branch .LBB221_1587
.LBB221_1573:
	s_mov_b64 s[22:23], -1
	s_mov_b64 s[16:17], s[4:5]
                                        ; implicit-def: $vgpr6_vgpr7
	s_branch .LBB221_1582
.LBB221_1574:
	s_mov_b64 s[22:23], -1
	s_mov_b64 s[16:17], s[4:5]
	s_branch .LBB221_1576
.LBB221_1575:
	s_mov_b64 s[16:17], -1
.LBB221_1576:
                                        ; implicit-def: $vgpr6_vgpr7
.LBB221_1577:
	s_and_b64 vcc, exec, s[22:23]
	s_cbranch_vccz .LBB221_1581
; %bb.1578:
	v_cmp_eq_u16_e32 vcc, 44, v2
	s_cbranch_vccz .LBB221_1580
; %bb.1579:
	global_load_ubyte v3, v[0:1], off
	s_movk_i32 s20, 0xff
	v_bfrev_b32_e32 v6, 4
	v_mov_b32_e32 v7, 0x7ff80000
	v_bfrev_b32_e32 v8, 28
	s_mov_b64 s[16:17], 0
	s_waitcnt vmcnt(0)
	v_lshlrev_b32_e32 v4, 23, v3
	v_cvt_f64_f32_e32 v[4:5], v4
	v_cmp_ne_u32_e32 vcc, s20, v3
	v_cndmask_b32_e32 v4, v6, v4, vcc
	v_cndmask_b32_e32 v5, v7, v5, vcc
	v_cmp_ne_u32_e32 vcc, 0, v3
	v_cndmask_b32_e32 v7, v8, v5, vcc
	v_cndmask_b32_e32 v6, 0, v4, vcc
	s_mov_b64 s[20:21], -1
	s_branch .LBB221_1581
.LBB221_1580:
	s_mov_b64 s[16:17], -1
                                        ; implicit-def: $vgpr6_vgpr7
.LBB221_1581:
	s_mov_b64 s[22:23], 0
.LBB221_1582:
	s_and_b64 vcc, exec, s[22:23]
	s_cbranch_vccz .LBB221_1586
; %bb.1583:
	v_cmp_eq_u16_e32 vcc, 29, v2
	s_cbranch_vccz .LBB221_1585
; %bb.1584:
	global_load_dwordx2 v[4:5], v[0:1], off
	s_mov_b64 s[16:17], 0
	s_mov_b64 s[20:21], -1
	s_mov_b64 s[22:23], 0
	s_waitcnt vmcnt(0)
	v_cvt_f64_u32_e32 v[6:7], v5
	v_cvt_f64_u32_e32 v[4:5], v4
	v_ldexp_f64 v[6:7], v[6:7], 32
	v_add_f64 v[6:7], v[6:7], v[4:5]
	s_branch .LBB221_1587
.LBB221_1585:
	s_mov_b64 s[16:17], -1
                                        ; implicit-def: $vgpr6_vgpr7
.LBB221_1586:
	s_mov_b64 s[22:23], 0
.LBB221_1587:
	s_and_b64 vcc, exec, s[22:23]
	s_cbranch_vccz .LBB221_1605
; %bb.1588:
	v_cmp_gt_i16_e32 vcc, 27, v2
	s_cbranch_vccnz .LBB221_1591
; %bb.1589:
	v_cmp_lt_i16_e32 vcc, 27, v2
	s_cbranch_vccz .LBB221_1592
; %bb.1590:
	global_load_dword v3, v[0:1], off
	s_mov_b64 s[20:21], 0
	s_waitcnt vmcnt(0)
	v_cvt_f64_u32_e32 v[6:7], v3
	s_branch .LBB221_1593
.LBB221_1591:
	s_mov_b64 s[20:21], -1
                                        ; implicit-def: $vgpr6_vgpr7
	s_branch .LBB221_1596
.LBB221_1592:
	s_mov_b64 s[20:21], -1
                                        ; implicit-def: $vgpr6_vgpr7
.LBB221_1593:
	s_andn2_b64 vcc, exec, s[20:21]
	s_cbranch_vccnz .LBB221_1595
; %bb.1594:
	global_load_ushort v3, v[0:1], off
	s_waitcnt vmcnt(0)
	v_cvt_f64_u32_e32 v[6:7], v3
.LBB221_1595:
	s_mov_b64 s[20:21], 0
.LBB221_1596:
	s_andn2_b64 vcc, exec, s[20:21]
	s_cbranch_vccnz .LBB221_1604
; %bb.1597:
	global_load_ubyte v3, v[0:1], off
	s_movk_i32 s20, 0x7f
                                        ; implicit-def: $sgpr22_sgpr23
	s_waitcnt vmcnt(0)
	v_cmp_lt_i16_e32 vcc, s20, v3
	s_mov_b64 s[20:21], 0
	s_and_saveexec_b64 s[24:25], vcc
	s_xor_b64 s[24:25], exec, s[24:25]
	s_cbranch_execz .LBB221_1618
; %bb.1598:
	s_movk_i32 s20, 0x80
	v_cmp_eq_u16_e32 vcc, s20, v3
	s_mov_b64 s[26:27], -1
                                        ; implicit-def: $sgpr22_sgpr23
	s_and_saveexec_b64 s[20:21], vcc
; %bb.1599:
	s_mov_b32 s23, 0x7ff80000
	s_brev_b32 s22, 4
	s_xor_b64 s[26:27], exec, -1
; %bb.1600:
	s_or_b64 exec, exec, s[20:21]
	s_and_b64 s[20:21], s[26:27], exec
	s_or_saveexec_b64 s[24:25], s[24:25]
	v_pk_mov_b32 v[6:7], s[22:23], s[22:23] op_sel:[0,1]
	s_xor_b64 exec, exec, s[24:25]
	s_cbranch_execnz .LBB221_1619
.LBB221_1601:
	s_or_b64 exec, exec, s[24:25]
	s_and_saveexec_b64 s[22:23], s[20:21]
	s_cbranch_execz .LBB221_1603
.LBB221_1602:
	v_lshlrev_b32_e32 v4, 24, v3
	v_and_b32_e32 v3, 0xffff, v3
	v_and_b32_e32 v5, 7, v3
	v_ffbh_u32_e32 v7, v5
	v_min_u32_e32 v7, 32, v7
	v_subrev_u32_e32 v8, 28, v7
	v_bfe_u32 v6, v3, 3, 4
	v_lshlrev_b32_e32 v3, v8, v3
	v_sub_u32_e32 v7, 29, v7
	v_and_b32_e32 v3, 7, v3
	v_cmp_eq_u32_e32 vcc, 0, v6
	v_cndmask_b32_e32 v6, v6, v7, vcc
	v_cndmask_b32_e32 v3, v5, v3, vcc
	v_mov_b32_e32 v5, 0x3b800000
	v_lshlrev_b32_e32 v3, 20, v3
	v_and_b32_e32 v4, 0x80000000, v4
	v_lshl_add_u32 v5, v6, 23, v5
	v_or3_b32 v3, v4, v5, v3
	v_cvt_f64_f32_e32 v[6:7], v3
.LBB221_1603:
	s_or_b64 exec, exec, s[22:23]
.LBB221_1604:
	s_mov_b64 s[20:21], -1
.LBB221_1605:
	s_mov_b64 s[22:23], 0
.LBB221_1606:
	s_and_b64 vcc, exec, s[22:23]
	s_cbranch_vccz .LBB221_1639
; %bb.1607:
	v_cmp_lt_i16_e32 vcc, 22, v2
	s_cbranch_vccz .LBB221_1617
; %bb.1608:
	v_cmp_gt_i16_e32 vcc, 24, v2
	s_cbranch_vccnz .LBB221_1620
; %bb.1609:
	v_cmp_lt_i16_e32 vcc, 24, v2
	s_cbranch_vccz .LBB221_1621
; %bb.1610:
	global_load_ubyte v3, v[0:1], off
	s_movk_i32 s18, 0x7f
                                        ; implicit-def: $sgpr20_sgpr21
	s_waitcnt vmcnt(0)
	v_cmp_lt_i16_e32 vcc, s18, v3
	s_mov_b64 s[18:19], 0
	s_and_saveexec_b64 s[22:23], vcc
	s_xor_b64 s[22:23], exec, s[22:23]
	s_cbranch_execz .LBB221_1633
; %bb.1611:
	s_movk_i32 s18, 0x80
	v_cmp_eq_u16_e32 vcc, s18, v3
	s_mov_b64 s[24:25], -1
                                        ; implicit-def: $sgpr20_sgpr21
	s_and_saveexec_b64 s[18:19], vcc
; %bb.1612:
	s_mov_b32 s21, 0x7ff80000
	s_brev_b32 s20, 4
	s_xor_b64 s[24:25], exec, -1
; %bb.1613:
	s_or_b64 exec, exec, s[18:19]
	s_and_b64 s[18:19], s[24:25], exec
	s_or_saveexec_b64 s[22:23], s[22:23]
	v_pk_mov_b32 v[6:7], s[20:21], s[20:21] op_sel:[0,1]
	s_xor_b64 exec, exec, s[22:23]
	s_cbranch_execnz .LBB221_1634
.LBB221_1614:
	s_or_b64 exec, exec, s[22:23]
	s_and_saveexec_b64 s[20:21], s[18:19]
	s_cbranch_execz .LBB221_1616
.LBB221_1615:
	v_lshlrev_b32_e32 v4, 24, v3
	v_and_b32_e32 v3, 0xffff, v3
	v_and_b32_e32 v5, 3, v3
	v_ffbh_u32_e32 v7, v5
	v_min_u32_e32 v7, 32, v7
	v_subrev_u32_e32 v8, 29, v7
	v_bfe_u32 v6, v3, 2, 5
	v_lshlrev_b32_e32 v3, v8, v3
	v_sub_u32_e32 v7, 30, v7
	v_and_b32_e32 v3, 3, v3
	v_cmp_eq_u32_e32 vcc, 0, v6
	v_cndmask_b32_e32 v6, v6, v7, vcc
	v_cndmask_b32_e32 v3, v5, v3, vcc
	v_mov_b32_e32 v5, 0x37800000
	v_lshlrev_b32_e32 v3, 21, v3
	v_and_b32_e32 v4, 0x80000000, v4
	v_lshl_add_u32 v5, v6, 23, v5
	v_or3_b32 v3, v4, v5, v3
	v_cvt_f64_f32_e32 v[6:7], v3
.LBB221_1616:
	s_or_b64 exec, exec, s[20:21]
	s_mov_b64 s[18:19], 0
	s_branch .LBB221_1622
.LBB221_1617:
	s_mov_b64 s[18:19], -1
                                        ; implicit-def: $vgpr6_vgpr7
	s_branch .LBB221_1628
.LBB221_1618:
	s_or_saveexec_b64 s[24:25], s[24:25]
	v_pk_mov_b32 v[6:7], s[22:23], s[22:23] op_sel:[0,1]
	s_xor_b64 exec, exec, s[24:25]
	s_cbranch_execz .LBB221_1601
.LBB221_1619:
	v_cmp_ne_u16_e32 vcc, 0, v3
	s_andn2_b64 s[20:21], s[20:21], exec
	s_and_b64 s[22:23], vcc, exec
	v_pk_mov_b32 v[6:7], 0, 0
	s_or_b64 s[20:21], s[20:21], s[22:23]
	s_or_b64 exec, exec, s[24:25]
	s_and_saveexec_b64 s[22:23], s[20:21]
	s_cbranch_execnz .LBB221_1602
	s_branch .LBB221_1603
.LBB221_1620:
	s_mov_b64 s[18:19], -1
                                        ; implicit-def: $vgpr6_vgpr7
	s_branch .LBB221_1625
.LBB221_1621:
	s_mov_b64 s[18:19], -1
                                        ; implicit-def: $vgpr6_vgpr7
.LBB221_1622:
	s_and_b64 vcc, exec, s[18:19]
	s_cbranch_vccz .LBB221_1624
; %bb.1623:
	global_load_ubyte v3, v[0:1], off
	s_mov_b32 s18, 0x7f800000
	s_waitcnt vmcnt(0)
	v_lshlrev_b32_e32 v3, 24, v3
	v_and_b32_e32 v4, 0x7f000000, v3
	v_ffbh_u32_e32 v5, v4
	v_min_u32_e32 v5, 32, v5
	v_sub_u32_e64 v5, v5, 4 clamp
	v_lshlrev_b32_e32 v7, v5, v4
	v_lshlrev_b32_e32 v5, 23, v5
	v_lshrrev_b32_e32 v7, 4, v7
	v_add_u32_e32 v6, 0x1000000, v4
	v_sub_u32_e32 v5, v7, v5
	v_ashrrev_i32_e32 v6, 8, v6
	v_add_u32_e32 v5, 0x3c000000, v5
	v_and_or_b32 v5, v6, s18, v5
	v_cmp_ne_u32_e32 vcc, 0, v4
	v_cndmask_b32_e32 v4, 0, v5, vcc
	s_brev_b32 s18, 1
	v_and_or_b32 v3, v3, s18, v4
	v_cvt_f64_f32_e32 v[6:7], v3
.LBB221_1624:
	s_mov_b64 s[18:19], 0
.LBB221_1625:
	s_andn2_b64 vcc, exec, s[18:19]
	s_cbranch_vccnz .LBB221_1627
; %bb.1626:
	global_load_ubyte v3, v[0:1], off
	s_movk_i32 s18, 0x7f00
	s_brev_b32 s19, 16
	s_waitcnt vmcnt(0)
	v_lshlrev_b16_e32 v4, 8, v3
	v_lshlrev_b32_e32 v3, 25, v3
	v_lshrrev_b32_e32 v5, 4, v3
	v_and_or_b32 v6, v4, s18, 0.5
	v_or_b32_e32 v5, 0x70000000, v5
	v_add_f32_e32 v6, -0.5, v6
	v_mul_f32_e32 v5, 0x7800000, v5
	v_cmp_gt_u32_e32 vcc, s19, v3
	v_bfe_i32 v4, v4, 0, 16
	v_cndmask_b32_e32 v3, v5, v6, vcc
	s_brev_b32 s18, 1
	v_and_or_b32 v3, v4, s18, v3
	v_cvt_f64_f32_e32 v[6:7], v3
.LBB221_1627:
	s_mov_b64 s[18:19], 0
	s_mov_b64 s[20:21], -1
.LBB221_1628:
	s_andn2_b64 vcc, exec, s[18:19]
	s_mov_b64 s[18:19], 0
	s_cbranch_vccnz .LBB221_1639
; %bb.1629:
	v_cmp_lt_i16_e32 vcc, 14, v2
	s_cbranch_vccz .LBB221_1632
; %bb.1630:
	v_cmp_eq_u16_e32 vcc, 15, v2
	s_cbranch_vccz .LBB221_1635
; %bb.1631:
	global_load_ushort v3, v[0:1], off
	s_mov_b64 s[16:17], 0
	s_mov_b64 s[20:21], -1
	s_waitcnt vmcnt(0)
	v_lshlrev_b32_e32 v3, 16, v3
	v_cvt_f64_f32_e32 v[6:7], v3
	s_branch .LBB221_1636
.LBB221_1632:
	s_mov_b64 s[22:23], -1
                                        ; implicit-def: $vgpr6_vgpr7
	s_branch .LBB221_1637
.LBB221_1633:
	s_or_saveexec_b64 s[22:23], s[22:23]
	v_pk_mov_b32 v[6:7], s[20:21], s[20:21] op_sel:[0,1]
	s_xor_b64 exec, exec, s[22:23]
	s_cbranch_execz .LBB221_1614
.LBB221_1634:
	v_cmp_ne_u16_e32 vcc, 0, v3
	s_andn2_b64 s[18:19], s[18:19], exec
	s_and_b64 s[20:21], vcc, exec
	v_pk_mov_b32 v[6:7], 0, 0
	s_or_b64 s[18:19], s[18:19], s[20:21]
	s_or_b64 exec, exec, s[22:23]
	s_and_saveexec_b64 s[20:21], s[18:19]
	s_cbranch_execnz .LBB221_1615
	s_branch .LBB221_1616
.LBB221_1635:
	s_mov_b64 s[16:17], -1
                                        ; implicit-def: $vgpr6_vgpr7
.LBB221_1636:
	s_mov_b64 s[22:23], 0
.LBB221_1637:
	s_and_b64 vcc, exec, s[22:23]
	s_cbranch_vccz .LBB221_1639
; %bb.1638:
	v_cmp_ne_u16_e32 vcc, 11, v2
	s_andn2_b64 s[16:17], s[16:17], exec
	s_and_b64 s[22:23], vcc, exec
	s_mov_b64 s[18:19], -1
	s_or_b64 s[16:17], s[16:17], s[22:23]
                                        ; implicit-def: $vgpr6_vgpr7
.LBB221_1639:
	s_mov_b64 s[22:23], 0
.LBB221_1640:
	s_and_b64 s[26:27], s[20:21], exec
	s_and_b64 s[20:21], s[18:19], exec
	s_andn2_b64 s[18:19], s[4:5], exec
	s_and_b64 s[16:17], s[16:17], exec
	s_and_b64 s[24:25], s[22:23], exec
	s_or_b64 s[22:23], s[18:19], s[16:17]
.LBB221_1641:
	s_or_b64 exec, exec, s[14:15]
	s_and_b64 s[16:17], s[24:25], exec
	s_and_b64 s[14:15], s[20:21], exec
	s_andn2_b64 s[4:5], s[4:5], exec
	s_and_b64 s[20:21], s[22:23], exec
	v_readlane_b32 s22, v78, 18
	v_readlane_b32 s24, v78, 30
	s_and_b64 s[18:19], s[26:27], exec
	s_or_b64 s[4:5], s[4:5], s[20:21]
	v_readlane_b32 s23, v78, 19
	v_readlane_b32 s25, v78, 31
.LBB221_1642:
	s_or_b64 exec, exec, s[12:13]
	s_andn2_b64 s[12:13], s[96:97], exec
	s_and_b64 s[10:11], s[10:11], exec
	s_or_b64 s[96:97], s[12:13], s[10:11]
	v_readlane_b32 s12, v78, 20
	v_readlane_b32 s13, v78, 21
	s_andn2_b64 s[10:11], s[94:95], exec
	s_and_b64 s[8:9], s[8:9], exec
	s_andn2_b64 s[12:13], s[12:13], exec
	s_and_b64 s[4:5], s[4:5], exec
	s_or_b64 s[94:95], s[10:11], s[8:9]
	s_andn2_b64 s[8:9], s[92:93], exec
	s_and_b64 s[6:7], s[6:7], exec
	s_or_b64 s[4:5], s[12:13], s[4:5]
	s_or_b64 s[92:93], s[8:9], s[6:7]
	s_and_b64 s[6:7], s[18:19], exec
	s_and_b64 s[8:9], s[16:17], exec
	;; [unrolled: 1-line block ×3, first 2 shown]
	v_writelane_b32 v78, s4, 20
	v_writelane_b32 v78, s5, 21
.LBB221_1643:
	s_or_b64 exec, exec, s[24:25]
	s_andn2_b64 s[4:5], s[30:31], exec
	s_and_b64 s[12:13], s[96:97], exec
	s_or_b64 s[30:31], s[4:5], s[12:13]
	s_andn2_b64 s[4:5], s[34:35], exec
	s_and_b64 s[12:13], s[94:95], exec
	s_or_b64 s[34:35], s[4:5], s[12:13]
	;; [unrolled: 3-line block ×3, first 2 shown]
	s_and_b64 s[20:21], s[10:11], exec
	v_readlane_b32 s4, v78, 2
	v_readlane_b32 s10, v78, 20
	;; [unrolled: 1-line block ×4, first 2 shown]
	s_andn2_b64 s[4:5], s[4:5], exec
	s_and_b64 s[10:11], s[10:11], exec
	s_or_b64 s[4:5], s[4:5], s[10:11]
	s_and_b64 s[6:7], s[6:7], exec
	s_and_b64 s[8:9], s[8:9], exec
	v_writelane_b32 v78, s4, 2
	v_writelane_b32 v78, s5, 3
.LBB221_1644:
	s_or_b64 exec, exec, s[22:23]
	s_mov_b64 s[96:97], 0
	s_mov_b64 s[4:5], exec
	v_readlane_b32 s10, v78, 2
	v_readlane_b32 s11, v78, 3
	s_and_b64 s[10:11], s[4:5], s[10:11]
	s_mov_b64 exec, s[10:11]
	s_cbranch_execnz .LBB221_1647
; %bb.1645:
	s_or_b64 exec, exec, s[4:5]
	s_and_saveexec_b64 s[4:5], s[20:21]
	s_xor_b64 s[4:5], exec, s[4:5]
	s_cbranch_execz .LBB221_1648
.LBB221_1646:
	s_waitcnt vmcnt(0)
	global_load_ubyte v3, v[0:1], off
	v_mov_b32_e32 v4, 0x3ff00000
	v_mov_b32_e32 v6, 0
	s_or_b64 s[6:7], s[6:7], exec
	s_waitcnt vmcnt(0)
	v_cmp_ne_u16_e32 vcc, 0, v3
	v_cndmask_b32_e32 v7, 0, v4, vcc
	s_or_b64 exec, exec, s[4:5]
	s_and_saveexec_b64 s[4:5], s[8:9]
	s_cbranch_execz .LBB221_1694
	s_branch .LBB221_1649
.LBB221_1647:
	s_mov_b64 s[96:97], exec
	s_andn2_b64 s[20:21], s[20:21], exec
	s_trap 2
                                        ; implicit-def: $vgpr6_vgpr7
	s_or_b64 exec, exec, s[4:5]
	s_and_saveexec_b64 s[4:5], s[20:21]
	s_xor_b64 s[4:5], exec, s[4:5]
	s_cbranch_execnz .LBB221_1646
.LBB221_1648:
	s_or_b64 exec, exec, s[4:5]
	s_and_saveexec_b64 s[4:5], s[8:9]
	s_cbranch_execz .LBB221_1694
.LBB221_1649:
	s_waitcnt vmcnt(0)
	v_cmp_gt_i16_e32 vcc, 5, v2
	s_cbranch_vccnz .LBB221_1654
; %bb.1650:
	v_cmp_gt_i16_e32 vcc, 8, v2
	s_cbranch_vccnz .LBB221_1655
; %bb.1651:
	;; [unrolled: 3-line block ×3, first 2 shown]
	v_cmp_lt_i16_e32 vcc, 9, v2
	s_cbranch_vccz .LBB221_1657
; %bb.1653:
	global_load_dwordx2 v[6:7], v[0:1], off
	s_mov_b64 s[8:9], 0
	s_branch .LBB221_1658
.LBB221_1654:
                                        ; implicit-def: $vgpr6_vgpr7
	s_branch .LBB221_1675
.LBB221_1655:
                                        ; implicit-def: $vgpr6_vgpr7
	s_branch .LBB221_1664
.LBB221_1656:
	s_mov_b64 s[8:9], -1
                                        ; implicit-def: $vgpr6_vgpr7
	s_branch .LBB221_1661
.LBB221_1657:
	s_mov_b64 s[8:9], -1
                                        ; implicit-def: $vgpr6_vgpr7
.LBB221_1658:
	s_andn2_b64 vcc, exec, s[8:9]
	s_cbranch_vccnz .LBB221_1660
; %bb.1659:
	global_load_dword v3, v[0:1], off
	s_waitcnt vmcnt(0)
	v_cvt_f64_f32_e32 v[6:7], v3
.LBB221_1660:
	s_mov_b64 s[8:9], 0
.LBB221_1661:
	s_andn2_b64 vcc, exec, s[8:9]
	s_cbranch_vccnz .LBB221_1663
; %bb.1662:
	global_load_dword v3, v[0:1], off
	s_waitcnt vmcnt(0)
	v_cvt_f32_f16_e32 v3, v3
	v_cvt_f64_f32_e32 v[6:7], v3
.LBB221_1663:
	s_cbranch_execnz .LBB221_1674
.LBB221_1664:
	v_cmp_gt_i16_e32 vcc, 6, v2
	s_cbranch_vccnz .LBB221_1667
; %bb.1665:
	v_cmp_lt_i16_e32 vcc, 6, v2
	s_cbranch_vccz .LBB221_1668
; %bb.1666:
	global_load_dwordx2 v[6:7], v[0:1], off
	s_mov_b64 s[8:9], 0
	s_branch .LBB221_1669
.LBB221_1667:
	s_mov_b64 s[8:9], -1
                                        ; implicit-def: $vgpr6_vgpr7
	s_branch .LBB221_1672
.LBB221_1668:
	s_mov_b64 s[8:9], -1
                                        ; implicit-def: $vgpr6_vgpr7
.LBB221_1669:
	s_andn2_b64 vcc, exec, s[8:9]
	s_cbranch_vccnz .LBB221_1671
; %bb.1670:
	global_load_dword v3, v[0:1], off
	s_waitcnt vmcnt(0)
	v_cvt_f64_f32_e32 v[6:7], v3
.LBB221_1671:
	s_mov_b64 s[8:9], 0
.LBB221_1672:
	s_andn2_b64 vcc, exec, s[8:9]
	s_cbranch_vccnz .LBB221_1674
; %bb.1673:
	global_load_ushort v3, v[0:1], off
	s_waitcnt vmcnt(0)
	v_cvt_f32_f16_e32 v3, v3
	v_cvt_f64_f32_e32 v[6:7], v3
.LBB221_1674:
	s_cbranch_execnz .LBB221_1693
.LBB221_1675:
	v_cmp_gt_i16_e32 vcc, 2, v2
	s_cbranch_vccnz .LBB221_1679
; %bb.1676:
	v_cmp_gt_i16_e32 vcc, 3, v2
	s_cbranch_vccnz .LBB221_1680
; %bb.1677:
	v_cmp_lt_i16_e32 vcc, 3, v2
	s_cbranch_vccz .LBB221_1681
; %bb.1678:
	global_load_dwordx2 v[4:5], v[0:1], off
	s_mov_b64 s[8:9], 0
	s_waitcnt vmcnt(0)
	v_cvt_f64_i32_e32 v[6:7], v5
	v_cvt_f64_u32_e32 v[4:5], v4
	v_ldexp_f64 v[6:7], v[6:7], 32
	v_add_f64 v[6:7], v[6:7], v[4:5]
	s_branch .LBB221_1682
.LBB221_1679:
                                        ; implicit-def: $vgpr6_vgpr7
	s_branch .LBB221_1688
.LBB221_1680:
	s_mov_b64 s[8:9], -1
                                        ; implicit-def: $vgpr6_vgpr7
	s_branch .LBB221_1685
.LBB221_1681:
	s_mov_b64 s[8:9], -1
                                        ; implicit-def: $vgpr6_vgpr7
.LBB221_1682:
	s_andn2_b64 vcc, exec, s[8:9]
	s_cbranch_vccnz .LBB221_1684
; %bb.1683:
	global_load_dword v3, v[0:1], off
	s_waitcnt vmcnt(0)
	v_cvt_f64_i32_e32 v[6:7], v3
.LBB221_1684:
	s_mov_b64 s[8:9], 0
.LBB221_1685:
	s_andn2_b64 vcc, exec, s[8:9]
	s_cbranch_vccnz .LBB221_1687
; %bb.1686:
	global_load_sshort v3, v[0:1], off
	s_waitcnt vmcnt(0)
	v_cvt_f64_i32_e32 v[6:7], v3
.LBB221_1687:
	s_cbranch_execnz .LBB221_1693
.LBB221_1688:
	v_cmp_lt_i16_e32 vcc, 0, v2
	s_cbranch_vccz .LBB221_1690
; %bb.1689:
	global_load_sbyte v2, v[0:1], off
	s_mov_b64 s[8:9], 0
	s_waitcnt vmcnt(0)
	v_cvt_f64_i32_e32 v[6:7], v2
	s_branch .LBB221_1691
.LBB221_1690:
	s_mov_b64 s[8:9], -1
                                        ; implicit-def: $vgpr6_vgpr7
.LBB221_1691:
	s_andn2_b64 vcc, exec, s[8:9]
	s_cbranch_vccnz .LBB221_1693
; %bb.1692:
	global_load_ubyte v0, v[0:1], off
	s_waitcnt vmcnt(0)
	v_cvt_f64_u32_e32 v[6:7], v0
.LBB221_1693:
	s_or_b64 s[6:7], s[6:7], exec
.LBB221_1694:
	s_or_b64 exec, exec, s[4:5]
	s_mov_b64 s[8:9], 0
	s_mov_b64 s[12:13], 0
	;; [unrolled: 1-line block ×3, first 2 shown]
                                        ; implicit-def: $vgpr4
                                        ; implicit-def: $vgpr0_vgpr1
                                        ; implicit-def: $vgpr2_vgpr3
	s_and_saveexec_b64 s[4:5], s[6:7]
	s_cbranch_execz .LBB221_1702
; %bb.1695:
	s_waitcnt vmcnt(0)
	v_mul_lo_u32 v0, v76, s46
	v_ashrrev_i32_e32 v1, 31, v0
	v_mov_b32_e32 v2, s41
	v_add_co_u32_e32 v0, vcc, s40, v0
	s_movk_i32 s6, 0xff
	v_addc_co_u32_e32 v1, vcc, v2, v1, vcc
	v_and_b32_sdwa v4, v41, s6 dst_sel:DWORD dst_unused:UNUSED_PAD src0_sel:WORD_1 src1_sel:DWORD
	v_cmp_gt_i16_e32 vcc, 11, v4
	s_cbranch_vccnz .LBB221_1705
; %bb.1696:
	v_cmp_lt_i16_e32 vcc, 25, v4
	s_cbranch_vccz .LBB221_1706
; %bb.1697:
	v_cmp_lt_i16_e32 vcc, 28, v4
	s_cbranch_vccz .LBB221_1707
	;; [unrolled: 3-line block ×4, first 2 shown]
; %bb.1700:
	v_cmp_eq_u16_e32 vcc, 46, v4
	s_cbranch_vccz .LBB221_1710
; %bb.1701:
	global_load_dword v2, v[0:1], off
	s_mov_b64 s[6:7], 0
	s_mov_b64 s[10:11], -1
	s_waitcnt vmcnt(0)
	v_lshlrev_b32_e32 v2, 16, v2
	v_cvt_f64_f32_e32 v[2:3], v2
	s_branch .LBB221_1712
.LBB221_1702:
	s_or_b64 exec, exec, s[4:5]
	s_and_saveexec_b64 s[4:5], s[48:49]
	s_cbranch_execnz .LBB221_1775
.LBB221_1703:
	s_or_b64 exec, exec, s[4:5]
	s_and_saveexec_b64 s[4:5], s[8:9]
	s_xor_b64 s[4:5], exec, s[4:5]
	s_cbranch_execz .LBB221_1776
.LBB221_1704:
	s_waitcnt vmcnt(0)
	global_load_ubyte v3, v[0:1], off
	v_mov_b32_e32 v5, 0x3ff00000
	v_mov_b32_e32 v2, 0
	s_or_b64 s[10:11], s[10:11], exec
	s_waitcnt vmcnt(0)
	v_cmp_ne_u16_e32 vcc, 0, v3
	v_cndmask_b32_e32 v3, 0, v5, vcc
	s_or_b64 exec, exec, s[4:5]
	s_and_saveexec_b64 s[4:5], s[12:13]
	s_cbranch_execz .LBB221_1822
	s_branch .LBB221_1777
.LBB221_1705:
	s_mov_b64 s[12:13], -1
                                        ; implicit-def: $vgpr2_vgpr3
	s_mov_b64 s[6:7], s[48:49]
	s_branch .LBB221_1774
.LBB221_1706:
	s_mov_b64 s[6:7], s[48:49]
                                        ; implicit-def: $vgpr2_vgpr3
	s_cbranch_execnz .LBB221_1741
	s_branch .LBB221_1773
.LBB221_1707:
	s_mov_b64 s[12:13], -1
	s_mov_b64 s[6:7], s[48:49]
                                        ; implicit-def: $vgpr2_vgpr3
	s_branch .LBB221_1722
.LBB221_1708:
	s_mov_b64 s[12:13], -1
	s_mov_b64 s[6:7], s[48:49]
                                        ; implicit-def: $vgpr2_vgpr3
	s_branch .LBB221_1717
.LBB221_1709:
	s_mov_b64 s[12:13], -1
	s_mov_b64 s[6:7], s[48:49]
	s_branch .LBB221_1711
.LBB221_1710:
	s_mov_b64 s[6:7], -1
.LBB221_1711:
                                        ; implicit-def: $vgpr2_vgpr3
.LBB221_1712:
	s_and_b64 vcc, exec, s[12:13]
	s_cbranch_vccz .LBB221_1716
; %bb.1713:
	v_cmp_eq_u16_e32 vcc, 44, v4
	s_cbranch_vccz .LBB221_1715
; %bb.1714:
	global_load_ubyte v5, v[0:1], off
	s_movk_i32 s10, 0xff
	v_bfrev_b32_e32 v8, 4
	v_mov_b32_e32 v9, 0x7ff80000
	v_bfrev_b32_e32 v10, 28
	s_mov_b64 s[6:7], 0
	s_waitcnt vmcnt(0)
	v_lshlrev_b32_e32 v2, 23, v5
	v_cvt_f64_f32_e32 v[2:3], v2
	v_cmp_ne_u32_e32 vcc, s10, v5
	v_cndmask_b32_e32 v2, v8, v2, vcc
	v_cndmask_b32_e32 v3, v9, v3, vcc
	v_cmp_ne_u32_e32 vcc, 0, v5
	v_cndmask_b32_e32 v3, v10, v3, vcc
	v_cndmask_b32_e32 v2, 0, v2, vcc
	s_mov_b64 s[10:11], -1
	s_branch .LBB221_1716
.LBB221_1715:
	s_mov_b64 s[6:7], -1
                                        ; implicit-def: $vgpr2_vgpr3
.LBB221_1716:
	s_mov_b64 s[12:13], 0
.LBB221_1717:
	s_and_b64 vcc, exec, s[12:13]
	s_cbranch_vccz .LBB221_1721
; %bb.1718:
	v_cmp_eq_u16_e32 vcc, 29, v4
	s_cbranch_vccz .LBB221_1720
; %bb.1719:
	global_load_dwordx2 v[2:3], v[0:1], off
	s_mov_b64 s[6:7], 0
	s_mov_b64 s[10:11], -1
	s_mov_b64 s[12:13], 0
	s_waitcnt vmcnt(0)
	v_cvt_f64_u32_e32 v[8:9], v3
	v_cvt_f64_u32_e32 v[2:3], v2
	v_ldexp_f64 v[8:9], v[8:9], 32
	v_add_f64 v[2:3], v[8:9], v[2:3]
	s_branch .LBB221_1722
.LBB221_1720:
	s_mov_b64 s[6:7], -1
                                        ; implicit-def: $vgpr2_vgpr3
.LBB221_1721:
	s_mov_b64 s[12:13], 0
.LBB221_1722:
	s_and_b64 vcc, exec, s[12:13]
	s_cbranch_vccz .LBB221_1740
; %bb.1723:
	v_cmp_gt_i16_e32 vcc, 27, v4
	s_cbranch_vccnz .LBB221_1726
; %bb.1724:
	v_cmp_lt_i16_e32 vcc, 27, v4
	s_cbranch_vccz .LBB221_1727
; %bb.1725:
	global_load_dword v2, v[0:1], off
	s_mov_b64 s[10:11], 0
	s_waitcnt vmcnt(0)
	v_cvt_f64_u32_e32 v[2:3], v2
	s_branch .LBB221_1728
.LBB221_1726:
	s_mov_b64 s[10:11], -1
                                        ; implicit-def: $vgpr2_vgpr3
	s_branch .LBB221_1731
.LBB221_1727:
	s_mov_b64 s[10:11], -1
                                        ; implicit-def: $vgpr2_vgpr3
.LBB221_1728:
	s_andn2_b64 vcc, exec, s[10:11]
	s_cbranch_vccnz .LBB221_1730
; %bb.1729:
	global_load_ushort v2, v[0:1], off
	s_waitcnt vmcnt(0)
	v_cvt_f64_u32_e32 v[2:3], v2
.LBB221_1730:
	s_mov_b64 s[10:11], 0
.LBB221_1731:
	s_andn2_b64 vcc, exec, s[10:11]
	s_cbranch_vccnz .LBB221_1739
; %bb.1732:
	global_load_ubyte v5, v[0:1], off
	s_movk_i32 s10, 0x7f
                                        ; implicit-def: $sgpr12_sgpr13
	s_waitcnt vmcnt(0)
	v_cmp_lt_i16_e32 vcc, s10, v5
	s_mov_b64 s[10:11], 0
	s_and_saveexec_b64 s[14:15], vcc
	s_xor_b64 s[14:15], exec, s[14:15]
	s_cbranch_execz .LBB221_1752
; %bb.1733:
	s_movk_i32 s10, 0x80
	v_cmp_eq_u16_e32 vcc, s10, v5
	s_mov_b64 s[16:17], -1
                                        ; implicit-def: $sgpr12_sgpr13
	s_and_saveexec_b64 s[10:11], vcc
; %bb.1734:
	s_mov_b32 s13, 0x7ff80000
	s_brev_b32 s12, 4
	s_xor_b64 s[16:17], exec, -1
; %bb.1735:
	s_or_b64 exec, exec, s[10:11]
	s_and_b64 s[10:11], s[16:17], exec
	s_or_saveexec_b64 s[14:15], s[14:15]
	v_pk_mov_b32 v[2:3], s[12:13], s[12:13] op_sel:[0,1]
	s_xor_b64 exec, exec, s[14:15]
	s_cbranch_execnz .LBB221_1753
.LBB221_1736:
	s_or_b64 exec, exec, s[14:15]
	s_and_saveexec_b64 s[12:13], s[10:11]
	s_cbranch_execz .LBB221_1738
.LBB221_1737:
	v_and_b32_e32 v3, 0xffff, v5
	v_lshlrev_b32_e32 v2, 24, v5
	v_and_b32_e32 v5, 7, v3
	v_ffbh_u32_e32 v9, v5
	v_min_u32_e32 v9, 32, v9
	v_subrev_u32_e32 v10, 28, v9
	v_bfe_u32 v8, v3, 3, 4
	v_lshlrev_b32_e32 v3, v10, v3
	v_sub_u32_e32 v9, 29, v9
	v_and_b32_e32 v3, 7, v3
	v_cmp_eq_u32_e32 vcc, 0, v8
	v_cndmask_b32_e32 v8, v8, v9, vcc
	v_cndmask_b32_e32 v3, v5, v3, vcc
	v_mov_b32_e32 v5, 0x3b800000
	v_lshlrev_b32_e32 v3, 20, v3
	v_and_b32_e32 v2, 0x80000000, v2
	v_lshl_add_u32 v5, v8, 23, v5
	v_or3_b32 v2, v2, v5, v3
	v_cvt_f64_f32_e32 v[2:3], v2
.LBB221_1738:
	s_or_b64 exec, exec, s[12:13]
.LBB221_1739:
	s_mov_b64 s[10:11], -1
.LBB221_1740:
	s_branch .LBB221_1773
.LBB221_1741:
	v_cmp_lt_i16_e32 vcc, 22, v4
	s_cbranch_vccz .LBB221_1751
; %bb.1742:
	v_cmp_gt_i16_e32 vcc, 24, v4
	s_cbranch_vccnz .LBB221_1754
; %bb.1743:
	v_cmp_lt_i16_e32 vcc, 24, v4
	s_cbranch_vccz .LBB221_1755
; %bb.1744:
	global_load_ubyte v5, v[0:1], off
	s_movk_i32 s8, 0x7f
                                        ; implicit-def: $sgpr10_sgpr11
	s_waitcnt vmcnt(0)
	v_cmp_lt_i16_e32 vcc, s8, v5
	s_mov_b64 s[8:9], 0
	s_and_saveexec_b64 s[12:13], vcc
	s_xor_b64 s[12:13], exec, s[12:13]
	s_cbranch_execz .LBB221_1767
; %bb.1745:
	s_movk_i32 s8, 0x80
	v_cmp_eq_u16_e32 vcc, s8, v5
	s_mov_b64 s[14:15], -1
                                        ; implicit-def: $sgpr10_sgpr11
	s_and_saveexec_b64 s[8:9], vcc
; %bb.1746:
	s_mov_b32 s11, 0x7ff80000
	s_brev_b32 s10, 4
	s_xor_b64 s[14:15], exec, -1
; %bb.1747:
	s_or_b64 exec, exec, s[8:9]
	s_and_b64 s[8:9], s[14:15], exec
	s_or_saveexec_b64 s[12:13], s[12:13]
	v_pk_mov_b32 v[2:3], s[10:11], s[10:11] op_sel:[0,1]
	s_xor_b64 exec, exec, s[12:13]
	s_cbranch_execnz .LBB221_1768
.LBB221_1748:
	s_or_b64 exec, exec, s[12:13]
	s_and_saveexec_b64 s[10:11], s[8:9]
	s_cbranch_execz .LBB221_1750
.LBB221_1749:
	v_and_b32_e32 v3, 0xffff, v5
	v_lshlrev_b32_e32 v2, 24, v5
	v_and_b32_e32 v5, 3, v3
	v_ffbh_u32_e32 v9, v5
	v_min_u32_e32 v9, 32, v9
	v_subrev_u32_e32 v10, 29, v9
	v_bfe_u32 v8, v3, 2, 5
	v_lshlrev_b32_e32 v3, v10, v3
	v_sub_u32_e32 v9, 30, v9
	v_and_b32_e32 v3, 3, v3
	v_cmp_eq_u32_e32 vcc, 0, v8
	v_cndmask_b32_e32 v8, v8, v9, vcc
	v_cndmask_b32_e32 v3, v5, v3, vcc
	v_mov_b32_e32 v5, 0x37800000
	v_lshlrev_b32_e32 v3, 21, v3
	v_and_b32_e32 v2, 0x80000000, v2
	v_lshl_add_u32 v5, v8, 23, v5
	v_or3_b32 v2, v2, v5, v3
	v_cvt_f64_f32_e32 v[2:3], v2
.LBB221_1750:
	s_or_b64 exec, exec, s[10:11]
	s_mov_b64 s[8:9], 0
	s_branch .LBB221_1756
.LBB221_1751:
	s_mov_b64 s[8:9], -1
                                        ; implicit-def: $vgpr2_vgpr3
	s_branch .LBB221_1762
.LBB221_1752:
	s_or_saveexec_b64 s[14:15], s[14:15]
	v_pk_mov_b32 v[2:3], s[12:13], s[12:13] op_sel:[0,1]
	s_xor_b64 exec, exec, s[14:15]
	s_cbranch_execz .LBB221_1736
.LBB221_1753:
	v_cmp_ne_u16_e32 vcc, 0, v5
	s_andn2_b64 s[10:11], s[10:11], exec
	s_and_b64 s[12:13], vcc, exec
	v_pk_mov_b32 v[2:3], 0, 0
	s_or_b64 s[10:11], s[10:11], s[12:13]
	s_or_b64 exec, exec, s[14:15]
	s_and_saveexec_b64 s[12:13], s[10:11]
	s_cbranch_execnz .LBB221_1737
	s_branch .LBB221_1738
.LBB221_1754:
	s_mov_b64 s[8:9], -1
                                        ; implicit-def: $vgpr2_vgpr3
	s_branch .LBB221_1759
.LBB221_1755:
	s_mov_b64 s[8:9], -1
                                        ; implicit-def: $vgpr2_vgpr3
.LBB221_1756:
	s_and_b64 vcc, exec, s[8:9]
	s_cbranch_vccz .LBB221_1758
; %bb.1757:
	global_load_ubyte v2, v[0:1], off
	s_mov_b32 s8, 0x7f800000
	s_waitcnt vmcnt(0)
	v_lshlrev_b32_e32 v2, 24, v2
	v_and_b32_e32 v3, 0x7f000000, v2
	v_ffbh_u32_e32 v5, v3
	v_min_u32_e32 v5, 32, v5
	v_sub_u32_e64 v5, v5, 4 clamp
	v_lshlrev_b32_e32 v9, v5, v3
	v_lshlrev_b32_e32 v5, 23, v5
	v_lshrrev_b32_e32 v9, 4, v9
	v_add_u32_e32 v8, 0x1000000, v3
	v_sub_u32_e32 v5, v9, v5
	v_ashrrev_i32_e32 v8, 8, v8
	v_add_u32_e32 v5, 0x3c000000, v5
	v_and_or_b32 v5, v8, s8, v5
	v_cmp_ne_u32_e32 vcc, 0, v3
	v_cndmask_b32_e32 v3, 0, v5, vcc
	s_brev_b32 s8, 1
	v_and_or_b32 v2, v2, s8, v3
	v_cvt_f64_f32_e32 v[2:3], v2
.LBB221_1758:
	s_mov_b64 s[8:9], 0
.LBB221_1759:
	s_andn2_b64 vcc, exec, s[8:9]
	s_cbranch_vccnz .LBB221_1761
; %bb.1760:
	global_load_ubyte v2, v[0:1], off
	s_movk_i32 s8, 0x7f00
	s_brev_b32 s9, 16
	s_waitcnt vmcnt(0)
	v_lshlrev_b16_e32 v3, 8, v2
	v_lshlrev_b32_e32 v2, 25, v2
	v_lshrrev_b32_e32 v5, 4, v2
	v_and_or_b32 v8, v3, s8, 0.5
	v_or_b32_e32 v5, 0x70000000, v5
	v_add_f32_e32 v8, -0.5, v8
	v_mul_f32_e32 v5, 0x7800000, v5
	v_cmp_gt_u32_e32 vcc, s9, v2
	v_bfe_i32 v3, v3, 0, 16
	v_cndmask_b32_e32 v2, v5, v8, vcc
	s_brev_b32 s8, 1
	v_and_or_b32 v2, v3, s8, v2
	v_cvt_f64_f32_e32 v[2:3], v2
.LBB221_1761:
	s_mov_b64 s[8:9], 0
	s_mov_b64 s[10:11], -1
.LBB221_1762:
	s_andn2_b64 vcc, exec, s[8:9]
	s_mov_b64 s[8:9], 0
	s_cbranch_vccnz .LBB221_1773
; %bb.1763:
	v_cmp_lt_i16_e32 vcc, 14, v4
	s_cbranch_vccz .LBB221_1766
; %bb.1764:
	v_cmp_eq_u16_e32 vcc, 15, v4
	s_cbranch_vccz .LBB221_1769
; %bb.1765:
	global_load_ushort v2, v[0:1], off
	s_mov_b64 s[6:7], 0
	s_mov_b64 s[10:11], -1
	s_waitcnt vmcnt(0)
	v_lshlrev_b32_e32 v2, 16, v2
	v_cvt_f64_f32_e32 v[2:3], v2
	s_branch .LBB221_1770
.LBB221_1766:
	s_mov_b64 s[12:13], -1
                                        ; implicit-def: $vgpr2_vgpr3
	s_branch .LBB221_1771
.LBB221_1767:
	s_or_saveexec_b64 s[12:13], s[12:13]
	v_pk_mov_b32 v[2:3], s[10:11], s[10:11] op_sel:[0,1]
	s_xor_b64 exec, exec, s[12:13]
	s_cbranch_execz .LBB221_1748
.LBB221_1768:
	v_cmp_ne_u16_e32 vcc, 0, v5
	s_andn2_b64 s[8:9], s[8:9], exec
	s_and_b64 s[10:11], vcc, exec
	v_pk_mov_b32 v[2:3], 0, 0
	s_or_b64 s[8:9], s[8:9], s[10:11]
	s_or_b64 exec, exec, s[12:13]
	s_and_saveexec_b64 s[10:11], s[8:9]
	s_cbranch_execnz .LBB221_1749
	s_branch .LBB221_1750
.LBB221_1769:
	s_mov_b64 s[6:7], -1
                                        ; implicit-def: $vgpr2_vgpr3
.LBB221_1770:
	s_mov_b64 s[12:13], 0
.LBB221_1771:
	s_and_b64 vcc, exec, s[12:13]
	s_cbranch_vccz .LBB221_1773
; %bb.1772:
	v_cmp_ne_u16_e32 vcc, 11, v4
	s_andn2_b64 s[6:7], s[6:7], exec
	s_and_b64 s[12:13], vcc, exec
	s_mov_b64 s[8:9], -1
	s_or_b64 s[6:7], s[6:7], s[12:13]
                                        ; implicit-def: $vgpr2_vgpr3
.LBB221_1773:
	s_mov_b64 s[12:13], 0
.LBB221_1774:
	s_andn2_b64 s[14:15], s[48:49], exec
	s_and_b64 s[6:7], s[6:7], exec
	s_and_b64 s[10:11], s[10:11], exec
	;; [unrolled: 1-line block ×4, first 2 shown]
	s_or_b64 s[48:49], s[14:15], s[6:7]
	s_or_b64 exec, exec, s[4:5]
	s_and_saveexec_b64 s[4:5], s[48:49]
	s_cbranch_execz .LBB221_1703
.LBB221_1775:
	s_or_b64 s[96:97], s[96:97], exec
	s_andn2_b64 s[8:9], s[8:9], exec
	s_trap 2
                                        ; implicit-def: $vgpr2_vgpr3
	s_or_b64 exec, exec, s[4:5]
	s_and_saveexec_b64 s[4:5], s[8:9]
	s_xor_b64 s[4:5], exec, s[4:5]
	s_cbranch_execnz .LBB221_1704
.LBB221_1776:
	s_or_b64 exec, exec, s[4:5]
	s_and_saveexec_b64 s[4:5], s[12:13]
	s_cbranch_execz .LBB221_1822
.LBB221_1777:
	s_waitcnt vmcnt(0)
	v_cmp_gt_i16_e32 vcc, 5, v4
	s_cbranch_vccnz .LBB221_1782
; %bb.1778:
	v_cmp_gt_i16_e32 vcc, 8, v4
	s_cbranch_vccnz .LBB221_1783
; %bb.1779:
	;; [unrolled: 3-line block ×3, first 2 shown]
	v_cmp_lt_i16_e32 vcc, 9, v4
	s_cbranch_vccz .LBB221_1785
; %bb.1781:
	global_load_dwordx2 v[2:3], v[0:1], off
	s_mov_b64 s[6:7], 0
	s_branch .LBB221_1786
.LBB221_1782:
                                        ; implicit-def: $vgpr2_vgpr3
	s_branch .LBB221_1803
.LBB221_1783:
                                        ; implicit-def: $vgpr2_vgpr3
	s_branch .LBB221_1792
.LBB221_1784:
	s_mov_b64 s[6:7], -1
                                        ; implicit-def: $vgpr2_vgpr3
	s_branch .LBB221_1789
.LBB221_1785:
	s_mov_b64 s[6:7], -1
                                        ; implicit-def: $vgpr2_vgpr3
.LBB221_1786:
	s_andn2_b64 vcc, exec, s[6:7]
	s_cbranch_vccnz .LBB221_1788
; %bb.1787:
	global_load_dword v2, v[0:1], off
	s_waitcnt vmcnt(0)
	v_cvt_f64_f32_e32 v[2:3], v2
.LBB221_1788:
	s_mov_b64 s[6:7], 0
.LBB221_1789:
	s_andn2_b64 vcc, exec, s[6:7]
	s_cbranch_vccnz .LBB221_1791
; %bb.1790:
	global_load_dword v2, v[0:1], off
	s_waitcnt vmcnt(0)
	v_cvt_f32_f16_e32 v2, v2
	v_cvt_f64_f32_e32 v[2:3], v2
.LBB221_1791:
	s_cbranch_execnz .LBB221_1802
.LBB221_1792:
	v_cmp_gt_i16_e32 vcc, 6, v4
	s_cbranch_vccnz .LBB221_1795
; %bb.1793:
	v_cmp_lt_i16_e32 vcc, 6, v4
	s_cbranch_vccz .LBB221_1796
; %bb.1794:
	global_load_dwordx2 v[2:3], v[0:1], off
	s_mov_b64 s[6:7], 0
	s_branch .LBB221_1797
.LBB221_1795:
	s_mov_b64 s[6:7], -1
                                        ; implicit-def: $vgpr2_vgpr3
	s_branch .LBB221_1800
.LBB221_1796:
	s_mov_b64 s[6:7], -1
                                        ; implicit-def: $vgpr2_vgpr3
.LBB221_1797:
	s_andn2_b64 vcc, exec, s[6:7]
	s_cbranch_vccnz .LBB221_1799
; %bb.1798:
	global_load_dword v2, v[0:1], off
	s_waitcnt vmcnt(0)
	v_cvt_f64_f32_e32 v[2:3], v2
.LBB221_1799:
	s_mov_b64 s[6:7], 0
.LBB221_1800:
	s_andn2_b64 vcc, exec, s[6:7]
	s_cbranch_vccnz .LBB221_1802
; %bb.1801:
	global_load_ushort v2, v[0:1], off
	s_waitcnt vmcnt(0)
	v_cvt_f32_f16_e32 v2, v2
	v_cvt_f64_f32_e32 v[2:3], v2
.LBB221_1802:
	s_cbranch_execnz .LBB221_1821
.LBB221_1803:
	v_cmp_gt_i16_e32 vcc, 2, v4
	s_cbranch_vccnz .LBB221_1807
; %bb.1804:
	v_cmp_gt_i16_e32 vcc, 3, v4
	s_cbranch_vccnz .LBB221_1808
; %bb.1805:
	v_cmp_lt_i16_e32 vcc, 3, v4
	s_cbranch_vccz .LBB221_1809
; %bb.1806:
	global_load_dwordx2 v[2:3], v[0:1], off
	s_mov_b64 s[6:7], 0
	s_waitcnt vmcnt(0)
	v_cvt_f64_i32_e32 v[8:9], v3
	v_cvt_f64_u32_e32 v[2:3], v2
	v_ldexp_f64 v[8:9], v[8:9], 32
	v_add_f64 v[2:3], v[8:9], v[2:3]
	s_branch .LBB221_1810
.LBB221_1807:
                                        ; implicit-def: $vgpr2_vgpr3
	s_branch .LBB221_1816
.LBB221_1808:
	s_mov_b64 s[6:7], -1
                                        ; implicit-def: $vgpr2_vgpr3
	s_branch .LBB221_1813
.LBB221_1809:
	s_mov_b64 s[6:7], -1
                                        ; implicit-def: $vgpr2_vgpr3
.LBB221_1810:
	s_andn2_b64 vcc, exec, s[6:7]
	s_cbranch_vccnz .LBB221_1812
; %bb.1811:
	global_load_dword v2, v[0:1], off
	s_waitcnt vmcnt(0)
	v_cvt_f64_i32_e32 v[2:3], v2
.LBB221_1812:
	s_mov_b64 s[6:7], 0
.LBB221_1813:
	s_andn2_b64 vcc, exec, s[6:7]
	s_cbranch_vccnz .LBB221_1815
; %bb.1814:
	global_load_sshort v2, v[0:1], off
	s_waitcnt vmcnt(0)
	v_cvt_f64_i32_e32 v[2:3], v2
.LBB221_1815:
	s_cbranch_execnz .LBB221_1821
.LBB221_1816:
	v_cmp_lt_i16_e32 vcc, 0, v4
	s_cbranch_vccz .LBB221_1818
; %bb.1817:
	global_load_sbyte v2, v[0:1], off
	s_mov_b64 s[6:7], 0
	s_waitcnt vmcnt(0)
	v_cvt_f64_i32_e32 v[2:3], v2
	s_branch .LBB221_1819
.LBB221_1818:
	s_mov_b64 s[6:7], -1
                                        ; implicit-def: $vgpr2_vgpr3
.LBB221_1819:
	s_andn2_b64 vcc, exec, s[6:7]
	s_cbranch_vccnz .LBB221_1821
; %bb.1820:
	global_load_ubyte v0, v[0:1], off
	s_waitcnt vmcnt(0)
	v_cvt_f64_u32_e32 v[2:3], v0
.LBB221_1821:
	s_or_b64 s[10:11], s[10:11], exec
.LBB221_1822:
	s_or_b64 exec, exec, s[4:5]
	s_mov_b64 s[8:9], 0
	s_mov_b64 s[14:15], 0
	;; [unrolled: 1-line block ×3, first 2 shown]
                                        ; implicit-def: $vgpr0_vgpr1
                                        ; implicit-def: $vgpr4_vgpr5
	s_and_saveexec_b64 s[4:5], s[10:11]
	s_cbranch_execz .LBB221_1830
; %bb.1823:
	s_waitcnt vmcnt(0)
	v_mul_lo_u32 v0, v76, s47
	v_ashrrev_i32_e32 v1, 31, v0
	v_mov_b32_e32 v4, s43
	v_add_co_u32_e32 v0, vcc, s42, v0
	v_addc_co_u32_e32 v1, vcc, v4, v1, vcc
	v_cmp_gt_i16_e32 vcc, 11, v77
	s_cbranch_vccnz .LBB221_1833
; %bb.1824:
	v_cmp_lt_i16_e32 vcc, 25, v77
	s_cbranch_vccz .LBB221_1834
; %bb.1825:
	v_cmp_lt_i16_e32 vcc, 28, v77
	s_cbranch_vccz .LBB221_1835
	;; [unrolled: 3-line block ×4, first 2 shown]
; %bb.1828:
	v_cmp_eq_u16_e32 vcc, 46, v77
	s_cbranch_vccz .LBB221_1838
; %bb.1829:
	global_load_dword v4, v[0:1], off
	s_mov_b64 s[6:7], 0
	s_mov_b64 s[10:11], -1
	s_waitcnt vmcnt(0)
	v_lshlrev_b32_e32 v4, 16, v4
	v_cvt_f64_f32_e32 v[4:5], v4
	s_branch .LBB221_1839
.LBB221_1830:
	s_or_b64 exec, exec, s[4:5]
	s_and_saveexec_b64 s[4:5], s[34:35]
	s_cbranch_execnz .LBB221_1902
.LBB221_1831:
	s_or_b64 exec, exec, s[4:5]
	s_and_saveexec_b64 s[4:5], s[8:9]
	s_xor_b64 s[4:5], exec, s[4:5]
	s_cbranch_execz .LBB221_1903
.LBB221_1832:
	s_waitcnt vmcnt(0)
	global_load_ubyte v5, v[0:1], off
	v_mov_b32_e32 v8, 0x3ff00000
	v_mov_b32_e32 v4, 0
	s_or_b64 s[12:13], s[12:13], exec
	s_waitcnt vmcnt(0)
	v_cmp_ne_u16_e32 vcc, 0, v5
	v_cndmask_b32_e32 v5, 0, v8, vcc
	s_or_b64 exec, exec, s[4:5]
	s_and_saveexec_b64 s[4:5], s[14:15]
	s_cbranch_execz .LBB221_1949
	s_branch .LBB221_1904
.LBB221_1833:
	s_mov_b64 s[14:15], -1
	s_mov_b64 s[10:11], 0
                                        ; implicit-def: $vgpr4_vgpr5
	s_mov_b64 s[6:7], s[34:35]
	s_branch .LBB221_1901
.LBB221_1834:
	s_mov_b64 s[10:11], 0
	s_mov_b64 s[6:7], s[34:35]
                                        ; implicit-def: $vgpr4_vgpr5
	s_cbranch_execnz .LBB221_1868
	s_branch .LBB221_1900
.LBB221_1835:
	s_mov_b64 s[12:13], -1
	s_mov_b64 s[10:11], 0
	s_mov_b64 s[6:7], s[34:35]
                                        ; implicit-def: $vgpr4_vgpr5
	s_branch .LBB221_1849
.LBB221_1836:
	s_mov_b64 s[12:13], -1
	s_mov_b64 s[10:11], 0
	s_mov_b64 s[6:7], s[34:35]
                                        ; implicit-def: $vgpr4_vgpr5
	s_branch .LBB221_1844
.LBB221_1837:
	s_mov_b64 s[12:13], -1
	s_mov_b64 s[10:11], 0
	s_mov_b64 s[6:7], s[34:35]
                                        ; implicit-def: $vgpr4_vgpr5
	s_branch .LBB221_1839
.LBB221_1838:
	s_mov_b64 s[6:7], -1
                                        ; implicit-def: $vgpr4_vgpr5
	s_mov_b64 s[10:11], 0
.LBB221_1839:
	s_and_b64 vcc, exec, s[12:13]
	s_cbranch_vccz .LBB221_1843
; %bb.1840:
	v_cmp_eq_u16_e32 vcc, 44, v77
	s_cbranch_vccz .LBB221_1842
; %bb.1841:
	global_load_ubyte v8, v[0:1], off
	s_movk_i32 s10, 0xff
	v_bfrev_b32_e32 v9, 4
	v_mov_b32_e32 v10, 0x7ff80000
	v_bfrev_b32_e32 v11, 28
	s_mov_b64 s[6:7], 0
	s_waitcnt vmcnt(0)
	v_lshlrev_b32_e32 v4, 23, v8
	v_cvt_f64_f32_e32 v[4:5], v4
	v_cmp_ne_u32_e32 vcc, s10, v8
	v_cndmask_b32_e32 v4, v9, v4, vcc
	v_cndmask_b32_e32 v5, v10, v5, vcc
	v_cmp_ne_u32_e32 vcc, 0, v8
	v_cndmask_b32_e32 v5, v11, v5, vcc
	v_cndmask_b32_e32 v4, 0, v4, vcc
	s_mov_b64 s[10:11], -1
	s_branch .LBB221_1843
.LBB221_1842:
	s_mov_b64 s[6:7], -1
                                        ; implicit-def: $vgpr4_vgpr5
.LBB221_1843:
	s_mov_b64 s[12:13], 0
.LBB221_1844:
	s_and_b64 vcc, exec, s[12:13]
	s_cbranch_vccz .LBB221_1848
; %bb.1845:
	v_cmp_eq_u16_e32 vcc, 29, v77
	s_cbranch_vccz .LBB221_1847
; %bb.1846:
	global_load_dwordx2 v[4:5], v[0:1], off
	s_mov_b64 s[6:7], 0
	s_mov_b64 s[10:11], -1
	s_mov_b64 s[12:13], 0
	s_waitcnt vmcnt(0)
	v_cvt_f64_u32_e32 v[8:9], v5
	v_cvt_f64_u32_e32 v[4:5], v4
	v_ldexp_f64 v[8:9], v[8:9], 32
	v_add_f64 v[4:5], v[8:9], v[4:5]
	s_branch .LBB221_1849
.LBB221_1847:
	s_mov_b64 s[6:7], -1
                                        ; implicit-def: $vgpr4_vgpr5
.LBB221_1848:
	s_mov_b64 s[12:13], 0
.LBB221_1849:
	s_and_b64 vcc, exec, s[12:13]
	s_cbranch_vccz .LBB221_1867
; %bb.1850:
	v_cmp_gt_i16_e32 vcc, 27, v77
	s_cbranch_vccnz .LBB221_1853
; %bb.1851:
	v_cmp_lt_i16_e32 vcc, 27, v77
	s_cbranch_vccz .LBB221_1854
; %bb.1852:
	global_load_dword v4, v[0:1], off
	s_mov_b64 s[10:11], 0
	s_waitcnt vmcnt(0)
	v_cvt_f64_u32_e32 v[4:5], v4
	s_branch .LBB221_1855
.LBB221_1853:
	s_mov_b64 s[10:11], -1
                                        ; implicit-def: $vgpr4_vgpr5
	s_branch .LBB221_1858
.LBB221_1854:
	s_mov_b64 s[10:11], -1
                                        ; implicit-def: $vgpr4_vgpr5
.LBB221_1855:
	s_andn2_b64 vcc, exec, s[10:11]
	s_cbranch_vccnz .LBB221_1857
; %bb.1856:
	global_load_ushort v4, v[0:1], off
	s_waitcnt vmcnt(0)
	v_cvt_f64_u32_e32 v[4:5], v4
.LBB221_1857:
	s_mov_b64 s[10:11], 0
.LBB221_1858:
	s_andn2_b64 vcc, exec, s[10:11]
	s_cbranch_vccnz .LBB221_1866
; %bb.1859:
	global_load_ubyte v8, v[0:1], off
	s_movk_i32 s10, 0x7f
                                        ; implicit-def: $sgpr12_sgpr13
	s_waitcnt vmcnt(0)
	v_cmp_lt_i16_e32 vcc, s10, v8
	s_mov_b64 s[10:11], 0
	s_and_saveexec_b64 s[14:15], vcc
	s_xor_b64 s[14:15], exec, s[14:15]
	s_cbranch_execz .LBB221_1879
; %bb.1860:
	s_movk_i32 s10, 0x80
	v_cmp_eq_u16_e32 vcc, s10, v8
	s_mov_b64 s[16:17], -1
                                        ; implicit-def: $sgpr12_sgpr13
	s_and_saveexec_b64 s[10:11], vcc
; %bb.1861:
	s_mov_b32 s13, 0x7ff80000
	s_brev_b32 s12, 4
	s_xor_b64 s[16:17], exec, -1
; %bb.1862:
	s_or_b64 exec, exec, s[10:11]
	s_and_b64 s[10:11], s[16:17], exec
	s_or_saveexec_b64 s[14:15], s[14:15]
	v_pk_mov_b32 v[4:5], s[12:13], s[12:13] op_sel:[0,1]
	s_xor_b64 exec, exec, s[14:15]
	s_cbranch_execnz .LBB221_1880
.LBB221_1863:
	s_or_b64 exec, exec, s[14:15]
	s_and_saveexec_b64 s[12:13], s[10:11]
	s_cbranch_execz .LBB221_1865
.LBB221_1864:
	v_and_b32_e32 v5, 0xffff, v8
	v_lshlrev_b32_e32 v4, 24, v8
	v_and_b32_e32 v8, 7, v5
	v_ffbh_u32_e32 v10, v8
	v_min_u32_e32 v10, 32, v10
	v_subrev_u32_e32 v11, 28, v10
	v_bfe_u32 v9, v5, 3, 4
	v_lshlrev_b32_e32 v5, v11, v5
	v_sub_u32_e32 v10, 29, v10
	v_and_b32_e32 v5, 7, v5
	v_cmp_eq_u32_e32 vcc, 0, v9
	v_cndmask_b32_e32 v9, v9, v10, vcc
	v_cndmask_b32_e32 v5, v8, v5, vcc
	v_mov_b32_e32 v8, 0x3b800000
	v_lshlrev_b32_e32 v5, 20, v5
	v_and_b32_e32 v4, 0x80000000, v4
	v_lshl_add_u32 v8, v9, 23, v8
	v_or3_b32 v4, v4, v8, v5
	v_cvt_f64_f32_e32 v[4:5], v4
.LBB221_1865:
	s_or_b64 exec, exec, s[12:13]
.LBB221_1866:
	s_mov_b64 s[10:11], -1
.LBB221_1867:
	s_branch .LBB221_1900
.LBB221_1868:
	v_cmp_lt_i16_e32 vcc, 22, v77
	s_cbranch_vccz .LBB221_1878
; %bb.1869:
	v_cmp_gt_i16_e32 vcc, 24, v77
	s_cbranch_vccnz .LBB221_1881
; %bb.1870:
	v_cmp_lt_i16_e32 vcc, 24, v77
	s_cbranch_vccz .LBB221_1882
; %bb.1871:
	global_load_ubyte v8, v[0:1], off
	s_movk_i32 s8, 0x7f
                                        ; implicit-def: $sgpr10_sgpr11
	s_waitcnt vmcnt(0)
	v_cmp_lt_i16_e32 vcc, s8, v8
	s_mov_b64 s[8:9], 0
	s_and_saveexec_b64 s[12:13], vcc
	s_xor_b64 s[12:13], exec, s[12:13]
	s_cbranch_execz .LBB221_1894
; %bb.1872:
	s_movk_i32 s8, 0x80
	v_cmp_eq_u16_e32 vcc, s8, v8
	s_mov_b64 s[14:15], -1
                                        ; implicit-def: $sgpr10_sgpr11
	s_and_saveexec_b64 s[8:9], vcc
; %bb.1873:
	s_mov_b32 s11, 0x7ff80000
	s_brev_b32 s10, 4
	s_xor_b64 s[14:15], exec, -1
; %bb.1874:
	s_or_b64 exec, exec, s[8:9]
	s_and_b64 s[8:9], s[14:15], exec
	s_or_saveexec_b64 s[12:13], s[12:13]
	v_pk_mov_b32 v[4:5], s[10:11], s[10:11] op_sel:[0,1]
	s_xor_b64 exec, exec, s[12:13]
	s_cbranch_execnz .LBB221_1895
.LBB221_1875:
	s_or_b64 exec, exec, s[12:13]
	s_and_saveexec_b64 s[10:11], s[8:9]
	s_cbranch_execz .LBB221_1877
.LBB221_1876:
	v_and_b32_e32 v5, 0xffff, v8
	v_lshlrev_b32_e32 v4, 24, v8
	v_and_b32_e32 v8, 3, v5
	v_ffbh_u32_e32 v10, v8
	v_min_u32_e32 v10, 32, v10
	v_subrev_u32_e32 v11, 29, v10
	v_bfe_u32 v9, v5, 2, 5
	v_lshlrev_b32_e32 v5, v11, v5
	v_sub_u32_e32 v10, 30, v10
	v_and_b32_e32 v5, 3, v5
	v_cmp_eq_u32_e32 vcc, 0, v9
	v_cndmask_b32_e32 v9, v9, v10, vcc
	v_cndmask_b32_e32 v5, v8, v5, vcc
	v_mov_b32_e32 v8, 0x37800000
	v_lshlrev_b32_e32 v5, 21, v5
	v_and_b32_e32 v4, 0x80000000, v4
	v_lshl_add_u32 v8, v9, 23, v8
	v_or3_b32 v4, v4, v8, v5
	v_cvt_f64_f32_e32 v[4:5], v4
.LBB221_1877:
	s_or_b64 exec, exec, s[10:11]
	s_mov_b64 s[8:9], 0
	s_branch .LBB221_1883
.LBB221_1878:
	s_mov_b64 s[8:9], -1
                                        ; implicit-def: $vgpr4_vgpr5
	s_branch .LBB221_1889
.LBB221_1879:
	s_or_saveexec_b64 s[14:15], s[14:15]
	v_pk_mov_b32 v[4:5], s[12:13], s[12:13] op_sel:[0,1]
	s_xor_b64 exec, exec, s[14:15]
	s_cbranch_execz .LBB221_1863
.LBB221_1880:
	v_cmp_ne_u16_e32 vcc, 0, v8
	s_andn2_b64 s[10:11], s[10:11], exec
	s_and_b64 s[12:13], vcc, exec
	v_pk_mov_b32 v[4:5], 0, 0
	s_or_b64 s[10:11], s[10:11], s[12:13]
	s_or_b64 exec, exec, s[14:15]
	s_and_saveexec_b64 s[12:13], s[10:11]
	s_cbranch_execnz .LBB221_1864
	s_branch .LBB221_1865
.LBB221_1881:
	s_mov_b64 s[8:9], -1
                                        ; implicit-def: $vgpr4_vgpr5
	s_branch .LBB221_1886
.LBB221_1882:
	s_mov_b64 s[8:9], -1
                                        ; implicit-def: $vgpr4_vgpr5
.LBB221_1883:
	s_and_b64 vcc, exec, s[8:9]
	s_cbranch_vccz .LBB221_1885
; %bb.1884:
	global_load_ubyte v4, v[0:1], off
	s_mov_b32 s8, 0x7f800000
	s_waitcnt vmcnt(0)
	v_lshlrev_b32_e32 v4, 24, v4
	v_and_b32_e32 v5, 0x7f000000, v4
	v_ffbh_u32_e32 v8, v5
	v_min_u32_e32 v8, 32, v8
	v_sub_u32_e64 v8, v8, 4 clamp
	v_lshlrev_b32_e32 v10, v8, v5
	v_lshlrev_b32_e32 v8, 23, v8
	v_lshrrev_b32_e32 v10, 4, v10
	v_add_u32_e32 v9, 0x1000000, v5
	v_sub_u32_e32 v8, v10, v8
	v_ashrrev_i32_e32 v9, 8, v9
	v_add_u32_e32 v8, 0x3c000000, v8
	v_and_or_b32 v8, v9, s8, v8
	v_cmp_ne_u32_e32 vcc, 0, v5
	v_cndmask_b32_e32 v5, 0, v8, vcc
	s_brev_b32 s8, 1
	v_and_or_b32 v4, v4, s8, v5
	v_cvt_f64_f32_e32 v[4:5], v4
.LBB221_1885:
	s_mov_b64 s[8:9], 0
.LBB221_1886:
	s_andn2_b64 vcc, exec, s[8:9]
	s_cbranch_vccnz .LBB221_1888
; %bb.1887:
	global_load_ubyte v4, v[0:1], off
	s_movk_i32 s8, 0x7f00
	s_brev_b32 s9, 16
	s_waitcnt vmcnt(0)
	v_lshlrev_b16_e32 v5, 8, v4
	v_lshlrev_b32_e32 v4, 25, v4
	v_lshrrev_b32_e32 v8, 4, v4
	v_and_or_b32 v9, v5, s8, 0.5
	v_or_b32_e32 v8, 0x70000000, v8
	v_add_f32_e32 v9, -0.5, v9
	v_mul_f32_e32 v8, 0x7800000, v8
	v_cmp_gt_u32_e32 vcc, s9, v4
	v_bfe_i32 v5, v5, 0, 16
	v_cndmask_b32_e32 v4, v8, v9, vcc
	s_brev_b32 s8, 1
	v_and_or_b32 v4, v5, s8, v4
	v_cvt_f64_f32_e32 v[4:5], v4
.LBB221_1888:
	s_mov_b64 s[8:9], 0
	s_mov_b64 s[10:11], -1
.LBB221_1889:
	s_andn2_b64 vcc, exec, s[8:9]
	s_mov_b64 s[8:9], 0
	s_cbranch_vccnz .LBB221_1900
; %bb.1890:
	v_cmp_lt_i16_e32 vcc, 14, v77
	s_cbranch_vccz .LBB221_1893
; %bb.1891:
	v_cmp_eq_u16_e32 vcc, 15, v77
	s_cbranch_vccz .LBB221_1896
; %bb.1892:
	global_load_ushort v4, v[0:1], off
	s_mov_b64 s[6:7], 0
	s_mov_b64 s[10:11], -1
	s_waitcnt vmcnt(0)
	v_lshlrev_b32_e32 v4, 16, v4
	v_cvt_f64_f32_e32 v[4:5], v4
	s_branch .LBB221_1897
.LBB221_1893:
	s_mov_b64 s[12:13], -1
                                        ; implicit-def: $vgpr4_vgpr5
	s_branch .LBB221_1898
.LBB221_1894:
	s_or_saveexec_b64 s[12:13], s[12:13]
	v_pk_mov_b32 v[4:5], s[10:11], s[10:11] op_sel:[0,1]
	s_xor_b64 exec, exec, s[12:13]
	s_cbranch_execz .LBB221_1875
.LBB221_1895:
	v_cmp_ne_u16_e32 vcc, 0, v8
	s_andn2_b64 s[8:9], s[8:9], exec
	s_and_b64 s[10:11], vcc, exec
	v_pk_mov_b32 v[4:5], 0, 0
	s_or_b64 s[8:9], s[8:9], s[10:11]
	s_or_b64 exec, exec, s[12:13]
	s_and_saveexec_b64 s[10:11], s[8:9]
	s_cbranch_execnz .LBB221_1876
	s_branch .LBB221_1877
.LBB221_1896:
	s_mov_b64 s[6:7], -1
                                        ; implicit-def: $vgpr4_vgpr5
.LBB221_1897:
	s_mov_b64 s[12:13], 0
.LBB221_1898:
	s_and_b64 vcc, exec, s[12:13]
	s_cbranch_vccz .LBB221_1900
; %bb.1899:
	v_cmp_ne_u16_e32 vcc, 11, v77
	s_andn2_b64 s[6:7], s[6:7], exec
	s_and_b64 s[12:13], vcc, exec
	s_mov_b64 s[8:9], -1
	s_or_b64 s[6:7], s[6:7], s[12:13]
                                        ; implicit-def: $vgpr4_vgpr5
.LBB221_1900:
	s_mov_b64 s[14:15], 0
.LBB221_1901:
	s_and_b64 s[12:13], s[10:11], exec
	s_andn2_b64 s[10:11], s[34:35], exec
	s_and_b64 s[6:7], s[6:7], exec
	s_and_b64 s[14:15], s[14:15], exec
	;; [unrolled: 1-line block ×3, first 2 shown]
	s_or_b64 s[34:35], s[10:11], s[6:7]
	s_or_b64 exec, exec, s[4:5]
	s_and_saveexec_b64 s[4:5], s[34:35]
	s_cbranch_execz .LBB221_1831
.LBB221_1902:
	s_or_b64 s[96:97], s[96:97], exec
	s_andn2_b64 s[8:9], s[8:9], exec
	s_trap 2
                                        ; implicit-def: $vgpr4_vgpr5
	s_or_b64 exec, exec, s[4:5]
	s_and_saveexec_b64 s[4:5], s[8:9]
	s_xor_b64 s[4:5], exec, s[4:5]
	s_cbranch_execnz .LBB221_1832
.LBB221_1903:
	s_or_b64 exec, exec, s[4:5]
	s_and_saveexec_b64 s[4:5], s[14:15]
	s_cbranch_execz .LBB221_1949
.LBB221_1904:
	v_cmp_gt_i16_e32 vcc, 5, v77
	s_cbranch_vccnz .LBB221_1909
; %bb.1905:
	v_cmp_gt_i16_e32 vcc, 8, v77
	s_cbranch_vccnz .LBB221_1910
; %bb.1906:
	;; [unrolled: 3-line block ×3, first 2 shown]
	v_cmp_lt_i16_e32 vcc, 9, v77
	s_cbranch_vccz .LBB221_1912
; %bb.1908:
	s_waitcnt vmcnt(0)
	global_load_dwordx2 v[4:5], v[0:1], off
	s_mov_b64 s[6:7], 0
	s_branch .LBB221_1913
.LBB221_1909:
                                        ; implicit-def: $vgpr4_vgpr5
	s_branch .LBB221_1930
.LBB221_1910:
                                        ; implicit-def: $vgpr4_vgpr5
	s_branch .LBB221_1919
.LBB221_1911:
	s_mov_b64 s[6:7], -1
                                        ; implicit-def: $vgpr4_vgpr5
	s_branch .LBB221_1916
.LBB221_1912:
	s_mov_b64 s[6:7], -1
                                        ; implicit-def: $vgpr4_vgpr5
.LBB221_1913:
	s_andn2_b64 vcc, exec, s[6:7]
	s_cbranch_vccnz .LBB221_1915
; %bb.1914:
	s_waitcnt vmcnt(0)
	global_load_dword v4, v[0:1], off
	s_waitcnt vmcnt(0)
	v_cvt_f64_f32_e32 v[4:5], v4
.LBB221_1915:
	s_mov_b64 s[6:7], 0
.LBB221_1916:
	s_andn2_b64 vcc, exec, s[6:7]
	s_cbranch_vccnz .LBB221_1918
; %bb.1917:
	s_waitcnt vmcnt(0)
	global_load_dword v4, v[0:1], off
	s_waitcnt vmcnt(0)
	v_cvt_f32_f16_e32 v4, v4
	v_cvt_f64_f32_e32 v[4:5], v4
.LBB221_1918:
	s_cbranch_execnz .LBB221_1929
.LBB221_1919:
	v_cmp_gt_i16_e32 vcc, 6, v77
	s_cbranch_vccnz .LBB221_1922
; %bb.1920:
	v_cmp_lt_i16_e32 vcc, 6, v77
	s_cbranch_vccz .LBB221_1923
; %bb.1921:
	s_waitcnt vmcnt(0)
	global_load_dwordx2 v[4:5], v[0:1], off
	s_mov_b64 s[6:7], 0
	s_branch .LBB221_1924
.LBB221_1922:
	s_mov_b64 s[6:7], -1
                                        ; implicit-def: $vgpr4_vgpr5
	s_branch .LBB221_1927
.LBB221_1923:
	s_mov_b64 s[6:7], -1
                                        ; implicit-def: $vgpr4_vgpr5
.LBB221_1924:
	s_andn2_b64 vcc, exec, s[6:7]
	s_cbranch_vccnz .LBB221_1926
; %bb.1925:
	s_waitcnt vmcnt(0)
	global_load_dword v4, v[0:1], off
	s_waitcnt vmcnt(0)
	v_cvt_f64_f32_e32 v[4:5], v4
.LBB221_1926:
	s_mov_b64 s[6:7], 0
.LBB221_1927:
	s_andn2_b64 vcc, exec, s[6:7]
	s_cbranch_vccnz .LBB221_1929
; %bb.1928:
	s_waitcnt vmcnt(0)
	global_load_ushort v4, v[0:1], off
	s_waitcnt vmcnt(0)
	v_cvt_f32_f16_e32 v4, v4
	v_cvt_f64_f32_e32 v[4:5], v4
.LBB221_1929:
	s_cbranch_execnz .LBB221_1948
.LBB221_1930:
	v_cmp_gt_i16_e32 vcc, 2, v77
	s_cbranch_vccnz .LBB221_1934
; %bb.1931:
	v_cmp_gt_i16_e32 vcc, 3, v77
	s_cbranch_vccnz .LBB221_1935
; %bb.1932:
	v_cmp_lt_i16_e32 vcc, 3, v77
	s_cbranch_vccz .LBB221_1936
; %bb.1933:
	s_waitcnt vmcnt(0)
	global_load_dwordx2 v[4:5], v[0:1], off
	s_mov_b64 s[6:7], 0
	s_waitcnt vmcnt(0)
	v_cvt_f64_i32_e32 v[8:9], v5
	v_cvt_f64_u32_e32 v[4:5], v4
	v_ldexp_f64 v[8:9], v[8:9], 32
	v_add_f64 v[4:5], v[8:9], v[4:5]
	s_branch .LBB221_1937
.LBB221_1934:
                                        ; implicit-def: $vgpr4_vgpr5
	s_branch .LBB221_1943
.LBB221_1935:
	s_mov_b64 s[6:7], -1
                                        ; implicit-def: $vgpr4_vgpr5
	s_branch .LBB221_1940
.LBB221_1936:
	s_mov_b64 s[6:7], -1
                                        ; implicit-def: $vgpr4_vgpr5
.LBB221_1937:
	s_andn2_b64 vcc, exec, s[6:7]
	s_cbranch_vccnz .LBB221_1939
; %bb.1938:
	s_waitcnt vmcnt(0)
	global_load_dword v4, v[0:1], off
	s_waitcnt vmcnt(0)
	v_cvt_f64_i32_e32 v[4:5], v4
.LBB221_1939:
	s_mov_b64 s[6:7], 0
.LBB221_1940:
	s_andn2_b64 vcc, exec, s[6:7]
	s_cbranch_vccnz .LBB221_1942
; %bb.1941:
	s_waitcnt vmcnt(0)
	global_load_sshort v4, v[0:1], off
	s_waitcnt vmcnt(0)
	v_cvt_f64_i32_e32 v[4:5], v4
.LBB221_1942:
	s_cbranch_execnz .LBB221_1948
.LBB221_1943:
	v_cmp_lt_i16_e32 vcc, 0, v77
	s_cbranch_vccz .LBB221_1945
; %bb.1944:
	s_waitcnt vmcnt(0)
	global_load_sbyte v4, v[0:1], off
	s_mov_b64 s[6:7], 0
	s_waitcnt vmcnt(0)
	v_cvt_f64_i32_e32 v[4:5], v4
	s_branch .LBB221_1946
.LBB221_1945:
	s_mov_b64 s[6:7], -1
                                        ; implicit-def: $vgpr4_vgpr5
.LBB221_1946:
	s_andn2_b64 vcc, exec, s[6:7]
	s_cbranch_vccnz .LBB221_1948
; %bb.1947:
	s_waitcnt vmcnt(0)
	global_load_ubyte v0, v[0:1], off
	s_waitcnt vmcnt(0)
	v_cvt_f64_u32_e32 v[4:5], v0
.LBB221_1948:
	s_or_b64 s[12:13], s[12:13], exec
.LBB221_1949:
	s_or_b64 exec, exec, s[4:5]
	s_mov_b64 s[8:9], 0
	s_mov_b64 s[6:7], 0
                                        ; implicit-def: $vgpr10
                                        ; implicit-def: $vgpr8_vgpr9
                                        ; implicit-def: $vgpr0_vgpr1
	s_and_saveexec_b64 s[94:95], s[12:13]
	s_cbranch_execz .LBB221_2024
; %bb.1950:
	v_readlane_b32 s4, v78, 0
	v_readlane_b32 s5, v78, 1
	v_writelane_b32 v78, s36, 4
	v_writelane_b32 v78, s37, 5
	;; [unrolled: 1-line block ×7, first 2 shown]
	s_mov_b64 s[90:91], s[46:47]
	s_waitcnt vmcnt(0)
	v_mov_b32_e32 v0, v6
	v_mov_b32_e32 v1, v7
	v_writelane_b32 v78, s43, 11
	s_mov_b64 s[92:93], s[30:31]
	s_mov_b64 s[88:89], s[44:45]
	s_getpc_b64 s[4:5]
	s_add_u32 s4, s4, _ZZZZN2at6native28launch_dirichlet_grad_kernelERNS_18TensorIteratorBaseEENKUlvE_clEvENKUlvE_clEvENKUldddE_clEddd@rel32@lo+4
	s_addc_u32 s5, s5, _ZZZZN2at6native28launch_dirichlet_grad_kernelERNS_18TensorIteratorBaseEENKUlvE_clEvENKUlvE_clEvENKUldddE_clEddd@rel32@hi+12
	s_swappc_b64 s[30:31], s[4:5]
	s_mov_b64 s[44:45], s[88:89]
	v_readlane_b32 s36, v78, 4
	v_mul_lo_u32 v2, v76, s44
	v_readlane_b32 s37, v78, 5
	v_ashrrev_i32_e32 v3, 31, v2
	v_mov_b32_e32 v4, s37
	v_add_co_u32_e32 v8, vcc, s36, v2
	v_addc_co_u32_e32 v9, vcc, v4, v3, vcc
	v_and_b32_e32 v10, 0xff, v41
	v_cmp_gt_i16_e32 vcc, 11, v10
	s_mov_b64 s[46:47], s[90:91]
	v_readlane_b32 s38, v78, 6
	v_readlane_b32 s39, v78, 7
	;; [unrolled: 1-line block ×6, first 2 shown]
	s_cbranch_vccnz .LBB221_2027
; %bb.1951:
	v_cmp_lt_i16_e32 vcc, 25, v10
	s_mov_b64 s[8:9], -1
	s_mov_b64 s[18:19], s[92:93]
	s_mov_b64 s[4:5], s[92:93]
	;; [unrolled: 1-line block ×3, first 2 shown]
	s_cbranch_vccz .LBB221_1984
; %bb.1952:
	v_cmp_lt_i16_e32 vcc, 28, v10
	s_mov_b64 s[6:7], -1
	s_mov_b64 s[4:5], s[18:19]
	s_cbranch_vccz .LBB221_1968
; %bb.1953:
	v_cmp_lt_i16_e32 vcc, 43, v10
	s_mov_b64 s[4:5], s[18:19]
	s_cbranch_vccz .LBB221_1964
; %bb.1954:
	v_cmp_lt_i16_e32 vcc, 45, v10
	s_mov_b64 s[4:5], s[18:19]
	s_cbranch_vccz .LBB221_1958
; %bb.1955:
	v_cmp_eq_u16_e32 vcc, 46, v10
	s_mov_b64 s[4:5], -1
	s_cbranch_vccz .LBB221_1957
; %bb.1956:
	v_cvt_f32_f64_e32 v2, v[0:1]
	v_bfe_u32 v3, v2, 16, 1
	s_movk_i32 s4, 0x7fff
	v_add3_u32 v3, v2, v3, s4
	v_lshrrev_b32_e32 v3, 16, v3
	v_mov_b32_e32 v4, 0x7fc0
	v_cmp_o_f32_e32 vcc, v2, v2
	v_cndmask_b32_e32 v2, v4, v3, vcc
	global_store_dword v[8:9], v2, off
	s_mov_b64 s[4:5], 0
.LBB221_1957:
	s_mov_b64 s[6:7], 0
.LBB221_1958:
	s_and_b64 vcc, exec, s[6:7]
	s_cbranch_vccz .LBB221_1963
; %bb.1959:
	v_cmp_eq_u16_e32 vcc, 44, v10
	s_mov_b64 s[4:5], -1
	s_cbranch_vccz .LBB221_1963
; %bb.1960:
	v_cvt_f32_f64_e32 v2, v[0:1]
	v_bfe_u32 v3, v2, 23, 8
	s_movk_i32 s4, 0xff
	v_cmp_ne_u32_e32 vcc, s4, v3
	v_mov_b32_e32 v4, 0xff
	s_and_saveexec_b64 s[6:7], vcc
; %bb.1961:
	s_mov_b32 s4, 0x3fffff
	v_lshrrev_b32_e32 v4, 23, v2
	v_and_b32_e32 v5, 0x400000, v2
	v_and_or_b32 v2, v2, s4, v3
	v_cmp_ne_u32_e32 vcc, 0, v5
	v_cmp_ne_u32_e64 s[4:5], 0, v2
	s_and_b64 s[4:5], vcc, s[4:5]
	v_cndmask_b32_e64 v2, 0, 1, s[4:5]
	v_add_u32_e32 v4, v4, v2
; %bb.1962:
	s_or_b64 exec, exec, s[6:7]
	s_mov_b64 s[4:5], 0
	global_store_byte v[8:9], v4, off
.LBB221_1963:
	s_mov_b64 s[6:7], 0
.LBB221_1964:
	s_and_b64 vcc, exec, s[6:7]
	s_cbranch_vccz .LBB221_1967
; %bb.1965:
	v_cmp_eq_u16_e32 vcc, 29, v10
	s_mov_b64 s[4:5], -1
	s_cbranch_vccz .LBB221_1967
; %bb.1966:
	v_trunc_f64_e32 v[2:3], v[0:1]
	s_movk_i32 s4, 0xffe0
	v_ldexp_f64 v[4:5], v[2:3], s4
	v_floor_f64_e32 v[4:5], v[4:5]
	v_fmac_f64_e32 v[2:3], 0xc1f00000, v[4:5]
	v_cvt_u32_f64_e32 v7, v[4:5]
	v_cvt_u32_f64_e32 v6, v[2:3]
	global_store_dwordx2 v[8:9], v[6:7], off
	s_mov_b64 s[4:5], 0
.LBB221_1967:
	s_mov_b64 s[6:7], 0
.LBB221_1968:
	s_and_b64 vcc, exec, s[6:7]
	s_cbranch_vccz .LBB221_1983
; %bb.1969:
	v_cmp_gt_i16_e32 vcc, 27, v10
	s_mov_b64 s[6:7], -1
	s_cbranch_vccnz .LBB221_1975
; %bb.1970:
	v_cmp_lt_i16_e32 vcc, 27, v10
	v_cvt_u32_f64_e32 v2, v[0:1]
	s_cbranch_vccz .LBB221_1972
; %bb.1971:
	s_mov_b64 s[6:7], 0
	global_store_dword v[8:9], v2, off
.LBB221_1972:
	s_andn2_b64 vcc, exec, s[6:7]
	s_cbranch_vccnz .LBB221_1974
; %bb.1973:
	global_store_short v[8:9], v2, off
.LBB221_1974:
	s_mov_b64 s[6:7], 0
.LBB221_1975:
	s_andn2_b64 vcc, exec, s[6:7]
	s_cbranch_vccnz .LBB221_1983
; %bb.1976:
	v_cvt_f32_f64_e32 v2, v[0:1]
	v_and_b32_e32 v3, 0x7fffffff, v2
	s_mov_b32 s6, 0x43800000
	v_cmp_gt_u32_e32 vcc, s6, v3
	v_mov_b32_e32 v4, 0x80
	s_and_saveexec_b64 s[6:7], vcc
	s_cbranch_execz .LBB221_1982
; %bb.1977:
	s_mov_b32 s8, 0x3bffffff
	v_cmp_lt_u32_e32 vcc, s8, v3
	s_mov_b64 s[8:9], 0
                                        ; implicit-def: $vgpr3
	s_and_saveexec_b64 s[10:11], vcc
	s_xor_b64 s[10:11], exec, s[10:11]
	s_cbranch_execz .LBB221_2084
; %bb.1978:
	v_bfe_u32 v3, v2, 20, 1
	s_mov_b32 s12, 0x487ffff
	v_add3_u32 v3, v2, v3, s12
	s_mov_b64 s[8:9], exec
	v_lshrrev_b32_e32 v3, 20, v3
	s_or_saveexec_b64 s[10:11], s[10:11]
                                        ; implicit-def: $sgpr12
	s_xor_b64 exec, exec, s[10:11]
	s_cbranch_execnz .LBB221_2085
.LBB221_1979:
	s_or_b64 exec, exec, s[10:11]
	v_mov_b32_e32 v4, s12
	s_and_saveexec_b64 s[10:11], s[8:9]
.LBB221_1980:
	v_lshrrev_b32_e32 v2, 24, v2
	s_movk_i32 s8, 0x80
	v_and_or_b32 v4, v2, s8, v3
.LBB221_1981:
	s_or_b64 exec, exec, s[10:11]
.LBB221_1982:
	s_or_b64 exec, exec, s[6:7]
	global_store_byte v[8:9], v4, off
.LBB221_1983:
	s_mov_b64 s[8:9], 0
.LBB221_1984:
	s_mov_b64 s[6:7], 0
	s_and_b64 vcc, exec, s[8:9]
	s_cbranch_vccz .LBB221_2028
; %bb.1985:
	v_cmp_lt_i16_e32 vcc, 22, v10
	s_mov_b64 s[8:9], -1
	s_cbranch_vccz .LBB221_2017
; %bb.1986:
	v_cmp_gt_i16_e32 vcc, 24, v10
	s_cbranch_vccnz .LBB221_2006
; %bb.1987:
	v_cmp_lt_i16_e32 vcc, 24, v10
	s_cbranch_vccz .LBB221_1995
; %bb.1988:
	v_cvt_f32_f64_e32 v2, v[0:1]
	v_and_b32_e32 v3, 0x7fffffff, v2
	s_mov_b32 s8, 0x47800000
	v_cmp_gt_u32_e32 vcc, s8, v3
	v_mov_b32_e32 v4, 0x80
	s_and_saveexec_b64 s[8:9], vcc
	s_cbranch_execz .LBB221_1994
; %bb.1989:
	s_mov_b32 s10, 0x37ffffff
	v_cmp_lt_u32_e32 vcc, s10, v3
	s_mov_b64 s[10:11], 0
                                        ; implicit-def: $vgpr3
	s_and_saveexec_b64 s[12:13], vcc
	s_xor_b64 s[12:13], exec, s[12:13]
	s_cbranch_execz .LBB221_2209
; %bb.1990:
	v_bfe_u32 v3, v2, 21, 1
	s_mov_b32 s14, 0x88fffff
	v_add3_u32 v3, v2, v3, s14
	s_mov_b64 s[10:11], exec
	v_lshrrev_b32_e32 v3, 21, v3
	s_or_saveexec_b64 s[12:13], s[12:13]
                                        ; implicit-def: $sgpr14
	s_xor_b64 exec, exec, s[12:13]
	s_cbranch_execnz .LBB221_2210
.LBB221_1991:
	s_or_b64 exec, exec, s[12:13]
	v_mov_b32_e32 v4, s14
	s_and_saveexec_b64 s[12:13], s[10:11]
.LBB221_1992:
	v_lshrrev_b32_e32 v2, 24, v2
	s_movk_i32 s10, 0x80
	v_and_or_b32 v4, v2, s10, v3
.LBB221_1993:
	s_or_b64 exec, exec, s[12:13]
.LBB221_1994:
	s_or_b64 exec, exec, s[8:9]
	s_mov_b64 s[8:9], 0
	global_store_byte v[8:9], v4, off
.LBB221_1995:
	s_and_b64 vcc, exec, s[8:9]
	s_cbranch_vccz .LBB221_2005
; %bb.1996:
	v_cvt_f32_f64_e32 v2, v[0:1]
	v_and_b32_e32 v4, 0x7fffffff, v2
	s_mov_b32 s8, 0x43f00000
	v_cmp_gt_u32_e32 vcc, s8, v4
                                        ; implicit-def: $vgpr3
	s_and_saveexec_b64 s[8:9], vcc
	s_xor_b64 s[8:9], exec, s[8:9]
	s_cbranch_execz .LBB221_2002
; %bb.1997:
	s_mov_b32 s10, 0x3c7fffff
	v_cmp_lt_u32_e32 vcc, s10, v4
                                        ; implicit-def: $vgpr3
	s_and_saveexec_b64 s[10:11], vcc
	s_xor_b64 s[10:11], exec, s[10:11]
; %bb.1998:
	v_bfe_u32 v3, v2, 20, 1
	s_mov_b32 s12, 0x407ffff
	v_add3_u32 v3, v2, v3, s12
	v_lshrrev_b32_e32 v4, 20, v3
	v_and_b32_e32 v3, 0xff00000, v3
	s_mov_b32 s12, 0x7f00000
	v_mov_b32_e32 v5, 0x7e
	v_cmp_ne_u32_e32 vcc, s12, v3
	v_cndmask_b32_e32 v3, v5, v4, vcc
; %bb.1999:
	s_andn2_saveexec_b64 s[10:11], s[10:11]
; %bb.2000:
	s_mov_b32 s12, 0x46800000
	v_add_f32_e64 v3, |v2|, s12
; %bb.2001:
	s_or_b64 exec, exec, s[10:11]
                                        ; implicit-def: $vgpr4
.LBB221_2002:
	s_andn2_saveexec_b64 s[8:9], s[8:9]
; %bb.2003:
	s_mov_b32 s10, 0x7f800000
	v_mov_b32_e32 v3, 0x7e
	v_mov_b32_e32 v5, 0x7f
	v_cmp_lt_u32_e32 vcc, s10, v4
	v_cndmask_b32_e32 v3, v3, v5, vcc
; %bb.2004:
	s_or_b64 exec, exec, s[8:9]
	v_lshrrev_b32_e32 v2, 24, v2
	s_movk_i32 s8, 0x80
	v_and_or_b32 v2, v2, s8, v3
	global_store_byte v[8:9], v2, off
.LBB221_2005:
	s_mov_b64 s[8:9], 0
.LBB221_2006:
	s_andn2_b64 vcc, exec, s[8:9]
	s_cbranch_vccnz .LBB221_2016
; %bb.2007:
	v_cvt_f32_f64_e32 v2, v[0:1]
	v_and_b32_e32 v4, 0x7fffffff, v2
	s_mov_b32 s8, 0x47800000
	v_cmp_gt_u32_e32 vcc, s8, v4
                                        ; implicit-def: $vgpr3
	s_and_saveexec_b64 s[8:9], vcc
	s_xor_b64 s[8:9], exec, s[8:9]
	s_cbranch_execz .LBB221_2013
; %bb.2008:
	s_mov_b32 s10, 0x387fffff
	v_cmp_lt_u32_e32 vcc, s10, v4
                                        ; implicit-def: $vgpr3
	s_and_saveexec_b64 s[10:11], vcc
	s_xor_b64 s[10:11], exec, s[10:11]
; %bb.2009:
	v_bfe_u32 v3, v2, 21, 1
	s_mov_b32 s12, 0x80fffff
	v_add3_u32 v3, v2, v3, s12
	v_lshrrev_b32_e32 v3, 21, v3
; %bb.2010:
	s_andn2_saveexec_b64 s[10:11], s[10:11]
; %bb.2011:
	s_mov_b32 s12, 0x43000000
	v_add_f32_e64 v3, |v2|, s12
; %bb.2012:
	s_or_b64 exec, exec, s[10:11]
                                        ; implicit-def: $vgpr4
.LBB221_2013:
	s_andn2_saveexec_b64 s[8:9], s[8:9]
; %bb.2014:
	s_mov_b32 s10, 0x7f800000
	v_mov_b32_e32 v3, 0x7c
	v_mov_b32_e32 v5, 0x7f
	v_cmp_lt_u32_e32 vcc, s10, v4
	v_cndmask_b32_e32 v3, v3, v5, vcc
; %bb.2015:
	s_or_b64 exec, exec, s[8:9]
	v_lshrrev_b32_e32 v2, 24, v2
	s_movk_i32 s8, 0x80
	v_and_or_b32 v2, v2, s8, v3
	global_store_byte v[8:9], v2, off
.LBB221_2016:
	s_mov_b64 s[8:9], 0
.LBB221_2017:
	s_andn2_b64 vcc, exec, s[8:9]
	s_mov_b64 s[8:9], 0
	s_cbranch_vccnz .LBB221_2029
; %bb.2018:
	v_cmp_lt_i16_e32 vcc, 14, v10
	s_mov_b64 s[10:11], -1
	s_cbranch_vccz .LBB221_2022
; %bb.2019:
	v_cmp_eq_u16_e32 vcc, 15, v10
	s_mov_b64 s[4:5], -1
	s_cbranch_vccz .LBB221_2021
; %bb.2020:
	v_cvt_f32_f64_e32 v2, v[0:1]
	v_bfe_u32 v3, v2, 16, 1
	s_movk_i32 s4, 0x7fff
	v_add3_u32 v3, v2, v3, s4
	v_lshrrev_b32_e32 v3, 16, v3
	v_mov_b32_e32 v4, 0x7fc0
	v_cmp_o_f32_e32 vcc, v2, v2
	v_cndmask_b32_e32 v2, v4, v3, vcc
	global_store_short v[8:9], v2, off
	s_mov_b64 s[4:5], 0
.LBB221_2021:
	s_mov_b64 s[10:11], 0
.LBB221_2022:
	s_and_b64 vcc, exec, s[10:11]
	s_cbranch_vccz .LBB221_2029
; %bb.2023:
	v_cmp_ne_u16_e32 vcc, 11, v10
	s_andn2_b64 s[4:5], s[4:5], exec
	s_and_b64 s[10:11], vcc, exec
	s_mov_b64 s[8:9], -1
	s_or_b64 s[4:5], s[4:5], s[10:11]
	s_branch .LBB221_2029
.LBB221_2024:
	s_or_b64 exec, exec, s[94:95]
	s_and_saveexec_b64 s[4:5], s[30:31]
	s_cbranch_execnz .LBB221_2030
.LBB221_2025:
	s_or_b64 exec, exec, s[4:5]
	s_and_saveexec_b64 s[4:5], s[8:9]
	s_xor_b64 s[4:5], exec, s[4:5]
	s_cbranch_execz .LBB221_2031
.LBB221_2026:
	s_waitcnt vmcnt(0)
	v_cmp_neq_f64_e32 vcc, 0, v[0:1]
	v_cndmask_b32_e64 v2, 0, 1, vcc
	global_store_byte v[8:9], v2, off
	s_or_b64 exec, exec, s[4:5]
	s_and_saveexec_b64 s[4:5], s[6:7]
	s_xor_b64 s[4:5], exec, s[4:5]
	s_cbranch_execz .LBB221_2069
	s_branch .LBB221_2032
.LBB221_2027:
	s_mov_b64 s[8:9], 0
	s_mov_b64 s[6:7], -1
	s_mov_b64 s[18:19], s[92:93]
	s_mov_b64 s[4:5], s[92:93]
	;; [unrolled: 1-line block ×3, first 2 shown]
	s_branch .LBB221_2029
.LBB221_2028:
	s_mov_b64 s[8:9], 0
.LBB221_2029:
	s_andn2_b64 s[10:11], s[18:19], exec
	s_and_b64 s[4:5], s[4:5], exec
	s_and_b64 s[6:7], s[6:7], exec
	;; [unrolled: 1-line block ×3, first 2 shown]
	s_or_b64 s[30:31], s[10:11], s[4:5]
	s_or_b64 exec, exec, s[94:95]
	s_and_saveexec_b64 s[4:5], s[30:31]
	s_cbranch_execz .LBB221_2025
.LBB221_2030:
	s_or_b64 s[96:97], s[96:97], exec
	s_andn2_b64 s[8:9], s[8:9], exec
	s_trap 2
	s_or_b64 exec, exec, s[4:5]
	s_and_saveexec_b64 s[4:5], s[8:9]
	s_xor_b64 s[4:5], exec, s[4:5]
	s_cbranch_execnz .LBB221_2026
.LBB221_2031:
	s_or_b64 exec, exec, s[4:5]
	s_and_saveexec_b64 s[4:5], s[6:7]
	s_xor_b64 s[4:5], exec, s[4:5]
	s_cbranch_execz .LBB221_2069
.LBB221_2032:
	v_cmp_gt_i16_e32 vcc, 5, v10
	s_mov_b64 s[6:7], -1
	s_cbranch_vccnz .LBB221_2053
; %bb.2033:
	v_cmp_gt_i16_e32 vcc, 8, v10
	s_cbranch_vccnz .LBB221_2043
; %bb.2034:
	v_cmp_gt_i16_e32 vcc, 9, v10
	s_cbranch_vccnz .LBB221_2040
; %bb.2035:
	v_cmp_lt_i16_e32 vcc, 9, v10
	s_cbranch_vccz .LBB221_2037
; %bb.2036:
	s_waitcnt vmcnt(0)
	v_mov_b32_e32 v2, 0
	v_mov_b32_e32 v3, v2
	s_mov_b64 s[6:7], 0
	global_store_dwordx4 v[8:9], v[0:3], off
.LBB221_2037:
	s_andn2_b64 vcc, exec, s[6:7]
	s_cbranch_vccnz .LBB221_2039
; %bb.2038:
	s_waitcnt vmcnt(0)
	v_cvt_f32_f64_e32 v2, v[0:1]
	v_mov_b32_e32 v3, 0
	global_store_dwordx2 v[8:9], v[2:3], off
.LBB221_2039:
	s_mov_b64 s[6:7], 0
.LBB221_2040:
	s_andn2_b64 vcc, exec, s[6:7]
	s_cbranch_vccnz .LBB221_2042
; %bb.2041:
	s_waitcnt vmcnt(0)
	v_cvt_f32_f64_e32 v2, v[0:1]
	v_cvt_f16_f32_e32 v2, v2
	global_store_dword v[8:9], v2, off
.LBB221_2042:
	s_mov_b64 s[6:7], 0
.LBB221_2043:
	s_andn2_b64 vcc, exec, s[6:7]
	s_cbranch_vccnz .LBB221_2052
; %bb.2044:
	v_cmp_gt_i16_e32 vcc, 6, v10
	s_mov_b64 s[6:7], -1
	s_cbranch_vccnz .LBB221_2050
; %bb.2045:
	v_cmp_lt_i16_e32 vcc, 6, v10
	s_cbranch_vccz .LBB221_2047
; %bb.2046:
	s_mov_b64 s[6:7], 0
	s_waitcnt vmcnt(0)
	global_store_dwordx2 v[8:9], v[0:1], off
.LBB221_2047:
	s_andn2_b64 vcc, exec, s[6:7]
	s_cbranch_vccnz .LBB221_2049
; %bb.2048:
	s_waitcnt vmcnt(0)
	v_cvt_f32_f64_e32 v2, v[0:1]
	global_store_dword v[8:9], v2, off
.LBB221_2049:
	s_mov_b64 s[6:7], 0
.LBB221_2050:
	s_andn2_b64 vcc, exec, s[6:7]
	s_cbranch_vccnz .LBB221_2052
; %bb.2051:
	s_waitcnt vmcnt(0)
	v_cvt_f32_f64_e32 v2, v[0:1]
	v_cvt_f16_f32_e32 v2, v2
	global_store_short v[8:9], v2, off
.LBB221_2052:
	s_mov_b64 s[6:7], 0
.LBB221_2053:
	s_andn2_b64 vcc, exec, s[6:7]
	s_cbranch_vccnz .LBB221_2069
; %bb.2054:
	v_cmp_gt_i16_e32 vcc, 2, v10
	s_mov_b64 s[6:7], -1
	s_cbranch_vccnz .LBB221_2064
; %bb.2055:
	v_cmp_gt_i16_e32 vcc, 3, v10
	s_cbranch_vccnz .LBB221_2061
; %bb.2056:
	v_cmp_lt_i16_e32 vcc, 3, v10
	s_cbranch_vccz .LBB221_2058
; %bb.2057:
	s_waitcnt vmcnt(0)
	v_trunc_f64_e32 v[2:3], v[0:1]
	s_movk_i32 s6, 0xffe0
	v_ldexp_f64 v[4:5], v[2:3], s6
	v_floor_f64_e32 v[4:5], v[4:5]
	v_fmac_f64_e32 v[2:3], 0xc1f00000, v[4:5]
	v_cvt_i32_f64_e32 v7, v[4:5]
	v_cvt_u32_f64_e32 v6, v[2:3]
	s_mov_b64 s[6:7], 0
	global_store_dwordx2 v[8:9], v[6:7], off
.LBB221_2058:
	s_andn2_b64 vcc, exec, s[6:7]
	s_cbranch_vccnz .LBB221_2060
; %bb.2059:
	s_waitcnt vmcnt(0)
	v_cvt_i32_f64_e32 v2, v[0:1]
	global_store_dword v[8:9], v2, off
.LBB221_2060:
	s_mov_b64 s[6:7], 0
.LBB221_2061:
	s_andn2_b64 vcc, exec, s[6:7]
	s_cbranch_vccnz .LBB221_2063
; %bb.2062:
	s_waitcnt vmcnt(0)
	v_cvt_i32_f64_e32 v2, v[0:1]
	global_store_short v[8:9], v2, off
.LBB221_2063:
	s_mov_b64 s[6:7], 0
.LBB221_2064:
	s_andn2_b64 vcc, exec, s[6:7]
	s_cbranch_vccnz .LBB221_2069
; %bb.2065:
	v_cmp_lt_i16_e32 vcc, 0, v10
	s_mov_b64 s[6:7], -1
	s_cbranch_vccz .LBB221_2067
; %bb.2066:
	s_waitcnt vmcnt(0)
	v_cvt_i32_f64_e32 v2, v[0:1]
	s_mov_b64 s[6:7], 0
	global_store_byte v[8:9], v2, off
.LBB221_2067:
	s_andn2_b64 vcc, exec, s[6:7]
	s_cbranch_vccnz .LBB221_2069
; %bb.2068:
	s_waitcnt vmcnt(0)
	v_trunc_f64_e32 v[0:1], v[0:1]
	s_movk_i32 s6, 0xffe0
	v_ldexp_f64 v[2:3], v[0:1], s6
	v_floor_f64_e32 v[2:3], v[2:3]
	v_fmac_f64_e32 v[0:1], 0xc1f00000, v[2:3]
	v_cvt_u32_f64_e32 v0, v[0:1]
	global_store_byte v[8:9], v0, off
.LBB221_2069:
	s_or_b64 exec, exec, s[4:5]
	s_and_b64 s[90:91], s[96:97], exec
                                        ; implicit-def: $vgpr76
                                        ; implicit-def: $vgpr72
                                        ; implicit-def: $vgpr41
                                        ; implicit-def: $vgpr77
.LBB221_2070:
	v_readlane_b32 s4, v78, 0
	v_readlane_b32 s5, v78, 1
	s_or_saveexec_b64 s[88:89], s[4:5]
	s_mov_b64 s[4:5], 0
                                        ; implicit-def: $vgpr6
                                        ; implicit-def: $vgpr4_vgpr5
                                        ; implicit-def: $vgpr0_vgpr1
	s_xor_b64 exec, exec, s[88:89]
	s_cbranch_execz .LBB221_4082
; %bb.2071:
	v_mul_lo_u32 v10, s45, v76
	s_waitcnt vmcnt(0)
	v_ashrrev_i32_e32 v0, 31, v10
	v_mov_b32_e32 v1, s39
	v_add_co_u32_e32 v2, vcc, s38, v10
	v_addc_co_u32_e32 v3, vcc, v1, v0, vcc
	v_mov_b32_e32 v0, 11
	v_cmp_lt_i16_sdwa s[4:5], v72, v0 src0_sel:BYTE_0 src1_sel:DWORD
	s_and_b64 vcc, exec, s[4:5]
	s_cbranch_vccnz .LBB221_2078
; %bb.2072:
	v_mov_b32_e32 v0, 25
	v_cmp_gt_i16_sdwa s[4:5], v72, v0 src0_sel:BYTE_0 src1_sel:DWORD
	s_mov_b64 s[6:7], 0
	s_and_b64 vcc, exec, s[4:5]
	s_cbranch_vccz .LBB221_2080
; %bb.2073:
	v_mov_b32_e32 v0, 28
	v_cmp_gt_i16_sdwa s[4:5], v72, v0 src0_sel:BYTE_0 src1_sel:DWORD
	s_and_b64 vcc, exec, s[4:5]
	s_cbranch_vccz .LBB221_2081
; %bb.2074:
	v_mov_b32_e32 v0, 43
	v_cmp_gt_i16_sdwa s[4:5], v72, v0 src0_sel:BYTE_0 src1_sel:DWORD
	;; [unrolled: 5-line block ×3, first 2 shown]
	s_and_b64 vcc, exec, s[4:5]
	s_cbranch_vccz .LBB221_2083
; %bb.2076:
	v_mov_b32_e32 v0, 46
	v_cmp_eq_u16_sdwa s[4:5], v72, v0 src0_sel:BYTE_0 src1_sel:DWORD
	s_mov_b64 s[10:11], 0
	s_and_b64 vcc, exec, s[4:5]
	s_cbranch_vccz .LBB221_2086
; %bb.2077:
	global_load_dword v0, v[2:3], off
	s_mov_b64 s[4:5], 0
	s_mov_b64 s[8:9], -1
	s_waitcnt vmcnt(0)
	v_lshlrev_b32_e32 v0, 16, v0
	v_cvt_f64_f32_e32 v[0:1], v0
	s_branch .LBB221_2087
.LBB221_2078:
	s_mov_b64 s[8:9], 0
                                        ; implicit-def: $vgpr0_vgpr1
	s_mov_b64 s[92:93], s[90:91]
	s_cbranch_execnz .LBB221_2150
.LBB221_2079:
	s_andn2_b64 vcc, exec, s[8:9]
                                        ; implicit-def: $vgpr2_vgpr3
	s_cbranch_vccz .LBB221_2195
	s_branch .LBB221_4080
.LBB221_2080:
	s_mov_b64 s[8:9], 0
	s_mov_b64 s[4:5], 0
                                        ; implicit-def: $vgpr0_vgpr1
	s_cbranch_execnz .LBB221_2115
	s_branch .LBB221_2146
.LBB221_2081:
	s_mov_b64 s[10:11], -1
	s_mov_b64 s[8:9], 0
	s_mov_b64 s[4:5], 0
                                        ; implicit-def: $vgpr0_vgpr1
	s_branch .LBB221_2096
.LBB221_2082:
	s_mov_b64 s[8:9], 0
	s_mov_b64 s[4:5], 0
                                        ; implicit-def: $vgpr0_vgpr1
	s_cbranch_execnz .LBB221_2092
	s_branch .LBB221_2095
.LBB221_2083:
	s_mov_b64 s[10:11], -1
	s_mov_b64 s[8:9], 0
	s_mov_b64 s[4:5], 0
                                        ; implicit-def: $vgpr0_vgpr1
	s_branch .LBB221_2087
.LBB221_2084:
	s_or_saveexec_b64 s[10:11], s[10:11]
                                        ; implicit-def: $sgpr12
	s_xor_b64 exec, exec, s[10:11]
	s_cbranch_execz .LBB221_1979
.LBB221_2085:
	s_mov_b32 s12, 0x46000000
	v_add_f32_e64 v3, |v2|, s12
	v_and_b32_e32 v3, 0xff, v3
	v_cmp_ne_u32_e32 vcc, 0, v3
	s_andn2_b64 s[8:9], s[8:9], exec
	s_and_b64 s[14:15], vcc, exec
	s_mov_b32 s12, 0
	s_or_b64 s[8:9], s[8:9], s[14:15]
	s_or_b64 exec, exec, s[10:11]
	v_mov_b32_e32 v4, s12
	s_and_saveexec_b64 s[10:11], s[8:9]
	s_cbranch_execnz .LBB221_1980
	s_branch .LBB221_1981
.LBB221_2086:
	s_mov_b64 s[4:5], -1
                                        ; implicit-def: $vgpr0_vgpr1
	s_mov_b64 s[8:9], 0
.LBB221_2087:
	s_and_b64 vcc, exec, s[10:11]
	s_cbranch_vccz .LBB221_2090
; %bb.2088:
	v_mov_b32_e32 v0, 44
	v_cmp_eq_u16_sdwa s[4:5], v72, v0 src0_sel:BYTE_0 src1_sel:DWORD
	s_and_b64 vcc, exec, s[4:5]
	s_cbranch_vccz .LBB221_2091
; %bb.2089:
	global_load_ubyte v4, v[2:3], off
	s_movk_i32 s8, 0xff
	v_bfrev_b32_e32 v5, 4
	v_mov_b32_e32 v6, 0x7ff80000
	v_bfrev_b32_e32 v7, 28
	s_mov_b64 s[4:5], 0
	s_waitcnt vmcnt(0)
	v_lshlrev_b32_e32 v0, 23, v4
	v_cvt_f64_f32_e32 v[0:1], v0
	v_cmp_ne_u32_e32 vcc, s8, v4
	v_cndmask_b32_e32 v0, v5, v0, vcc
	v_cndmask_b32_e32 v1, v6, v1, vcc
	v_cmp_ne_u32_e32 vcc, 0, v4
	v_cndmask_b32_e32 v1, v7, v1, vcc
	v_cndmask_b32_e32 v0, 0, v0, vcc
	s_mov_b64 s[8:9], -1
.LBB221_2090:
	s_branch .LBB221_2095
.LBB221_2091:
	s_mov_b64 s[4:5], -1
                                        ; implicit-def: $vgpr0_vgpr1
	s_branch .LBB221_2095
.LBB221_2092:
	v_mov_b32_e32 v0, 29
	v_cmp_eq_u16_sdwa s[4:5], v72, v0 src0_sel:BYTE_0 src1_sel:DWORD
	s_and_b64 vcc, exec, s[4:5]
	s_cbranch_vccz .LBB221_2094
; %bb.2093:
	global_load_dwordx2 v[0:1], v[2:3], off
	s_mov_b64 s[4:5], 0
	s_mov_b64 s[8:9], -1
	s_mov_b64 s[10:11], 0
	s_waitcnt vmcnt(0)
	v_cvt_f64_u32_e32 v[4:5], v1
	v_cvt_f64_u32_e32 v[0:1], v0
	v_ldexp_f64 v[4:5], v[4:5], 32
	v_add_f64 v[0:1], v[4:5], v[0:1]
	s_branch .LBB221_2096
.LBB221_2094:
	s_mov_b64 s[4:5], -1
                                        ; implicit-def: $vgpr0_vgpr1
.LBB221_2095:
	s_mov_b64 s[10:11], 0
.LBB221_2096:
	s_and_b64 vcc, exec, s[10:11]
	s_cbranch_vccz .LBB221_2114
; %bb.2097:
	v_mov_b32_e32 v0, 27
	v_cmp_lt_i16_sdwa s[8:9], v72, v0 src0_sel:BYTE_0 src1_sel:DWORD
	s_and_b64 vcc, exec, s[8:9]
	s_cbranch_vccnz .LBB221_2100
; %bb.2098:
	v_cmp_gt_i16_sdwa s[8:9], v72, v0 src0_sel:BYTE_0 src1_sel:DWORD
	s_and_b64 vcc, exec, s[8:9]
	s_cbranch_vccz .LBB221_2101
; %bb.2099:
	global_load_dword v0, v[2:3], off
	s_mov_b64 s[8:9], 0
	s_waitcnt vmcnt(0)
	v_cvt_f64_u32_e32 v[0:1], v0
	s_branch .LBB221_2102
.LBB221_2100:
	s_mov_b64 s[8:9], -1
                                        ; implicit-def: $vgpr0_vgpr1
	s_branch .LBB221_2105
.LBB221_2101:
	s_mov_b64 s[8:9], -1
                                        ; implicit-def: $vgpr0_vgpr1
.LBB221_2102:
	s_andn2_b64 vcc, exec, s[8:9]
	s_cbranch_vccnz .LBB221_2104
; %bb.2103:
	global_load_ushort v0, v[2:3], off
	s_waitcnt vmcnt(0)
	v_cvt_f64_u32_e32 v[0:1], v0
.LBB221_2104:
	s_mov_b64 s[8:9], 0
.LBB221_2105:
	s_andn2_b64 vcc, exec, s[8:9]
	s_cbranch_vccnz .LBB221_2113
; %bb.2106:
	global_load_ubyte v4, v[2:3], off
	s_movk_i32 s8, 0x7f
                                        ; implicit-def: $sgpr10_sgpr11
	s_waitcnt vmcnt(0)
	v_cmp_lt_i16_e32 vcc, s8, v4
	s_mov_b64 s[8:9], 0
	s_and_saveexec_b64 s[12:13], vcc
	s_xor_b64 s[12:13], exec, s[12:13]
	s_cbranch_execz .LBB221_2126
; %bb.2107:
	s_movk_i32 s8, 0x80
	v_cmp_eq_u16_e32 vcc, s8, v4
	s_mov_b64 s[14:15], -1
                                        ; implicit-def: $sgpr10_sgpr11
	s_and_saveexec_b64 s[8:9], vcc
; %bb.2108:
	s_mov_b32 s11, 0x7ff80000
	s_brev_b32 s10, 4
	s_xor_b64 s[14:15], exec, -1
; %bb.2109:
	s_or_b64 exec, exec, s[8:9]
	s_and_b64 s[8:9], s[14:15], exec
	s_or_saveexec_b64 s[12:13], s[12:13]
	v_pk_mov_b32 v[0:1], s[10:11], s[10:11] op_sel:[0,1]
	s_xor_b64 exec, exec, s[12:13]
	s_cbranch_execnz .LBB221_2127
.LBB221_2110:
	s_or_b64 exec, exec, s[12:13]
	s_and_saveexec_b64 s[10:11], s[8:9]
	s_cbranch_execz .LBB221_2112
.LBB221_2111:
	v_and_b32_e32 v1, 0xffff, v4
	v_lshlrev_b32_e32 v0, 24, v4
	v_and_b32_e32 v4, 7, v1
	v_ffbh_u32_e32 v6, v4
	v_min_u32_e32 v6, 32, v6
	v_subrev_u32_e32 v7, 28, v6
	v_bfe_u32 v5, v1, 3, 4
	v_lshlrev_b32_e32 v1, v7, v1
	v_sub_u32_e32 v6, 29, v6
	v_and_b32_e32 v1, 7, v1
	v_cmp_eq_u32_e32 vcc, 0, v5
	v_cndmask_b32_e32 v5, v5, v6, vcc
	v_cndmask_b32_e32 v1, v4, v1, vcc
	v_mov_b32_e32 v4, 0x3b800000
	v_lshlrev_b32_e32 v1, 20, v1
	v_and_b32_e32 v0, 0x80000000, v0
	v_lshl_add_u32 v4, v5, 23, v4
	v_or3_b32 v0, v0, v4, v1
	v_cvt_f64_f32_e32 v[0:1], v0
.LBB221_2112:
	s_or_b64 exec, exec, s[10:11]
.LBB221_2113:
	s_mov_b64 s[8:9], -1
.LBB221_2114:
	s_branch .LBB221_2146
.LBB221_2115:
	v_mov_b32_e32 v0, 22
	v_cmp_gt_i16_sdwa s[6:7], v72, v0 src0_sel:BYTE_0 src1_sel:DWORD
	s_and_b64 vcc, exec, s[6:7]
	s_cbranch_vccz .LBB221_2125
; %bb.2116:
	v_mov_b32_e32 v0, 24
	v_cmp_lt_i16_sdwa s[6:7], v72, v0 src0_sel:BYTE_0 src1_sel:DWORD
	s_and_b64 vcc, exec, s[6:7]
	s_cbranch_vccnz .LBB221_2128
; %bb.2117:
	v_cmp_gt_i16_sdwa s[6:7], v72, v0 src0_sel:BYTE_0 src1_sel:DWORD
	s_and_b64 vcc, exec, s[6:7]
	s_cbranch_vccz .LBB221_2129
; %bb.2118:
	global_load_ubyte v4, v[2:3], off
	s_movk_i32 s6, 0x7f
                                        ; implicit-def: $sgpr8_sgpr9
	s_waitcnt vmcnt(0)
	v_cmp_lt_i16_e32 vcc, s6, v4
	s_mov_b64 s[6:7], 0
	s_and_saveexec_b64 s[10:11], vcc
	s_xor_b64 s[10:11], exec, s[10:11]
	s_cbranch_execz .LBB221_2140
; %bb.2119:
	s_movk_i32 s6, 0x80
	v_cmp_eq_u16_e32 vcc, s6, v4
	s_mov_b64 s[12:13], -1
                                        ; implicit-def: $sgpr8_sgpr9
	s_and_saveexec_b64 s[6:7], vcc
; %bb.2120:
	s_mov_b32 s9, 0x7ff80000
	s_brev_b32 s8, 4
	s_xor_b64 s[12:13], exec, -1
; %bb.2121:
	s_or_b64 exec, exec, s[6:7]
	s_and_b64 s[6:7], s[12:13], exec
	s_or_saveexec_b64 s[10:11], s[10:11]
	v_pk_mov_b32 v[0:1], s[8:9], s[8:9] op_sel:[0,1]
	s_xor_b64 exec, exec, s[10:11]
	s_cbranch_execnz .LBB221_2141
.LBB221_2122:
	s_or_b64 exec, exec, s[10:11]
	s_and_saveexec_b64 s[8:9], s[6:7]
	s_cbranch_execz .LBB221_2124
.LBB221_2123:
	v_and_b32_e32 v1, 0xffff, v4
	v_lshlrev_b32_e32 v0, 24, v4
	v_and_b32_e32 v4, 3, v1
	v_ffbh_u32_e32 v6, v4
	v_min_u32_e32 v6, 32, v6
	v_subrev_u32_e32 v7, 29, v6
	v_bfe_u32 v5, v1, 2, 5
	v_lshlrev_b32_e32 v1, v7, v1
	v_sub_u32_e32 v6, 30, v6
	v_and_b32_e32 v1, 3, v1
	v_cmp_eq_u32_e32 vcc, 0, v5
	v_cndmask_b32_e32 v5, v5, v6, vcc
	v_cndmask_b32_e32 v1, v4, v1, vcc
	v_mov_b32_e32 v4, 0x37800000
	v_lshlrev_b32_e32 v1, 21, v1
	v_and_b32_e32 v0, 0x80000000, v0
	v_lshl_add_u32 v4, v5, 23, v4
	v_or3_b32 v0, v0, v4, v1
	v_cvt_f64_f32_e32 v[0:1], v0
.LBB221_2124:
	s_or_b64 exec, exec, s[8:9]
	s_mov_b64 s[6:7], 0
	s_branch .LBB221_2130
.LBB221_2125:
                                        ; implicit-def: $vgpr0_vgpr1
	s_mov_b64 s[6:7], 0
	s_branch .LBB221_2136
.LBB221_2126:
	s_or_saveexec_b64 s[12:13], s[12:13]
	v_pk_mov_b32 v[0:1], s[10:11], s[10:11] op_sel:[0,1]
	s_xor_b64 exec, exec, s[12:13]
	s_cbranch_execz .LBB221_2110
.LBB221_2127:
	v_cmp_ne_u16_e32 vcc, 0, v4
	s_andn2_b64 s[8:9], s[8:9], exec
	s_and_b64 s[10:11], vcc, exec
	v_pk_mov_b32 v[0:1], 0, 0
	s_or_b64 s[8:9], s[8:9], s[10:11]
	s_or_b64 exec, exec, s[12:13]
	s_and_saveexec_b64 s[10:11], s[8:9]
	s_cbranch_execnz .LBB221_2111
	s_branch .LBB221_2112
.LBB221_2128:
	s_mov_b64 s[6:7], -1
                                        ; implicit-def: $vgpr0_vgpr1
	s_branch .LBB221_2133
.LBB221_2129:
	s_mov_b64 s[6:7], -1
                                        ; implicit-def: $vgpr0_vgpr1
.LBB221_2130:
	s_and_b64 vcc, exec, s[6:7]
	s_cbranch_vccz .LBB221_2132
; %bb.2131:
	global_load_ubyte v0, v[2:3], off
	s_mov_b32 s6, 0x7f800000
	s_waitcnt vmcnt(0)
	v_lshlrev_b32_e32 v0, 24, v0
	v_and_b32_e32 v1, 0x7f000000, v0
	v_ffbh_u32_e32 v4, v1
	v_min_u32_e32 v4, 32, v4
	v_sub_u32_e64 v4, v4, 4 clamp
	v_lshlrev_b32_e32 v6, v4, v1
	v_lshlrev_b32_e32 v4, 23, v4
	v_lshrrev_b32_e32 v6, 4, v6
	v_add_u32_e32 v5, 0x1000000, v1
	v_sub_u32_e32 v4, v6, v4
	v_ashrrev_i32_e32 v5, 8, v5
	v_add_u32_e32 v4, 0x3c000000, v4
	v_and_or_b32 v4, v5, s6, v4
	v_cmp_ne_u32_e32 vcc, 0, v1
	v_cndmask_b32_e32 v1, 0, v4, vcc
	s_brev_b32 s6, 1
	v_and_or_b32 v0, v0, s6, v1
	v_cvt_f64_f32_e32 v[0:1], v0
.LBB221_2132:
	s_mov_b64 s[6:7], 0
.LBB221_2133:
	s_andn2_b64 vcc, exec, s[6:7]
	s_cbranch_vccnz .LBB221_2135
; %bb.2134:
	global_load_ubyte v0, v[2:3], off
	s_movk_i32 s6, 0x7f00
	s_brev_b32 s7, 16
	s_waitcnt vmcnt(0)
	v_lshlrev_b16_e32 v1, 8, v0
	v_lshlrev_b32_e32 v0, 25, v0
	v_lshrrev_b32_e32 v4, 4, v0
	v_and_or_b32 v5, v1, s6, 0.5
	v_or_b32_e32 v4, 0x70000000, v4
	v_add_f32_e32 v5, -0.5, v5
	v_mul_f32_e32 v4, 0x7800000, v4
	v_cmp_gt_u32_e32 vcc, s7, v0
	v_bfe_i32 v1, v1, 0, 16
	v_cndmask_b32_e32 v0, v4, v5, vcc
	s_brev_b32 s6, 1
	v_and_or_b32 v0, v1, s6, v0
	v_cvt_f64_f32_e32 v[0:1], v0
.LBB221_2135:
	s_mov_b64 s[8:9], -1
	s_mov_b64 s[6:7], 0
	s_cbranch_execnz .LBB221_2146
.LBB221_2136:
	v_mov_b32_e32 v0, 14
	v_cmp_gt_i16_sdwa s[6:7], v72, v0 src0_sel:BYTE_0 src1_sel:DWORD
	s_and_b64 vcc, exec, s[6:7]
	s_cbranch_vccz .LBB221_2139
; %bb.2137:
	v_mov_b32_e32 v0, 15
	v_cmp_eq_u16_sdwa s[4:5], v72, v0 src0_sel:BYTE_0 src1_sel:DWORD
	s_and_b64 vcc, exec, s[4:5]
	s_cbranch_vccz .LBB221_2142
; %bb.2138:
	global_load_ushort v0, v[2:3], off
	s_mov_b64 s[4:5], 0
	s_mov_b64 s[8:9], -1
	s_waitcnt vmcnt(0)
	v_lshlrev_b32_e32 v0, 16, v0
	v_cvt_f64_f32_e32 v[0:1], v0
	s_branch .LBB221_2143
.LBB221_2139:
	s_mov_b64 s[10:11], -1
                                        ; implicit-def: $vgpr0_vgpr1
	s_branch .LBB221_2144
.LBB221_2140:
	s_or_saveexec_b64 s[10:11], s[10:11]
	v_pk_mov_b32 v[0:1], s[8:9], s[8:9] op_sel:[0,1]
	s_xor_b64 exec, exec, s[10:11]
	s_cbranch_execz .LBB221_2122
.LBB221_2141:
	v_cmp_ne_u16_e32 vcc, 0, v4
	s_andn2_b64 s[6:7], s[6:7], exec
	s_and_b64 s[8:9], vcc, exec
	v_pk_mov_b32 v[0:1], 0, 0
	s_or_b64 s[6:7], s[6:7], s[8:9]
	s_or_b64 exec, exec, s[10:11]
	s_and_saveexec_b64 s[8:9], s[6:7]
	s_cbranch_execnz .LBB221_2123
	s_branch .LBB221_2124
.LBB221_2142:
	s_mov_b64 s[4:5], -1
                                        ; implicit-def: $vgpr0_vgpr1
.LBB221_2143:
	s_mov_b64 s[10:11], 0
.LBB221_2144:
	s_mov_b64 s[6:7], 0
	s_and_b64 vcc, exec, s[10:11]
	s_cbranch_vccz .LBB221_2146
; %bb.2145:
	v_mov_b32_e32 v0, 11
	v_cmp_ne_u16_sdwa s[4:5], v72, v0 src0_sel:BYTE_0 src1_sel:DWORD
	s_mov_b64 s[6:7], -1
                                        ; implicit-def: $vgpr0_vgpr1
.LBB221_2146:
	s_and_b64 vcc, exec, s[4:5]
	s_mov_b64 s[92:93], s[90:91]
	s_cbranch_vccnz .LBB221_2207
; %bb.2147:
	s_andn2_b64 vcc, exec, s[6:7]
	s_cbranch_vccnz .LBB221_2149
.LBB221_2148:
	global_load_ubyte v1, v[2:3], off
	v_mov_b32_e32 v4, 0x3ff00000
	v_mov_b32_e32 v0, 0
	s_mov_b64 s[8:9], -1
	s_waitcnt vmcnt(0)
	v_cmp_ne_u16_e32 vcc, 0, v1
	v_cndmask_b32_e32 v1, 0, v4, vcc
.LBB221_2149:
	s_branch .LBB221_2079
.LBB221_2150:
	v_mov_b32_e32 v0, 5
	v_cmp_lt_i16_sdwa s[4:5], v72, v0 src0_sel:BYTE_0 src1_sel:DWORD
	s_and_b64 vcc, exec, s[4:5]
	s_cbranch_vccnz .LBB221_2155
; %bb.2151:
	v_mov_b32_e32 v0, 8
	v_cmp_lt_i16_sdwa s[4:5], v72, v0 src0_sel:BYTE_0 src1_sel:DWORD
	s_and_b64 vcc, exec, s[4:5]
	s_cbranch_vccnz .LBB221_2156
; %bb.2152:
	;; [unrolled: 5-line block ×3, first 2 shown]
	v_cmp_gt_i16_sdwa s[4:5], v72, v0 src0_sel:BYTE_0 src1_sel:DWORD
	s_and_b64 vcc, exec, s[4:5]
	s_cbranch_vccz .LBB221_2158
; %bb.2154:
	global_load_dwordx2 v[0:1], v[2:3], off
	s_mov_b64 s[4:5], 0
	s_branch .LBB221_2159
.LBB221_2155:
                                        ; implicit-def: $vgpr0_vgpr1
	s_branch .LBB221_2176
.LBB221_2156:
                                        ; implicit-def: $vgpr0_vgpr1
	s_branch .LBB221_2165
.LBB221_2157:
	s_mov_b64 s[4:5], -1
                                        ; implicit-def: $vgpr0_vgpr1
	s_branch .LBB221_2162
.LBB221_2158:
	s_mov_b64 s[4:5], -1
                                        ; implicit-def: $vgpr0_vgpr1
.LBB221_2159:
	s_andn2_b64 vcc, exec, s[4:5]
	s_cbranch_vccnz .LBB221_2161
; %bb.2160:
	global_load_dword v0, v[2:3], off
	s_waitcnt vmcnt(0)
	v_cvt_f64_f32_e32 v[0:1], v0
.LBB221_2161:
	s_mov_b64 s[4:5], 0
.LBB221_2162:
	s_andn2_b64 vcc, exec, s[4:5]
	s_cbranch_vccnz .LBB221_2164
; %bb.2163:
	global_load_dword v0, v[2:3], off
	s_waitcnt vmcnt(0)
	v_cvt_f32_f16_e32 v0, v0
	v_cvt_f64_f32_e32 v[0:1], v0
.LBB221_2164:
	s_cbranch_execnz .LBB221_2175
.LBB221_2165:
	s_waitcnt vmcnt(0)
	v_mov_b32_e32 v0, 6
	v_cmp_lt_i16_sdwa s[4:5], v72, v0 src0_sel:BYTE_0 src1_sel:DWORD
	s_and_b64 vcc, exec, s[4:5]
	s_cbranch_vccnz .LBB221_2168
; %bb.2166:
	v_cmp_gt_i16_sdwa s[4:5], v72, v0 src0_sel:BYTE_0 src1_sel:DWORD
	s_and_b64 vcc, exec, s[4:5]
	s_cbranch_vccz .LBB221_2169
; %bb.2167:
	global_load_dwordx2 v[0:1], v[2:3], off
	s_mov_b64 s[4:5], 0
	s_branch .LBB221_2170
.LBB221_2168:
	s_mov_b64 s[4:5], -1
                                        ; implicit-def: $vgpr0_vgpr1
	s_branch .LBB221_2173
.LBB221_2169:
	s_mov_b64 s[4:5], -1
                                        ; implicit-def: $vgpr0_vgpr1
.LBB221_2170:
	s_andn2_b64 vcc, exec, s[4:5]
	s_cbranch_vccnz .LBB221_2172
; %bb.2171:
	global_load_dword v0, v[2:3], off
	s_waitcnt vmcnt(0)
	v_cvt_f64_f32_e32 v[0:1], v0
.LBB221_2172:
	s_mov_b64 s[4:5], 0
.LBB221_2173:
	s_andn2_b64 vcc, exec, s[4:5]
	s_cbranch_vccnz .LBB221_2175
; %bb.2174:
	global_load_ushort v0, v[2:3], off
	s_waitcnt vmcnt(0)
	v_cvt_f32_f16_e32 v0, v0
	v_cvt_f64_f32_e32 v[0:1], v0
.LBB221_2175:
	s_cbranch_execnz .LBB221_2194
.LBB221_2176:
	s_waitcnt vmcnt(0)
	v_mov_b32_e32 v0, 2
	v_cmp_lt_i16_sdwa s[4:5], v72, v0 src0_sel:BYTE_0 src1_sel:DWORD
	s_and_b64 vcc, exec, s[4:5]
	s_cbranch_vccnz .LBB221_2180
; %bb.2177:
	v_mov_b32_e32 v0, 3
	v_cmp_lt_i16_sdwa s[4:5], v72, v0 src0_sel:BYTE_0 src1_sel:DWORD
	s_and_b64 vcc, exec, s[4:5]
	s_cbranch_vccnz .LBB221_2181
; %bb.2178:
	v_cmp_gt_i16_sdwa s[4:5], v72, v0 src0_sel:BYTE_0 src1_sel:DWORD
	s_and_b64 vcc, exec, s[4:5]
	s_cbranch_vccz .LBB221_2182
; %bb.2179:
	global_load_dwordx2 v[0:1], v[2:3], off
	s_mov_b64 s[4:5], 0
	s_waitcnt vmcnt(0)
	v_cvt_f64_i32_e32 v[4:5], v1
	v_cvt_f64_u32_e32 v[0:1], v0
	v_ldexp_f64 v[4:5], v[4:5], 32
	v_add_f64 v[0:1], v[4:5], v[0:1]
	s_branch .LBB221_2183
.LBB221_2180:
                                        ; implicit-def: $vgpr0_vgpr1
	s_branch .LBB221_2189
.LBB221_2181:
	s_mov_b64 s[4:5], -1
                                        ; implicit-def: $vgpr0_vgpr1
	s_branch .LBB221_2186
.LBB221_2182:
	s_mov_b64 s[4:5], -1
                                        ; implicit-def: $vgpr0_vgpr1
.LBB221_2183:
	s_andn2_b64 vcc, exec, s[4:5]
	s_cbranch_vccnz .LBB221_2185
; %bb.2184:
	global_load_dword v0, v[2:3], off
	s_waitcnt vmcnt(0)
	v_cvt_f64_i32_e32 v[0:1], v0
.LBB221_2185:
	s_mov_b64 s[4:5], 0
.LBB221_2186:
	s_andn2_b64 vcc, exec, s[4:5]
	s_cbranch_vccnz .LBB221_2188
; %bb.2187:
	global_load_sshort v0, v[2:3], off
	s_waitcnt vmcnt(0)
	v_cvt_f64_i32_e32 v[0:1], v0
.LBB221_2188:
	s_cbranch_execnz .LBB221_2194
.LBB221_2189:
	v_mov_b32_e32 v0, 0
	v_cmp_gt_i16_sdwa s[4:5], v72, v0 src0_sel:BYTE_0 src1_sel:DWORD
	s_and_b64 vcc, exec, s[4:5]
	s_cbranch_vccz .LBB221_2191
; %bb.2190:
	global_load_sbyte v0, v[2:3], off
	s_mov_b64 s[4:5], 0
	s_waitcnt vmcnt(0)
	v_cvt_f64_i32_e32 v[0:1], v0
	s_branch .LBB221_2192
.LBB221_2191:
	s_mov_b64 s[4:5], -1
                                        ; implicit-def: $vgpr0_vgpr1
.LBB221_2192:
	s_andn2_b64 vcc, exec, s[4:5]
	s_cbranch_vccnz .LBB221_2194
; %bb.2193:
	global_load_ubyte v0, v[2:3], off
	s_waitcnt vmcnt(0)
	v_cvt_f64_u32_e32 v[0:1], v0
.LBB221_2194:
                                        ; implicit-def: $vgpr2_vgpr3
.LBB221_2195:
	v_mul_lo_u32 v9, s46, v76
	v_ashrrev_i32_e32 v2, 31, v9
	v_mov_b32_e32 v3, s41
	v_add_co_u32_e32 v4, vcc, s40, v9
	s_movk_i32 s4, 0xff
	v_addc_co_u32_e32 v5, vcc, v3, v2, vcc
	v_and_b32_sdwa v6, v41, s4 dst_sel:DWORD dst_unused:UNUSED_PAD src0_sel:WORD_1 src1_sel:DWORD
	v_cmp_gt_i16_e32 vcc, 11, v6
	s_cbranch_vccnz .LBB221_2202
; %bb.2196:
	v_cmp_lt_i16_e32 vcc, 25, v6
	s_mov_b64 s[6:7], 0
	s_cbranch_vccz .LBB221_2204
; %bb.2197:
	v_cmp_lt_i16_e32 vcc, 28, v6
	s_cbranch_vccz .LBB221_2205
; %bb.2198:
	v_cmp_lt_i16_e32 vcc, 43, v6
	;; [unrolled: 3-line block ×3, first 2 shown]
	s_cbranch_vccz .LBB221_2208
; %bb.2200:
	v_cmp_eq_u16_e32 vcc, 46, v6
	s_mov_b64 s[10:11], 0
	s_cbranch_vccz .LBB221_2211
; %bb.2201:
	global_load_dword v2, v[4:5], off
	s_mov_b64 s[4:5], 0
	s_mov_b64 s[8:9], -1
	s_waitcnt vmcnt(0)
	v_lshlrev_b32_e32 v2, 16, v2
	v_cvt_f64_f32_e32 v[2:3], v2
	s_branch .LBB221_2212
.LBB221_2202:
	s_mov_b64 s[8:9], 0
                                        ; implicit-def: $vgpr2_vgpr3
	s_cbranch_execnz .LBB221_2277
.LBB221_2203:
	s_andn2_b64 vcc, exec, s[8:9]
	s_cbranch_vccnz .LBB221_4080
	s_branch .LBB221_2324
.LBB221_2204:
	s_mov_b64 s[8:9], 0
	s_mov_b64 s[4:5], 0
                                        ; implicit-def: $vgpr2_vgpr3
	s_cbranch_execnz .LBB221_2241
	s_branch .LBB221_2273
.LBB221_2205:
	s_mov_b64 s[10:11], -1
	s_mov_b64 s[8:9], 0
	s_mov_b64 s[4:5], 0
                                        ; implicit-def: $vgpr2_vgpr3
	s_branch .LBB221_2222
.LBB221_2206:
	s_mov_b64 s[10:11], -1
	s_mov_b64 s[8:9], 0
	s_mov_b64 s[4:5], 0
                                        ; implicit-def: $vgpr2_vgpr3
	s_branch .LBB221_2217
.LBB221_2207:
	s_or_b64 s[92:93], s[90:91], exec
	s_trap 2
                                        ; implicit-def: $vgpr0_vgpr1
	s_cbranch_execz .LBB221_2148
	s_branch .LBB221_2149
.LBB221_2208:
	s_mov_b64 s[10:11], -1
	s_mov_b64 s[8:9], 0
	s_mov_b64 s[4:5], 0
                                        ; implicit-def: $vgpr2_vgpr3
	s_branch .LBB221_2212
.LBB221_2209:
	s_or_saveexec_b64 s[12:13], s[12:13]
                                        ; implicit-def: $sgpr14
	s_xor_b64 exec, exec, s[12:13]
	s_cbranch_execz .LBB221_1991
.LBB221_2210:
	s_mov_b32 s14, 0x42800000
	v_add_f32_e64 v3, |v2|, s14
	v_and_b32_e32 v3, 0xff, v3
	v_cmp_ne_u32_e32 vcc, 0, v3
	s_andn2_b64 s[10:11], s[10:11], exec
	s_and_b64 s[16:17], vcc, exec
	s_mov_b32 s14, 0
	s_or_b64 s[10:11], s[10:11], s[16:17]
	s_or_b64 exec, exec, s[12:13]
	v_mov_b32_e32 v4, s14
	s_and_saveexec_b64 s[12:13], s[10:11]
	s_cbranch_execnz .LBB221_1992
	s_branch .LBB221_1993
.LBB221_2211:
	s_mov_b64 s[4:5], -1
                                        ; implicit-def: $vgpr2_vgpr3
	s_mov_b64 s[8:9], 0
.LBB221_2212:
	s_and_b64 vcc, exec, s[10:11]
	s_cbranch_vccz .LBB221_2216
; %bb.2213:
	v_cmp_eq_u16_e32 vcc, 44, v6
	s_cbranch_vccz .LBB221_2215
; %bb.2214:
	global_load_ubyte v7, v[4:5], off
	s_movk_i32 s8, 0xff
	v_bfrev_b32_e32 v8, 4
	v_mov_b32_e32 v11, 0x7ff80000
	v_bfrev_b32_e32 v12, 28
	s_mov_b64 s[4:5], 0
	s_waitcnt vmcnt(0)
	v_lshlrev_b32_e32 v2, 23, v7
	v_cvt_f64_f32_e32 v[2:3], v2
	v_cmp_ne_u32_e32 vcc, s8, v7
	v_cndmask_b32_e32 v2, v8, v2, vcc
	v_cndmask_b32_e32 v3, v11, v3, vcc
	v_cmp_ne_u32_e32 vcc, 0, v7
	v_cndmask_b32_e32 v3, v12, v3, vcc
	v_cndmask_b32_e32 v2, 0, v2, vcc
	s_mov_b64 s[8:9], -1
	s_branch .LBB221_2216
.LBB221_2215:
	s_mov_b64 s[4:5], -1
                                        ; implicit-def: $vgpr2_vgpr3
.LBB221_2216:
	s_mov_b64 s[10:11], 0
.LBB221_2217:
	s_and_b64 vcc, exec, s[10:11]
	s_cbranch_vccz .LBB221_2221
; %bb.2218:
	v_cmp_eq_u16_e32 vcc, 29, v6
	s_cbranch_vccz .LBB221_2220
; %bb.2219:
	global_load_dwordx2 v[2:3], v[4:5], off
	s_mov_b64 s[4:5], 0
	s_mov_b64 s[8:9], -1
	s_mov_b64 s[10:11], 0
	s_waitcnt vmcnt(0)
	v_cvt_f64_u32_e32 v[12:13], v3
	v_cvt_f64_u32_e32 v[2:3], v2
	v_ldexp_f64 v[12:13], v[12:13], 32
	v_add_f64 v[2:3], v[12:13], v[2:3]
	s_branch .LBB221_2222
.LBB221_2220:
	s_mov_b64 s[4:5], -1
                                        ; implicit-def: $vgpr2_vgpr3
.LBB221_2221:
	s_mov_b64 s[10:11], 0
.LBB221_2222:
	s_and_b64 vcc, exec, s[10:11]
	s_cbranch_vccz .LBB221_2240
; %bb.2223:
	v_cmp_gt_i16_e32 vcc, 27, v6
	s_cbranch_vccnz .LBB221_2226
; %bb.2224:
	v_cmp_lt_i16_e32 vcc, 27, v6
	s_cbranch_vccz .LBB221_2227
; %bb.2225:
	global_load_dword v2, v[4:5], off
	s_mov_b64 s[8:9], 0
	s_waitcnt vmcnt(0)
	v_cvt_f64_u32_e32 v[2:3], v2
	s_branch .LBB221_2228
.LBB221_2226:
	s_mov_b64 s[8:9], -1
                                        ; implicit-def: $vgpr2_vgpr3
	s_branch .LBB221_2231
.LBB221_2227:
	s_mov_b64 s[8:9], -1
                                        ; implicit-def: $vgpr2_vgpr3
.LBB221_2228:
	s_andn2_b64 vcc, exec, s[8:9]
	s_cbranch_vccnz .LBB221_2230
; %bb.2229:
	global_load_ushort v2, v[4:5], off
	s_waitcnt vmcnt(0)
	v_cvt_f64_u32_e32 v[2:3], v2
.LBB221_2230:
	s_mov_b64 s[8:9], 0
.LBB221_2231:
	s_andn2_b64 vcc, exec, s[8:9]
	s_cbranch_vccnz .LBB221_2239
; %bb.2232:
	global_load_ubyte v7, v[4:5], off
	s_movk_i32 s8, 0x7f
                                        ; implicit-def: $sgpr10_sgpr11
	s_waitcnt vmcnt(0)
	v_cmp_lt_i16_e32 vcc, s8, v7
	s_mov_b64 s[8:9], 0
	s_and_saveexec_b64 s[12:13], vcc
	s_xor_b64 s[12:13], exec, s[12:13]
	s_cbranch_execz .LBB221_2252
; %bb.2233:
	s_movk_i32 s8, 0x80
	v_cmp_eq_u16_e32 vcc, s8, v7
	s_mov_b64 s[14:15], -1
                                        ; implicit-def: $sgpr10_sgpr11
	s_and_saveexec_b64 s[8:9], vcc
; %bb.2234:
	s_mov_b32 s11, 0x7ff80000
	s_brev_b32 s10, 4
	s_xor_b64 s[14:15], exec, -1
; %bb.2235:
	s_or_b64 exec, exec, s[8:9]
	s_and_b64 s[8:9], s[14:15], exec
	s_or_saveexec_b64 s[12:13], s[12:13]
	v_pk_mov_b32 v[2:3], s[10:11], s[10:11] op_sel:[0,1]
	s_xor_b64 exec, exec, s[12:13]
	s_cbranch_execnz .LBB221_2253
.LBB221_2236:
	s_or_b64 exec, exec, s[12:13]
	s_and_saveexec_b64 s[10:11], s[8:9]
	s_cbranch_execz .LBB221_2238
.LBB221_2237:
	v_and_b32_e32 v3, 0xffff, v7
	v_lshlrev_b32_e32 v2, 24, v7
	v_and_b32_e32 v7, 7, v3
	v_ffbh_u32_e32 v11, v7
	v_min_u32_e32 v11, 32, v11
	v_subrev_u32_e32 v12, 28, v11
	v_bfe_u32 v8, v3, 3, 4
	v_lshlrev_b32_e32 v3, v12, v3
	v_sub_u32_e32 v11, 29, v11
	v_and_b32_e32 v3, 7, v3
	v_cmp_eq_u32_e32 vcc, 0, v8
	v_cndmask_b32_e32 v8, v8, v11, vcc
	v_cndmask_b32_e32 v3, v7, v3, vcc
	v_mov_b32_e32 v7, 0x3b800000
	v_lshlrev_b32_e32 v3, 20, v3
	v_and_b32_e32 v2, 0x80000000, v2
	v_lshl_add_u32 v7, v8, 23, v7
	v_or3_b32 v2, v2, v7, v3
	v_cvt_f64_f32_e32 v[2:3], v2
.LBB221_2238:
	s_or_b64 exec, exec, s[10:11]
.LBB221_2239:
	s_mov_b64 s[8:9], -1
.LBB221_2240:
	s_branch .LBB221_2273
.LBB221_2241:
	v_cmp_lt_i16_e32 vcc, 22, v6
	s_cbranch_vccz .LBB221_2251
; %bb.2242:
	v_cmp_gt_i16_e32 vcc, 24, v6
	s_cbranch_vccnz .LBB221_2254
; %bb.2243:
	v_cmp_lt_i16_e32 vcc, 24, v6
	s_cbranch_vccz .LBB221_2255
; %bb.2244:
	global_load_ubyte v7, v[4:5], off
	s_movk_i32 s6, 0x7f
                                        ; implicit-def: $sgpr8_sgpr9
	s_waitcnt vmcnt(0)
	v_cmp_lt_i16_e32 vcc, s6, v7
	s_mov_b64 s[6:7], 0
	s_and_saveexec_b64 s[10:11], vcc
	s_xor_b64 s[10:11], exec, s[10:11]
	s_cbranch_execz .LBB221_2267
; %bb.2245:
	s_movk_i32 s6, 0x80
	v_cmp_eq_u16_e32 vcc, s6, v7
	s_mov_b64 s[12:13], -1
                                        ; implicit-def: $sgpr8_sgpr9
	s_and_saveexec_b64 s[6:7], vcc
; %bb.2246:
	s_mov_b32 s9, 0x7ff80000
	s_brev_b32 s8, 4
	s_xor_b64 s[12:13], exec, -1
; %bb.2247:
	s_or_b64 exec, exec, s[6:7]
	s_and_b64 s[6:7], s[12:13], exec
	s_or_saveexec_b64 s[10:11], s[10:11]
	v_pk_mov_b32 v[2:3], s[8:9], s[8:9] op_sel:[0,1]
	s_xor_b64 exec, exec, s[10:11]
	s_cbranch_execnz .LBB221_2268
.LBB221_2248:
	s_or_b64 exec, exec, s[10:11]
	s_and_saveexec_b64 s[8:9], s[6:7]
	s_cbranch_execz .LBB221_2250
.LBB221_2249:
	v_and_b32_e32 v3, 0xffff, v7
	v_lshlrev_b32_e32 v2, 24, v7
	v_and_b32_e32 v7, 3, v3
	v_ffbh_u32_e32 v11, v7
	v_min_u32_e32 v11, 32, v11
	v_subrev_u32_e32 v12, 29, v11
	v_bfe_u32 v8, v3, 2, 5
	v_lshlrev_b32_e32 v3, v12, v3
	v_sub_u32_e32 v11, 30, v11
	v_and_b32_e32 v3, 3, v3
	v_cmp_eq_u32_e32 vcc, 0, v8
	v_cndmask_b32_e32 v8, v8, v11, vcc
	v_cndmask_b32_e32 v3, v7, v3, vcc
	v_mov_b32_e32 v7, 0x37800000
	v_lshlrev_b32_e32 v3, 21, v3
	v_and_b32_e32 v2, 0x80000000, v2
	v_lshl_add_u32 v7, v8, 23, v7
	v_or3_b32 v2, v2, v7, v3
	v_cvt_f64_f32_e32 v[2:3], v2
.LBB221_2250:
	s_or_b64 exec, exec, s[8:9]
	s_mov_b64 s[6:7], 0
	s_branch .LBB221_2256
.LBB221_2251:
	s_mov_b64 s[6:7], -1
                                        ; implicit-def: $vgpr2_vgpr3
	s_branch .LBB221_2262
.LBB221_2252:
	s_or_saveexec_b64 s[12:13], s[12:13]
	v_pk_mov_b32 v[2:3], s[10:11], s[10:11] op_sel:[0,1]
	s_xor_b64 exec, exec, s[12:13]
	s_cbranch_execz .LBB221_2236
.LBB221_2253:
	v_cmp_ne_u16_e32 vcc, 0, v7
	s_andn2_b64 s[8:9], s[8:9], exec
	s_and_b64 s[10:11], vcc, exec
	v_pk_mov_b32 v[2:3], 0, 0
	s_or_b64 s[8:9], s[8:9], s[10:11]
	s_or_b64 exec, exec, s[12:13]
	s_and_saveexec_b64 s[10:11], s[8:9]
	s_cbranch_execnz .LBB221_2237
	s_branch .LBB221_2238
.LBB221_2254:
	s_mov_b64 s[6:7], -1
                                        ; implicit-def: $vgpr2_vgpr3
	s_branch .LBB221_2259
.LBB221_2255:
	s_mov_b64 s[6:7], -1
                                        ; implicit-def: $vgpr2_vgpr3
.LBB221_2256:
	s_and_b64 vcc, exec, s[6:7]
	s_cbranch_vccz .LBB221_2258
; %bb.2257:
	global_load_ubyte v2, v[4:5], off
	s_mov_b32 s6, 0x7f800000
	s_waitcnt vmcnt(0)
	v_lshlrev_b32_e32 v2, 24, v2
	v_and_b32_e32 v3, 0x7f000000, v2
	v_ffbh_u32_e32 v7, v3
	v_min_u32_e32 v7, 32, v7
	v_sub_u32_e64 v7, v7, 4 clamp
	v_lshlrev_b32_e32 v11, v7, v3
	v_lshlrev_b32_e32 v7, 23, v7
	v_lshrrev_b32_e32 v11, 4, v11
	v_add_u32_e32 v8, 0x1000000, v3
	v_sub_u32_e32 v7, v11, v7
	v_ashrrev_i32_e32 v8, 8, v8
	v_add_u32_e32 v7, 0x3c000000, v7
	v_and_or_b32 v7, v8, s6, v7
	v_cmp_ne_u32_e32 vcc, 0, v3
	v_cndmask_b32_e32 v3, 0, v7, vcc
	s_brev_b32 s6, 1
	v_and_or_b32 v2, v2, s6, v3
	v_cvt_f64_f32_e32 v[2:3], v2
.LBB221_2258:
	s_mov_b64 s[6:7], 0
.LBB221_2259:
	s_andn2_b64 vcc, exec, s[6:7]
	s_cbranch_vccnz .LBB221_2261
; %bb.2260:
	global_load_ubyte v2, v[4:5], off
	s_movk_i32 s6, 0x7f00
	s_brev_b32 s7, 16
	s_waitcnt vmcnt(0)
	v_lshlrev_b16_e32 v3, 8, v2
	v_lshlrev_b32_e32 v2, 25, v2
	v_lshrrev_b32_e32 v7, 4, v2
	v_and_or_b32 v8, v3, s6, 0.5
	v_or_b32_e32 v7, 0x70000000, v7
	v_add_f32_e32 v8, -0.5, v8
	v_mul_f32_e32 v7, 0x7800000, v7
	v_cmp_gt_u32_e32 vcc, s7, v2
	v_bfe_i32 v3, v3, 0, 16
	v_cndmask_b32_e32 v2, v7, v8, vcc
	s_brev_b32 s6, 1
	v_and_or_b32 v2, v3, s6, v2
	v_cvt_f64_f32_e32 v[2:3], v2
.LBB221_2261:
	s_mov_b64 s[6:7], 0
	s_mov_b64 s[8:9], -1
.LBB221_2262:
	s_andn2_b64 vcc, exec, s[6:7]
	s_mov_b64 s[6:7], 0
	s_cbranch_vccnz .LBB221_2273
; %bb.2263:
	v_cmp_lt_i16_e32 vcc, 14, v6
	s_cbranch_vccz .LBB221_2266
; %bb.2264:
	v_cmp_eq_u16_e32 vcc, 15, v6
	s_cbranch_vccz .LBB221_2269
; %bb.2265:
	global_load_ushort v2, v[4:5], off
	s_mov_b64 s[4:5], 0
	s_mov_b64 s[8:9], -1
	s_waitcnt vmcnt(0)
	v_lshlrev_b32_e32 v2, 16, v2
	v_cvt_f64_f32_e32 v[2:3], v2
	s_branch .LBB221_2270
.LBB221_2266:
	s_mov_b64 s[10:11], -1
                                        ; implicit-def: $vgpr2_vgpr3
	s_branch .LBB221_2271
.LBB221_2267:
	s_or_saveexec_b64 s[10:11], s[10:11]
	v_pk_mov_b32 v[2:3], s[8:9], s[8:9] op_sel:[0,1]
	s_xor_b64 exec, exec, s[10:11]
	s_cbranch_execz .LBB221_2248
.LBB221_2268:
	v_cmp_ne_u16_e32 vcc, 0, v7
	s_andn2_b64 s[6:7], s[6:7], exec
	s_and_b64 s[8:9], vcc, exec
	v_pk_mov_b32 v[2:3], 0, 0
	s_or_b64 s[6:7], s[6:7], s[8:9]
	s_or_b64 exec, exec, s[10:11]
	s_and_saveexec_b64 s[8:9], s[6:7]
	s_cbranch_execnz .LBB221_2249
	s_branch .LBB221_2250
.LBB221_2269:
	s_mov_b64 s[4:5], -1
                                        ; implicit-def: $vgpr2_vgpr3
.LBB221_2270:
	s_mov_b64 s[10:11], 0
.LBB221_2271:
	s_and_b64 vcc, exec, s[10:11]
	s_cbranch_vccz .LBB221_2273
; %bb.2272:
	v_cmp_ne_u16_e64 s[4:5], 11, v6
	s_mov_b64 s[6:7], -1
                                        ; implicit-def: $vgpr2_vgpr3
.LBB221_2273:
	s_and_b64 vcc, exec, s[4:5]
	s_cbranch_vccnz .LBB221_2336
; %bb.2274:
	s_andn2_b64 vcc, exec, s[6:7]
	s_cbranch_vccnz .LBB221_2276
.LBB221_2275:
	global_load_ubyte v3, v[4:5], off
	v_mov_b32_e32 v7, 0x3ff00000
	v_mov_b32_e32 v2, 0
	s_mov_b64 s[8:9], -1
	s_waitcnt vmcnt(0)
	v_cmp_ne_u16_e32 vcc, 0, v3
	v_cndmask_b32_e32 v3, 0, v7, vcc
.LBB221_2276:
	s_branch .LBB221_2203
.LBB221_2277:
	v_cmp_gt_i16_e32 vcc, 5, v6
	s_cbranch_vccnz .LBB221_2282
; %bb.2278:
	v_cmp_gt_i16_e32 vcc, 8, v6
	s_cbranch_vccnz .LBB221_2283
; %bb.2279:
	;; [unrolled: 3-line block ×3, first 2 shown]
	v_cmp_lt_i16_e32 vcc, 9, v6
	s_cbranch_vccz .LBB221_2285
; %bb.2281:
	global_load_dwordx2 v[2:3], v[4:5], off
	s_mov_b64 s[4:5], 0
	s_branch .LBB221_2286
.LBB221_2282:
                                        ; implicit-def: $vgpr2_vgpr3
	s_branch .LBB221_2304
.LBB221_2283:
	s_mov_b64 s[4:5], -1
                                        ; implicit-def: $vgpr2_vgpr3
	s_branch .LBB221_2292
.LBB221_2284:
	s_mov_b64 s[4:5], -1
                                        ; implicit-def: $vgpr2_vgpr3
	s_branch .LBB221_2289
.LBB221_2285:
	s_mov_b64 s[4:5], -1
                                        ; implicit-def: $vgpr2_vgpr3
.LBB221_2286:
	s_andn2_b64 vcc, exec, s[4:5]
	s_cbranch_vccnz .LBB221_2288
; %bb.2287:
	global_load_dword v2, v[4:5], off
	s_waitcnt vmcnt(0)
	v_cvt_f64_f32_e32 v[2:3], v2
.LBB221_2288:
	s_mov_b64 s[4:5], 0
.LBB221_2289:
	s_andn2_b64 vcc, exec, s[4:5]
	s_cbranch_vccnz .LBB221_2291
; %bb.2290:
	global_load_dword v2, v[4:5], off
	s_waitcnt vmcnt(0)
	v_cvt_f32_f16_e32 v2, v2
	v_cvt_f64_f32_e32 v[2:3], v2
.LBB221_2291:
	s_mov_b64 s[4:5], 0
.LBB221_2292:
	s_andn2_b64 vcc, exec, s[4:5]
	s_cbranch_vccnz .LBB221_2303
; %bb.2293:
	v_cmp_gt_i16_e32 vcc, 6, v6
	s_cbranch_vccnz .LBB221_2296
; %bb.2294:
	v_cmp_lt_i16_e32 vcc, 6, v6
	s_cbranch_vccz .LBB221_2297
; %bb.2295:
	global_load_dwordx2 v[2:3], v[4:5], off
	s_mov_b64 s[4:5], 0
	s_branch .LBB221_2298
.LBB221_2296:
	s_mov_b64 s[4:5], -1
                                        ; implicit-def: $vgpr2_vgpr3
	s_branch .LBB221_2301
.LBB221_2297:
	s_mov_b64 s[4:5], -1
                                        ; implicit-def: $vgpr2_vgpr3
.LBB221_2298:
	s_andn2_b64 vcc, exec, s[4:5]
	s_cbranch_vccnz .LBB221_2300
; %bb.2299:
	global_load_dword v2, v[4:5], off
	s_waitcnt vmcnt(0)
	v_cvt_f64_f32_e32 v[2:3], v2
.LBB221_2300:
	s_mov_b64 s[4:5], 0
.LBB221_2301:
	s_andn2_b64 vcc, exec, s[4:5]
	s_cbranch_vccnz .LBB221_2303
; %bb.2302:
	global_load_ushort v2, v[4:5], off
	s_waitcnt vmcnt(0)
	v_cvt_f32_f16_e32 v2, v2
	v_cvt_f64_f32_e32 v[2:3], v2
.LBB221_2303:
	s_cbranch_execnz .LBB221_2323
.LBB221_2304:
	v_cmp_gt_i16_e32 vcc, 2, v6
	s_cbranch_vccnz .LBB221_2308
; %bb.2305:
	v_cmp_gt_i16_e32 vcc, 3, v6
	s_cbranch_vccnz .LBB221_2309
; %bb.2306:
	v_cmp_lt_i16_e32 vcc, 3, v6
	s_cbranch_vccz .LBB221_2310
; %bb.2307:
	global_load_dwordx2 v[2:3], v[4:5], off
	s_mov_b64 s[4:5], 0
	s_waitcnt vmcnt(0)
	v_cvt_f64_i32_e32 v[12:13], v3
	v_cvt_f64_u32_e32 v[2:3], v2
	v_ldexp_f64 v[12:13], v[12:13], 32
	v_add_f64 v[2:3], v[12:13], v[2:3]
	s_branch .LBB221_2311
.LBB221_2308:
	s_mov_b64 s[4:5], -1
                                        ; implicit-def: $vgpr2_vgpr3
	s_branch .LBB221_2317
.LBB221_2309:
	s_mov_b64 s[4:5], -1
                                        ; implicit-def: $vgpr2_vgpr3
	s_branch .LBB221_2314
.LBB221_2310:
	s_mov_b64 s[4:5], -1
                                        ; implicit-def: $vgpr2_vgpr3
.LBB221_2311:
	s_andn2_b64 vcc, exec, s[4:5]
	s_cbranch_vccnz .LBB221_2313
; %bb.2312:
	global_load_dword v2, v[4:5], off
	s_waitcnt vmcnt(0)
	v_cvt_f64_i32_e32 v[2:3], v2
.LBB221_2313:
	s_mov_b64 s[4:5], 0
.LBB221_2314:
	s_andn2_b64 vcc, exec, s[4:5]
	s_cbranch_vccnz .LBB221_2316
; %bb.2315:
	global_load_sshort v2, v[4:5], off
	s_waitcnt vmcnt(0)
	v_cvt_f64_i32_e32 v[2:3], v2
.LBB221_2316:
	s_mov_b64 s[4:5], 0
.LBB221_2317:
	s_andn2_b64 vcc, exec, s[4:5]
	s_cbranch_vccnz .LBB221_2323
; %bb.2318:
	v_cmp_lt_i16_e32 vcc, 0, v6
	s_cbranch_vccz .LBB221_2320
; %bb.2319:
	global_load_sbyte v2, v[4:5], off
	s_mov_b64 s[4:5], 0
	s_waitcnt vmcnt(0)
	v_cvt_f64_i32_e32 v[2:3], v2
	s_branch .LBB221_2321
.LBB221_2320:
	s_mov_b64 s[4:5], -1
                                        ; implicit-def: $vgpr2_vgpr3
.LBB221_2321:
	s_andn2_b64 vcc, exec, s[4:5]
	s_cbranch_vccnz .LBB221_2323
; %bb.2322:
	global_load_ubyte v2, v[4:5], off
	s_waitcnt vmcnt(0)
	v_cvt_f64_u32_e32 v[2:3], v2
.LBB221_2323:
.LBB221_2324:
	v_mul_lo_u32 v8, s47, v76
	v_ashrrev_i32_e32 v4, 31, v8
	v_mov_b32_e32 v5, s43
	v_add_co_u32_e32 v6, vcc, s42, v8
	v_addc_co_u32_e32 v7, vcc, v5, v4, vcc
	v_cmp_gt_i16_e64 s[4:5], 11, v77
	s_and_b64 vcc, exec, s[4:5]
	s_cbranch_vccnz .LBB221_2331
; %bb.2325:
	v_cmp_lt_i16_e32 vcc, 25, v77
	s_mov_b64 s[8:9], 0
	s_cbranch_vccz .LBB221_2333
; %bb.2326:
	v_cmp_lt_i16_e32 vcc, 28, v77
	s_cbranch_vccz .LBB221_2334
; %bb.2327:
	v_cmp_lt_i16_e32 vcc, 43, v77
	;; [unrolled: 3-line block ×3, first 2 shown]
	s_cbranch_vccz .LBB221_2337
; %bb.2329:
	v_cmp_eq_u16_e32 vcc, 46, v77
	s_mov_b64 s[12:13], 0
	s_cbranch_vccz .LBB221_2338
; %bb.2330:
	global_load_dword v4, v[6:7], off
	s_mov_b64 s[6:7], 0
	s_mov_b64 s[10:11], -1
	s_waitcnt vmcnt(0)
	v_lshlrev_b32_e32 v4, 16, v4
	v_cvt_f64_f32_e32 v[4:5], v4
	s_branch .LBB221_2339
.LBB221_2331:
	s_mov_b64 s[10:11], 0
                                        ; implicit-def: $vgpr4_vgpr5
	s_cbranch_execnz .LBB221_2405
.LBB221_2332:
	s_andn2_b64 vcc, exec, s[10:11]
	s_cbranch_vccnz .LBB221_4080
	s_branch .LBB221_2453
.LBB221_2333:
	s_mov_b64 s[12:13], -1
	s_mov_b64 s[10:11], 0
	s_mov_b64 s[6:7], 0
                                        ; implicit-def: $vgpr4_vgpr5
	s_branch .LBB221_2368
.LBB221_2334:
	s_mov_b64 s[12:13], -1
	s_mov_b64 s[10:11], 0
	s_mov_b64 s[6:7], 0
                                        ; implicit-def: $vgpr4_vgpr5
	s_branch .LBB221_2349
.LBB221_2335:
	s_mov_b64 s[12:13], -1
	s_mov_b64 s[10:11], 0
	s_mov_b64 s[6:7], 0
                                        ; implicit-def: $vgpr4_vgpr5
	s_branch .LBB221_2344
.LBB221_2336:
	s_trap 2
	s_or_b64 s[92:93], s[92:93], exec
                                        ; implicit-def: $vgpr2_vgpr3
	s_cbranch_execz .LBB221_2275
	s_branch .LBB221_2276
.LBB221_2337:
	s_mov_b64 s[12:13], -1
	s_mov_b64 s[10:11], 0
	s_mov_b64 s[6:7], 0
                                        ; implicit-def: $vgpr4_vgpr5
	s_branch .LBB221_2339
.LBB221_2338:
	s_mov_b64 s[6:7], -1
                                        ; implicit-def: $vgpr4_vgpr5
	s_mov_b64 s[10:11], 0
.LBB221_2339:
	s_and_b64 vcc, exec, s[12:13]
	s_cbranch_vccz .LBB221_2343
; %bb.2340:
	v_cmp_eq_u16_e32 vcc, 44, v77
	s_cbranch_vccz .LBB221_2342
; %bb.2341:
	global_load_ubyte v11, v[6:7], off
	s_movk_i32 s10, 0xff
	v_bfrev_b32_e32 v12, 4
	v_mov_b32_e32 v13, 0x7ff80000
	v_bfrev_b32_e32 v14, 28
	s_mov_b64 s[6:7], 0
	s_waitcnt vmcnt(0)
	v_lshlrev_b32_e32 v4, 23, v11
	v_cvt_f64_f32_e32 v[4:5], v4
	v_cmp_ne_u32_e32 vcc, s10, v11
	v_cndmask_b32_e32 v4, v12, v4, vcc
	v_cndmask_b32_e32 v5, v13, v5, vcc
	v_cmp_ne_u32_e32 vcc, 0, v11
	v_cndmask_b32_e32 v5, v14, v5, vcc
	v_cndmask_b32_e32 v4, 0, v4, vcc
	s_mov_b64 s[10:11], -1
	s_branch .LBB221_2343
.LBB221_2342:
	s_mov_b64 s[6:7], -1
                                        ; implicit-def: $vgpr4_vgpr5
.LBB221_2343:
	s_mov_b64 s[12:13], 0
.LBB221_2344:
	s_and_b64 vcc, exec, s[12:13]
	s_cbranch_vccz .LBB221_2348
; %bb.2345:
	v_cmp_eq_u16_e32 vcc, 29, v77
	s_cbranch_vccz .LBB221_2347
; %bb.2346:
	global_load_dwordx2 v[4:5], v[6:7], off
	s_mov_b64 s[6:7], 0
	s_mov_b64 s[10:11], -1
	s_mov_b64 s[12:13], 0
	s_waitcnt vmcnt(0)
	v_cvt_f64_u32_e32 v[12:13], v5
	v_cvt_f64_u32_e32 v[4:5], v4
	v_ldexp_f64 v[12:13], v[12:13], 32
	v_add_f64 v[4:5], v[12:13], v[4:5]
	s_branch .LBB221_2349
.LBB221_2347:
	s_mov_b64 s[6:7], -1
                                        ; implicit-def: $vgpr4_vgpr5
.LBB221_2348:
	s_mov_b64 s[12:13], 0
.LBB221_2349:
	s_and_b64 vcc, exec, s[12:13]
	s_cbranch_vccz .LBB221_2367
; %bb.2350:
	v_cmp_gt_i16_e32 vcc, 27, v77
	s_cbranch_vccnz .LBB221_2353
; %bb.2351:
	v_cmp_lt_i16_e32 vcc, 27, v77
	s_cbranch_vccz .LBB221_2354
; %bb.2352:
	global_load_dword v4, v[6:7], off
	s_mov_b64 s[10:11], 0
	s_waitcnt vmcnt(0)
	v_cvt_f64_u32_e32 v[4:5], v4
	s_branch .LBB221_2355
.LBB221_2353:
	s_mov_b64 s[10:11], -1
                                        ; implicit-def: $vgpr4_vgpr5
	s_branch .LBB221_2358
.LBB221_2354:
	s_mov_b64 s[10:11], -1
                                        ; implicit-def: $vgpr4_vgpr5
.LBB221_2355:
	s_andn2_b64 vcc, exec, s[10:11]
	s_cbranch_vccnz .LBB221_2357
; %bb.2356:
	global_load_ushort v4, v[6:7], off
	s_waitcnt vmcnt(0)
	v_cvt_f64_u32_e32 v[4:5], v4
.LBB221_2357:
	s_mov_b64 s[10:11], 0
.LBB221_2358:
	s_andn2_b64 vcc, exec, s[10:11]
	s_cbranch_vccnz .LBB221_2366
; %bb.2359:
	global_load_ubyte v11, v[6:7], off
	s_movk_i32 s10, 0x7f
                                        ; implicit-def: $sgpr12_sgpr13
	s_waitcnt vmcnt(0)
	v_cmp_lt_i16_e32 vcc, s10, v11
	s_mov_b64 s[10:11], 0
	s_and_saveexec_b64 s[14:15], vcc
	s_xor_b64 s[14:15], exec, s[14:15]
	s_cbranch_execz .LBB221_2380
; %bb.2360:
	s_movk_i32 s10, 0x80
	v_cmp_eq_u16_e32 vcc, s10, v11
	s_mov_b64 s[16:17], -1
                                        ; implicit-def: $sgpr12_sgpr13
	s_and_saveexec_b64 s[10:11], vcc
; %bb.2361:
	s_mov_b32 s13, 0x7ff80000
	s_brev_b32 s12, 4
	s_xor_b64 s[16:17], exec, -1
; %bb.2362:
	s_or_b64 exec, exec, s[10:11]
	s_and_b64 s[10:11], s[16:17], exec
	s_or_saveexec_b64 s[14:15], s[14:15]
	v_pk_mov_b32 v[4:5], s[12:13], s[12:13] op_sel:[0,1]
	s_xor_b64 exec, exec, s[14:15]
	s_cbranch_execnz .LBB221_2381
.LBB221_2363:
	s_or_b64 exec, exec, s[14:15]
	s_and_saveexec_b64 s[12:13], s[10:11]
	s_cbranch_execz .LBB221_2365
.LBB221_2364:
	v_and_b32_e32 v5, 0xffff, v11
	v_lshlrev_b32_e32 v4, 24, v11
	v_and_b32_e32 v11, 7, v5
	v_ffbh_u32_e32 v13, v11
	v_min_u32_e32 v13, 32, v13
	v_subrev_u32_e32 v14, 28, v13
	v_bfe_u32 v12, v5, 3, 4
	v_lshlrev_b32_e32 v5, v14, v5
	v_sub_u32_e32 v13, 29, v13
	v_and_b32_e32 v5, 7, v5
	v_cmp_eq_u32_e32 vcc, 0, v12
	v_cndmask_b32_e32 v12, v12, v13, vcc
	v_cndmask_b32_e32 v5, v11, v5, vcc
	v_mov_b32_e32 v11, 0x3b800000
	v_lshlrev_b32_e32 v5, 20, v5
	v_and_b32_e32 v4, 0x80000000, v4
	v_lshl_add_u32 v11, v12, 23, v11
	v_or3_b32 v4, v4, v11, v5
	v_cvt_f64_f32_e32 v[4:5], v4
.LBB221_2365:
	s_or_b64 exec, exec, s[12:13]
.LBB221_2366:
	s_mov_b64 s[10:11], -1
.LBB221_2367:
	s_mov_b64 s[12:13], 0
.LBB221_2368:
	s_and_b64 vcc, exec, s[12:13]
	s_cbranch_vccz .LBB221_2401
; %bb.2369:
	v_cmp_lt_i16_e32 vcc, 22, v77
	s_cbranch_vccz .LBB221_2379
; %bb.2370:
	v_cmp_gt_i16_e32 vcc, 24, v77
	s_cbranch_vccnz .LBB221_2382
; %bb.2371:
	v_cmp_lt_i16_e32 vcc, 24, v77
	s_cbranch_vccz .LBB221_2383
; %bb.2372:
	global_load_ubyte v11, v[6:7], off
	s_movk_i32 s8, 0x7f
                                        ; implicit-def: $sgpr10_sgpr11
	s_waitcnt vmcnt(0)
	v_cmp_lt_i16_e32 vcc, s8, v11
	s_mov_b64 s[8:9], 0
	s_and_saveexec_b64 s[12:13], vcc
	s_xor_b64 s[12:13], exec, s[12:13]
	s_cbranch_execz .LBB221_2395
; %bb.2373:
	s_movk_i32 s8, 0x80
	v_cmp_eq_u16_e32 vcc, s8, v11
	s_mov_b64 s[14:15], -1
                                        ; implicit-def: $sgpr10_sgpr11
	s_and_saveexec_b64 s[8:9], vcc
; %bb.2374:
	s_mov_b32 s11, 0x7ff80000
	s_brev_b32 s10, 4
	s_xor_b64 s[14:15], exec, -1
; %bb.2375:
	s_or_b64 exec, exec, s[8:9]
	s_and_b64 s[8:9], s[14:15], exec
	s_or_saveexec_b64 s[12:13], s[12:13]
	v_pk_mov_b32 v[4:5], s[10:11], s[10:11] op_sel:[0,1]
	s_xor_b64 exec, exec, s[12:13]
	s_cbranch_execnz .LBB221_2396
.LBB221_2376:
	s_or_b64 exec, exec, s[12:13]
	s_and_saveexec_b64 s[10:11], s[8:9]
	s_cbranch_execz .LBB221_2378
.LBB221_2377:
	v_and_b32_e32 v5, 0xffff, v11
	v_lshlrev_b32_e32 v4, 24, v11
	v_and_b32_e32 v11, 3, v5
	v_ffbh_u32_e32 v13, v11
	v_min_u32_e32 v13, 32, v13
	v_subrev_u32_e32 v14, 29, v13
	v_bfe_u32 v12, v5, 2, 5
	v_lshlrev_b32_e32 v5, v14, v5
	v_sub_u32_e32 v13, 30, v13
	v_and_b32_e32 v5, 3, v5
	v_cmp_eq_u32_e32 vcc, 0, v12
	v_cndmask_b32_e32 v12, v12, v13, vcc
	v_cndmask_b32_e32 v5, v11, v5, vcc
	v_mov_b32_e32 v11, 0x37800000
	v_lshlrev_b32_e32 v5, 21, v5
	v_and_b32_e32 v4, 0x80000000, v4
	v_lshl_add_u32 v11, v12, 23, v11
	v_or3_b32 v4, v4, v11, v5
	v_cvt_f64_f32_e32 v[4:5], v4
.LBB221_2378:
	s_or_b64 exec, exec, s[10:11]
	s_mov_b64 s[8:9], 0
	s_branch .LBB221_2384
.LBB221_2379:
	s_mov_b64 s[8:9], -1
                                        ; implicit-def: $vgpr4_vgpr5
	s_branch .LBB221_2390
.LBB221_2380:
	s_or_saveexec_b64 s[14:15], s[14:15]
	v_pk_mov_b32 v[4:5], s[12:13], s[12:13] op_sel:[0,1]
	s_xor_b64 exec, exec, s[14:15]
	s_cbranch_execz .LBB221_2363
.LBB221_2381:
	v_cmp_ne_u16_e32 vcc, 0, v11
	s_andn2_b64 s[10:11], s[10:11], exec
	s_and_b64 s[12:13], vcc, exec
	v_pk_mov_b32 v[4:5], 0, 0
	s_or_b64 s[10:11], s[10:11], s[12:13]
	s_or_b64 exec, exec, s[14:15]
	s_and_saveexec_b64 s[12:13], s[10:11]
	s_cbranch_execnz .LBB221_2364
	s_branch .LBB221_2365
.LBB221_2382:
	s_mov_b64 s[8:9], -1
                                        ; implicit-def: $vgpr4_vgpr5
	s_branch .LBB221_2387
.LBB221_2383:
	s_mov_b64 s[8:9], -1
                                        ; implicit-def: $vgpr4_vgpr5
.LBB221_2384:
	s_and_b64 vcc, exec, s[8:9]
	s_cbranch_vccz .LBB221_2386
; %bb.2385:
	global_load_ubyte v4, v[6:7], off
	s_mov_b32 s8, 0x7f800000
	s_waitcnt vmcnt(0)
	v_lshlrev_b32_e32 v4, 24, v4
	v_and_b32_e32 v5, 0x7f000000, v4
	v_ffbh_u32_e32 v11, v5
	v_min_u32_e32 v11, 32, v11
	v_sub_u32_e64 v11, v11, 4 clamp
	v_lshlrev_b32_e32 v13, v11, v5
	v_lshlrev_b32_e32 v11, 23, v11
	v_lshrrev_b32_e32 v13, 4, v13
	v_add_u32_e32 v12, 0x1000000, v5
	v_sub_u32_e32 v11, v13, v11
	v_ashrrev_i32_e32 v12, 8, v12
	v_add_u32_e32 v11, 0x3c000000, v11
	v_and_or_b32 v11, v12, s8, v11
	v_cmp_ne_u32_e32 vcc, 0, v5
	v_cndmask_b32_e32 v5, 0, v11, vcc
	s_brev_b32 s8, 1
	v_and_or_b32 v4, v4, s8, v5
	v_cvt_f64_f32_e32 v[4:5], v4
.LBB221_2386:
	s_mov_b64 s[8:9], 0
.LBB221_2387:
	s_andn2_b64 vcc, exec, s[8:9]
	s_cbranch_vccnz .LBB221_2389
; %bb.2388:
	global_load_ubyte v4, v[6:7], off
	s_movk_i32 s8, 0x7f00
	s_brev_b32 s9, 16
	s_waitcnt vmcnt(0)
	v_lshlrev_b16_e32 v5, 8, v4
	v_lshlrev_b32_e32 v4, 25, v4
	v_lshrrev_b32_e32 v11, 4, v4
	v_and_or_b32 v12, v5, s8, 0.5
	v_or_b32_e32 v11, 0x70000000, v11
	v_add_f32_e32 v12, -0.5, v12
	v_mul_f32_e32 v11, 0x7800000, v11
	v_cmp_gt_u32_e32 vcc, s9, v4
	v_bfe_i32 v5, v5, 0, 16
	v_cndmask_b32_e32 v4, v11, v12, vcc
	s_brev_b32 s8, 1
	v_and_or_b32 v4, v5, s8, v4
	v_cvt_f64_f32_e32 v[4:5], v4
.LBB221_2389:
	s_mov_b64 s[8:9], 0
	s_mov_b64 s[10:11], -1
.LBB221_2390:
	s_andn2_b64 vcc, exec, s[8:9]
	s_mov_b64 s[8:9], 0
	s_cbranch_vccnz .LBB221_2401
; %bb.2391:
	v_cmp_lt_i16_e32 vcc, 14, v77
	s_cbranch_vccz .LBB221_2394
; %bb.2392:
	v_cmp_eq_u16_e32 vcc, 15, v77
	s_cbranch_vccz .LBB221_2397
; %bb.2393:
	global_load_ushort v4, v[6:7], off
	s_mov_b64 s[6:7], 0
	s_mov_b64 s[10:11], -1
	s_waitcnt vmcnt(0)
	v_lshlrev_b32_e32 v4, 16, v4
	v_cvt_f64_f32_e32 v[4:5], v4
	s_branch .LBB221_2398
.LBB221_2394:
	s_mov_b64 s[12:13], -1
                                        ; implicit-def: $vgpr4_vgpr5
	s_branch .LBB221_2399
.LBB221_2395:
	s_or_saveexec_b64 s[12:13], s[12:13]
	v_pk_mov_b32 v[4:5], s[10:11], s[10:11] op_sel:[0,1]
	s_xor_b64 exec, exec, s[12:13]
	s_cbranch_execz .LBB221_2376
.LBB221_2396:
	v_cmp_ne_u16_e32 vcc, 0, v11
	s_andn2_b64 s[8:9], s[8:9], exec
	s_and_b64 s[10:11], vcc, exec
	v_pk_mov_b32 v[4:5], 0, 0
	s_or_b64 s[8:9], s[8:9], s[10:11]
	s_or_b64 exec, exec, s[12:13]
	s_and_saveexec_b64 s[10:11], s[8:9]
	s_cbranch_execnz .LBB221_2377
	s_branch .LBB221_2378
.LBB221_2397:
	s_mov_b64 s[6:7], -1
                                        ; implicit-def: $vgpr4_vgpr5
.LBB221_2398:
	s_mov_b64 s[12:13], 0
.LBB221_2399:
	s_and_b64 vcc, exec, s[12:13]
	s_cbranch_vccz .LBB221_2401
; %bb.2400:
	v_cmp_ne_u16_e64 s[6:7], 11, v77
	s_mov_b64 s[8:9], -1
                                        ; implicit-def: $vgpr4_vgpr5
.LBB221_2401:
	s_and_b64 vcc, exec, s[6:7]
	s_cbranch_vccnz .LBB221_2464
; %bb.2402:
	s_andn2_b64 vcc, exec, s[8:9]
	s_cbranch_vccnz .LBB221_2404
.LBB221_2403:
	global_load_ubyte v5, v[6:7], off
	v_mov_b32_e32 v11, 0x3ff00000
	v_mov_b32_e32 v4, 0
	s_mov_b64 s[10:11], -1
	s_waitcnt vmcnt(0)
	v_cmp_ne_u16_e32 vcc, 0, v5
	v_cndmask_b32_e32 v5, 0, v11, vcc
.LBB221_2404:
	s_branch .LBB221_2332
.LBB221_2405:
	v_cmp_gt_i16_e32 vcc, 5, v77
	s_cbranch_vccnz .LBB221_2410
; %bb.2406:
	v_cmp_gt_i16_e32 vcc, 8, v77
	s_cbranch_vccnz .LBB221_2411
; %bb.2407:
	;; [unrolled: 3-line block ×3, first 2 shown]
	v_cmp_lt_i16_e32 vcc, 9, v77
	s_cbranch_vccz .LBB221_2413
; %bb.2409:
	global_load_dwordx2 v[4:5], v[6:7], off
	s_mov_b64 s[6:7], 0
	s_branch .LBB221_2414
.LBB221_2410:
	s_mov_b64 s[6:7], -1
                                        ; implicit-def: $vgpr4_vgpr5
	s_branch .LBB221_2432
.LBB221_2411:
	s_mov_b64 s[6:7], -1
                                        ; implicit-def: $vgpr4_vgpr5
	s_branch .LBB221_2420
.LBB221_2412:
	s_mov_b64 s[6:7], -1
                                        ; implicit-def: $vgpr4_vgpr5
	s_branch .LBB221_2417
.LBB221_2413:
	s_mov_b64 s[6:7], -1
                                        ; implicit-def: $vgpr4_vgpr5
.LBB221_2414:
	s_andn2_b64 vcc, exec, s[6:7]
	s_cbranch_vccnz .LBB221_2416
; %bb.2415:
	global_load_dword v4, v[6:7], off
	s_waitcnt vmcnt(0)
	v_cvt_f64_f32_e32 v[4:5], v4
.LBB221_2416:
	s_mov_b64 s[6:7], 0
.LBB221_2417:
	s_andn2_b64 vcc, exec, s[6:7]
	s_cbranch_vccnz .LBB221_2419
; %bb.2418:
	global_load_dword v4, v[6:7], off
	s_waitcnt vmcnt(0)
	v_cvt_f32_f16_e32 v4, v4
	v_cvt_f64_f32_e32 v[4:5], v4
.LBB221_2419:
	s_mov_b64 s[6:7], 0
.LBB221_2420:
	s_andn2_b64 vcc, exec, s[6:7]
	s_cbranch_vccnz .LBB221_2431
; %bb.2421:
	v_cmp_gt_i16_e32 vcc, 6, v77
	s_cbranch_vccnz .LBB221_2424
; %bb.2422:
	v_cmp_lt_i16_e32 vcc, 6, v77
	s_cbranch_vccz .LBB221_2425
; %bb.2423:
	global_load_dwordx2 v[4:5], v[6:7], off
	s_mov_b64 s[6:7], 0
	s_branch .LBB221_2426
.LBB221_2424:
	s_mov_b64 s[6:7], -1
                                        ; implicit-def: $vgpr4_vgpr5
	s_branch .LBB221_2429
.LBB221_2425:
	s_mov_b64 s[6:7], -1
                                        ; implicit-def: $vgpr4_vgpr5
.LBB221_2426:
	s_andn2_b64 vcc, exec, s[6:7]
	s_cbranch_vccnz .LBB221_2428
; %bb.2427:
	global_load_dword v4, v[6:7], off
	s_waitcnt vmcnt(0)
	v_cvt_f64_f32_e32 v[4:5], v4
.LBB221_2428:
	s_mov_b64 s[6:7], 0
.LBB221_2429:
	s_andn2_b64 vcc, exec, s[6:7]
	s_cbranch_vccnz .LBB221_2431
; %bb.2430:
	global_load_ushort v4, v[6:7], off
	s_waitcnt vmcnt(0)
	v_cvt_f32_f16_e32 v4, v4
	v_cvt_f64_f32_e32 v[4:5], v4
.LBB221_2431:
	s_mov_b64 s[6:7], 0
.LBB221_2432:
	s_andn2_b64 vcc, exec, s[6:7]
	s_cbranch_vccnz .LBB221_2452
; %bb.2433:
	v_cmp_gt_i16_e32 vcc, 2, v77
	s_cbranch_vccnz .LBB221_2437
; %bb.2434:
	v_cmp_gt_i16_e32 vcc, 3, v77
	s_cbranch_vccnz .LBB221_2438
; %bb.2435:
	v_cmp_lt_i16_e32 vcc, 3, v77
	s_cbranch_vccz .LBB221_2439
; %bb.2436:
	global_load_dwordx2 v[4:5], v[6:7], off
	s_mov_b64 s[6:7], 0
	s_waitcnt vmcnt(0)
	v_cvt_f64_i32_e32 v[12:13], v5
	v_cvt_f64_u32_e32 v[4:5], v4
	v_ldexp_f64 v[12:13], v[12:13], 32
	v_add_f64 v[4:5], v[12:13], v[4:5]
	s_branch .LBB221_2440
.LBB221_2437:
	s_mov_b64 s[6:7], -1
                                        ; implicit-def: $vgpr4_vgpr5
	s_branch .LBB221_2446
.LBB221_2438:
	s_mov_b64 s[6:7], -1
                                        ; implicit-def: $vgpr4_vgpr5
	s_branch .LBB221_2443
.LBB221_2439:
	s_mov_b64 s[6:7], -1
                                        ; implicit-def: $vgpr4_vgpr5
.LBB221_2440:
	s_andn2_b64 vcc, exec, s[6:7]
	s_cbranch_vccnz .LBB221_2442
; %bb.2441:
	global_load_dword v4, v[6:7], off
	s_waitcnt vmcnt(0)
	v_cvt_f64_i32_e32 v[4:5], v4
.LBB221_2442:
	s_mov_b64 s[6:7], 0
.LBB221_2443:
	s_andn2_b64 vcc, exec, s[6:7]
	s_cbranch_vccnz .LBB221_2445
; %bb.2444:
	global_load_sshort v4, v[6:7], off
	s_waitcnt vmcnt(0)
	v_cvt_f64_i32_e32 v[4:5], v4
.LBB221_2445:
	s_mov_b64 s[6:7], 0
.LBB221_2446:
	s_andn2_b64 vcc, exec, s[6:7]
	s_cbranch_vccnz .LBB221_2452
; %bb.2447:
	v_cmp_lt_i16_e32 vcc, 0, v77
	s_cbranch_vccz .LBB221_2449
; %bb.2448:
	global_load_sbyte v4, v[6:7], off
	s_mov_b64 s[6:7], 0
	s_waitcnt vmcnt(0)
	v_cvt_f64_i32_e32 v[4:5], v4
	s_branch .LBB221_2450
.LBB221_2449:
	s_mov_b64 s[6:7], -1
                                        ; implicit-def: $vgpr4_vgpr5
.LBB221_2450:
	s_andn2_b64 vcc, exec, s[6:7]
	s_cbranch_vccnz .LBB221_2452
; %bb.2451:
	global_load_ubyte v4, v[6:7], off
	s_waitcnt vmcnt(0)
	v_cvt_f64_u32_e32 v[4:5], v4
.LBB221_2452:
.LBB221_2453:
	s_lshl_b32 s18, s45, 7
	v_add_u32_e32 v10, s18, v10
	v_ashrrev_i32_e32 v7, 31, v10
	v_mov_b32_e32 v11, s39
	v_add_co_u32_e32 v6, vcc, s38, v10
	v_addc_co_u32_e32 v7, vcc, v11, v7, vcc
	v_mov_b32_e32 v11, 11
	v_cmp_lt_i16_sdwa s[6:7], v72, v11 src0_sel:BYTE_0 src1_sel:DWORD
	s_and_b64 vcc, exec, s[6:7]
	s_cbranch_vccnz .LBB221_2460
; %bb.2454:
	v_mov_b32_e32 v11, 25
	v_cmp_gt_i16_sdwa s[6:7], v72, v11 src0_sel:BYTE_0 src1_sel:DWORD
	s_mov_b64 s[8:9], 0
	s_and_b64 vcc, exec, s[6:7]
	s_cbranch_vccz .LBB221_2461
; %bb.2455:
	v_mov_b32_e32 v11, 28
	v_cmp_gt_i16_sdwa s[6:7], v72, v11 src0_sel:BYTE_0 src1_sel:DWORD
	s_and_b64 vcc, exec, s[6:7]
	s_cbranch_vccz .LBB221_2462
; %bb.2456:
	v_mov_b32_e32 v11, 43
	v_cmp_gt_i16_sdwa s[6:7], v72, v11 src0_sel:BYTE_0 src1_sel:DWORD
	;; [unrolled: 5-line block ×3, first 2 shown]
	s_and_b64 vcc, exec, s[6:7]
	s_cbranch_vccz .LBB221_2465
; %bb.2458:
	v_mov_b32_e32 v11, 46
	v_cmp_eq_u16_sdwa s[6:7], v72, v11 src0_sel:BYTE_0 src1_sel:DWORD
	s_mov_b64 s[12:13], 0
	s_and_b64 vcc, exec, s[6:7]
	s_cbranch_vccz .LBB221_2466
; %bb.2459:
	global_load_dword v11, v[6:7], off
	s_mov_b64 s[6:7], 0
	s_mov_b64 s[10:11], -1
	s_waitcnt vmcnt(0)
	v_lshlrev_b32_e32 v11, 16, v11
	v_cvt_f64_f32_e32 v[42:43], v11
	s_branch .LBB221_2467
.LBB221_2460:
	s_mov_b64 s[6:7], -1
	s_mov_b64 s[10:11], 0
                                        ; implicit-def: $vgpr42_vgpr43
	s_branch .LBB221_2533
.LBB221_2461:
	s_mov_b64 s[12:13], -1
	s_mov_b64 s[10:11], 0
	s_mov_b64 s[6:7], 0
                                        ; implicit-def: $vgpr42_vgpr43
	s_branch .LBB221_2496
.LBB221_2462:
	s_mov_b64 s[12:13], -1
	s_mov_b64 s[10:11], 0
	s_mov_b64 s[6:7], 0
                                        ; implicit-def: $vgpr42_vgpr43
	s_branch .LBB221_2477
.LBB221_2463:
	s_mov_b64 s[12:13], -1
	s_mov_b64 s[10:11], 0
	s_mov_b64 s[6:7], 0
                                        ; implicit-def: $vgpr42_vgpr43
	s_branch .LBB221_2472
.LBB221_2464:
	s_trap 2
	s_or_b64 s[92:93], s[92:93], exec
                                        ; implicit-def: $vgpr4_vgpr5
	s_cbranch_execz .LBB221_2403
	s_branch .LBB221_2404
.LBB221_2465:
	s_mov_b64 s[12:13], -1
	s_mov_b64 s[10:11], 0
	s_mov_b64 s[6:7], 0
                                        ; implicit-def: $vgpr42_vgpr43
	s_branch .LBB221_2467
.LBB221_2466:
	s_mov_b64 s[6:7], -1
                                        ; implicit-def: $vgpr42_vgpr43
	s_mov_b64 s[10:11], 0
.LBB221_2467:
	s_and_b64 vcc, exec, s[12:13]
	s_cbranch_vccz .LBB221_2471
; %bb.2468:
	v_mov_b32_e32 v11, 44
	v_cmp_eq_u16_sdwa s[6:7], v72, v11 src0_sel:BYTE_0 src1_sel:DWORD
	s_and_b64 vcc, exec, s[6:7]
	s_cbranch_vccz .LBB221_2470
; %bb.2469:
	global_load_ubyte v11, v[6:7], off
	s_movk_i32 s10, 0xff
	v_bfrev_b32_e32 v14, 4
	v_mov_b32_e32 v15, 0x7ff80000
	v_bfrev_b32_e32 v16, 28
	s_mov_b64 s[6:7], 0
	s_waitcnt vmcnt(0)
	v_lshlrev_b32_e32 v12, 23, v11
	v_cvt_f64_f32_e32 v[12:13], v12
	v_cmp_ne_u32_e32 vcc, s10, v11
	v_cndmask_b32_e32 v12, v14, v12, vcc
	v_cndmask_b32_e32 v13, v15, v13, vcc
	v_cmp_ne_u32_e32 vcc, 0, v11
	v_cndmask_b32_e32 v43, v16, v13, vcc
	v_cndmask_b32_e32 v42, 0, v12, vcc
	s_mov_b64 s[10:11], -1
	s_branch .LBB221_2471
.LBB221_2470:
	s_mov_b64 s[6:7], -1
                                        ; implicit-def: $vgpr42_vgpr43
.LBB221_2471:
	s_mov_b64 s[12:13], 0
.LBB221_2472:
	s_and_b64 vcc, exec, s[12:13]
	s_cbranch_vccz .LBB221_2476
; %bb.2473:
	v_mov_b32_e32 v11, 29
	v_cmp_eq_u16_sdwa s[6:7], v72, v11 src0_sel:BYTE_0 src1_sel:DWORD
	s_and_b64 vcc, exec, s[6:7]
	s_cbranch_vccz .LBB221_2475
; %bb.2474:
	global_load_dwordx2 v[12:13], v[6:7], off
	s_mov_b64 s[6:7], 0
	s_mov_b64 s[10:11], -1
	s_mov_b64 s[12:13], 0
	s_waitcnt vmcnt(0)
	v_cvt_f64_u32_e32 v[14:15], v13
	v_cvt_f64_u32_e32 v[12:13], v12
	v_ldexp_f64 v[14:15], v[14:15], 32
	v_add_f64 v[42:43], v[14:15], v[12:13]
	s_branch .LBB221_2477
.LBB221_2475:
	s_mov_b64 s[6:7], -1
                                        ; implicit-def: $vgpr42_vgpr43
.LBB221_2476:
	s_mov_b64 s[12:13], 0
.LBB221_2477:
	s_and_b64 vcc, exec, s[12:13]
	s_cbranch_vccz .LBB221_2495
; %bb.2478:
	v_mov_b32_e32 v11, 27
	v_cmp_lt_i16_sdwa s[10:11], v72, v11 src0_sel:BYTE_0 src1_sel:DWORD
	s_and_b64 vcc, exec, s[10:11]
	s_cbranch_vccnz .LBB221_2481
; %bb.2479:
	v_cmp_gt_i16_sdwa s[10:11], v72, v11 src0_sel:BYTE_0 src1_sel:DWORD
	s_and_b64 vcc, exec, s[10:11]
	s_cbranch_vccz .LBB221_2482
; %bb.2480:
	global_load_dword v11, v[6:7], off
	s_mov_b64 s[10:11], 0
	s_waitcnt vmcnt(0)
	v_cvt_f64_u32_e32 v[42:43], v11
	s_branch .LBB221_2483
.LBB221_2481:
	s_mov_b64 s[10:11], -1
                                        ; implicit-def: $vgpr42_vgpr43
	s_branch .LBB221_2486
.LBB221_2482:
	s_mov_b64 s[10:11], -1
                                        ; implicit-def: $vgpr42_vgpr43
.LBB221_2483:
	s_andn2_b64 vcc, exec, s[10:11]
	s_cbranch_vccnz .LBB221_2485
; %bb.2484:
	global_load_ushort v11, v[6:7], off
	s_waitcnt vmcnt(0)
	v_cvt_f64_u32_e32 v[42:43], v11
.LBB221_2485:
	s_mov_b64 s[10:11], 0
.LBB221_2486:
	s_andn2_b64 vcc, exec, s[10:11]
	s_cbranch_vccnz .LBB221_2494
; %bb.2487:
	global_load_ubyte v11, v[6:7], off
	s_movk_i32 s10, 0x7f
                                        ; implicit-def: $sgpr12_sgpr13
	s_waitcnt vmcnt(0)
	v_cmp_lt_i16_e32 vcc, s10, v11
	s_mov_b64 s[10:11], 0
	s_and_saveexec_b64 s[14:15], vcc
	s_xor_b64 s[14:15], exec, s[14:15]
	s_cbranch_execz .LBB221_2508
; %bb.2488:
	s_movk_i32 s10, 0x80
	v_cmp_eq_u16_e32 vcc, s10, v11
	s_mov_b64 s[16:17], -1
                                        ; implicit-def: $sgpr12_sgpr13
	s_and_saveexec_b64 s[10:11], vcc
; %bb.2489:
	s_mov_b32 s13, 0x7ff80000
	s_brev_b32 s12, 4
	s_xor_b64 s[16:17], exec, -1
; %bb.2490:
	s_or_b64 exec, exec, s[10:11]
	s_and_b64 s[10:11], s[16:17], exec
	s_or_saveexec_b64 s[14:15], s[14:15]
	v_pk_mov_b32 v[42:43], s[12:13], s[12:13] op_sel:[0,1]
	s_xor_b64 exec, exec, s[14:15]
	s_cbranch_execnz .LBB221_2509
.LBB221_2491:
	s_or_b64 exec, exec, s[14:15]
	s_and_saveexec_b64 s[12:13], s[10:11]
	s_cbranch_execz .LBB221_2493
.LBB221_2492:
	v_lshlrev_b32_e32 v12, 24, v11
	v_and_b32_e32 v11, 0xffff, v11
	v_and_b32_e32 v13, 7, v11
	v_ffbh_u32_e32 v15, v13
	v_min_u32_e32 v15, 32, v15
	v_subrev_u32_e32 v16, 28, v15
	v_bfe_u32 v14, v11, 3, 4
	v_lshlrev_b32_e32 v11, v16, v11
	v_sub_u32_e32 v15, 29, v15
	v_and_b32_e32 v11, 7, v11
	v_cmp_eq_u32_e32 vcc, 0, v14
	v_cndmask_b32_e32 v14, v14, v15, vcc
	v_cndmask_b32_e32 v11, v13, v11, vcc
	v_mov_b32_e32 v13, 0x3b800000
	v_lshlrev_b32_e32 v11, 20, v11
	v_and_b32_e32 v12, 0x80000000, v12
	v_lshl_add_u32 v13, v14, 23, v13
	v_or3_b32 v11, v12, v13, v11
	v_cvt_f64_f32_e32 v[42:43], v11
.LBB221_2493:
	s_or_b64 exec, exec, s[12:13]
.LBB221_2494:
	s_mov_b64 s[10:11], -1
.LBB221_2495:
	s_mov_b64 s[12:13], 0
.LBB221_2496:
	s_and_b64 vcc, exec, s[12:13]
	s_cbranch_vccz .LBB221_2529
; %bb.2497:
	v_mov_b32_e32 v11, 22
	v_cmp_gt_i16_sdwa s[8:9], v72, v11 src0_sel:BYTE_0 src1_sel:DWORD
	s_and_b64 vcc, exec, s[8:9]
	s_cbranch_vccz .LBB221_2507
; %bb.2498:
	v_mov_b32_e32 v11, 24
	v_cmp_lt_i16_sdwa s[8:9], v72, v11 src0_sel:BYTE_0 src1_sel:DWORD
	s_and_b64 vcc, exec, s[8:9]
	s_cbranch_vccnz .LBB221_2510
; %bb.2499:
	v_cmp_gt_i16_sdwa s[8:9], v72, v11 src0_sel:BYTE_0 src1_sel:DWORD
	s_and_b64 vcc, exec, s[8:9]
	s_cbranch_vccz .LBB221_2511
; %bb.2500:
	global_load_ubyte v11, v[6:7], off
	s_movk_i32 s8, 0x7f
                                        ; implicit-def: $sgpr10_sgpr11
	s_waitcnt vmcnt(0)
	v_cmp_lt_i16_e32 vcc, s8, v11
	s_mov_b64 s[8:9], 0
	s_and_saveexec_b64 s[12:13], vcc
	s_xor_b64 s[12:13], exec, s[12:13]
	s_cbranch_execz .LBB221_2523
; %bb.2501:
	s_movk_i32 s8, 0x80
	v_cmp_eq_u16_e32 vcc, s8, v11
	s_mov_b64 s[14:15], -1
                                        ; implicit-def: $sgpr10_sgpr11
	s_and_saveexec_b64 s[8:9], vcc
; %bb.2502:
	s_mov_b32 s11, 0x7ff80000
	s_brev_b32 s10, 4
	s_xor_b64 s[14:15], exec, -1
; %bb.2503:
	s_or_b64 exec, exec, s[8:9]
	s_and_b64 s[8:9], s[14:15], exec
	s_or_saveexec_b64 s[12:13], s[12:13]
	v_pk_mov_b32 v[42:43], s[10:11], s[10:11] op_sel:[0,1]
	s_xor_b64 exec, exec, s[12:13]
	s_cbranch_execnz .LBB221_2524
.LBB221_2504:
	s_or_b64 exec, exec, s[12:13]
	s_and_saveexec_b64 s[10:11], s[8:9]
	s_cbranch_execz .LBB221_2506
.LBB221_2505:
	v_lshlrev_b32_e32 v12, 24, v11
	v_and_b32_e32 v11, 0xffff, v11
	v_and_b32_e32 v13, 3, v11
	v_ffbh_u32_e32 v15, v13
	v_min_u32_e32 v15, 32, v15
	v_subrev_u32_e32 v16, 29, v15
	v_bfe_u32 v14, v11, 2, 5
	v_lshlrev_b32_e32 v11, v16, v11
	v_sub_u32_e32 v15, 30, v15
	v_and_b32_e32 v11, 3, v11
	v_cmp_eq_u32_e32 vcc, 0, v14
	v_cndmask_b32_e32 v14, v14, v15, vcc
	v_cndmask_b32_e32 v11, v13, v11, vcc
	v_mov_b32_e32 v13, 0x37800000
	v_lshlrev_b32_e32 v11, 21, v11
	v_and_b32_e32 v12, 0x80000000, v12
	v_lshl_add_u32 v13, v14, 23, v13
	v_or3_b32 v11, v12, v13, v11
	v_cvt_f64_f32_e32 v[42:43], v11
.LBB221_2506:
	s_or_b64 exec, exec, s[10:11]
	s_mov_b64 s[8:9], 0
	s_branch .LBB221_2512
.LBB221_2507:
	s_mov_b64 s[8:9], -1
                                        ; implicit-def: $vgpr42_vgpr43
	s_branch .LBB221_2518
.LBB221_2508:
	s_or_saveexec_b64 s[14:15], s[14:15]
	v_pk_mov_b32 v[42:43], s[12:13], s[12:13] op_sel:[0,1]
	s_xor_b64 exec, exec, s[14:15]
	s_cbranch_execz .LBB221_2491
.LBB221_2509:
	v_cmp_ne_u16_e32 vcc, 0, v11
	s_andn2_b64 s[10:11], s[10:11], exec
	s_and_b64 s[12:13], vcc, exec
	v_pk_mov_b32 v[42:43], 0, 0
	s_or_b64 s[10:11], s[10:11], s[12:13]
	s_or_b64 exec, exec, s[14:15]
	s_and_saveexec_b64 s[12:13], s[10:11]
	s_cbranch_execnz .LBB221_2492
	s_branch .LBB221_2493
.LBB221_2510:
	s_mov_b64 s[8:9], -1
                                        ; implicit-def: $vgpr42_vgpr43
	s_branch .LBB221_2515
.LBB221_2511:
	s_mov_b64 s[8:9], -1
                                        ; implicit-def: $vgpr42_vgpr43
.LBB221_2512:
	s_and_b64 vcc, exec, s[8:9]
	s_cbranch_vccz .LBB221_2514
; %bb.2513:
	global_load_ubyte v11, v[6:7], off
	s_mov_b32 s8, 0x7f800000
	s_waitcnt vmcnt(0)
	v_lshlrev_b32_e32 v11, 24, v11
	v_and_b32_e32 v12, 0x7f000000, v11
	v_ffbh_u32_e32 v13, v12
	v_min_u32_e32 v13, 32, v13
	v_sub_u32_e64 v13, v13, 4 clamp
	v_lshlrev_b32_e32 v15, v13, v12
	v_lshlrev_b32_e32 v13, 23, v13
	v_lshrrev_b32_e32 v15, 4, v15
	v_add_u32_e32 v14, 0x1000000, v12
	v_sub_u32_e32 v13, v15, v13
	v_ashrrev_i32_e32 v14, 8, v14
	v_add_u32_e32 v13, 0x3c000000, v13
	v_and_or_b32 v13, v14, s8, v13
	v_cmp_ne_u32_e32 vcc, 0, v12
	v_cndmask_b32_e32 v12, 0, v13, vcc
	s_brev_b32 s8, 1
	v_and_or_b32 v11, v11, s8, v12
	v_cvt_f64_f32_e32 v[42:43], v11
.LBB221_2514:
	s_mov_b64 s[8:9], 0
.LBB221_2515:
	s_andn2_b64 vcc, exec, s[8:9]
	s_cbranch_vccnz .LBB221_2517
; %bb.2516:
	global_load_ubyte v11, v[6:7], off
	s_movk_i32 s8, 0x7f00
	s_brev_b32 s9, 16
	s_waitcnt vmcnt(0)
	v_lshlrev_b16_e32 v12, 8, v11
	v_lshlrev_b32_e32 v11, 25, v11
	v_lshrrev_b32_e32 v13, 4, v11
	v_and_or_b32 v14, v12, s8, 0.5
	v_or_b32_e32 v13, 0x70000000, v13
	v_add_f32_e32 v14, -0.5, v14
	v_mul_f32_e32 v13, 0x7800000, v13
	v_cmp_gt_u32_e32 vcc, s9, v11
	v_bfe_i32 v12, v12, 0, 16
	v_cndmask_b32_e32 v11, v13, v14, vcc
	s_brev_b32 s8, 1
	v_and_or_b32 v11, v12, s8, v11
	v_cvt_f64_f32_e32 v[42:43], v11
.LBB221_2517:
	s_mov_b64 s[8:9], 0
	s_mov_b64 s[10:11], -1
.LBB221_2518:
	s_andn2_b64 vcc, exec, s[8:9]
	s_mov_b64 s[8:9], 0
	s_cbranch_vccnz .LBB221_2529
; %bb.2519:
	v_mov_b32_e32 v11, 14
	v_cmp_gt_i16_sdwa s[8:9], v72, v11 src0_sel:BYTE_0 src1_sel:DWORD
	s_and_b64 vcc, exec, s[8:9]
	s_cbranch_vccz .LBB221_2522
; %bb.2520:
	v_mov_b32_e32 v11, 15
	v_cmp_eq_u16_sdwa s[6:7], v72, v11 src0_sel:BYTE_0 src1_sel:DWORD
	s_and_b64 vcc, exec, s[6:7]
	s_cbranch_vccz .LBB221_2525
; %bb.2521:
	global_load_ushort v11, v[6:7], off
	s_mov_b64 s[6:7], 0
	s_mov_b64 s[10:11], -1
	s_waitcnt vmcnt(0)
	v_lshlrev_b32_e32 v11, 16, v11
	v_cvt_f64_f32_e32 v[42:43], v11
	s_branch .LBB221_2526
.LBB221_2522:
	s_mov_b64 s[12:13], -1
                                        ; implicit-def: $vgpr42_vgpr43
	s_branch .LBB221_2527
.LBB221_2523:
	s_or_saveexec_b64 s[12:13], s[12:13]
	v_pk_mov_b32 v[42:43], s[10:11], s[10:11] op_sel:[0,1]
	s_xor_b64 exec, exec, s[12:13]
	s_cbranch_execz .LBB221_2504
.LBB221_2524:
	v_cmp_ne_u16_e32 vcc, 0, v11
	s_andn2_b64 s[8:9], s[8:9], exec
	s_and_b64 s[10:11], vcc, exec
	v_pk_mov_b32 v[42:43], 0, 0
	s_or_b64 s[8:9], s[8:9], s[10:11]
	s_or_b64 exec, exec, s[12:13]
	s_and_saveexec_b64 s[10:11], s[8:9]
	s_cbranch_execnz .LBB221_2505
	s_branch .LBB221_2506
.LBB221_2525:
	s_mov_b64 s[6:7], -1
                                        ; implicit-def: $vgpr42_vgpr43
.LBB221_2526:
	s_mov_b64 s[12:13], 0
.LBB221_2527:
	s_mov_b64 s[8:9], 0
	s_and_b64 vcc, exec, s[12:13]
	s_cbranch_vccz .LBB221_2529
; %bb.2528:
	v_mov_b32_e32 v11, 11
	v_cmp_ne_u16_sdwa s[6:7], v72, v11 src0_sel:BYTE_0 src1_sel:DWORD
	s_mov_b64 s[8:9], -1
                                        ; implicit-def: $vgpr42_vgpr43
.LBB221_2529:
	s_and_b64 vcc, exec, s[6:7]
	s_cbranch_vccnz .LBB221_2594
; %bb.2530:
	s_andn2_b64 vcc, exec, s[8:9]
	s_cbranch_vccnz .LBB221_2532
.LBB221_2531:
	global_load_ubyte v11, v[6:7], off
	v_mov_b32_e32 v12, 0x3ff00000
	v_mov_b32_e32 v42, 0
	s_mov_b64 s[10:11], -1
	s_waitcnt vmcnt(0)
	v_cmp_ne_u16_e32 vcc, 0, v11
	v_cndmask_b32_e32 v43, 0, v12, vcc
.LBB221_2532:
	s_mov_b64 s[6:7], 0
.LBB221_2533:
	s_and_b64 vcc, exec, s[6:7]
	s_cbranch_vccz .LBB221_2582
; %bb.2534:
	v_mov_b32_e32 v11, 5
	v_cmp_lt_i16_sdwa s[6:7], v72, v11 src0_sel:BYTE_0 src1_sel:DWORD
	s_and_b64 vcc, exec, s[6:7]
	s_cbranch_vccnz .LBB221_2539
; %bb.2535:
	v_mov_b32_e32 v11, 8
	v_cmp_lt_i16_sdwa s[6:7], v72, v11 src0_sel:BYTE_0 src1_sel:DWORD
	s_and_b64 vcc, exec, s[6:7]
	s_cbranch_vccnz .LBB221_2540
	;; [unrolled: 5-line block ×3, first 2 shown]
; %bb.2537:
	v_cmp_gt_i16_sdwa s[6:7], v72, v11 src0_sel:BYTE_0 src1_sel:DWORD
	s_and_b64 vcc, exec, s[6:7]
	s_cbranch_vccz .LBB221_2542
; %bb.2538:
	global_load_dwordx2 v[42:43], v[6:7], off
	s_mov_b64 s[6:7], 0
	s_branch .LBB221_2543
.LBB221_2539:
	s_mov_b64 s[6:7], -1
                                        ; implicit-def: $vgpr42_vgpr43
	s_branch .LBB221_2561
.LBB221_2540:
	s_mov_b64 s[6:7], -1
                                        ; implicit-def: $vgpr42_vgpr43
	s_branch .LBB221_2549
.LBB221_2541:
	s_mov_b64 s[6:7], -1
                                        ; implicit-def: $vgpr42_vgpr43
	s_branch .LBB221_2546
.LBB221_2542:
	s_mov_b64 s[6:7], -1
                                        ; implicit-def: $vgpr42_vgpr43
.LBB221_2543:
	s_andn2_b64 vcc, exec, s[6:7]
	s_cbranch_vccnz .LBB221_2545
; %bb.2544:
	global_load_dword v11, v[6:7], off
	s_waitcnt vmcnt(0)
	v_cvt_f64_f32_e32 v[42:43], v11
.LBB221_2545:
	s_mov_b64 s[6:7], 0
.LBB221_2546:
	s_andn2_b64 vcc, exec, s[6:7]
	s_cbranch_vccnz .LBB221_2548
; %bb.2547:
	global_load_dword v11, v[6:7], off
	s_waitcnt vmcnt(0)
	v_cvt_f32_f16_e32 v11, v11
	v_cvt_f64_f32_e32 v[42:43], v11
.LBB221_2548:
	s_mov_b64 s[6:7], 0
.LBB221_2549:
	s_andn2_b64 vcc, exec, s[6:7]
	s_cbranch_vccnz .LBB221_2560
; %bb.2550:
	v_mov_b32_e32 v11, 6
	v_cmp_lt_i16_sdwa s[6:7], v72, v11 src0_sel:BYTE_0 src1_sel:DWORD
	s_and_b64 vcc, exec, s[6:7]
	s_cbranch_vccnz .LBB221_2553
; %bb.2551:
	v_cmp_gt_i16_sdwa s[6:7], v72, v11 src0_sel:BYTE_0 src1_sel:DWORD
	s_and_b64 vcc, exec, s[6:7]
	s_cbranch_vccz .LBB221_2554
; %bb.2552:
	global_load_dwordx2 v[42:43], v[6:7], off
	s_mov_b64 s[6:7], 0
	s_branch .LBB221_2555
.LBB221_2553:
	s_mov_b64 s[6:7], -1
                                        ; implicit-def: $vgpr42_vgpr43
	s_branch .LBB221_2558
.LBB221_2554:
	s_mov_b64 s[6:7], -1
                                        ; implicit-def: $vgpr42_vgpr43
.LBB221_2555:
	s_andn2_b64 vcc, exec, s[6:7]
	s_cbranch_vccnz .LBB221_2557
; %bb.2556:
	global_load_dword v11, v[6:7], off
	s_waitcnt vmcnt(0)
	v_cvt_f64_f32_e32 v[42:43], v11
.LBB221_2557:
	s_mov_b64 s[6:7], 0
.LBB221_2558:
	s_andn2_b64 vcc, exec, s[6:7]
	s_cbranch_vccnz .LBB221_2560
; %bb.2559:
	global_load_ushort v11, v[6:7], off
	s_waitcnt vmcnt(0)
	v_cvt_f32_f16_e32 v11, v11
	v_cvt_f64_f32_e32 v[42:43], v11
.LBB221_2560:
	s_mov_b64 s[6:7], 0
.LBB221_2561:
	s_andn2_b64 vcc, exec, s[6:7]
	s_cbranch_vccnz .LBB221_2581
; %bb.2562:
	v_mov_b32_e32 v11, 2
	v_cmp_lt_i16_sdwa s[6:7], v72, v11 src0_sel:BYTE_0 src1_sel:DWORD
	s_and_b64 vcc, exec, s[6:7]
	s_cbranch_vccnz .LBB221_2566
; %bb.2563:
	v_mov_b32_e32 v11, 3
	v_cmp_lt_i16_sdwa s[6:7], v72, v11 src0_sel:BYTE_0 src1_sel:DWORD
	s_and_b64 vcc, exec, s[6:7]
	s_cbranch_vccnz .LBB221_2567
; %bb.2564:
	v_cmp_gt_i16_sdwa s[6:7], v72, v11 src0_sel:BYTE_0 src1_sel:DWORD
	s_and_b64 vcc, exec, s[6:7]
	s_cbranch_vccz .LBB221_2568
; %bb.2565:
	global_load_dwordx2 v[12:13], v[6:7], off
	s_mov_b64 s[6:7], 0
	s_waitcnt vmcnt(0)
	v_cvt_f64_i32_e32 v[14:15], v13
	v_cvt_f64_u32_e32 v[12:13], v12
	v_ldexp_f64 v[14:15], v[14:15], 32
	v_add_f64 v[42:43], v[14:15], v[12:13]
	s_branch .LBB221_2569
.LBB221_2566:
	s_mov_b64 s[6:7], -1
                                        ; implicit-def: $vgpr42_vgpr43
	s_branch .LBB221_2575
.LBB221_2567:
	s_mov_b64 s[6:7], -1
                                        ; implicit-def: $vgpr42_vgpr43
	s_branch .LBB221_2572
.LBB221_2568:
	s_mov_b64 s[6:7], -1
                                        ; implicit-def: $vgpr42_vgpr43
.LBB221_2569:
	s_andn2_b64 vcc, exec, s[6:7]
	s_cbranch_vccnz .LBB221_2571
; %bb.2570:
	global_load_dword v11, v[6:7], off
	s_waitcnt vmcnt(0)
	v_cvt_f64_i32_e32 v[42:43], v11
.LBB221_2571:
	s_mov_b64 s[6:7], 0
.LBB221_2572:
	s_andn2_b64 vcc, exec, s[6:7]
	s_cbranch_vccnz .LBB221_2574
; %bb.2573:
	global_load_sshort v11, v[6:7], off
	s_waitcnt vmcnt(0)
	v_cvt_f64_i32_e32 v[42:43], v11
.LBB221_2574:
	s_mov_b64 s[6:7], 0
.LBB221_2575:
	s_andn2_b64 vcc, exec, s[6:7]
	s_cbranch_vccnz .LBB221_2581
; %bb.2576:
	v_mov_b32_e32 v11, 0
	v_cmp_gt_i16_sdwa s[6:7], v72, v11 src0_sel:BYTE_0 src1_sel:DWORD
	s_and_b64 vcc, exec, s[6:7]
	s_cbranch_vccz .LBB221_2578
; %bb.2577:
	global_load_sbyte v11, v[6:7], off
	s_mov_b64 s[6:7], 0
	s_waitcnt vmcnt(0)
	v_cvt_f64_i32_e32 v[42:43], v11
	s_branch .LBB221_2579
.LBB221_2578:
	s_mov_b64 s[6:7], -1
                                        ; implicit-def: $vgpr42_vgpr43
.LBB221_2579:
	s_andn2_b64 vcc, exec, s[6:7]
	s_cbranch_vccnz .LBB221_2581
; %bb.2580:
	global_load_ubyte v6, v[6:7], off
	s_waitcnt vmcnt(0)
	v_cvt_f64_u32_e32 v[42:43], v6
.LBB221_2581:
	s_mov_b64 s[10:11], -1
.LBB221_2582:
	s_andn2_b64 vcc, exec, s[10:11]
	s_cbranch_vccnz .LBB221_4080
; %bb.2583:
	s_lshl_b32 s19, s46, 7
	v_add_u32_e32 v9, s19, v9
	v_ashrrev_i32_e32 v7, 31, v9
	v_mov_b32_e32 v11, s41
	v_add_co_u32_e32 v6, vcc, s40, v9
	s_movk_i32 s6, 0xff
	v_addc_co_u32_e32 v7, vcc, v11, v7, vcc
	v_and_b32_sdwa v11, v41, s6 dst_sel:DWORD dst_unused:UNUSED_PAD src0_sel:WORD_1 src1_sel:DWORD
	v_cmp_gt_i16_e32 vcc, 11, v11
	s_cbranch_vccnz .LBB221_2590
; %bb.2584:
	v_cmp_lt_i16_e32 vcc, 25, v11
	s_mov_b64 s[8:9], 0
	s_cbranch_vccz .LBB221_2591
; %bb.2585:
	v_cmp_lt_i16_e32 vcc, 28, v11
	s_cbranch_vccz .LBB221_2592
; %bb.2586:
	v_cmp_lt_i16_e32 vcc, 43, v11
	;; [unrolled: 3-line block ×3, first 2 shown]
	s_cbranch_vccz .LBB221_2595
; %bb.2588:
	v_cmp_eq_u16_e32 vcc, 46, v11
	s_mov_b64 s[12:13], 0
	s_cbranch_vccz .LBB221_2596
; %bb.2589:
	global_load_dword v12, v[6:7], off
	s_mov_b64 s[6:7], 0
	s_mov_b64 s[10:11], -1
	s_waitcnt vmcnt(0)
	v_lshlrev_b32_e32 v12, 16, v12
	v_cvt_f64_f32_e32 v[44:45], v12
	s_branch .LBB221_2597
.LBB221_2590:
	s_mov_b64 s[6:7], -1
	s_mov_b64 s[10:11], 0
                                        ; implicit-def: $vgpr44_vgpr45
	s_branch .LBB221_2663
.LBB221_2591:
	s_mov_b64 s[12:13], -1
	s_mov_b64 s[10:11], 0
	s_mov_b64 s[6:7], 0
                                        ; implicit-def: $vgpr44_vgpr45
	s_branch .LBB221_2626
.LBB221_2592:
	s_mov_b64 s[12:13], -1
	s_mov_b64 s[10:11], 0
	s_mov_b64 s[6:7], 0
                                        ; implicit-def: $vgpr44_vgpr45
	s_branch .LBB221_2607
.LBB221_2593:
	s_mov_b64 s[12:13], -1
	s_mov_b64 s[10:11], 0
	s_mov_b64 s[6:7], 0
                                        ; implicit-def: $vgpr44_vgpr45
	s_branch .LBB221_2602
.LBB221_2594:
	s_trap 2
	s_or_b64 s[92:93], s[92:93], exec
                                        ; implicit-def: $vgpr42_vgpr43
	s_cbranch_execz .LBB221_2531
	s_branch .LBB221_2532
.LBB221_2595:
	s_mov_b64 s[12:13], -1
	s_mov_b64 s[10:11], 0
	s_mov_b64 s[6:7], 0
                                        ; implicit-def: $vgpr44_vgpr45
	s_branch .LBB221_2597
.LBB221_2596:
	s_mov_b64 s[6:7], -1
                                        ; implicit-def: $vgpr44_vgpr45
	s_mov_b64 s[10:11], 0
.LBB221_2597:
	s_and_b64 vcc, exec, s[12:13]
	s_cbranch_vccz .LBB221_2601
; %bb.2598:
	v_cmp_eq_u16_e32 vcc, 44, v11
	s_cbranch_vccz .LBB221_2600
; %bb.2599:
	global_load_ubyte v14, v[6:7], off
	s_movk_i32 s10, 0xff
	v_bfrev_b32_e32 v15, 4
	v_mov_b32_e32 v16, 0x7ff80000
	v_bfrev_b32_e32 v17, 28
	s_mov_b64 s[6:7], 0
	s_waitcnt vmcnt(0)
	v_lshlrev_b32_e32 v12, 23, v14
	v_cvt_f64_f32_e32 v[12:13], v12
	v_cmp_ne_u32_e32 vcc, s10, v14
	v_cndmask_b32_e32 v12, v15, v12, vcc
	v_cndmask_b32_e32 v13, v16, v13, vcc
	v_cmp_ne_u32_e32 vcc, 0, v14
	v_cndmask_b32_e32 v45, v17, v13, vcc
	v_cndmask_b32_e32 v44, 0, v12, vcc
	s_mov_b64 s[10:11], -1
	s_branch .LBB221_2601
.LBB221_2600:
	s_mov_b64 s[6:7], -1
                                        ; implicit-def: $vgpr44_vgpr45
.LBB221_2601:
	s_mov_b64 s[12:13], 0
.LBB221_2602:
	s_and_b64 vcc, exec, s[12:13]
	s_cbranch_vccz .LBB221_2606
; %bb.2603:
	v_cmp_eq_u16_e32 vcc, 29, v11
	s_cbranch_vccz .LBB221_2605
; %bb.2604:
	global_load_dwordx2 v[12:13], v[6:7], off
	s_mov_b64 s[6:7], 0
	s_mov_b64 s[10:11], -1
	s_mov_b64 s[12:13], 0
	s_waitcnt vmcnt(0)
	v_cvt_f64_u32_e32 v[14:15], v13
	v_cvt_f64_u32_e32 v[12:13], v12
	v_ldexp_f64 v[14:15], v[14:15], 32
	v_add_f64 v[44:45], v[14:15], v[12:13]
	s_branch .LBB221_2607
.LBB221_2605:
	s_mov_b64 s[6:7], -1
                                        ; implicit-def: $vgpr44_vgpr45
.LBB221_2606:
	s_mov_b64 s[12:13], 0
.LBB221_2607:
	s_and_b64 vcc, exec, s[12:13]
	s_cbranch_vccz .LBB221_2625
; %bb.2608:
	v_cmp_gt_i16_e32 vcc, 27, v11
	s_cbranch_vccnz .LBB221_2611
; %bb.2609:
	v_cmp_lt_i16_e32 vcc, 27, v11
	s_cbranch_vccz .LBB221_2612
; %bb.2610:
	global_load_dword v12, v[6:7], off
	s_mov_b64 s[10:11], 0
	s_waitcnt vmcnt(0)
	v_cvt_f64_u32_e32 v[44:45], v12
	s_branch .LBB221_2613
.LBB221_2611:
	s_mov_b64 s[10:11], -1
                                        ; implicit-def: $vgpr44_vgpr45
	s_branch .LBB221_2616
.LBB221_2612:
	s_mov_b64 s[10:11], -1
                                        ; implicit-def: $vgpr44_vgpr45
.LBB221_2613:
	s_andn2_b64 vcc, exec, s[10:11]
	s_cbranch_vccnz .LBB221_2615
; %bb.2614:
	global_load_ushort v12, v[6:7], off
	s_waitcnt vmcnt(0)
	v_cvt_f64_u32_e32 v[44:45], v12
.LBB221_2615:
	s_mov_b64 s[10:11], 0
.LBB221_2616:
	s_andn2_b64 vcc, exec, s[10:11]
	s_cbranch_vccnz .LBB221_2624
; %bb.2617:
	global_load_ubyte v12, v[6:7], off
	s_movk_i32 s10, 0x7f
                                        ; implicit-def: $sgpr12_sgpr13
	s_waitcnt vmcnt(0)
	v_cmp_lt_i16_e32 vcc, s10, v12
	s_mov_b64 s[10:11], 0
	s_and_saveexec_b64 s[14:15], vcc
	s_xor_b64 s[14:15], exec, s[14:15]
	s_cbranch_execz .LBB221_2638
; %bb.2618:
	s_movk_i32 s10, 0x80
	v_cmp_eq_u16_e32 vcc, s10, v12
	s_mov_b64 s[16:17], -1
                                        ; implicit-def: $sgpr12_sgpr13
	s_and_saveexec_b64 s[10:11], vcc
; %bb.2619:
	s_mov_b32 s13, 0x7ff80000
	s_brev_b32 s12, 4
	s_xor_b64 s[16:17], exec, -1
; %bb.2620:
	s_or_b64 exec, exec, s[10:11]
	s_and_b64 s[10:11], s[16:17], exec
	s_or_saveexec_b64 s[14:15], s[14:15]
	v_pk_mov_b32 v[44:45], s[12:13], s[12:13] op_sel:[0,1]
	s_xor_b64 exec, exec, s[14:15]
	s_cbranch_execnz .LBB221_2639
.LBB221_2621:
	s_or_b64 exec, exec, s[14:15]
	s_and_saveexec_b64 s[12:13], s[10:11]
	s_cbranch_execz .LBB221_2623
.LBB221_2622:
	v_lshlrev_b32_e32 v13, 24, v12
	v_and_b32_e32 v12, 0xffff, v12
	v_and_b32_e32 v14, 7, v12
	v_ffbh_u32_e32 v16, v14
	v_min_u32_e32 v16, 32, v16
	v_subrev_u32_e32 v17, 28, v16
	v_bfe_u32 v15, v12, 3, 4
	v_lshlrev_b32_e32 v12, v17, v12
	v_sub_u32_e32 v16, 29, v16
	v_and_b32_e32 v12, 7, v12
	v_cmp_eq_u32_e32 vcc, 0, v15
	v_cndmask_b32_e32 v15, v15, v16, vcc
	v_cndmask_b32_e32 v12, v14, v12, vcc
	v_mov_b32_e32 v14, 0x3b800000
	v_lshlrev_b32_e32 v12, 20, v12
	v_and_b32_e32 v13, 0x80000000, v13
	v_lshl_add_u32 v14, v15, 23, v14
	v_or3_b32 v12, v13, v14, v12
	v_cvt_f64_f32_e32 v[44:45], v12
.LBB221_2623:
	s_or_b64 exec, exec, s[12:13]
.LBB221_2624:
	s_mov_b64 s[10:11], -1
.LBB221_2625:
	s_mov_b64 s[12:13], 0
.LBB221_2626:
	s_and_b64 vcc, exec, s[12:13]
	s_cbranch_vccz .LBB221_2659
; %bb.2627:
	v_cmp_lt_i16_e32 vcc, 22, v11
	s_cbranch_vccz .LBB221_2637
; %bb.2628:
	v_cmp_gt_i16_e32 vcc, 24, v11
	s_cbranch_vccnz .LBB221_2640
; %bb.2629:
	v_cmp_lt_i16_e32 vcc, 24, v11
	s_cbranch_vccz .LBB221_2641
; %bb.2630:
	global_load_ubyte v12, v[6:7], off
	s_movk_i32 s8, 0x7f
                                        ; implicit-def: $sgpr10_sgpr11
	s_waitcnt vmcnt(0)
	v_cmp_lt_i16_e32 vcc, s8, v12
	s_mov_b64 s[8:9], 0
	s_and_saveexec_b64 s[12:13], vcc
	s_xor_b64 s[12:13], exec, s[12:13]
	s_cbranch_execz .LBB221_2653
; %bb.2631:
	s_movk_i32 s8, 0x80
	v_cmp_eq_u16_e32 vcc, s8, v12
	s_mov_b64 s[14:15], -1
                                        ; implicit-def: $sgpr10_sgpr11
	s_and_saveexec_b64 s[8:9], vcc
; %bb.2632:
	s_mov_b32 s11, 0x7ff80000
	s_brev_b32 s10, 4
	s_xor_b64 s[14:15], exec, -1
; %bb.2633:
	s_or_b64 exec, exec, s[8:9]
	s_and_b64 s[8:9], s[14:15], exec
	s_or_saveexec_b64 s[12:13], s[12:13]
	v_pk_mov_b32 v[44:45], s[10:11], s[10:11] op_sel:[0,1]
	s_xor_b64 exec, exec, s[12:13]
	s_cbranch_execnz .LBB221_2654
.LBB221_2634:
	s_or_b64 exec, exec, s[12:13]
	s_and_saveexec_b64 s[10:11], s[8:9]
	s_cbranch_execz .LBB221_2636
.LBB221_2635:
	v_lshlrev_b32_e32 v13, 24, v12
	v_and_b32_e32 v12, 0xffff, v12
	v_and_b32_e32 v14, 3, v12
	v_ffbh_u32_e32 v16, v14
	v_min_u32_e32 v16, 32, v16
	v_subrev_u32_e32 v17, 29, v16
	v_bfe_u32 v15, v12, 2, 5
	v_lshlrev_b32_e32 v12, v17, v12
	v_sub_u32_e32 v16, 30, v16
	v_and_b32_e32 v12, 3, v12
	v_cmp_eq_u32_e32 vcc, 0, v15
	v_cndmask_b32_e32 v15, v15, v16, vcc
	v_cndmask_b32_e32 v12, v14, v12, vcc
	v_mov_b32_e32 v14, 0x37800000
	v_lshlrev_b32_e32 v12, 21, v12
	v_and_b32_e32 v13, 0x80000000, v13
	v_lshl_add_u32 v14, v15, 23, v14
	v_or3_b32 v12, v13, v14, v12
	v_cvt_f64_f32_e32 v[44:45], v12
.LBB221_2636:
	s_or_b64 exec, exec, s[10:11]
	s_mov_b64 s[8:9], 0
	s_branch .LBB221_2642
.LBB221_2637:
	s_mov_b64 s[8:9], -1
                                        ; implicit-def: $vgpr44_vgpr45
	s_branch .LBB221_2648
.LBB221_2638:
	s_or_saveexec_b64 s[14:15], s[14:15]
	v_pk_mov_b32 v[44:45], s[12:13], s[12:13] op_sel:[0,1]
	s_xor_b64 exec, exec, s[14:15]
	s_cbranch_execz .LBB221_2621
.LBB221_2639:
	v_cmp_ne_u16_e32 vcc, 0, v12
	s_andn2_b64 s[10:11], s[10:11], exec
	s_and_b64 s[12:13], vcc, exec
	v_pk_mov_b32 v[44:45], 0, 0
	s_or_b64 s[10:11], s[10:11], s[12:13]
	s_or_b64 exec, exec, s[14:15]
	s_and_saveexec_b64 s[12:13], s[10:11]
	s_cbranch_execnz .LBB221_2622
	s_branch .LBB221_2623
.LBB221_2640:
	s_mov_b64 s[8:9], -1
                                        ; implicit-def: $vgpr44_vgpr45
	s_branch .LBB221_2645
.LBB221_2641:
	s_mov_b64 s[8:9], -1
                                        ; implicit-def: $vgpr44_vgpr45
.LBB221_2642:
	s_and_b64 vcc, exec, s[8:9]
	s_cbranch_vccz .LBB221_2644
; %bb.2643:
	global_load_ubyte v12, v[6:7], off
	s_mov_b32 s8, 0x7f800000
	s_waitcnt vmcnt(0)
	v_lshlrev_b32_e32 v12, 24, v12
	v_and_b32_e32 v13, 0x7f000000, v12
	v_ffbh_u32_e32 v14, v13
	v_min_u32_e32 v14, 32, v14
	v_sub_u32_e64 v14, v14, 4 clamp
	v_lshlrev_b32_e32 v16, v14, v13
	v_lshlrev_b32_e32 v14, 23, v14
	v_lshrrev_b32_e32 v16, 4, v16
	v_add_u32_e32 v15, 0x1000000, v13
	v_sub_u32_e32 v14, v16, v14
	v_ashrrev_i32_e32 v15, 8, v15
	v_add_u32_e32 v14, 0x3c000000, v14
	v_and_or_b32 v14, v15, s8, v14
	v_cmp_ne_u32_e32 vcc, 0, v13
	v_cndmask_b32_e32 v13, 0, v14, vcc
	s_brev_b32 s8, 1
	v_and_or_b32 v12, v12, s8, v13
	v_cvt_f64_f32_e32 v[44:45], v12
.LBB221_2644:
	s_mov_b64 s[8:9], 0
.LBB221_2645:
	s_andn2_b64 vcc, exec, s[8:9]
	s_cbranch_vccnz .LBB221_2647
; %bb.2646:
	global_load_ubyte v12, v[6:7], off
	s_movk_i32 s8, 0x7f00
	s_brev_b32 s9, 16
	s_waitcnt vmcnt(0)
	v_lshlrev_b16_e32 v13, 8, v12
	v_lshlrev_b32_e32 v12, 25, v12
	v_lshrrev_b32_e32 v14, 4, v12
	v_and_or_b32 v15, v13, s8, 0.5
	v_or_b32_e32 v14, 0x70000000, v14
	v_add_f32_e32 v15, -0.5, v15
	v_mul_f32_e32 v14, 0x7800000, v14
	v_cmp_gt_u32_e32 vcc, s9, v12
	v_bfe_i32 v13, v13, 0, 16
	v_cndmask_b32_e32 v12, v14, v15, vcc
	s_brev_b32 s8, 1
	v_and_or_b32 v12, v13, s8, v12
	v_cvt_f64_f32_e32 v[44:45], v12
.LBB221_2647:
	s_mov_b64 s[8:9], 0
	s_mov_b64 s[10:11], -1
.LBB221_2648:
	s_andn2_b64 vcc, exec, s[8:9]
	s_mov_b64 s[8:9], 0
	s_cbranch_vccnz .LBB221_2659
; %bb.2649:
	v_cmp_lt_i16_e32 vcc, 14, v11
	s_cbranch_vccz .LBB221_2652
; %bb.2650:
	v_cmp_eq_u16_e32 vcc, 15, v11
	s_cbranch_vccz .LBB221_2655
; %bb.2651:
	global_load_ushort v12, v[6:7], off
	s_mov_b64 s[6:7], 0
	s_mov_b64 s[10:11], -1
	s_waitcnt vmcnt(0)
	v_lshlrev_b32_e32 v12, 16, v12
	v_cvt_f64_f32_e32 v[44:45], v12
	s_branch .LBB221_2656
.LBB221_2652:
	s_mov_b64 s[12:13], -1
                                        ; implicit-def: $vgpr44_vgpr45
	s_branch .LBB221_2657
.LBB221_2653:
	s_or_saveexec_b64 s[12:13], s[12:13]
	v_pk_mov_b32 v[44:45], s[10:11], s[10:11] op_sel:[0,1]
	s_xor_b64 exec, exec, s[12:13]
	s_cbranch_execz .LBB221_2634
.LBB221_2654:
	v_cmp_ne_u16_e32 vcc, 0, v12
	s_andn2_b64 s[8:9], s[8:9], exec
	s_and_b64 s[10:11], vcc, exec
	v_pk_mov_b32 v[44:45], 0, 0
	s_or_b64 s[8:9], s[8:9], s[10:11]
	s_or_b64 exec, exec, s[12:13]
	s_and_saveexec_b64 s[10:11], s[8:9]
	s_cbranch_execnz .LBB221_2635
	s_branch .LBB221_2636
.LBB221_2655:
	s_mov_b64 s[6:7], -1
                                        ; implicit-def: $vgpr44_vgpr45
.LBB221_2656:
	s_mov_b64 s[12:13], 0
.LBB221_2657:
	s_and_b64 vcc, exec, s[12:13]
	s_cbranch_vccz .LBB221_2659
; %bb.2658:
	v_cmp_ne_u16_e64 s[6:7], 11, v11
	s_mov_b64 s[8:9], -1
                                        ; implicit-def: $vgpr44_vgpr45
.LBB221_2659:
	s_and_b64 vcc, exec, s[6:7]
	s_cbranch_vccnz .LBB221_2724
; %bb.2660:
	s_andn2_b64 vcc, exec, s[8:9]
	s_cbranch_vccnz .LBB221_2662
.LBB221_2661:
	global_load_ubyte v12, v[6:7], off
	v_mov_b32_e32 v13, 0x3ff00000
	v_mov_b32_e32 v44, 0
	s_mov_b64 s[10:11], -1
	s_waitcnt vmcnt(0)
	v_cmp_ne_u16_e32 vcc, 0, v12
	v_cndmask_b32_e32 v45, 0, v13, vcc
.LBB221_2662:
	s_mov_b64 s[6:7], 0
.LBB221_2663:
	s_and_b64 vcc, exec, s[6:7]
	s_cbranch_vccz .LBB221_2712
; %bb.2664:
	v_cmp_gt_i16_e32 vcc, 5, v11
	s_cbranch_vccnz .LBB221_2669
; %bb.2665:
	v_cmp_gt_i16_e32 vcc, 8, v11
	s_cbranch_vccnz .LBB221_2670
	;; [unrolled: 3-line block ×3, first 2 shown]
; %bb.2667:
	v_cmp_lt_i16_e32 vcc, 9, v11
	s_cbranch_vccz .LBB221_2672
; %bb.2668:
	global_load_dwordx2 v[44:45], v[6:7], off
	s_mov_b64 s[6:7], 0
	s_branch .LBB221_2673
.LBB221_2669:
	s_mov_b64 s[6:7], -1
                                        ; implicit-def: $vgpr44_vgpr45
	s_branch .LBB221_2691
.LBB221_2670:
	s_mov_b64 s[6:7], -1
                                        ; implicit-def: $vgpr44_vgpr45
	s_branch .LBB221_2679
.LBB221_2671:
	s_mov_b64 s[6:7], -1
                                        ; implicit-def: $vgpr44_vgpr45
	s_branch .LBB221_2676
.LBB221_2672:
	s_mov_b64 s[6:7], -1
                                        ; implicit-def: $vgpr44_vgpr45
.LBB221_2673:
	s_andn2_b64 vcc, exec, s[6:7]
	s_cbranch_vccnz .LBB221_2675
; %bb.2674:
	global_load_dword v12, v[6:7], off
	s_waitcnt vmcnt(0)
	v_cvt_f64_f32_e32 v[44:45], v12
.LBB221_2675:
	s_mov_b64 s[6:7], 0
.LBB221_2676:
	s_andn2_b64 vcc, exec, s[6:7]
	s_cbranch_vccnz .LBB221_2678
; %bb.2677:
	global_load_dword v12, v[6:7], off
	s_waitcnt vmcnt(0)
	v_cvt_f32_f16_e32 v12, v12
	v_cvt_f64_f32_e32 v[44:45], v12
.LBB221_2678:
	s_mov_b64 s[6:7], 0
.LBB221_2679:
	s_andn2_b64 vcc, exec, s[6:7]
	s_cbranch_vccnz .LBB221_2690
; %bb.2680:
	v_cmp_gt_i16_e32 vcc, 6, v11
	s_cbranch_vccnz .LBB221_2683
; %bb.2681:
	v_cmp_lt_i16_e32 vcc, 6, v11
	s_cbranch_vccz .LBB221_2684
; %bb.2682:
	global_load_dwordx2 v[44:45], v[6:7], off
	s_mov_b64 s[6:7], 0
	s_branch .LBB221_2685
.LBB221_2683:
	s_mov_b64 s[6:7], -1
                                        ; implicit-def: $vgpr44_vgpr45
	s_branch .LBB221_2688
.LBB221_2684:
	s_mov_b64 s[6:7], -1
                                        ; implicit-def: $vgpr44_vgpr45
.LBB221_2685:
	s_andn2_b64 vcc, exec, s[6:7]
	s_cbranch_vccnz .LBB221_2687
; %bb.2686:
	global_load_dword v12, v[6:7], off
	s_waitcnt vmcnt(0)
	v_cvt_f64_f32_e32 v[44:45], v12
.LBB221_2687:
	s_mov_b64 s[6:7], 0
.LBB221_2688:
	s_andn2_b64 vcc, exec, s[6:7]
	s_cbranch_vccnz .LBB221_2690
; %bb.2689:
	global_load_ushort v12, v[6:7], off
	s_waitcnt vmcnt(0)
	v_cvt_f32_f16_e32 v12, v12
	v_cvt_f64_f32_e32 v[44:45], v12
.LBB221_2690:
	s_mov_b64 s[6:7], 0
.LBB221_2691:
	s_andn2_b64 vcc, exec, s[6:7]
	s_cbranch_vccnz .LBB221_2711
; %bb.2692:
	v_cmp_gt_i16_e32 vcc, 2, v11
	s_cbranch_vccnz .LBB221_2696
; %bb.2693:
	v_cmp_gt_i16_e32 vcc, 3, v11
	s_cbranch_vccnz .LBB221_2697
; %bb.2694:
	v_cmp_lt_i16_e32 vcc, 3, v11
	s_cbranch_vccz .LBB221_2698
; %bb.2695:
	global_load_dwordx2 v[12:13], v[6:7], off
	s_mov_b64 s[6:7], 0
	s_waitcnt vmcnt(0)
	v_cvt_f64_i32_e32 v[14:15], v13
	v_cvt_f64_u32_e32 v[12:13], v12
	v_ldexp_f64 v[14:15], v[14:15], 32
	v_add_f64 v[44:45], v[14:15], v[12:13]
	s_branch .LBB221_2699
.LBB221_2696:
	s_mov_b64 s[6:7], -1
                                        ; implicit-def: $vgpr44_vgpr45
	s_branch .LBB221_2705
.LBB221_2697:
	s_mov_b64 s[6:7], -1
                                        ; implicit-def: $vgpr44_vgpr45
	s_branch .LBB221_2702
.LBB221_2698:
	s_mov_b64 s[6:7], -1
                                        ; implicit-def: $vgpr44_vgpr45
.LBB221_2699:
	s_andn2_b64 vcc, exec, s[6:7]
	s_cbranch_vccnz .LBB221_2701
; %bb.2700:
	global_load_dword v12, v[6:7], off
	s_waitcnt vmcnt(0)
	v_cvt_f64_i32_e32 v[44:45], v12
.LBB221_2701:
	s_mov_b64 s[6:7], 0
.LBB221_2702:
	s_andn2_b64 vcc, exec, s[6:7]
	s_cbranch_vccnz .LBB221_2704
; %bb.2703:
	global_load_sshort v12, v[6:7], off
	s_waitcnt vmcnt(0)
	v_cvt_f64_i32_e32 v[44:45], v12
.LBB221_2704:
	s_mov_b64 s[6:7], 0
.LBB221_2705:
	s_andn2_b64 vcc, exec, s[6:7]
	s_cbranch_vccnz .LBB221_2711
; %bb.2706:
	v_cmp_lt_i16_e32 vcc, 0, v11
	s_cbranch_vccz .LBB221_2708
; %bb.2707:
	global_load_sbyte v11, v[6:7], off
	s_mov_b64 s[6:7], 0
	s_waitcnt vmcnt(0)
	v_cvt_f64_i32_e32 v[44:45], v11
	s_branch .LBB221_2709
.LBB221_2708:
	s_mov_b64 s[6:7], -1
                                        ; implicit-def: $vgpr44_vgpr45
.LBB221_2709:
	s_andn2_b64 vcc, exec, s[6:7]
	s_cbranch_vccnz .LBB221_2711
; %bb.2710:
	global_load_ubyte v6, v[6:7], off
	s_waitcnt vmcnt(0)
	v_cvt_f64_u32_e32 v[44:45], v6
.LBB221_2711:
	s_mov_b64 s[10:11], -1
.LBB221_2712:
	s_andn2_b64 vcc, exec, s[10:11]
	s_cbranch_vccnz .LBB221_4080
; %bb.2713:
	s_lshl_b32 s20, s47, 7
	v_add_u32_e32 v8, s20, v8
	v_ashrrev_i32_e32 v7, 31, v8
	v_mov_b32_e32 v11, s43
	v_add_co_u32_e32 v6, vcc, s42, v8
	v_addc_co_u32_e32 v7, vcc, v11, v7, vcc
	s_and_b64 vcc, exec, s[4:5]
	s_cbranch_vccnz .LBB221_2720
; %bb.2714:
	v_cmp_lt_i16_e32 vcc, 25, v77
	s_mov_b64 s[8:9], 0
	s_cbranch_vccz .LBB221_2721
; %bb.2715:
	v_cmp_lt_i16_e32 vcc, 28, v77
	s_cbranch_vccz .LBB221_2722
; %bb.2716:
	v_cmp_lt_i16_e32 vcc, 43, v77
	;; [unrolled: 3-line block ×3, first 2 shown]
	s_cbranch_vccz .LBB221_2725
; %bb.2718:
	v_cmp_eq_u16_e32 vcc, 46, v77
	s_mov_b64 s[12:13], 0
	s_cbranch_vccz .LBB221_2728
; %bb.2719:
	global_load_dword v11, v[6:7], off
	s_mov_b64 s[6:7], 0
	s_mov_b64 s[10:11], -1
	s_waitcnt vmcnt(0)
	v_lshlrev_b32_e32 v11, 16, v11
	v_cvt_f64_f32_e32 v[46:47], v11
	s_branch .LBB221_2729
.LBB221_2720:
	s_mov_b64 s[6:7], -1
	s_mov_b64 s[10:11], 0
                                        ; implicit-def: $vgpr46_vgpr47
	s_branch .LBB221_2795
.LBB221_2721:
	s_mov_b64 s[12:13], -1
	s_mov_b64 s[10:11], 0
	s_mov_b64 s[6:7], 0
                                        ; implicit-def: $vgpr46_vgpr47
	s_branch .LBB221_2758
.LBB221_2722:
	s_mov_b64 s[12:13], -1
	s_mov_b64 s[10:11], 0
	s_mov_b64 s[6:7], 0
                                        ; implicit-def: $vgpr46_vgpr47
	s_branch .LBB221_2739
.LBB221_2723:
	s_mov_b64 s[12:13], -1
	s_mov_b64 s[10:11], 0
	s_mov_b64 s[6:7], 0
                                        ; implicit-def: $vgpr46_vgpr47
	s_branch .LBB221_2734
.LBB221_2724:
	s_trap 2
	s_or_b64 s[92:93], s[92:93], exec
                                        ; implicit-def: $vgpr44_vgpr45
	s_cbranch_execz .LBB221_2661
	s_branch .LBB221_2662
.LBB221_2725:
	s_mov_b64 s[12:13], -1
	s_mov_b64 s[10:11], 0
	s_mov_b64 s[6:7], 0
                                        ; implicit-def: $vgpr46_vgpr47
	s_branch .LBB221_2729
.LBB221_2726:
	s_or_saveexec_b64 s[10:11], s[10:11]
                                        ; implicit-def: $sgpr12
	s_xor_b64 exec, exec, s[10:11]
	s_cbranch_execz .LBB221_1469
.LBB221_2727:
	s_mov_b32 s12, 0x46000000
	v_add_f32_e64 v3, |v2|, s12
	v_and_b32_e32 v3, 0xff, v3
	v_cmp_ne_u32_e32 vcc, 0, v3
	s_andn2_b64 s[8:9], s[8:9], exec
	s_and_b64 s[14:15], vcc, exec
	s_mov_b32 s12, 0
	s_or_b64 s[8:9], s[8:9], s[14:15]
	s_or_b64 exec, exec, s[10:11]
	v_mov_b32_e32 v6, s12
	s_and_saveexec_b64 s[10:11], s[8:9]
	s_cbranch_execnz .LBB221_1470
	s_branch .LBB221_1471
.LBB221_2728:
	s_mov_b64 s[6:7], -1
                                        ; implicit-def: $vgpr46_vgpr47
	s_mov_b64 s[10:11], 0
.LBB221_2729:
	s_and_b64 vcc, exec, s[12:13]
	s_cbranch_vccz .LBB221_2733
; %bb.2730:
	v_cmp_eq_u16_e32 vcc, 44, v77
	s_cbranch_vccz .LBB221_2732
; %bb.2731:
	global_load_ubyte v11, v[6:7], off
	s_movk_i32 s10, 0xff
	v_bfrev_b32_e32 v14, 4
	v_mov_b32_e32 v15, 0x7ff80000
	v_bfrev_b32_e32 v16, 28
	s_mov_b64 s[6:7], 0
	s_waitcnt vmcnt(0)
	v_lshlrev_b32_e32 v12, 23, v11
	v_cvt_f64_f32_e32 v[12:13], v12
	v_cmp_ne_u32_e32 vcc, s10, v11
	v_cndmask_b32_e32 v12, v14, v12, vcc
	v_cndmask_b32_e32 v13, v15, v13, vcc
	v_cmp_ne_u32_e32 vcc, 0, v11
	v_cndmask_b32_e32 v47, v16, v13, vcc
	v_cndmask_b32_e32 v46, 0, v12, vcc
	s_mov_b64 s[10:11], -1
	s_branch .LBB221_2733
.LBB221_2732:
	s_mov_b64 s[6:7], -1
                                        ; implicit-def: $vgpr46_vgpr47
.LBB221_2733:
	s_mov_b64 s[12:13], 0
.LBB221_2734:
	s_and_b64 vcc, exec, s[12:13]
	s_cbranch_vccz .LBB221_2738
; %bb.2735:
	v_cmp_eq_u16_e32 vcc, 29, v77
	s_cbranch_vccz .LBB221_2737
; %bb.2736:
	global_load_dwordx2 v[12:13], v[6:7], off
	s_mov_b64 s[6:7], 0
	s_mov_b64 s[10:11], -1
	s_mov_b64 s[12:13], 0
	s_waitcnt vmcnt(0)
	v_cvt_f64_u32_e32 v[14:15], v13
	v_cvt_f64_u32_e32 v[12:13], v12
	v_ldexp_f64 v[14:15], v[14:15], 32
	v_add_f64 v[46:47], v[14:15], v[12:13]
	s_branch .LBB221_2739
.LBB221_2737:
	s_mov_b64 s[6:7], -1
                                        ; implicit-def: $vgpr46_vgpr47
.LBB221_2738:
	s_mov_b64 s[12:13], 0
.LBB221_2739:
	s_and_b64 vcc, exec, s[12:13]
	s_cbranch_vccz .LBB221_2757
; %bb.2740:
	v_cmp_gt_i16_e32 vcc, 27, v77
	s_cbranch_vccnz .LBB221_2743
; %bb.2741:
	v_cmp_lt_i16_e32 vcc, 27, v77
	s_cbranch_vccz .LBB221_2744
; %bb.2742:
	global_load_dword v11, v[6:7], off
	s_mov_b64 s[10:11], 0
	s_waitcnt vmcnt(0)
	v_cvt_f64_u32_e32 v[46:47], v11
	s_branch .LBB221_2745
.LBB221_2743:
	s_mov_b64 s[10:11], -1
                                        ; implicit-def: $vgpr46_vgpr47
	s_branch .LBB221_2748
.LBB221_2744:
	s_mov_b64 s[10:11], -1
                                        ; implicit-def: $vgpr46_vgpr47
.LBB221_2745:
	s_andn2_b64 vcc, exec, s[10:11]
	s_cbranch_vccnz .LBB221_2747
; %bb.2746:
	global_load_ushort v11, v[6:7], off
	s_waitcnt vmcnt(0)
	v_cvt_f64_u32_e32 v[46:47], v11
.LBB221_2747:
	s_mov_b64 s[10:11], 0
.LBB221_2748:
	s_andn2_b64 vcc, exec, s[10:11]
	s_cbranch_vccnz .LBB221_2756
; %bb.2749:
	global_load_ubyte v11, v[6:7], off
	s_movk_i32 s10, 0x7f
                                        ; implicit-def: $sgpr12_sgpr13
	s_waitcnt vmcnt(0)
	v_cmp_lt_i16_e32 vcc, s10, v11
	s_mov_b64 s[10:11], 0
	s_and_saveexec_b64 s[14:15], vcc
	s_xor_b64 s[14:15], exec, s[14:15]
	s_cbranch_execz .LBB221_2770
; %bb.2750:
	s_movk_i32 s10, 0x80
	v_cmp_eq_u16_e32 vcc, s10, v11
	s_mov_b64 s[16:17], -1
                                        ; implicit-def: $sgpr12_sgpr13
	s_and_saveexec_b64 s[10:11], vcc
; %bb.2751:
	s_mov_b32 s13, 0x7ff80000
	s_brev_b32 s12, 4
	s_xor_b64 s[16:17], exec, -1
; %bb.2752:
	s_or_b64 exec, exec, s[10:11]
	s_and_b64 s[10:11], s[16:17], exec
	s_or_saveexec_b64 s[14:15], s[14:15]
	v_pk_mov_b32 v[46:47], s[12:13], s[12:13] op_sel:[0,1]
	s_xor_b64 exec, exec, s[14:15]
	s_cbranch_execnz .LBB221_2771
.LBB221_2753:
	s_or_b64 exec, exec, s[14:15]
	s_and_saveexec_b64 s[12:13], s[10:11]
	s_cbranch_execz .LBB221_2755
.LBB221_2754:
	v_lshlrev_b32_e32 v12, 24, v11
	v_and_b32_e32 v11, 0xffff, v11
	v_and_b32_e32 v13, 7, v11
	v_ffbh_u32_e32 v15, v13
	v_min_u32_e32 v15, 32, v15
	v_subrev_u32_e32 v16, 28, v15
	v_bfe_u32 v14, v11, 3, 4
	v_lshlrev_b32_e32 v11, v16, v11
	v_sub_u32_e32 v15, 29, v15
	v_and_b32_e32 v11, 7, v11
	v_cmp_eq_u32_e32 vcc, 0, v14
	v_cndmask_b32_e32 v14, v14, v15, vcc
	v_cndmask_b32_e32 v11, v13, v11, vcc
	v_mov_b32_e32 v13, 0x3b800000
	v_lshlrev_b32_e32 v11, 20, v11
	v_and_b32_e32 v12, 0x80000000, v12
	v_lshl_add_u32 v13, v14, 23, v13
	v_or3_b32 v11, v12, v13, v11
	v_cvt_f64_f32_e32 v[46:47], v11
.LBB221_2755:
	s_or_b64 exec, exec, s[12:13]
.LBB221_2756:
	s_mov_b64 s[10:11], -1
.LBB221_2757:
	s_mov_b64 s[12:13], 0
.LBB221_2758:
	s_and_b64 vcc, exec, s[12:13]
	s_cbranch_vccz .LBB221_2791
; %bb.2759:
	v_cmp_lt_i16_e32 vcc, 22, v77
	s_cbranch_vccz .LBB221_2769
; %bb.2760:
	v_cmp_gt_i16_e32 vcc, 24, v77
	s_cbranch_vccnz .LBB221_2772
; %bb.2761:
	v_cmp_lt_i16_e32 vcc, 24, v77
	s_cbranch_vccz .LBB221_2773
; %bb.2762:
	global_load_ubyte v11, v[6:7], off
	s_movk_i32 s8, 0x7f
                                        ; implicit-def: $sgpr10_sgpr11
	s_waitcnt vmcnt(0)
	v_cmp_lt_i16_e32 vcc, s8, v11
	s_mov_b64 s[8:9], 0
	s_and_saveexec_b64 s[12:13], vcc
	s_xor_b64 s[12:13], exec, s[12:13]
	s_cbranch_execz .LBB221_2785
; %bb.2763:
	s_movk_i32 s8, 0x80
	v_cmp_eq_u16_e32 vcc, s8, v11
	s_mov_b64 s[14:15], -1
                                        ; implicit-def: $sgpr10_sgpr11
	s_and_saveexec_b64 s[8:9], vcc
; %bb.2764:
	s_mov_b32 s11, 0x7ff80000
	s_brev_b32 s10, 4
	s_xor_b64 s[14:15], exec, -1
; %bb.2765:
	s_or_b64 exec, exec, s[8:9]
	s_and_b64 s[8:9], s[14:15], exec
	s_or_saveexec_b64 s[12:13], s[12:13]
	v_pk_mov_b32 v[46:47], s[10:11], s[10:11] op_sel:[0,1]
	s_xor_b64 exec, exec, s[12:13]
	s_cbranch_execnz .LBB221_2786
.LBB221_2766:
	s_or_b64 exec, exec, s[12:13]
	s_and_saveexec_b64 s[10:11], s[8:9]
	s_cbranch_execz .LBB221_2768
.LBB221_2767:
	v_lshlrev_b32_e32 v12, 24, v11
	v_and_b32_e32 v11, 0xffff, v11
	v_and_b32_e32 v13, 3, v11
	v_ffbh_u32_e32 v15, v13
	v_min_u32_e32 v15, 32, v15
	v_subrev_u32_e32 v16, 29, v15
	v_bfe_u32 v14, v11, 2, 5
	v_lshlrev_b32_e32 v11, v16, v11
	v_sub_u32_e32 v15, 30, v15
	v_and_b32_e32 v11, 3, v11
	v_cmp_eq_u32_e32 vcc, 0, v14
	v_cndmask_b32_e32 v14, v14, v15, vcc
	v_cndmask_b32_e32 v11, v13, v11, vcc
	v_mov_b32_e32 v13, 0x37800000
	v_lshlrev_b32_e32 v11, 21, v11
	v_and_b32_e32 v12, 0x80000000, v12
	v_lshl_add_u32 v13, v14, 23, v13
	v_or3_b32 v11, v12, v13, v11
	v_cvt_f64_f32_e32 v[46:47], v11
.LBB221_2768:
	s_or_b64 exec, exec, s[10:11]
	s_mov_b64 s[8:9], 0
	s_branch .LBB221_2774
.LBB221_2769:
	s_mov_b64 s[8:9], -1
                                        ; implicit-def: $vgpr46_vgpr47
	s_branch .LBB221_2780
.LBB221_2770:
	s_or_saveexec_b64 s[14:15], s[14:15]
	v_pk_mov_b32 v[46:47], s[12:13], s[12:13] op_sel:[0,1]
	s_xor_b64 exec, exec, s[14:15]
	s_cbranch_execz .LBB221_2753
.LBB221_2771:
	v_cmp_ne_u16_e32 vcc, 0, v11
	s_andn2_b64 s[10:11], s[10:11], exec
	s_and_b64 s[12:13], vcc, exec
	v_pk_mov_b32 v[46:47], 0, 0
	s_or_b64 s[10:11], s[10:11], s[12:13]
	s_or_b64 exec, exec, s[14:15]
	s_and_saveexec_b64 s[12:13], s[10:11]
	s_cbranch_execnz .LBB221_2754
	s_branch .LBB221_2755
.LBB221_2772:
	s_mov_b64 s[8:9], -1
                                        ; implicit-def: $vgpr46_vgpr47
	s_branch .LBB221_2777
.LBB221_2773:
	s_mov_b64 s[8:9], -1
                                        ; implicit-def: $vgpr46_vgpr47
.LBB221_2774:
	s_and_b64 vcc, exec, s[8:9]
	s_cbranch_vccz .LBB221_2776
; %bb.2775:
	global_load_ubyte v11, v[6:7], off
	s_mov_b32 s8, 0x7f800000
	s_waitcnt vmcnt(0)
	v_lshlrev_b32_e32 v11, 24, v11
	v_and_b32_e32 v12, 0x7f000000, v11
	v_ffbh_u32_e32 v13, v12
	v_min_u32_e32 v13, 32, v13
	v_sub_u32_e64 v13, v13, 4 clamp
	v_lshlrev_b32_e32 v15, v13, v12
	v_lshlrev_b32_e32 v13, 23, v13
	v_lshrrev_b32_e32 v15, 4, v15
	v_add_u32_e32 v14, 0x1000000, v12
	v_sub_u32_e32 v13, v15, v13
	v_ashrrev_i32_e32 v14, 8, v14
	v_add_u32_e32 v13, 0x3c000000, v13
	v_and_or_b32 v13, v14, s8, v13
	v_cmp_ne_u32_e32 vcc, 0, v12
	v_cndmask_b32_e32 v12, 0, v13, vcc
	s_brev_b32 s8, 1
	v_and_or_b32 v11, v11, s8, v12
	v_cvt_f64_f32_e32 v[46:47], v11
.LBB221_2776:
	s_mov_b64 s[8:9], 0
.LBB221_2777:
	s_andn2_b64 vcc, exec, s[8:9]
	s_cbranch_vccnz .LBB221_2779
; %bb.2778:
	global_load_ubyte v11, v[6:7], off
	s_movk_i32 s8, 0x7f00
	s_brev_b32 s9, 16
	s_waitcnt vmcnt(0)
	v_lshlrev_b16_e32 v12, 8, v11
	v_lshlrev_b32_e32 v11, 25, v11
	v_lshrrev_b32_e32 v13, 4, v11
	v_and_or_b32 v14, v12, s8, 0.5
	v_or_b32_e32 v13, 0x70000000, v13
	v_add_f32_e32 v14, -0.5, v14
	v_mul_f32_e32 v13, 0x7800000, v13
	v_cmp_gt_u32_e32 vcc, s9, v11
	v_bfe_i32 v12, v12, 0, 16
	v_cndmask_b32_e32 v11, v13, v14, vcc
	s_brev_b32 s8, 1
	v_and_or_b32 v11, v12, s8, v11
	v_cvt_f64_f32_e32 v[46:47], v11
.LBB221_2779:
	s_mov_b64 s[8:9], 0
	s_mov_b64 s[10:11], -1
.LBB221_2780:
	s_andn2_b64 vcc, exec, s[8:9]
	s_mov_b64 s[8:9], 0
	s_cbranch_vccnz .LBB221_2791
; %bb.2781:
	v_cmp_lt_i16_e32 vcc, 14, v77
	s_cbranch_vccz .LBB221_2784
; %bb.2782:
	v_cmp_eq_u16_e32 vcc, 15, v77
	s_cbranch_vccz .LBB221_2787
; %bb.2783:
	global_load_ushort v11, v[6:7], off
	s_mov_b64 s[6:7], 0
	s_mov_b64 s[10:11], -1
	s_waitcnt vmcnt(0)
	v_lshlrev_b32_e32 v11, 16, v11
	v_cvt_f64_f32_e32 v[46:47], v11
	s_branch .LBB221_2788
.LBB221_2784:
	s_mov_b64 s[12:13], -1
                                        ; implicit-def: $vgpr46_vgpr47
	s_branch .LBB221_2789
.LBB221_2785:
	s_or_saveexec_b64 s[12:13], s[12:13]
	v_pk_mov_b32 v[46:47], s[10:11], s[10:11] op_sel:[0,1]
	s_xor_b64 exec, exec, s[12:13]
	s_cbranch_execz .LBB221_2766
.LBB221_2786:
	v_cmp_ne_u16_e32 vcc, 0, v11
	s_andn2_b64 s[8:9], s[8:9], exec
	s_and_b64 s[10:11], vcc, exec
	v_pk_mov_b32 v[46:47], 0, 0
	s_or_b64 s[8:9], s[8:9], s[10:11]
	s_or_b64 exec, exec, s[12:13]
	s_and_saveexec_b64 s[10:11], s[8:9]
	s_cbranch_execnz .LBB221_2767
	s_branch .LBB221_2768
.LBB221_2787:
	s_mov_b64 s[6:7], -1
                                        ; implicit-def: $vgpr46_vgpr47
.LBB221_2788:
	s_mov_b64 s[12:13], 0
.LBB221_2789:
	s_and_b64 vcc, exec, s[12:13]
	s_cbranch_vccz .LBB221_2791
; %bb.2790:
	v_cmp_ne_u16_e64 s[6:7], 11, v77
	s_mov_b64 s[8:9], -1
                                        ; implicit-def: $vgpr46_vgpr47
.LBB221_2791:
	s_and_b64 vcc, exec, s[6:7]
	s_cbranch_vccnz .LBB221_2856
; %bb.2792:
	s_andn2_b64 vcc, exec, s[8:9]
	s_cbranch_vccnz .LBB221_2794
.LBB221_2793:
	global_load_ubyte v11, v[6:7], off
	v_mov_b32_e32 v12, 0x3ff00000
	v_mov_b32_e32 v46, 0
	s_mov_b64 s[10:11], -1
	s_waitcnt vmcnt(0)
	v_cmp_ne_u16_e32 vcc, 0, v11
	v_cndmask_b32_e32 v47, 0, v12, vcc
.LBB221_2794:
	s_mov_b64 s[6:7], 0
.LBB221_2795:
	s_and_b64 vcc, exec, s[6:7]
	s_cbranch_vccz .LBB221_2844
; %bb.2796:
	v_cmp_gt_i16_e32 vcc, 5, v77
	s_cbranch_vccnz .LBB221_2801
; %bb.2797:
	v_cmp_gt_i16_e32 vcc, 8, v77
	s_cbranch_vccnz .LBB221_2802
	;; [unrolled: 3-line block ×3, first 2 shown]
; %bb.2799:
	v_cmp_lt_i16_e32 vcc, 9, v77
	s_cbranch_vccz .LBB221_2804
; %bb.2800:
	global_load_dwordx2 v[46:47], v[6:7], off
	s_mov_b64 s[6:7], 0
	s_branch .LBB221_2805
.LBB221_2801:
	s_mov_b64 s[6:7], -1
                                        ; implicit-def: $vgpr46_vgpr47
	s_branch .LBB221_2823
.LBB221_2802:
	s_mov_b64 s[6:7], -1
                                        ; implicit-def: $vgpr46_vgpr47
	s_branch .LBB221_2811
.LBB221_2803:
	s_mov_b64 s[6:7], -1
                                        ; implicit-def: $vgpr46_vgpr47
	s_branch .LBB221_2808
.LBB221_2804:
	s_mov_b64 s[6:7], -1
                                        ; implicit-def: $vgpr46_vgpr47
.LBB221_2805:
	s_andn2_b64 vcc, exec, s[6:7]
	s_cbranch_vccnz .LBB221_2807
; %bb.2806:
	global_load_dword v11, v[6:7], off
	s_waitcnt vmcnt(0)
	v_cvt_f64_f32_e32 v[46:47], v11
.LBB221_2807:
	s_mov_b64 s[6:7], 0
.LBB221_2808:
	s_andn2_b64 vcc, exec, s[6:7]
	s_cbranch_vccnz .LBB221_2810
; %bb.2809:
	global_load_dword v11, v[6:7], off
	s_waitcnt vmcnt(0)
	v_cvt_f32_f16_e32 v11, v11
	v_cvt_f64_f32_e32 v[46:47], v11
.LBB221_2810:
	s_mov_b64 s[6:7], 0
.LBB221_2811:
	s_andn2_b64 vcc, exec, s[6:7]
	s_cbranch_vccnz .LBB221_2822
; %bb.2812:
	v_cmp_gt_i16_e32 vcc, 6, v77
	s_cbranch_vccnz .LBB221_2815
; %bb.2813:
	v_cmp_lt_i16_e32 vcc, 6, v77
	s_cbranch_vccz .LBB221_2816
; %bb.2814:
	global_load_dwordx2 v[46:47], v[6:7], off
	s_mov_b64 s[6:7], 0
	s_branch .LBB221_2817
.LBB221_2815:
	s_mov_b64 s[6:7], -1
                                        ; implicit-def: $vgpr46_vgpr47
	s_branch .LBB221_2820
.LBB221_2816:
	s_mov_b64 s[6:7], -1
                                        ; implicit-def: $vgpr46_vgpr47
.LBB221_2817:
	s_andn2_b64 vcc, exec, s[6:7]
	s_cbranch_vccnz .LBB221_2819
; %bb.2818:
	global_load_dword v11, v[6:7], off
	s_waitcnt vmcnt(0)
	v_cvt_f64_f32_e32 v[46:47], v11
.LBB221_2819:
	s_mov_b64 s[6:7], 0
.LBB221_2820:
	s_andn2_b64 vcc, exec, s[6:7]
	s_cbranch_vccnz .LBB221_2822
; %bb.2821:
	global_load_ushort v11, v[6:7], off
	s_waitcnt vmcnt(0)
	v_cvt_f32_f16_e32 v11, v11
	v_cvt_f64_f32_e32 v[46:47], v11
.LBB221_2822:
	s_mov_b64 s[6:7], 0
.LBB221_2823:
	s_andn2_b64 vcc, exec, s[6:7]
	s_cbranch_vccnz .LBB221_2843
; %bb.2824:
	v_cmp_gt_i16_e32 vcc, 2, v77
	s_cbranch_vccnz .LBB221_2828
; %bb.2825:
	v_cmp_gt_i16_e32 vcc, 3, v77
	s_cbranch_vccnz .LBB221_2829
; %bb.2826:
	v_cmp_lt_i16_e32 vcc, 3, v77
	s_cbranch_vccz .LBB221_2830
; %bb.2827:
	global_load_dwordx2 v[12:13], v[6:7], off
	s_mov_b64 s[6:7], 0
	s_waitcnt vmcnt(0)
	v_cvt_f64_i32_e32 v[14:15], v13
	v_cvt_f64_u32_e32 v[12:13], v12
	v_ldexp_f64 v[14:15], v[14:15], 32
	v_add_f64 v[46:47], v[14:15], v[12:13]
	s_branch .LBB221_2831
.LBB221_2828:
	s_mov_b64 s[6:7], -1
                                        ; implicit-def: $vgpr46_vgpr47
	s_branch .LBB221_2837
.LBB221_2829:
	s_mov_b64 s[6:7], -1
                                        ; implicit-def: $vgpr46_vgpr47
	s_branch .LBB221_2834
.LBB221_2830:
	s_mov_b64 s[6:7], -1
                                        ; implicit-def: $vgpr46_vgpr47
.LBB221_2831:
	s_andn2_b64 vcc, exec, s[6:7]
	s_cbranch_vccnz .LBB221_2833
; %bb.2832:
	global_load_dword v11, v[6:7], off
	s_waitcnt vmcnt(0)
	v_cvt_f64_i32_e32 v[46:47], v11
.LBB221_2833:
	s_mov_b64 s[6:7], 0
.LBB221_2834:
	s_andn2_b64 vcc, exec, s[6:7]
	s_cbranch_vccnz .LBB221_2836
; %bb.2835:
	global_load_sshort v11, v[6:7], off
	s_waitcnt vmcnt(0)
	v_cvt_f64_i32_e32 v[46:47], v11
.LBB221_2836:
	s_mov_b64 s[6:7], 0
.LBB221_2837:
	s_andn2_b64 vcc, exec, s[6:7]
	s_cbranch_vccnz .LBB221_2843
; %bb.2838:
	v_cmp_lt_i16_e32 vcc, 0, v77
	s_cbranch_vccz .LBB221_2840
; %bb.2839:
	global_load_sbyte v11, v[6:7], off
	s_mov_b64 s[6:7], 0
	s_waitcnt vmcnt(0)
	v_cvt_f64_i32_e32 v[46:47], v11
	s_branch .LBB221_2841
.LBB221_2840:
	s_mov_b64 s[6:7], -1
                                        ; implicit-def: $vgpr46_vgpr47
.LBB221_2841:
	s_andn2_b64 vcc, exec, s[6:7]
	s_cbranch_vccnz .LBB221_2843
; %bb.2842:
	global_load_ubyte v6, v[6:7], off
	s_waitcnt vmcnt(0)
	v_cvt_f64_u32_e32 v[46:47], v6
.LBB221_2843:
	s_mov_b64 s[10:11], -1
.LBB221_2844:
	s_andn2_b64 vcc, exec, s[10:11]
	s_cbranch_vccnz .LBB221_4080
; %bb.2845:
	v_add_u32_e32 v10, s18, v10
	v_ashrrev_i32_e32 v7, 31, v10
	v_mov_b32_e32 v11, s39
	v_add_co_u32_e32 v6, vcc, s38, v10
	v_addc_co_u32_e32 v7, vcc, v11, v7, vcc
	v_mov_b32_e32 v11, 11
	v_cmp_lt_i16_sdwa s[6:7], v72, v11 src0_sel:BYTE_0 src1_sel:DWORD
	s_and_b64 vcc, exec, s[6:7]
	s_cbranch_vccnz .LBB221_2852
; %bb.2846:
	v_mov_b32_e32 v11, 25
	v_cmp_gt_i16_sdwa s[6:7], v72, v11 src0_sel:BYTE_0 src1_sel:DWORD
	s_mov_b64 s[8:9], 0
	s_and_b64 vcc, exec, s[6:7]
	s_cbranch_vccz .LBB221_2853
; %bb.2847:
	v_mov_b32_e32 v11, 28
	v_cmp_gt_i16_sdwa s[6:7], v72, v11 src0_sel:BYTE_0 src1_sel:DWORD
	s_and_b64 vcc, exec, s[6:7]
	s_cbranch_vccz .LBB221_2854
; %bb.2848:
	v_mov_b32_e32 v11, 43
	v_cmp_gt_i16_sdwa s[6:7], v72, v11 src0_sel:BYTE_0 src1_sel:DWORD
	;; [unrolled: 5-line block ×3, first 2 shown]
	s_and_b64 vcc, exec, s[6:7]
	s_cbranch_vccz .LBB221_2857
; %bb.2850:
	v_mov_b32_e32 v11, 46
	v_cmp_eq_u16_sdwa s[6:7], v72, v11 src0_sel:BYTE_0 src1_sel:DWORD
	s_mov_b64 s[12:13], 0
	s_and_b64 vcc, exec, s[6:7]
	s_cbranch_vccz .LBB221_2860
; %bb.2851:
	global_load_dword v11, v[6:7], off
	s_mov_b64 s[6:7], 0
	s_mov_b64 s[10:11], -1
	s_waitcnt vmcnt(0)
	v_lshlrev_b32_e32 v11, 16, v11
	v_cvt_f64_f32_e32 v[56:57], v11
	s_branch .LBB221_2861
.LBB221_2852:
	s_mov_b64 s[6:7], -1
	s_mov_b64 s[10:11], 0
                                        ; implicit-def: $vgpr56_vgpr57
	s_branch .LBB221_2927
.LBB221_2853:
	s_mov_b64 s[12:13], -1
	s_mov_b64 s[10:11], 0
	s_mov_b64 s[6:7], 0
                                        ; implicit-def: $vgpr56_vgpr57
	s_branch .LBB221_2890
.LBB221_2854:
	s_mov_b64 s[12:13], -1
	s_mov_b64 s[10:11], 0
	s_mov_b64 s[6:7], 0
                                        ; implicit-def: $vgpr56_vgpr57
	s_branch .LBB221_2871
.LBB221_2855:
	s_mov_b64 s[12:13], -1
	s_mov_b64 s[10:11], 0
	s_mov_b64 s[6:7], 0
                                        ; implicit-def: $vgpr56_vgpr57
	s_branch .LBB221_2866
.LBB221_2856:
	s_trap 2
	s_or_b64 s[92:93], s[92:93], exec
                                        ; implicit-def: $vgpr46_vgpr47
	s_cbranch_execz .LBB221_2793
	s_branch .LBB221_2794
.LBB221_2857:
	s_mov_b64 s[12:13], -1
	s_mov_b64 s[10:11], 0
	s_mov_b64 s[6:7], 0
                                        ; implicit-def: $vgpr56_vgpr57
	s_branch .LBB221_2861
.LBB221_2858:
	s_or_saveexec_b64 s[10:11], s[10:11]
                                        ; implicit-def: $sgpr12
	s_xor_b64 exec, exec, s[10:11]
	s_cbranch_execz .LBB221_1482
.LBB221_2859:
	s_mov_b32 s12, 0x42800000
	v_add_f32_e64 v3, |v2|, s12
	v_and_b32_e32 v3, 0xff, v3
	v_cmp_ne_u32_e32 vcc, 0, v3
	s_andn2_b64 s[8:9], s[8:9], exec
	s_and_b64 s[14:15], vcc, exec
	s_mov_b32 s12, 0
	s_or_b64 s[8:9], s[8:9], s[14:15]
	s_or_b64 exec, exec, s[10:11]
	v_mov_b32_e32 v6, s12
	s_and_saveexec_b64 s[10:11], s[8:9]
	s_cbranch_execnz .LBB221_1483
	s_branch .LBB221_1484
.LBB221_2860:
	s_mov_b64 s[6:7], -1
                                        ; implicit-def: $vgpr56_vgpr57
	s_mov_b64 s[10:11], 0
.LBB221_2861:
	s_and_b64 vcc, exec, s[12:13]
	s_cbranch_vccz .LBB221_2865
; %bb.2862:
	v_mov_b32_e32 v11, 44
	v_cmp_eq_u16_sdwa s[6:7], v72, v11 src0_sel:BYTE_0 src1_sel:DWORD
	s_and_b64 vcc, exec, s[6:7]
	s_cbranch_vccz .LBB221_2864
; %bb.2863:
	global_load_ubyte v11, v[6:7], off
	s_movk_i32 s10, 0xff
	v_bfrev_b32_e32 v14, 4
	v_mov_b32_e32 v15, 0x7ff80000
	v_bfrev_b32_e32 v16, 28
	s_mov_b64 s[6:7], 0
	s_waitcnt vmcnt(0)
	v_lshlrev_b32_e32 v12, 23, v11
	v_cvt_f64_f32_e32 v[12:13], v12
	v_cmp_ne_u32_e32 vcc, s10, v11
	v_cndmask_b32_e32 v12, v14, v12, vcc
	v_cndmask_b32_e32 v13, v15, v13, vcc
	v_cmp_ne_u32_e32 vcc, 0, v11
	v_cndmask_b32_e32 v57, v16, v13, vcc
	v_cndmask_b32_e32 v56, 0, v12, vcc
	s_mov_b64 s[10:11], -1
	s_branch .LBB221_2865
.LBB221_2864:
	s_mov_b64 s[6:7], -1
                                        ; implicit-def: $vgpr56_vgpr57
.LBB221_2865:
	s_mov_b64 s[12:13], 0
.LBB221_2866:
	s_and_b64 vcc, exec, s[12:13]
	s_cbranch_vccz .LBB221_2870
; %bb.2867:
	v_mov_b32_e32 v11, 29
	v_cmp_eq_u16_sdwa s[6:7], v72, v11 src0_sel:BYTE_0 src1_sel:DWORD
	s_and_b64 vcc, exec, s[6:7]
	s_cbranch_vccz .LBB221_2869
; %bb.2868:
	global_load_dwordx2 v[12:13], v[6:7], off
	s_mov_b64 s[6:7], 0
	s_mov_b64 s[10:11], -1
	s_mov_b64 s[12:13], 0
	s_waitcnt vmcnt(0)
	v_cvt_f64_u32_e32 v[14:15], v13
	v_cvt_f64_u32_e32 v[12:13], v12
	v_ldexp_f64 v[14:15], v[14:15], 32
	v_add_f64 v[56:57], v[14:15], v[12:13]
	s_branch .LBB221_2871
.LBB221_2869:
	s_mov_b64 s[6:7], -1
                                        ; implicit-def: $vgpr56_vgpr57
.LBB221_2870:
	s_mov_b64 s[12:13], 0
.LBB221_2871:
	s_and_b64 vcc, exec, s[12:13]
	s_cbranch_vccz .LBB221_2889
; %bb.2872:
	v_mov_b32_e32 v11, 27
	v_cmp_lt_i16_sdwa s[10:11], v72, v11 src0_sel:BYTE_0 src1_sel:DWORD
	s_and_b64 vcc, exec, s[10:11]
	s_cbranch_vccnz .LBB221_2875
; %bb.2873:
	v_cmp_gt_i16_sdwa s[10:11], v72, v11 src0_sel:BYTE_0 src1_sel:DWORD
	s_and_b64 vcc, exec, s[10:11]
	s_cbranch_vccz .LBB221_2876
; %bb.2874:
	global_load_dword v11, v[6:7], off
	s_mov_b64 s[10:11], 0
	s_waitcnt vmcnt(0)
	v_cvt_f64_u32_e32 v[56:57], v11
	s_branch .LBB221_2877
.LBB221_2875:
	s_mov_b64 s[10:11], -1
                                        ; implicit-def: $vgpr56_vgpr57
	s_branch .LBB221_2880
.LBB221_2876:
	s_mov_b64 s[10:11], -1
                                        ; implicit-def: $vgpr56_vgpr57
.LBB221_2877:
	s_andn2_b64 vcc, exec, s[10:11]
	s_cbranch_vccnz .LBB221_2879
; %bb.2878:
	global_load_ushort v11, v[6:7], off
	s_waitcnt vmcnt(0)
	v_cvt_f64_u32_e32 v[56:57], v11
.LBB221_2879:
	s_mov_b64 s[10:11], 0
.LBB221_2880:
	s_andn2_b64 vcc, exec, s[10:11]
	s_cbranch_vccnz .LBB221_2888
; %bb.2881:
	global_load_ubyte v11, v[6:7], off
	s_movk_i32 s10, 0x7f
                                        ; implicit-def: $sgpr12_sgpr13
	s_waitcnt vmcnt(0)
	v_cmp_lt_i16_e32 vcc, s10, v11
	s_mov_b64 s[10:11], 0
	s_and_saveexec_b64 s[14:15], vcc
	s_xor_b64 s[14:15], exec, s[14:15]
	s_cbranch_execz .LBB221_2902
; %bb.2882:
	s_movk_i32 s10, 0x80
	v_cmp_eq_u16_e32 vcc, s10, v11
	s_mov_b64 s[16:17], -1
                                        ; implicit-def: $sgpr12_sgpr13
	s_and_saveexec_b64 s[10:11], vcc
; %bb.2883:
	s_mov_b32 s13, 0x7ff80000
	s_brev_b32 s12, 4
	s_xor_b64 s[16:17], exec, -1
; %bb.2884:
	s_or_b64 exec, exec, s[10:11]
	s_and_b64 s[10:11], s[16:17], exec
	s_or_saveexec_b64 s[14:15], s[14:15]
	v_pk_mov_b32 v[56:57], s[12:13], s[12:13] op_sel:[0,1]
	s_xor_b64 exec, exec, s[14:15]
	s_cbranch_execnz .LBB221_2903
.LBB221_2885:
	s_or_b64 exec, exec, s[14:15]
	s_and_saveexec_b64 s[12:13], s[10:11]
	s_cbranch_execz .LBB221_2887
.LBB221_2886:
	v_lshlrev_b32_e32 v12, 24, v11
	v_and_b32_e32 v11, 0xffff, v11
	v_and_b32_e32 v13, 7, v11
	v_ffbh_u32_e32 v15, v13
	v_min_u32_e32 v15, 32, v15
	v_subrev_u32_e32 v16, 28, v15
	v_bfe_u32 v14, v11, 3, 4
	v_lshlrev_b32_e32 v11, v16, v11
	v_sub_u32_e32 v15, 29, v15
	v_and_b32_e32 v11, 7, v11
	v_cmp_eq_u32_e32 vcc, 0, v14
	v_cndmask_b32_e32 v14, v14, v15, vcc
	v_cndmask_b32_e32 v11, v13, v11, vcc
	v_mov_b32_e32 v13, 0x3b800000
	v_lshlrev_b32_e32 v11, 20, v11
	v_and_b32_e32 v12, 0x80000000, v12
	v_lshl_add_u32 v13, v14, 23, v13
	v_or3_b32 v11, v12, v13, v11
	v_cvt_f64_f32_e32 v[56:57], v11
.LBB221_2887:
	s_or_b64 exec, exec, s[12:13]
.LBB221_2888:
	s_mov_b64 s[10:11], -1
.LBB221_2889:
	s_mov_b64 s[12:13], 0
.LBB221_2890:
	s_and_b64 vcc, exec, s[12:13]
	s_cbranch_vccz .LBB221_2923
; %bb.2891:
	v_mov_b32_e32 v11, 22
	v_cmp_gt_i16_sdwa s[8:9], v72, v11 src0_sel:BYTE_0 src1_sel:DWORD
	s_and_b64 vcc, exec, s[8:9]
	s_cbranch_vccz .LBB221_2901
; %bb.2892:
	v_mov_b32_e32 v11, 24
	v_cmp_lt_i16_sdwa s[8:9], v72, v11 src0_sel:BYTE_0 src1_sel:DWORD
	s_and_b64 vcc, exec, s[8:9]
	s_cbranch_vccnz .LBB221_2904
; %bb.2893:
	v_cmp_gt_i16_sdwa s[8:9], v72, v11 src0_sel:BYTE_0 src1_sel:DWORD
	s_and_b64 vcc, exec, s[8:9]
	s_cbranch_vccz .LBB221_2905
; %bb.2894:
	global_load_ubyte v11, v[6:7], off
	s_movk_i32 s8, 0x7f
                                        ; implicit-def: $sgpr10_sgpr11
	s_waitcnt vmcnt(0)
	v_cmp_lt_i16_e32 vcc, s8, v11
	s_mov_b64 s[8:9], 0
	s_and_saveexec_b64 s[12:13], vcc
	s_xor_b64 s[12:13], exec, s[12:13]
	s_cbranch_execz .LBB221_2917
; %bb.2895:
	s_movk_i32 s8, 0x80
	v_cmp_eq_u16_e32 vcc, s8, v11
	s_mov_b64 s[14:15], -1
                                        ; implicit-def: $sgpr10_sgpr11
	s_and_saveexec_b64 s[8:9], vcc
; %bb.2896:
	s_mov_b32 s11, 0x7ff80000
	s_brev_b32 s10, 4
	s_xor_b64 s[14:15], exec, -1
; %bb.2897:
	s_or_b64 exec, exec, s[8:9]
	s_and_b64 s[8:9], s[14:15], exec
	s_or_saveexec_b64 s[12:13], s[12:13]
	v_pk_mov_b32 v[56:57], s[10:11], s[10:11] op_sel:[0,1]
	s_xor_b64 exec, exec, s[12:13]
	s_cbranch_execnz .LBB221_2918
.LBB221_2898:
	s_or_b64 exec, exec, s[12:13]
	s_and_saveexec_b64 s[10:11], s[8:9]
	s_cbranch_execz .LBB221_2900
.LBB221_2899:
	v_lshlrev_b32_e32 v12, 24, v11
	v_and_b32_e32 v11, 0xffff, v11
	v_and_b32_e32 v13, 3, v11
	v_ffbh_u32_e32 v15, v13
	v_min_u32_e32 v15, 32, v15
	v_subrev_u32_e32 v16, 29, v15
	v_bfe_u32 v14, v11, 2, 5
	v_lshlrev_b32_e32 v11, v16, v11
	v_sub_u32_e32 v15, 30, v15
	v_and_b32_e32 v11, 3, v11
	v_cmp_eq_u32_e32 vcc, 0, v14
	v_cndmask_b32_e32 v14, v14, v15, vcc
	v_cndmask_b32_e32 v11, v13, v11, vcc
	v_mov_b32_e32 v13, 0x37800000
	v_lshlrev_b32_e32 v11, 21, v11
	v_and_b32_e32 v12, 0x80000000, v12
	v_lshl_add_u32 v13, v14, 23, v13
	v_or3_b32 v11, v12, v13, v11
	v_cvt_f64_f32_e32 v[56:57], v11
.LBB221_2900:
	s_or_b64 exec, exec, s[10:11]
	s_mov_b64 s[8:9], 0
	s_branch .LBB221_2906
.LBB221_2901:
	s_mov_b64 s[8:9], -1
                                        ; implicit-def: $vgpr56_vgpr57
	s_branch .LBB221_2912
.LBB221_2902:
	s_or_saveexec_b64 s[14:15], s[14:15]
	v_pk_mov_b32 v[56:57], s[12:13], s[12:13] op_sel:[0,1]
	s_xor_b64 exec, exec, s[14:15]
	s_cbranch_execz .LBB221_2885
.LBB221_2903:
	v_cmp_ne_u16_e32 vcc, 0, v11
	s_andn2_b64 s[10:11], s[10:11], exec
	s_and_b64 s[12:13], vcc, exec
	v_pk_mov_b32 v[56:57], 0, 0
	s_or_b64 s[10:11], s[10:11], s[12:13]
	s_or_b64 exec, exec, s[14:15]
	s_and_saveexec_b64 s[12:13], s[10:11]
	s_cbranch_execnz .LBB221_2886
	s_branch .LBB221_2887
.LBB221_2904:
	s_mov_b64 s[8:9], -1
                                        ; implicit-def: $vgpr56_vgpr57
	s_branch .LBB221_2909
.LBB221_2905:
	s_mov_b64 s[8:9], -1
                                        ; implicit-def: $vgpr56_vgpr57
.LBB221_2906:
	s_and_b64 vcc, exec, s[8:9]
	s_cbranch_vccz .LBB221_2908
; %bb.2907:
	global_load_ubyte v11, v[6:7], off
	s_mov_b32 s8, 0x7f800000
	s_waitcnt vmcnt(0)
	v_lshlrev_b32_e32 v11, 24, v11
	v_and_b32_e32 v12, 0x7f000000, v11
	v_ffbh_u32_e32 v13, v12
	v_min_u32_e32 v13, 32, v13
	v_sub_u32_e64 v13, v13, 4 clamp
	v_lshlrev_b32_e32 v15, v13, v12
	v_lshlrev_b32_e32 v13, 23, v13
	v_lshrrev_b32_e32 v15, 4, v15
	v_add_u32_e32 v14, 0x1000000, v12
	v_sub_u32_e32 v13, v15, v13
	v_ashrrev_i32_e32 v14, 8, v14
	v_add_u32_e32 v13, 0x3c000000, v13
	v_and_or_b32 v13, v14, s8, v13
	v_cmp_ne_u32_e32 vcc, 0, v12
	v_cndmask_b32_e32 v12, 0, v13, vcc
	s_brev_b32 s8, 1
	v_and_or_b32 v11, v11, s8, v12
	v_cvt_f64_f32_e32 v[56:57], v11
.LBB221_2908:
	s_mov_b64 s[8:9], 0
.LBB221_2909:
	s_andn2_b64 vcc, exec, s[8:9]
	s_cbranch_vccnz .LBB221_2911
; %bb.2910:
	global_load_ubyte v11, v[6:7], off
	s_movk_i32 s8, 0x7f00
	s_brev_b32 s9, 16
	s_waitcnt vmcnt(0)
	v_lshlrev_b16_e32 v12, 8, v11
	v_lshlrev_b32_e32 v11, 25, v11
	v_lshrrev_b32_e32 v13, 4, v11
	v_and_or_b32 v14, v12, s8, 0.5
	v_or_b32_e32 v13, 0x70000000, v13
	v_add_f32_e32 v14, -0.5, v14
	v_mul_f32_e32 v13, 0x7800000, v13
	v_cmp_gt_u32_e32 vcc, s9, v11
	v_bfe_i32 v12, v12, 0, 16
	v_cndmask_b32_e32 v11, v13, v14, vcc
	s_brev_b32 s8, 1
	v_and_or_b32 v11, v12, s8, v11
	v_cvt_f64_f32_e32 v[56:57], v11
.LBB221_2911:
	s_mov_b64 s[8:9], 0
	s_mov_b64 s[10:11], -1
.LBB221_2912:
	s_andn2_b64 vcc, exec, s[8:9]
	s_mov_b64 s[8:9], 0
	s_cbranch_vccnz .LBB221_2923
; %bb.2913:
	v_mov_b32_e32 v11, 14
	v_cmp_gt_i16_sdwa s[8:9], v72, v11 src0_sel:BYTE_0 src1_sel:DWORD
	s_and_b64 vcc, exec, s[8:9]
	s_cbranch_vccz .LBB221_2916
; %bb.2914:
	v_mov_b32_e32 v11, 15
	v_cmp_eq_u16_sdwa s[6:7], v72, v11 src0_sel:BYTE_0 src1_sel:DWORD
	s_and_b64 vcc, exec, s[6:7]
	s_cbranch_vccz .LBB221_2919
; %bb.2915:
	global_load_ushort v11, v[6:7], off
	s_mov_b64 s[6:7], 0
	s_mov_b64 s[10:11], -1
	s_waitcnt vmcnt(0)
	v_lshlrev_b32_e32 v11, 16, v11
	v_cvt_f64_f32_e32 v[56:57], v11
	s_branch .LBB221_2920
.LBB221_2916:
	s_mov_b64 s[12:13], -1
                                        ; implicit-def: $vgpr56_vgpr57
	s_branch .LBB221_2921
.LBB221_2917:
	s_or_saveexec_b64 s[12:13], s[12:13]
	v_pk_mov_b32 v[56:57], s[10:11], s[10:11] op_sel:[0,1]
	s_xor_b64 exec, exec, s[12:13]
	s_cbranch_execz .LBB221_2898
.LBB221_2918:
	v_cmp_ne_u16_e32 vcc, 0, v11
	s_andn2_b64 s[8:9], s[8:9], exec
	s_and_b64 s[10:11], vcc, exec
	v_pk_mov_b32 v[56:57], 0, 0
	s_or_b64 s[8:9], s[8:9], s[10:11]
	s_or_b64 exec, exec, s[12:13]
	s_and_saveexec_b64 s[10:11], s[8:9]
	s_cbranch_execnz .LBB221_2899
	s_branch .LBB221_2900
.LBB221_2919:
	s_mov_b64 s[6:7], -1
                                        ; implicit-def: $vgpr56_vgpr57
.LBB221_2920:
	s_mov_b64 s[12:13], 0
.LBB221_2921:
	s_mov_b64 s[8:9], 0
	s_and_b64 vcc, exec, s[12:13]
	s_cbranch_vccz .LBB221_2923
; %bb.2922:
	v_mov_b32_e32 v11, 11
	v_cmp_ne_u16_sdwa s[6:7], v72, v11 src0_sel:BYTE_0 src1_sel:DWORD
	s_mov_b64 s[8:9], -1
                                        ; implicit-def: $vgpr56_vgpr57
.LBB221_2923:
	s_and_b64 vcc, exec, s[6:7]
	s_cbranch_vccnz .LBB221_2988
; %bb.2924:
	s_andn2_b64 vcc, exec, s[8:9]
	s_cbranch_vccnz .LBB221_2926
.LBB221_2925:
	global_load_ubyte v11, v[6:7], off
	v_mov_b32_e32 v12, 0x3ff00000
	v_mov_b32_e32 v56, 0
	s_mov_b64 s[10:11], -1
	s_waitcnt vmcnt(0)
	v_cmp_ne_u16_e32 vcc, 0, v11
	v_cndmask_b32_e32 v57, 0, v12, vcc
.LBB221_2926:
	s_mov_b64 s[6:7], 0
.LBB221_2927:
	s_and_b64 vcc, exec, s[6:7]
	s_cbranch_vccz .LBB221_2976
; %bb.2928:
	v_mov_b32_e32 v11, 5
	v_cmp_lt_i16_sdwa s[6:7], v72, v11 src0_sel:BYTE_0 src1_sel:DWORD
	s_and_b64 vcc, exec, s[6:7]
	s_cbranch_vccnz .LBB221_2933
; %bb.2929:
	v_mov_b32_e32 v11, 8
	v_cmp_lt_i16_sdwa s[6:7], v72, v11 src0_sel:BYTE_0 src1_sel:DWORD
	s_and_b64 vcc, exec, s[6:7]
	s_cbranch_vccnz .LBB221_2934
	;; [unrolled: 5-line block ×3, first 2 shown]
; %bb.2931:
	v_cmp_gt_i16_sdwa s[6:7], v72, v11 src0_sel:BYTE_0 src1_sel:DWORD
	s_and_b64 vcc, exec, s[6:7]
	s_cbranch_vccz .LBB221_2936
; %bb.2932:
	global_load_dwordx2 v[56:57], v[6:7], off
	s_mov_b64 s[6:7], 0
	s_branch .LBB221_2937
.LBB221_2933:
	s_mov_b64 s[6:7], -1
                                        ; implicit-def: $vgpr56_vgpr57
	s_branch .LBB221_2955
.LBB221_2934:
	s_mov_b64 s[6:7], -1
                                        ; implicit-def: $vgpr56_vgpr57
	s_branch .LBB221_2943
.LBB221_2935:
	s_mov_b64 s[6:7], -1
                                        ; implicit-def: $vgpr56_vgpr57
	s_branch .LBB221_2940
.LBB221_2936:
	s_mov_b64 s[6:7], -1
                                        ; implicit-def: $vgpr56_vgpr57
.LBB221_2937:
	s_andn2_b64 vcc, exec, s[6:7]
	s_cbranch_vccnz .LBB221_2939
; %bb.2938:
	global_load_dword v11, v[6:7], off
	s_waitcnt vmcnt(0)
	v_cvt_f64_f32_e32 v[56:57], v11
.LBB221_2939:
	s_mov_b64 s[6:7], 0
.LBB221_2940:
	s_andn2_b64 vcc, exec, s[6:7]
	s_cbranch_vccnz .LBB221_2942
; %bb.2941:
	global_load_dword v11, v[6:7], off
	s_waitcnt vmcnt(0)
	v_cvt_f32_f16_e32 v11, v11
	v_cvt_f64_f32_e32 v[56:57], v11
.LBB221_2942:
	s_mov_b64 s[6:7], 0
.LBB221_2943:
	s_andn2_b64 vcc, exec, s[6:7]
	s_cbranch_vccnz .LBB221_2954
; %bb.2944:
	v_mov_b32_e32 v11, 6
	v_cmp_lt_i16_sdwa s[6:7], v72, v11 src0_sel:BYTE_0 src1_sel:DWORD
	s_and_b64 vcc, exec, s[6:7]
	s_cbranch_vccnz .LBB221_2947
; %bb.2945:
	v_cmp_gt_i16_sdwa s[6:7], v72, v11 src0_sel:BYTE_0 src1_sel:DWORD
	s_and_b64 vcc, exec, s[6:7]
	s_cbranch_vccz .LBB221_2948
; %bb.2946:
	global_load_dwordx2 v[56:57], v[6:7], off
	s_mov_b64 s[6:7], 0
	s_branch .LBB221_2949
.LBB221_2947:
	s_mov_b64 s[6:7], -1
                                        ; implicit-def: $vgpr56_vgpr57
	s_branch .LBB221_2952
.LBB221_2948:
	s_mov_b64 s[6:7], -1
                                        ; implicit-def: $vgpr56_vgpr57
.LBB221_2949:
	s_andn2_b64 vcc, exec, s[6:7]
	s_cbranch_vccnz .LBB221_2951
; %bb.2950:
	global_load_dword v11, v[6:7], off
	s_waitcnt vmcnt(0)
	v_cvt_f64_f32_e32 v[56:57], v11
.LBB221_2951:
	s_mov_b64 s[6:7], 0
.LBB221_2952:
	s_andn2_b64 vcc, exec, s[6:7]
	s_cbranch_vccnz .LBB221_2954
; %bb.2953:
	global_load_ushort v11, v[6:7], off
	s_waitcnt vmcnt(0)
	v_cvt_f32_f16_e32 v11, v11
	v_cvt_f64_f32_e32 v[56:57], v11
.LBB221_2954:
	s_mov_b64 s[6:7], 0
.LBB221_2955:
	s_andn2_b64 vcc, exec, s[6:7]
	s_cbranch_vccnz .LBB221_2975
; %bb.2956:
	v_mov_b32_e32 v11, 2
	v_cmp_lt_i16_sdwa s[6:7], v72, v11 src0_sel:BYTE_0 src1_sel:DWORD
	s_and_b64 vcc, exec, s[6:7]
	s_cbranch_vccnz .LBB221_2960
; %bb.2957:
	v_mov_b32_e32 v11, 3
	v_cmp_lt_i16_sdwa s[6:7], v72, v11 src0_sel:BYTE_0 src1_sel:DWORD
	s_and_b64 vcc, exec, s[6:7]
	s_cbranch_vccnz .LBB221_2961
; %bb.2958:
	v_cmp_gt_i16_sdwa s[6:7], v72, v11 src0_sel:BYTE_0 src1_sel:DWORD
	s_and_b64 vcc, exec, s[6:7]
	s_cbranch_vccz .LBB221_2962
; %bb.2959:
	global_load_dwordx2 v[12:13], v[6:7], off
	s_mov_b64 s[6:7], 0
	s_waitcnt vmcnt(0)
	v_cvt_f64_i32_e32 v[14:15], v13
	v_cvt_f64_u32_e32 v[12:13], v12
	v_ldexp_f64 v[14:15], v[14:15], 32
	v_add_f64 v[56:57], v[14:15], v[12:13]
	s_branch .LBB221_2963
.LBB221_2960:
	s_mov_b64 s[6:7], -1
                                        ; implicit-def: $vgpr56_vgpr57
	s_branch .LBB221_2969
.LBB221_2961:
	s_mov_b64 s[6:7], -1
                                        ; implicit-def: $vgpr56_vgpr57
	s_branch .LBB221_2966
.LBB221_2962:
	s_mov_b64 s[6:7], -1
                                        ; implicit-def: $vgpr56_vgpr57
.LBB221_2963:
	s_andn2_b64 vcc, exec, s[6:7]
	s_cbranch_vccnz .LBB221_2965
; %bb.2964:
	global_load_dword v11, v[6:7], off
	s_waitcnt vmcnt(0)
	v_cvt_f64_i32_e32 v[56:57], v11
.LBB221_2965:
	s_mov_b64 s[6:7], 0
.LBB221_2966:
	s_andn2_b64 vcc, exec, s[6:7]
	s_cbranch_vccnz .LBB221_2968
; %bb.2967:
	global_load_sshort v11, v[6:7], off
	s_waitcnt vmcnt(0)
	v_cvt_f64_i32_e32 v[56:57], v11
.LBB221_2968:
	s_mov_b64 s[6:7], 0
.LBB221_2969:
	s_andn2_b64 vcc, exec, s[6:7]
	s_cbranch_vccnz .LBB221_2975
; %bb.2970:
	v_mov_b32_e32 v11, 0
	v_cmp_gt_i16_sdwa s[6:7], v72, v11 src0_sel:BYTE_0 src1_sel:DWORD
	s_and_b64 vcc, exec, s[6:7]
	s_cbranch_vccz .LBB221_2972
; %bb.2971:
	global_load_sbyte v11, v[6:7], off
	s_mov_b64 s[6:7], 0
	s_waitcnt vmcnt(0)
	v_cvt_f64_i32_e32 v[56:57], v11
	s_branch .LBB221_2973
.LBB221_2972:
	s_mov_b64 s[6:7], -1
                                        ; implicit-def: $vgpr56_vgpr57
.LBB221_2973:
	s_andn2_b64 vcc, exec, s[6:7]
	s_cbranch_vccnz .LBB221_2975
; %bb.2974:
	global_load_ubyte v6, v[6:7], off
	s_waitcnt vmcnt(0)
	v_cvt_f64_u32_e32 v[56:57], v6
.LBB221_2975:
	s_mov_b64 s[10:11], -1
.LBB221_2976:
	s_andn2_b64 vcc, exec, s[10:11]
	s_cbranch_vccnz .LBB221_4080
; %bb.2977:
	v_add_u32_e32 v9, s19, v9
	v_ashrrev_i32_e32 v7, 31, v9
	v_mov_b32_e32 v11, s41
	v_add_co_u32_e32 v6, vcc, s40, v9
	s_movk_i32 s6, 0xff
	v_addc_co_u32_e32 v7, vcc, v11, v7, vcc
	v_and_b32_sdwa v11, v41, s6 dst_sel:DWORD dst_unused:UNUSED_PAD src0_sel:WORD_1 src1_sel:DWORD
	v_cmp_gt_i16_e32 vcc, 11, v11
	s_cbranch_vccnz .LBB221_2984
; %bb.2978:
	v_cmp_lt_i16_e32 vcc, 25, v11
	s_mov_b64 s[8:9], 0
	s_cbranch_vccz .LBB221_2985
; %bb.2979:
	v_cmp_lt_i16_e32 vcc, 28, v11
	s_cbranch_vccz .LBB221_2986
; %bb.2980:
	v_cmp_lt_i16_e32 vcc, 43, v11
	;; [unrolled: 3-line block ×3, first 2 shown]
	s_cbranch_vccz .LBB221_2989
; %bb.2982:
	v_cmp_eq_u16_e32 vcc, 46, v11
	s_mov_b64 s[12:13], 0
	s_cbranch_vccz .LBB221_2990
; %bb.2983:
	global_load_dword v12, v[6:7], off
	s_mov_b64 s[6:7], 0
	s_mov_b64 s[10:11], -1
	s_waitcnt vmcnt(0)
	v_lshlrev_b32_e32 v12, 16, v12
	v_cvt_f64_f32_e32 v[58:59], v12
	s_branch .LBB221_2991
.LBB221_2984:
	s_mov_b64 s[6:7], -1
	s_mov_b64 s[10:11], 0
                                        ; implicit-def: $vgpr58_vgpr59
	s_branch .LBB221_3057
.LBB221_2985:
	s_mov_b64 s[12:13], -1
	s_mov_b64 s[10:11], 0
	s_mov_b64 s[6:7], 0
                                        ; implicit-def: $vgpr58_vgpr59
	s_branch .LBB221_3020
.LBB221_2986:
	s_mov_b64 s[12:13], -1
	s_mov_b64 s[10:11], 0
	s_mov_b64 s[6:7], 0
                                        ; implicit-def: $vgpr58_vgpr59
	s_branch .LBB221_3001
.LBB221_2987:
	s_mov_b64 s[12:13], -1
	s_mov_b64 s[10:11], 0
	s_mov_b64 s[6:7], 0
                                        ; implicit-def: $vgpr58_vgpr59
	s_branch .LBB221_2996
.LBB221_2988:
	s_trap 2
	s_or_b64 s[92:93], s[92:93], exec
                                        ; implicit-def: $vgpr56_vgpr57
	s_cbranch_execz .LBB221_2925
	s_branch .LBB221_2926
.LBB221_2989:
	s_mov_b64 s[12:13], -1
	s_mov_b64 s[10:11], 0
	s_mov_b64 s[6:7], 0
                                        ; implicit-def: $vgpr58_vgpr59
	s_branch .LBB221_2991
.LBB221_2990:
	s_mov_b64 s[6:7], -1
                                        ; implicit-def: $vgpr58_vgpr59
	s_mov_b64 s[10:11], 0
.LBB221_2991:
	s_and_b64 vcc, exec, s[12:13]
	s_cbranch_vccz .LBB221_2995
; %bb.2992:
	v_cmp_eq_u16_e32 vcc, 44, v11
	s_cbranch_vccz .LBB221_2994
; %bb.2993:
	global_load_ubyte v14, v[6:7], off
	s_movk_i32 s10, 0xff
	v_bfrev_b32_e32 v15, 4
	v_mov_b32_e32 v16, 0x7ff80000
	v_bfrev_b32_e32 v17, 28
	s_mov_b64 s[6:7], 0
	s_waitcnt vmcnt(0)
	v_lshlrev_b32_e32 v12, 23, v14
	v_cvt_f64_f32_e32 v[12:13], v12
	v_cmp_ne_u32_e32 vcc, s10, v14
	v_cndmask_b32_e32 v12, v15, v12, vcc
	v_cndmask_b32_e32 v13, v16, v13, vcc
	v_cmp_ne_u32_e32 vcc, 0, v14
	v_cndmask_b32_e32 v59, v17, v13, vcc
	v_cndmask_b32_e32 v58, 0, v12, vcc
	s_mov_b64 s[10:11], -1
	s_branch .LBB221_2995
.LBB221_2994:
	s_mov_b64 s[6:7], -1
                                        ; implicit-def: $vgpr58_vgpr59
.LBB221_2995:
	s_mov_b64 s[12:13], 0
.LBB221_2996:
	s_and_b64 vcc, exec, s[12:13]
	s_cbranch_vccz .LBB221_3000
; %bb.2997:
	v_cmp_eq_u16_e32 vcc, 29, v11
	s_cbranch_vccz .LBB221_2999
; %bb.2998:
	global_load_dwordx2 v[12:13], v[6:7], off
	s_mov_b64 s[6:7], 0
	s_mov_b64 s[10:11], -1
	s_mov_b64 s[12:13], 0
	s_waitcnt vmcnt(0)
	v_cvt_f64_u32_e32 v[14:15], v13
	v_cvt_f64_u32_e32 v[12:13], v12
	v_ldexp_f64 v[14:15], v[14:15], 32
	v_add_f64 v[58:59], v[14:15], v[12:13]
	s_branch .LBB221_3001
.LBB221_2999:
	s_mov_b64 s[6:7], -1
                                        ; implicit-def: $vgpr58_vgpr59
.LBB221_3000:
	s_mov_b64 s[12:13], 0
.LBB221_3001:
	s_and_b64 vcc, exec, s[12:13]
	s_cbranch_vccz .LBB221_3019
; %bb.3002:
	v_cmp_gt_i16_e32 vcc, 27, v11
	s_cbranch_vccnz .LBB221_3005
; %bb.3003:
	v_cmp_lt_i16_e32 vcc, 27, v11
	s_cbranch_vccz .LBB221_3006
; %bb.3004:
	global_load_dword v12, v[6:7], off
	s_mov_b64 s[10:11], 0
	s_waitcnt vmcnt(0)
	v_cvt_f64_u32_e32 v[58:59], v12
	s_branch .LBB221_3007
.LBB221_3005:
	s_mov_b64 s[10:11], -1
                                        ; implicit-def: $vgpr58_vgpr59
	s_branch .LBB221_3010
.LBB221_3006:
	s_mov_b64 s[10:11], -1
                                        ; implicit-def: $vgpr58_vgpr59
.LBB221_3007:
	s_andn2_b64 vcc, exec, s[10:11]
	s_cbranch_vccnz .LBB221_3009
; %bb.3008:
	global_load_ushort v12, v[6:7], off
	s_waitcnt vmcnt(0)
	v_cvt_f64_u32_e32 v[58:59], v12
.LBB221_3009:
	s_mov_b64 s[10:11], 0
.LBB221_3010:
	s_andn2_b64 vcc, exec, s[10:11]
	s_cbranch_vccnz .LBB221_3018
; %bb.3011:
	global_load_ubyte v12, v[6:7], off
	s_movk_i32 s10, 0x7f
                                        ; implicit-def: $sgpr12_sgpr13
	s_waitcnt vmcnt(0)
	v_cmp_lt_i16_e32 vcc, s10, v12
	s_mov_b64 s[10:11], 0
	s_and_saveexec_b64 s[14:15], vcc
	s_xor_b64 s[14:15], exec, s[14:15]
	s_cbranch_execz .LBB221_3032
; %bb.3012:
	s_movk_i32 s10, 0x80
	v_cmp_eq_u16_e32 vcc, s10, v12
	s_mov_b64 s[16:17], -1
                                        ; implicit-def: $sgpr12_sgpr13
	s_and_saveexec_b64 s[10:11], vcc
; %bb.3013:
	s_mov_b32 s13, 0x7ff80000
	s_brev_b32 s12, 4
	s_xor_b64 s[16:17], exec, -1
; %bb.3014:
	s_or_b64 exec, exec, s[10:11]
	s_and_b64 s[10:11], s[16:17], exec
	s_or_saveexec_b64 s[14:15], s[14:15]
	v_pk_mov_b32 v[58:59], s[12:13], s[12:13] op_sel:[0,1]
	s_xor_b64 exec, exec, s[14:15]
	s_cbranch_execnz .LBB221_3033
.LBB221_3015:
	s_or_b64 exec, exec, s[14:15]
	s_and_saveexec_b64 s[12:13], s[10:11]
	s_cbranch_execz .LBB221_3017
.LBB221_3016:
	v_lshlrev_b32_e32 v13, 24, v12
	v_and_b32_e32 v12, 0xffff, v12
	v_and_b32_e32 v14, 7, v12
	v_ffbh_u32_e32 v16, v14
	v_min_u32_e32 v16, 32, v16
	v_subrev_u32_e32 v17, 28, v16
	v_bfe_u32 v15, v12, 3, 4
	v_lshlrev_b32_e32 v12, v17, v12
	v_sub_u32_e32 v16, 29, v16
	v_and_b32_e32 v12, 7, v12
	v_cmp_eq_u32_e32 vcc, 0, v15
	v_cndmask_b32_e32 v15, v15, v16, vcc
	v_cndmask_b32_e32 v12, v14, v12, vcc
	v_mov_b32_e32 v14, 0x3b800000
	v_lshlrev_b32_e32 v12, 20, v12
	v_and_b32_e32 v13, 0x80000000, v13
	v_lshl_add_u32 v14, v15, 23, v14
	v_or3_b32 v12, v13, v14, v12
	v_cvt_f64_f32_e32 v[58:59], v12
.LBB221_3017:
	s_or_b64 exec, exec, s[12:13]
.LBB221_3018:
	s_mov_b64 s[10:11], -1
.LBB221_3019:
	s_mov_b64 s[12:13], 0
.LBB221_3020:
	s_and_b64 vcc, exec, s[12:13]
	s_cbranch_vccz .LBB221_3053
; %bb.3021:
	v_cmp_lt_i16_e32 vcc, 22, v11
	s_cbranch_vccz .LBB221_3031
; %bb.3022:
	v_cmp_gt_i16_e32 vcc, 24, v11
	s_cbranch_vccnz .LBB221_3034
; %bb.3023:
	v_cmp_lt_i16_e32 vcc, 24, v11
	s_cbranch_vccz .LBB221_3035
; %bb.3024:
	global_load_ubyte v12, v[6:7], off
	s_movk_i32 s8, 0x7f
                                        ; implicit-def: $sgpr10_sgpr11
	s_waitcnt vmcnt(0)
	v_cmp_lt_i16_e32 vcc, s8, v12
	s_mov_b64 s[8:9], 0
	s_and_saveexec_b64 s[12:13], vcc
	s_xor_b64 s[12:13], exec, s[12:13]
	s_cbranch_execz .LBB221_3047
; %bb.3025:
	s_movk_i32 s8, 0x80
	v_cmp_eq_u16_e32 vcc, s8, v12
	s_mov_b64 s[14:15], -1
                                        ; implicit-def: $sgpr10_sgpr11
	s_and_saveexec_b64 s[8:9], vcc
; %bb.3026:
	s_mov_b32 s11, 0x7ff80000
	s_brev_b32 s10, 4
	s_xor_b64 s[14:15], exec, -1
; %bb.3027:
	s_or_b64 exec, exec, s[8:9]
	s_and_b64 s[8:9], s[14:15], exec
	s_or_saveexec_b64 s[12:13], s[12:13]
	v_pk_mov_b32 v[58:59], s[10:11], s[10:11] op_sel:[0,1]
	s_xor_b64 exec, exec, s[12:13]
	s_cbranch_execnz .LBB221_3048
.LBB221_3028:
	s_or_b64 exec, exec, s[12:13]
	s_and_saveexec_b64 s[10:11], s[8:9]
	s_cbranch_execz .LBB221_3030
.LBB221_3029:
	v_lshlrev_b32_e32 v13, 24, v12
	v_and_b32_e32 v12, 0xffff, v12
	v_and_b32_e32 v14, 3, v12
	v_ffbh_u32_e32 v16, v14
	v_min_u32_e32 v16, 32, v16
	v_subrev_u32_e32 v17, 29, v16
	v_bfe_u32 v15, v12, 2, 5
	v_lshlrev_b32_e32 v12, v17, v12
	v_sub_u32_e32 v16, 30, v16
	v_and_b32_e32 v12, 3, v12
	v_cmp_eq_u32_e32 vcc, 0, v15
	v_cndmask_b32_e32 v15, v15, v16, vcc
	v_cndmask_b32_e32 v12, v14, v12, vcc
	v_mov_b32_e32 v14, 0x37800000
	v_lshlrev_b32_e32 v12, 21, v12
	v_and_b32_e32 v13, 0x80000000, v13
	v_lshl_add_u32 v14, v15, 23, v14
	v_or3_b32 v12, v13, v14, v12
	v_cvt_f64_f32_e32 v[58:59], v12
.LBB221_3030:
	s_or_b64 exec, exec, s[10:11]
	s_mov_b64 s[8:9], 0
	s_branch .LBB221_3036
.LBB221_3031:
	s_mov_b64 s[8:9], -1
                                        ; implicit-def: $vgpr58_vgpr59
	s_branch .LBB221_3042
.LBB221_3032:
	s_or_saveexec_b64 s[14:15], s[14:15]
	v_pk_mov_b32 v[58:59], s[12:13], s[12:13] op_sel:[0,1]
	s_xor_b64 exec, exec, s[14:15]
	s_cbranch_execz .LBB221_3015
.LBB221_3033:
	v_cmp_ne_u16_e32 vcc, 0, v12
	s_andn2_b64 s[10:11], s[10:11], exec
	s_and_b64 s[12:13], vcc, exec
	v_pk_mov_b32 v[58:59], 0, 0
	s_or_b64 s[10:11], s[10:11], s[12:13]
	s_or_b64 exec, exec, s[14:15]
	s_and_saveexec_b64 s[12:13], s[10:11]
	s_cbranch_execnz .LBB221_3016
	s_branch .LBB221_3017
.LBB221_3034:
	s_mov_b64 s[8:9], -1
                                        ; implicit-def: $vgpr58_vgpr59
	s_branch .LBB221_3039
.LBB221_3035:
	s_mov_b64 s[8:9], -1
                                        ; implicit-def: $vgpr58_vgpr59
.LBB221_3036:
	s_and_b64 vcc, exec, s[8:9]
	s_cbranch_vccz .LBB221_3038
; %bb.3037:
	global_load_ubyte v12, v[6:7], off
	s_mov_b32 s8, 0x7f800000
	s_waitcnt vmcnt(0)
	v_lshlrev_b32_e32 v12, 24, v12
	v_and_b32_e32 v13, 0x7f000000, v12
	v_ffbh_u32_e32 v14, v13
	v_min_u32_e32 v14, 32, v14
	v_sub_u32_e64 v14, v14, 4 clamp
	v_lshlrev_b32_e32 v16, v14, v13
	v_lshlrev_b32_e32 v14, 23, v14
	v_lshrrev_b32_e32 v16, 4, v16
	v_add_u32_e32 v15, 0x1000000, v13
	v_sub_u32_e32 v14, v16, v14
	v_ashrrev_i32_e32 v15, 8, v15
	v_add_u32_e32 v14, 0x3c000000, v14
	v_and_or_b32 v14, v15, s8, v14
	v_cmp_ne_u32_e32 vcc, 0, v13
	v_cndmask_b32_e32 v13, 0, v14, vcc
	s_brev_b32 s8, 1
	v_and_or_b32 v12, v12, s8, v13
	v_cvt_f64_f32_e32 v[58:59], v12
.LBB221_3038:
	s_mov_b64 s[8:9], 0
.LBB221_3039:
	s_andn2_b64 vcc, exec, s[8:9]
	s_cbranch_vccnz .LBB221_3041
; %bb.3040:
	global_load_ubyte v12, v[6:7], off
	s_movk_i32 s8, 0x7f00
	s_brev_b32 s9, 16
	s_waitcnt vmcnt(0)
	v_lshlrev_b16_e32 v13, 8, v12
	v_lshlrev_b32_e32 v12, 25, v12
	v_lshrrev_b32_e32 v14, 4, v12
	v_and_or_b32 v15, v13, s8, 0.5
	v_or_b32_e32 v14, 0x70000000, v14
	v_add_f32_e32 v15, -0.5, v15
	v_mul_f32_e32 v14, 0x7800000, v14
	v_cmp_gt_u32_e32 vcc, s9, v12
	v_bfe_i32 v13, v13, 0, 16
	v_cndmask_b32_e32 v12, v14, v15, vcc
	s_brev_b32 s8, 1
	v_and_or_b32 v12, v13, s8, v12
	v_cvt_f64_f32_e32 v[58:59], v12
.LBB221_3041:
	s_mov_b64 s[8:9], 0
	s_mov_b64 s[10:11], -1
.LBB221_3042:
	s_andn2_b64 vcc, exec, s[8:9]
	s_mov_b64 s[8:9], 0
	s_cbranch_vccnz .LBB221_3053
; %bb.3043:
	v_cmp_lt_i16_e32 vcc, 14, v11
	s_cbranch_vccz .LBB221_3046
; %bb.3044:
	v_cmp_eq_u16_e32 vcc, 15, v11
	s_cbranch_vccz .LBB221_3049
; %bb.3045:
	global_load_ushort v12, v[6:7], off
	s_mov_b64 s[6:7], 0
	s_mov_b64 s[10:11], -1
	s_waitcnt vmcnt(0)
	v_lshlrev_b32_e32 v12, 16, v12
	v_cvt_f64_f32_e32 v[58:59], v12
	s_branch .LBB221_3050
.LBB221_3046:
	s_mov_b64 s[12:13], -1
                                        ; implicit-def: $vgpr58_vgpr59
	s_branch .LBB221_3051
.LBB221_3047:
	s_or_saveexec_b64 s[12:13], s[12:13]
	v_pk_mov_b32 v[58:59], s[10:11], s[10:11] op_sel:[0,1]
	s_xor_b64 exec, exec, s[12:13]
	s_cbranch_execz .LBB221_3028
.LBB221_3048:
	v_cmp_ne_u16_e32 vcc, 0, v12
	s_andn2_b64 s[8:9], s[8:9], exec
	s_and_b64 s[10:11], vcc, exec
	v_pk_mov_b32 v[58:59], 0, 0
	s_or_b64 s[8:9], s[8:9], s[10:11]
	s_or_b64 exec, exec, s[12:13]
	s_and_saveexec_b64 s[10:11], s[8:9]
	s_cbranch_execnz .LBB221_3029
	s_branch .LBB221_3030
.LBB221_3049:
	s_mov_b64 s[6:7], -1
                                        ; implicit-def: $vgpr58_vgpr59
.LBB221_3050:
	s_mov_b64 s[12:13], 0
.LBB221_3051:
	s_and_b64 vcc, exec, s[12:13]
	s_cbranch_vccz .LBB221_3053
; %bb.3052:
	v_cmp_ne_u16_e64 s[6:7], 11, v11
	s_mov_b64 s[8:9], -1
                                        ; implicit-def: $vgpr58_vgpr59
.LBB221_3053:
	s_and_b64 vcc, exec, s[6:7]
	s_cbranch_vccnz .LBB221_3118
; %bb.3054:
	s_andn2_b64 vcc, exec, s[8:9]
	s_cbranch_vccnz .LBB221_3056
.LBB221_3055:
	global_load_ubyte v12, v[6:7], off
	v_mov_b32_e32 v13, 0x3ff00000
	v_mov_b32_e32 v58, 0
	s_mov_b64 s[10:11], -1
	s_waitcnt vmcnt(0)
	v_cmp_ne_u16_e32 vcc, 0, v12
	v_cndmask_b32_e32 v59, 0, v13, vcc
.LBB221_3056:
	s_mov_b64 s[6:7], 0
.LBB221_3057:
	s_and_b64 vcc, exec, s[6:7]
	s_cbranch_vccz .LBB221_3106
; %bb.3058:
	v_cmp_gt_i16_e32 vcc, 5, v11
	s_cbranch_vccnz .LBB221_3063
; %bb.3059:
	v_cmp_gt_i16_e32 vcc, 8, v11
	s_cbranch_vccnz .LBB221_3064
; %bb.3060:
	v_cmp_gt_i16_e32 vcc, 9, v11
	s_cbranch_vccnz .LBB221_3065
; %bb.3061:
	v_cmp_lt_i16_e32 vcc, 9, v11
	s_cbranch_vccz .LBB221_3066
; %bb.3062:
	global_load_dwordx2 v[58:59], v[6:7], off
	s_mov_b64 s[6:7], 0
	s_branch .LBB221_3067
.LBB221_3063:
	s_mov_b64 s[6:7], -1
                                        ; implicit-def: $vgpr58_vgpr59
	s_branch .LBB221_3085
.LBB221_3064:
	s_mov_b64 s[6:7], -1
                                        ; implicit-def: $vgpr58_vgpr59
	s_branch .LBB221_3073
.LBB221_3065:
	s_mov_b64 s[6:7], -1
                                        ; implicit-def: $vgpr58_vgpr59
	s_branch .LBB221_3070
.LBB221_3066:
	s_mov_b64 s[6:7], -1
                                        ; implicit-def: $vgpr58_vgpr59
.LBB221_3067:
	s_andn2_b64 vcc, exec, s[6:7]
	s_cbranch_vccnz .LBB221_3069
; %bb.3068:
	global_load_dword v12, v[6:7], off
	s_waitcnt vmcnt(0)
	v_cvt_f64_f32_e32 v[58:59], v12
.LBB221_3069:
	s_mov_b64 s[6:7], 0
.LBB221_3070:
	s_andn2_b64 vcc, exec, s[6:7]
	s_cbranch_vccnz .LBB221_3072
; %bb.3071:
	global_load_dword v12, v[6:7], off
	s_waitcnt vmcnt(0)
	v_cvt_f32_f16_e32 v12, v12
	v_cvt_f64_f32_e32 v[58:59], v12
.LBB221_3072:
	s_mov_b64 s[6:7], 0
.LBB221_3073:
	s_andn2_b64 vcc, exec, s[6:7]
	s_cbranch_vccnz .LBB221_3084
; %bb.3074:
	v_cmp_gt_i16_e32 vcc, 6, v11
	s_cbranch_vccnz .LBB221_3077
; %bb.3075:
	v_cmp_lt_i16_e32 vcc, 6, v11
	s_cbranch_vccz .LBB221_3078
; %bb.3076:
	global_load_dwordx2 v[58:59], v[6:7], off
	s_mov_b64 s[6:7], 0
	s_branch .LBB221_3079
.LBB221_3077:
	s_mov_b64 s[6:7], -1
                                        ; implicit-def: $vgpr58_vgpr59
	s_branch .LBB221_3082
.LBB221_3078:
	s_mov_b64 s[6:7], -1
                                        ; implicit-def: $vgpr58_vgpr59
.LBB221_3079:
	s_andn2_b64 vcc, exec, s[6:7]
	s_cbranch_vccnz .LBB221_3081
; %bb.3080:
	global_load_dword v12, v[6:7], off
	s_waitcnt vmcnt(0)
	v_cvt_f64_f32_e32 v[58:59], v12
.LBB221_3081:
	s_mov_b64 s[6:7], 0
.LBB221_3082:
	s_andn2_b64 vcc, exec, s[6:7]
	s_cbranch_vccnz .LBB221_3084
; %bb.3083:
	global_load_ushort v12, v[6:7], off
	s_waitcnt vmcnt(0)
	v_cvt_f32_f16_e32 v12, v12
	v_cvt_f64_f32_e32 v[58:59], v12
.LBB221_3084:
	s_mov_b64 s[6:7], 0
.LBB221_3085:
	s_andn2_b64 vcc, exec, s[6:7]
	s_cbranch_vccnz .LBB221_3105
; %bb.3086:
	v_cmp_gt_i16_e32 vcc, 2, v11
	s_cbranch_vccnz .LBB221_3090
; %bb.3087:
	v_cmp_gt_i16_e32 vcc, 3, v11
	s_cbranch_vccnz .LBB221_3091
; %bb.3088:
	v_cmp_lt_i16_e32 vcc, 3, v11
	s_cbranch_vccz .LBB221_3092
; %bb.3089:
	global_load_dwordx2 v[12:13], v[6:7], off
	s_mov_b64 s[6:7], 0
	s_waitcnt vmcnt(0)
	v_cvt_f64_i32_e32 v[14:15], v13
	v_cvt_f64_u32_e32 v[12:13], v12
	v_ldexp_f64 v[14:15], v[14:15], 32
	v_add_f64 v[58:59], v[14:15], v[12:13]
	s_branch .LBB221_3093
.LBB221_3090:
	s_mov_b64 s[6:7], -1
                                        ; implicit-def: $vgpr58_vgpr59
	s_branch .LBB221_3099
.LBB221_3091:
	s_mov_b64 s[6:7], -1
                                        ; implicit-def: $vgpr58_vgpr59
	s_branch .LBB221_3096
.LBB221_3092:
	s_mov_b64 s[6:7], -1
                                        ; implicit-def: $vgpr58_vgpr59
.LBB221_3093:
	s_andn2_b64 vcc, exec, s[6:7]
	s_cbranch_vccnz .LBB221_3095
; %bb.3094:
	global_load_dword v12, v[6:7], off
	s_waitcnt vmcnt(0)
	v_cvt_f64_i32_e32 v[58:59], v12
.LBB221_3095:
	s_mov_b64 s[6:7], 0
.LBB221_3096:
	s_andn2_b64 vcc, exec, s[6:7]
	s_cbranch_vccnz .LBB221_3098
; %bb.3097:
	global_load_sshort v12, v[6:7], off
	s_waitcnt vmcnt(0)
	v_cvt_f64_i32_e32 v[58:59], v12
.LBB221_3098:
	s_mov_b64 s[6:7], 0
.LBB221_3099:
	s_andn2_b64 vcc, exec, s[6:7]
	s_cbranch_vccnz .LBB221_3105
; %bb.3100:
	v_cmp_lt_i16_e32 vcc, 0, v11
	s_cbranch_vccz .LBB221_3102
; %bb.3101:
	global_load_sbyte v11, v[6:7], off
	s_mov_b64 s[6:7], 0
	s_waitcnt vmcnt(0)
	v_cvt_f64_i32_e32 v[58:59], v11
	s_branch .LBB221_3103
.LBB221_3102:
	s_mov_b64 s[6:7], -1
                                        ; implicit-def: $vgpr58_vgpr59
.LBB221_3103:
	s_andn2_b64 vcc, exec, s[6:7]
	s_cbranch_vccnz .LBB221_3105
; %bb.3104:
	global_load_ubyte v6, v[6:7], off
	s_waitcnt vmcnt(0)
	v_cvt_f64_u32_e32 v[58:59], v6
.LBB221_3105:
	s_mov_b64 s[10:11], -1
.LBB221_3106:
	s_andn2_b64 vcc, exec, s[10:11]
	s_cbranch_vccnz .LBB221_4080
; %bb.3107:
	v_add_u32_e32 v8, s20, v8
	v_ashrrev_i32_e32 v7, 31, v8
	v_mov_b32_e32 v11, s43
	v_add_co_u32_e32 v6, vcc, s42, v8
	v_addc_co_u32_e32 v7, vcc, v11, v7, vcc
	s_and_b64 vcc, exec, s[4:5]
	s_cbranch_vccnz .LBB221_3114
; %bb.3108:
	v_cmp_lt_i16_e32 vcc, 25, v77
	s_mov_b64 s[8:9], 0
	s_cbranch_vccz .LBB221_3115
; %bb.3109:
	v_cmp_lt_i16_e32 vcc, 28, v77
	s_cbranch_vccz .LBB221_3116
; %bb.3110:
	v_cmp_lt_i16_e32 vcc, 43, v77
	;; [unrolled: 3-line block ×3, first 2 shown]
	s_cbranch_vccz .LBB221_3119
; %bb.3112:
	v_cmp_eq_u16_e32 vcc, 46, v77
	s_mov_b64 s[12:13], 0
	s_cbranch_vccz .LBB221_3120
; %bb.3113:
	global_load_dword v11, v[6:7], off
	s_mov_b64 s[6:7], 0
	s_mov_b64 s[10:11], -1
	s_waitcnt vmcnt(0)
	v_lshlrev_b32_e32 v11, 16, v11
	v_cvt_f64_f32_e32 v[60:61], v11
	s_branch .LBB221_3121
.LBB221_3114:
	s_mov_b64 s[6:7], -1
	s_mov_b64 s[10:11], 0
                                        ; implicit-def: $vgpr60_vgpr61
	s_branch .LBB221_3187
.LBB221_3115:
	s_mov_b64 s[12:13], -1
	s_mov_b64 s[10:11], 0
	s_mov_b64 s[6:7], 0
                                        ; implicit-def: $vgpr60_vgpr61
	s_branch .LBB221_3150
.LBB221_3116:
	s_mov_b64 s[12:13], -1
	s_mov_b64 s[10:11], 0
	s_mov_b64 s[6:7], 0
                                        ; implicit-def: $vgpr60_vgpr61
	s_branch .LBB221_3131
.LBB221_3117:
	s_mov_b64 s[12:13], -1
	s_mov_b64 s[10:11], 0
	s_mov_b64 s[6:7], 0
                                        ; implicit-def: $vgpr60_vgpr61
	s_branch .LBB221_3126
.LBB221_3118:
	s_trap 2
	s_or_b64 s[92:93], s[92:93], exec
                                        ; implicit-def: $vgpr58_vgpr59
	s_cbranch_execz .LBB221_3055
	s_branch .LBB221_3056
.LBB221_3119:
	s_mov_b64 s[12:13], -1
	s_mov_b64 s[10:11], 0
	s_mov_b64 s[6:7], 0
                                        ; implicit-def: $vgpr60_vgpr61
	s_branch .LBB221_3121
.LBB221_3120:
	s_mov_b64 s[6:7], -1
                                        ; implicit-def: $vgpr60_vgpr61
	s_mov_b64 s[10:11], 0
.LBB221_3121:
	s_and_b64 vcc, exec, s[12:13]
	s_cbranch_vccz .LBB221_3125
; %bb.3122:
	v_cmp_eq_u16_e32 vcc, 44, v77
	s_cbranch_vccz .LBB221_3124
; %bb.3123:
	global_load_ubyte v11, v[6:7], off
	s_movk_i32 s10, 0xff
	v_bfrev_b32_e32 v14, 4
	v_mov_b32_e32 v15, 0x7ff80000
	v_bfrev_b32_e32 v16, 28
	s_mov_b64 s[6:7], 0
	s_waitcnt vmcnt(0)
	v_lshlrev_b32_e32 v12, 23, v11
	v_cvt_f64_f32_e32 v[12:13], v12
	v_cmp_ne_u32_e32 vcc, s10, v11
	v_cndmask_b32_e32 v12, v14, v12, vcc
	v_cndmask_b32_e32 v13, v15, v13, vcc
	v_cmp_ne_u32_e32 vcc, 0, v11
	v_cndmask_b32_e32 v61, v16, v13, vcc
	v_cndmask_b32_e32 v60, 0, v12, vcc
	s_mov_b64 s[10:11], -1
	s_branch .LBB221_3125
.LBB221_3124:
	s_mov_b64 s[6:7], -1
                                        ; implicit-def: $vgpr60_vgpr61
.LBB221_3125:
	s_mov_b64 s[12:13], 0
.LBB221_3126:
	s_and_b64 vcc, exec, s[12:13]
	s_cbranch_vccz .LBB221_3130
; %bb.3127:
	v_cmp_eq_u16_e32 vcc, 29, v77
	s_cbranch_vccz .LBB221_3129
; %bb.3128:
	global_load_dwordx2 v[12:13], v[6:7], off
	s_mov_b64 s[6:7], 0
	s_mov_b64 s[10:11], -1
	s_mov_b64 s[12:13], 0
	s_waitcnt vmcnt(0)
	v_cvt_f64_u32_e32 v[14:15], v13
	v_cvt_f64_u32_e32 v[12:13], v12
	v_ldexp_f64 v[14:15], v[14:15], 32
	v_add_f64 v[60:61], v[14:15], v[12:13]
	s_branch .LBB221_3131
.LBB221_3129:
	s_mov_b64 s[6:7], -1
                                        ; implicit-def: $vgpr60_vgpr61
.LBB221_3130:
	s_mov_b64 s[12:13], 0
.LBB221_3131:
	s_and_b64 vcc, exec, s[12:13]
	s_cbranch_vccz .LBB221_3149
; %bb.3132:
	v_cmp_gt_i16_e32 vcc, 27, v77
	s_cbranch_vccnz .LBB221_3135
; %bb.3133:
	v_cmp_lt_i16_e32 vcc, 27, v77
	s_cbranch_vccz .LBB221_3136
; %bb.3134:
	global_load_dword v11, v[6:7], off
	s_mov_b64 s[10:11], 0
	s_waitcnt vmcnt(0)
	v_cvt_f64_u32_e32 v[60:61], v11
	s_branch .LBB221_3137
.LBB221_3135:
	s_mov_b64 s[10:11], -1
                                        ; implicit-def: $vgpr60_vgpr61
	s_branch .LBB221_3140
.LBB221_3136:
	s_mov_b64 s[10:11], -1
                                        ; implicit-def: $vgpr60_vgpr61
.LBB221_3137:
	s_andn2_b64 vcc, exec, s[10:11]
	s_cbranch_vccnz .LBB221_3139
; %bb.3138:
	global_load_ushort v11, v[6:7], off
	s_waitcnt vmcnt(0)
	v_cvt_f64_u32_e32 v[60:61], v11
.LBB221_3139:
	s_mov_b64 s[10:11], 0
.LBB221_3140:
	s_andn2_b64 vcc, exec, s[10:11]
	s_cbranch_vccnz .LBB221_3148
; %bb.3141:
	global_load_ubyte v11, v[6:7], off
	s_movk_i32 s10, 0x7f
                                        ; implicit-def: $sgpr12_sgpr13
	s_waitcnt vmcnt(0)
	v_cmp_lt_i16_e32 vcc, s10, v11
	s_mov_b64 s[10:11], 0
	s_and_saveexec_b64 s[14:15], vcc
	s_xor_b64 s[14:15], exec, s[14:15]
	s_cbranch_execz .LBB221_3162
; %bb.3142:
	s_movk_i32 s10, 0x80
	v_cmp_eq_u16_e32 vcc, s10, v11
	s_mov_b64 s[16:17], -1
                                        ; implicit-def: $sgpr12_sgpr13
	s_and_saveexec_b64 s[10:11], vcc
; %bb.3143:
	s_mov_b32 s13, 0x7ff80000
	s_brev_b32 s12, 4
	s_xor_b64 s[16:17], exec, -1
; %bb.3144:
	s_or_b64 exec, exec, s[10:11]
	s_and_b64 s[10:11], s[16:17], exec
	s_or_saveexec_b64 s[14:15], s[14:15]
	v_pk_mov_b32 v[60:61], s[12:13], s[12:13] op_sel:[0,1]
	s_xor_b64 exec, exec, s[14:15]
	s_cbranch_execnz .LBB221_3163
.LBB221_3145:
	s_or_b64 exec, exec, s[14:15]
	s_and_saveexec_b64 s[12:13], s[10:11]
	s_cbranch_execz .LBB221_3147
.LBB221_3146:
	v_lshlrev_b32_e32 v12, 24, v11
	v_and_b32_e32 v11, 0xffff, v11
	v_and_b32_e32 v13, 7, v11
	v_ffbh_u32_e32 v15, v13
	v_min_u32_e32 v15, 32, v15
	v_subrev_u32_e32 v16, 28, v15
	v_bfe_u32 v14, v11, 3, 4
	v_lshlrev_b32_e32 v11, v16, v11
	v_sub_u32_e32 v15, 29, v15
	v_and_b32_e32 v11, 7, v11
	v_cmp_eq_u32_e32 vcc, 0, v14
	v_cndmask_b32_e32 v14, v14, v15, vcc
	v_cndmask_b32_e32 v11, v13, v11, vcc
	v_mov_b32_e32 v13, 0x3b800000
	v_lshlrev_b32_e32 v11, 20, v11
	v_and_b32_e32 v12, 0x80000000, v12
	v_lshl_add_u32 v13, v14, 23, v13
	v_or3_b32 v11, v12, v13, v11
	v_cvt_f64_f32_e32 v[60:61], v11
.LBB221_3147:
	s_or_b64 exec, exec, s[12:13]
.LBB221_3148:
	s_mov_b64 s[10:11], -1
.LBB221_3149:
	s_mov_b64 s[12:13], 0
.LBB221_3150:
	s_and_b64 vcc, exec, s[12:13]
	s_cbranch_vccz .LBB221_3183
; %bb.3151:
	v_cmp_lt_i16_e32 vcc, 22, v77
	s_cbranch_vccz .LBB221_3161
; %bb.3152:
	v_cmp_gt_i16_e32 vcc, 24, v77
	s_cbranch_vccnz .LBB221_3164
; %bb.3153:
	v_cmp_lt_i16_e32 vcc, 24, v77
	s_cbranch_vccz .LBB221_3165
; %bb.3154:
	global_load_ubyte v11, v[6:7], off
	s_movk_i32 s8, 0x7f
                                        ; implicit-def: $sgpr10_sgpr11
	s_waitcnt vmcnt(0)
	v_cmp_lt_i16_e32 vcc, s8, v11
	s_mov_b64 s[8:9], 0
	s_and_saveexec_b64 s[12:13], vcc
	s_xor_b64 s[12:13], exec, s[12:13]
	s_cbranch_execz .LBB221_3177
; %bb.3155:
	s_movk_i32 s8, 0x80
	v_cmp_eq_u16_e32 vcc, s8, v11
	s_mov_b64 s[14:15], -1
                                        ; implicit-def: $sgpr10_sgpr11
	s_and_saveexec_b64 s[8:9], vcc
; %bb.3156:
	s_mov_b32 s11, 0x7ff80000
	s_brev_b32 s10, 4
	s_xor_b64 s[14:15], exec, -1
; %bb.3157:
	s_or_b64 exec, exec, s[8:9]
	s_and_b64 s[8:9], s[14:15], exec
	s_or_saveexec_b64 s[12:13], s[12:13]
	v_pk_mov_b32 v[60:61], s[10:11], s[10:11] op_sel:[0,1]
	s_xor_b64 exec, exec, s[12:13]
	s_cbranch_execnz .LBB221_3178
.LBB221_3158:
	s_or_b64 exec, exec, s[12:13]
	s_and_saveexec_b64 s[10:11], s[8:9]
	s_cbranch_execz .LBB221_3160
.LBB221_3159:
	v_lshlrev_b32_e32 v12, 24, v11
	v_and_b32_e32 v11, 0xffff, v11
	v_and_b32_e32 v13, 3, v11
	v_ffbh_u32_e32 v15, v13
	v_min_u32_e32 v15, 32, v15
	v_subrev_u32_e32 v16, 29, v15
	v_bfe_u32 v14, v11, 2, 5
	v_lshlrev_b32_e32 v11, v16, v11
	v_sub_u32_e32 v15, 30, v15
	v_and_b32_e32 v11, 3, v11
	v_cmp_eq_u32_e32 vcc, 0, v14
	v_cndmask_b32_e32 v14, v14, v15, vcc
	v_cndmask_b32_e32 v11, v13, v11, vcc
	v_mov_b32_e32 v13, 0x37800000
	v_lshlrev_b32_e32 v11, 21, v11
	v_and_b32_e32 v12, 0x80000000, v12
	v_lshl_add_u32 v13, v14, 23, v13
	v_or3_b32 v11, v12, v13, v11
	v_cvt_f64_f32_e32 v[60:61], v11
.LBB221_3160:
	s_or_b64 exec, exec, s[10:11]
	s_mov_b64 s[8:9], 0
	s_branch .LBB221_3166
.LBB221_3161:
	s_mov_b64 s[8:9], -1
                                        ; implicit-def: $vgpr60_vgpr61
	s_branch .LBB221_3172
.LBB221_3162:
	s_or_saveexec_b64 s[14:15], s[14:15]
	v_pk_mov_b32 v[60:61], s[12:13], s[12:13] op_sel:[0,1]
	s_xor_b64 exec, exec, s[14:15]
	s_cbranch_execz .LBB221_3145
.LBB221_3163:
	v_cmp_ne_u16_e32 vcc, 0, v11
	s_andn2_b64 s[10:11], s[10:11], exec
	s_and_b64 s[12:13], vcc, exec
	v_pk_mov_b32 v[60:61], 0, 0
	s_or_b64 s[10:11], s[10:11], s[12:13]
	s_or_b64 exec, exec, s[14:15]
	s_and_saveexec_b64 s[12:13], s[10:11]
	s_cbranch_execnz .LBB221_3146
	s_branch .LBB221_3147
.LBB221_3164:
	s_mov_b64 s[8:9], -1
                                        ; implicit-def: $vgpr60_vgpr61
	s_branch .LBB221_3169
.LBB221_3165:
	s_mov_b64 s[8:9], -1
                                        ; implicit-def: $vgpr60_vgpr61
.LBB221_3166:
	s_and_b64 vcc, exec, s[8:9]
	s_cbranch_vccz .LBB221_3168
; %bb.3167:
	global_load_ubyte v11, v[6:7], off
	s_mov_b32 s8, 0x7f800000
	s_waitcnt vmcnt(0)
	v_lshlrev_b32_e32 v11, 24, v11
	v_and_b32_e32 v12, 0x7f000000, v11
	v_ffbh_u32_e32 v13, v12
	v_min_u32_e32 v13, 32, v13
	v_sub_u32_e64 v13, v13, 4 clamp
	v_lshlrev_b32_e32 v15, v13, v12
	v_lshlrev_b32_e32 v13, 23, v13
	v_lshrrev_b32_e32 v15, 4, v15
	v_add_u32_e32 v14, 0x1000000, v12
	v_sub_u32_e32 v13, v15, v13
	v_ashrrev_i32_e32 v14, 8, v14
	v_add_u32_e32 v13, 0x3c000000, v13
	v_and_or_b32 v13, v14, s8, v13
	v_cmp_ne_u32_e32 vcc, 0, v12
	v_cndmask_b32_e32 v12, 0, v13, vcc
	s_brev_b32 s8, 1
	v_and_or_b32 v11, v11, s8, v12
	v_cvt_f64_f32_e32 v[60:61], v11
.LBB221_3168:
	s_mov_b64 s[8:9], 0
.LBB221_3169:
	s_andn2_b64 vcc, exec, s[8:9]
	s_cbranch_vccnz .LBB221_3171
; %bb.3170:
	global_load_ubyte v11, v[6:7], off
	s_movk_i32 s8, 0x7f00
	s_brev_b32 s9, 16
	s_waitcnt vmcnt(0)
	v_lshlrev_b16_e32 v12, 8, v11
	v_lshlrev_b32_e32 v11, 25, v11
	v_lshrrev_b32_e32 v13, 4, v11
	v_and_or_b32 v14, v12, s8, 0.5
	v_or_b32_e32 v13, 0x70000000, v13
	v_add_f32_e32 v14, -0.5, v14
	v_mul_f32_e32 v13, 0x7800000, v13
	v_cmp_gt_u32_e32 vcc, s9, v11
	v_bfe_i32 v12, v12, 0, 16
	v_cndmask_b32_e32 v11, v13, v14, vcc
	s_brev_b32 s8, 1
	v_and_or_b32 v11, v12, s8, v11
	v_cvt_f64_f32_e32 v[60:61], v11
.LBB221_3171:
	s_mov_b64 s[8:9], 0
	s_mov_b64 s[10:11], -1
.LBB221_3172:
	s_andn2_b64 vcc, exec, s[8:9]
	s_mov_b64 s[8:9], 0
	s_cbranch_vccnz .LBB221_3183
; %bb.3173:
	v_cmp_lt_i16_e32 vcc, 14, v77
	s_cbranch_vccz .LBB221_3176
; %bb.3174:
	v_cmp_eq_u16_e32 vcc, 15, v77
	s_cbranch_vccz .LBB221_3179
; %bb.3175:
	global_load_ushort v11, v[6:7], off
	s_mov_b64 s[6:7], 0
	s_mov_b64 s[10:11], -1
	s_waitcnt vmcnt(0)
	v_lshlrev_b32_e32 v11, 16, v11
	v_cvt_f64_f32_e32 v[60:61], v11
	s_branch .LBB221_3180
.LBB221_3176:
	s_mov_b64 s[12:13], -1
                                        ; implicit-def: $vgpr60_vgpr61
	s_branch .LBB221_3181
.LBB221_3177:
	s_or_saveexec_b64 s[12:13], s[12:13]
	v_pk_mov_b32 v[60:61], s[10:11], s[10:11] op_sel:[0,1]
	s_xor_b64 exec, exec, s[12:13]
	s_cbranch_execz .LBB221_3158
.LBB221_3178:
	v_cmp_ne_u16_e32 vcc, 0, v11
	s_andn2_b64 s[8:9], s[8:9], exec
	s_and_b64 s[10:11], vcc, exec
	v_pk_mov_b32 v[60:61], 0, 0
	s_or_b64 s[8:9], s[8:9], s[10:11]
	s_or_b64 exec, exec, s[12:13]
	s_and_saveexec_b64 s[10:11], s[8:9]
	s_cbranch_execnz .LBB221_3159
	s_branch .LBB221_3160
.LBB221_3179:
	s_mov_b64 s[6:7], -1
                                        ; implicit-def: $vgpr60_vgpr61
.LBB221_3180:
	s_mov_b64 s[12:13], 0
.LBB221_3181:
	s_and_b64 vcc, exec, s[12:13]
	s_cbranch_vccz .LBB221_3183
; %bb.3182:
	v_cmp_ne_u16_e64 s[6:7], 11, v77
	s_mov_b64 s[8:9], -1
                                        ; implicit-def: $vgpr60_vgpr61
.LBB221_3183:
	s_and_b64 vcc, exec, s[6:7]
	s_cbranch_vccnz .LBB221_3248
; %bb.3184:
	s_andn2_b64 vcc, exec, s[8:9]
	s_cbranch_vccnz .LBB221_3186
.LBB221_3185:
	global_load_ubyte v11, v[6:7], off
	v_mov_b32_e32 v12, 0x3ff00000
	v_mov_b32_e32 v60, 0
	s_mov_b64 s[10:11], -1
	s_waitcnt vmcnt(0)
	v_cmp_ne_u16_e32 vcc, 0, v11
	v_cndmask_b32_e32 v61, 0, v12, vcc
.LBB221_3186:
	s_mov_b64 s[6:7], 0
.LBB221_3187:
	s_and_b64 vcc, exec, s[6:7]
	s_cbranch_vccz .LBB221_3236
; %bb.3188:
	v_cmp_gt_i16_e32 vcc, 5, v77
	s_cbranch_vccnz .LBB221_3193
; %bb.3189:
	v_cmp_gt_i16_e32 vcc, 8, v77
	s_cbranch_vccnz .LBB221_3194
	;; [unrolled: 3-line block ×3, first 2 shown]
; %bb.3191:
	v_cmp_lt_i16_e32 vcc, 9, v77
	s_cbranch_vccz .LBB221_3196
; %bb.3192:
	global_load_dwordx2 v[60:61], v[6:7], off
	s_mov_b64 s[6:7], 0
	s_branch .LBB221_3197
.LBB221_3193:
	s_mov_b64 s[6:7], -1
                                        ; implicit-def: $vgpr60_vgpr61
	s_branch .LBB221_3215
.LBB221_3194:
	s_mov_b64 s[6:7], -1
                                        ; implicit-def: $vgpr60_vgpr61
	s_branch .LBB221_3203
.LBB221_3195:
	s_mov_b64 s[6:7], -1
                                        ; implicit-def: $vgpr60_vgpr61
	s_branch .LBB221_3200
.LBB221_3196:
	s_mov_b64 s[6:7], -1
                                        ; implicit-def: $vgpr60_vgpr61
.LBB221_3197:
	s_andn2_b64 vcc, exec, s[6:7]
	s_cbranch_vccnz .LBB221_3199
; %bb.3198:
	global_load_dword v11, v[6:7], off
	s_waitcnt vmcnt(0)
	v_cvt_f64_f32_e32 v[60:61], v11
.LBB221_3199:
	s_mov_b64 s[6:7], 0
.LBB221_3200:
	s_andn2_b64 vcc, exec, s[6:7]
	s_cbranch_vccnz .LBB221_3202
; %bb.3201:
	global_load_dword v11, v[6:7], off
	s_waitcnt vmcnt(0)
	v_cvt_f32_f16_e32 v11, v11
	v_cvt_f64_f32_e32 v[60:61], v11
.LBB221_3202:
	s_mov_b64 s[6:7], 0
.LBB221_3203:
	s_andn2_b64 vcc, exec, s[6:7]
	s_cbranch_vccnz .LBB221_3214
; %bb.3204:
	v_cmp_gt_i16_e32 vcc, 6, v77
	s_cbranch_vccnz .LBB221_3207
; %bb.3205:
	v_cmp_lt_i16_e32 vcc, 6, v77
	s_cbranch_vccz .LBB221_3208
; %bb.3206:
	global_load_dwordx2 v[60:61], v[6:7], off
	s_mov_b64 s[6:7], 0
	s_branch .LBB221_3209
.LBB221_3207:
	s_mov_b64 s[6:7], -1
                                        ; implicit-def: $vgpr60_vgpr61
	s_branch .LBB221_3212
.LBB221_3208:
	s_mov_b64 s[6:7], -1
                                        ; implicit-def: $vgpr60_vgpr61
.LBB221_3209:
	s_andn2_b64 vcc, exec, s[6:7]
	s_cbranch_vccnz .LBB221_3211
; %bb.3210:
	global_load_dword v11, v[6:7], off
	s_waitcnt vmcnt(0)
	v_cvt_f64_f32_e32 v[60:61], v11
.LBB221_3211:
	s_mov_b64 s[6:7], 0
.LBB221_3212:
	s_andn2_b64 vcc, exec, s[6:7]
	s_cbranch_vccnz .LBB221_3214
; %bb.3213:
	global_load_ushort v11, v[6:7], off
	s_waitcnt vmcnt(0)
	v_cvt_f32_f16_e32 v11, v11
	v_cvt_f64_f32_e32 v[60:61], v11
.LBB221_3214:
	s_mov_b64 s[6:7], 0
.LBB221_3215:
	s_andn2_b64 vcc, exec, s[6:7]
	s_cbranch_vccnz .LBB221_3235
; %bb.3216:
	v_cmp_gt_i16_e32 vcc, 2, v77
	s_cbranch_vccnz .LBB221_3220
; %bb.3217:
	v_cmp_gt_i16_e32 vcc, 3, v77
	s_cbranch_vccnz .LBB221_3221
; %bb.3218:
	v_cmp_lt_i16_e32 vcc, 3, v77
	s_cbranch_vccz .LBB221_3222
; %bb.3219:
	global_load_dwordx2 v[12:13], v[6:7], off
	s_mov_b64 s[6:7], 0
	s_waitcnt vmcnt(0)
	v_cvt_f64_i32_e32 v[14:15], v13
	v_cvt_f64_u32_e32 v[12:13], v12
	v_ldexp_f64 v[14:15], v[14:15], 32
	v_add_f64 v[60:61], v[14:15], v[12:13]
	s_branch .LBB221_3223
.LBB221_3220:
	s_mov_b64 s[6:7], -1
                                        ; implicit-def: $vgpr60_vgpr61
	s_branch .LBB221_3229
.LBB221_3221:
	s_mov_b64 s[6:7], -1
                                        ; implicit-def: $vgpr60_vgpr61
	s_branch .LBB221_3226
.LBB221_3222:
	s_mov_b64 s[6:7], -1
                                        ; implicit-def: $vgpr60_vgpr61
.LBB221_3223:
	s_andn2_b64 vcc, exec, s[6:7]
	s_cbranch_vccnz .LBB221_3225
; %bb.3224:
	global_load_dword v11, v[6:7], off
	s_waitcnt vmcnt(0)
	v_cvt_f64_i32_e32 v[60:61], v11
.LBB221_3225:
	s_mov_b64 s[6:7], 0
.LBB221_3226:
	s_andn2_b64 vcc, exec, s[6:7]
	s_cbranch_vccnz .LBB221_3228
; %bb.3227:
	global_load_sshort v11, v[6:7], off
	s_waitcnt vmcnt(0)
	v_cvt_f64_i32_e32 v[60:61], v11
.LBB221_3228:
	s_mov_b64 s[6:7], 0
.LBB221_3229:
	s_andn2_b64 vcc, exec, s[6:7]
	s_cbranch_vccnz .LBB221_3235
; %bb.3230:
	v_cmp_lt_i16_e32 vcc, 0, v77
	s_cbranch_vccz .LBB221_3232
; %bb.3231:
	global_load_sbyte v11, v[6:7], off
	s_mov_b64 s[6:7], 0
	s_waitcnt vmcnt(0)
	v_cvt_f64_i32_e32 v[60:61], v11
	s_branch .LBB221_3233
.LBB221_3232:
	s_mov_b64 s[6:7], -1
                                        ; implicit-def: $vgpr60_vgpr61
.LBB221_3233:
	s_andn2_b64 vcc, exec, s[6:7]
	s_cbranch_vccnz .LBB221_3235
; %bb.3234:
	global_load_ubyte v6, v[6:7], off
	s_waitcnt vmcnt(0)
	v_cvt_f64_u32_e32 v[60:61], v6
.LBB221_3235:
	s_mov_b64 s[10:11], -1
.LBB221_3236:
	s_andn2_b64 vcc, exec, s[10:11]
	s_cbranch_vccnz .LBB221_4080
; %bb.3237:
	v_add_u32_e32 v6, s18, v10
	v_ashrrev_i32_e32 v7, 31, v6
	v_mov_b32_e32 v10, s39
	v_add_co_u32_e32 v6, vcc, s38, v6
	v_addc_co_u32_e32 v7, vcc, v10, v7, vcc
	v_mov_b32_e32 v10, 11
	v_cmp_lt_i16_sdwa s[6:7], v72, v10 src0_sel:BYTE_0 src1_sel:DWORD
	s_and_b64 vcc, exec, s[6:7]
	s_cbranch_vccnz .LBB221_3244
; %bb.3238:
	v_mov_b32_e32 v10, 25
	v_cmp_gt_i16_sdwa s[6:7], v72, v10 src0_sel:BYTE_0 src1_sel:DWORD
	s_mov_b64 s[8:9], 0
	s_and_b64 vcc, exec, s[6:7]
	s_cbranch_vccz .LBB221_3245
; %bb.3239:
	v_mov_b32_e32 v10, 28
	v_cmp_gt_i16_sdwa s[6:7], v72, v10 src0_sel:BYTE_0 src1_sel:DWORD
	s_and_b64 vcc, exec, s[6:7]
	s_cbranch_vccz .LBB221_3246
; %bb.3240:
	v_mov_b32_e32 v10, 43
	v_cmp_gt_i16_sdwa s[6:7], v72, v10 src0_sel:BYTE_0 src1_sel:DWORD
	;; [unrolled: 5-line block ×3, first 2 shown]
	s_and_b64 vcc, exec, s[6:7]
	s_cbranch_vccz .LBB221_3249
; %bb.3242:
	v_mov_b32_e32 v10, 46
	v_cmp_eq_u16_sdwa s[6:7], v72, v10 src0_sel:BYTE_0 src1_sel:DWORD
	s_mov_b64 s[12:13], 0
	s_and_b64 vcc, exec, s[6:7]
	s_cbranch_vccz .LBB221_3250
; %bb.3243:
	global_load_dword v10, v[6:7], off
	s_mov_b64 s[6:7], 0
	s_mov_b64 s[10:11], -1
	s_waitcnt vmcnt(0)
	v_lshlrev_b32_e32 v10, 16, v10
	v_cvt_f64_f32_e32 v[62:63], v10
	s_branch .LBB221_3251
.LBB221_3244:
	s_mov_b64 s[6:7], -1
	s_mov_b64 s[10:11], 0
                                        ; implicit-def: $vgpr62_vgpr63
	s_branch .LBB221_3317
.LBB221_3245:
	s_mov_b64 s[12:13], -1
	s_mov_b64 s[10:11], 0
	s_mov_b64 s[6:7], 0
                                        ; implicit-def: $vgpr62_vgpr63
	s_branch .LBB221_3280
.LBB221_3246:
	s_mov_b64 s[12:13], -1
	s_mov_b64 s[10:11], 0
	s_mov_b64 s[6:7], 0
                                        ; implicit-def: $vgpr62_vgpr63
	s_branch .LBB221_3261
.LBB221_3247:
	s_mov_b64 s[12:13], -1
	s_mov_b64 s[10:11], 0
	s_mov_b64 s[6:7], 0
                                        ; implicit-def: $vgpr62_vgpr63
	s_branch .LBB221_3256
.LBB221_3248:
	s_trap 2
	s_or_b64 s[92:93], s[92:93], exec
                                        ; implicit-def: $vgpr60_vgpr61
	s_cbranch_execz .LBB221_3185
	s_branch .LBB221_3186
.LBB221_3249:
	s_mov_b64 s[12:13], -1
	s_mov_b64 s[10:11], 0
	s_mov_b64 s[6:7], 0
                                        ; implicit-def: $vgpr62_vgpr63
	s_branch .LBB221_3251
.LBB221_3250:
	s_mov_b64 s[6:7], -1
                                        ; implicit-def: $vgpr62_vgpr63
	s_mov_b64 s[10:11], 0
.LBB221_3251:
	s_and_b64 vcc, exec, s[12:13]
	s_cbranch_vccz .LBB221_3255
; %bb.3252:
	v_mov_b32_e32 v10, 44
	v_cmp_eq_u16_sdwa s[6:7], v72, v10 src0_sel:BYTE_0 src1_sel:DWORD
	s_and_b64 vcc, exec, s[6:7]
	s_cbranch_vccz .LBB221_3254
; %bb.3253:
	global_load_ubyte v12, v[6:7], off
	s_movk_i32 s10, 0xff
	v_bfrev_b32_e32 v13, 4
	v_mov_b32_e32 v14, 0x7ff80000
	v_bfrev_b32_e32 v15, 28
	s_mov_b64 s[6:7], 0
	s_waitcnt vmcnt(0)
	v_lshlrev_b32_e32 v10, 23, v12
	v_cvt_f64_f32_e32 v[10:11], v10
	v_cmp_ne_u32_e32 vcc, s10, v12
	v_cndmask_b32_e32 v10, v13, v10, vcc
	v_cndmask_b32_e32 v11, v14, v11, vcc
	v_cmp_ne_u32_e32 vcc, 0, v12
	v_cndmask_b32_e32 v63, v15, v11, vcc
	v_cndmask_b32_e32 v62, 0, v10, vcc
	s_mov_b64 s[10:11], -1
	s_branch .LBB221_3255
.LBB221_3254:
	s_mov_b64 s[6:7], -1
                                        ; implicit-def: $vgpr62_vgpr63
.LBB221_3255:
	s_mov_b64 s[12:13], 0
.LBB221_3256:
	s_and_b64 vcc, exec, s[12:13]
	s_cbranch_vccz .LBB221_3260
; %bb.3257:
	v_mov_b32_e32 v10, 29
	v_cmp_eq_u16_sdwa s[6:7], v72, v10 src0_sel:BYTE_0 src1_sel:DWORD
	s_and_b64 vcc, exec, s[6:7]
	s_cbranch_vccz .LBB221_3259
; %bb.3258:
	global_load_dwordx2 v[10:11], v[6:7], off
	s_mov_b64 s[6:7], 0
	s_mov_b64 s[10:11], -1
	s_mov_b64 s[12:13], 0
	s_waitcnt vmcnt(0)
	v_cvt_f64_u32_e32 v[12:13], v11
	v_cvt_f64_u32_e32 v[10:11], v10
	v_ldexp_f64 v[12:13], v[12:13], 32
	v_add_f64 v[62:63], v[12:13], v[10:11]
	s_branch .LBB221_3261
.LBB221_3259:
	s_mov_b64 s[6:7], -1
                                        ; implicit-def: $vgpr62_vgpr63
.LBB221_3260:
	s_mov_b64 s[12:13], 0
.LBB221_3261:
	s_and_b64 vcc, exec, s[12:13]
	s_cbranch_vccz .LBB221_3279
; %bb.3262:
	v_mov_b32_e32 v10, 27
	v_cmp_lt_i16_sdwa s[10:11], v72, v10 src0_sel:BYTE_0 src1_sel:DWORD
	s_and_b64 vcc, exec, s[10:11]
	s_cbranch_vccnz .LBB221_3265
; %bb.3263:
	v_cmp_gt_i16_sdwa s[10:11], v72, v10 src0_sel:BYTE_0 src1_sel:DWORD
	s_and_b64 vcc, exec, s[10:11]
	s_cbranch_vccz .LBB221_3266
; %bb.3264:
	global_load_dword v10, v[6:7], off
	s_mov_b64 s[10:11], 0
	s_waitcnt vmcnt(0)
	v_cvt_f64_u32_e32 v[62:63], v10
	s_branch .LBB221_3267
.LBB221_3265:
	s_mov_b64 s[10:11], -1
                                        ; implicit-def: $vgpr62_vgpr63
	s_branch .LBB221_3270
.LBB221_3266:
	s_mov_b64 s[10:11], -1
                                        ; implicit-def: $vgpr62_vgpr63
.LBB221_3267:
	s_andn2_b64 vcc, exec, s[10:11]
	s_cbranch_vccnz .LBB221_3269
; %bb.3268:
	global_load_ushort v10, v[6:7], off
	s_waitcnt vmcnt(0)
	v_cvt_f64_u32_e32 v[62:63], v10
.LBB221_3269:
	s_mov_b64 s[10:11], 0
.LBB221_3270:
	s_andn2_b64 vcc, exec, s[10:11]
	s_cbranch_vccnz .LBB221_3278
; %bb.3271:
	global_load_ubyte v10, v[6:7], off
	s_movk_i32 s10, 0x7f
                                        ; implicit-def: $sgpr12_sgpr13
	s_waitcnt vmcnt(0)
	v_cmp_lt_i16_e32 vcc, s10, v10
	s_mov_b64 s[10:11], 0
	s_and_saveexec_b64 s[14:15], vcc
	s_xor_b64 s[14:15], exec, s[14:15]
	s_cbranch_execz .LBB221_3292
; %bb.3272:
	s_movk_i32 s10, 0x80
	v_cmp_eq_u16_e32 vcc, s10, v10
	s_mov_b64 s[16:17], -1
                                        ; implicit-def: $sgpr12_sgpr13
	s_and_saveexec_b64 s[10:11], vcc
; %bb.3273:
	s_mov_b32 s13, 0x7ff80000
	s_brev_b32 s12, 4
	s_xor_b64 s[16:17], exec, -1
; %bb.3274:
	s_or_b64 exec, exec, s[10:11]
	s_and_b64 s[10:11], s[16:17], exec
	s_or_saveexec_b64 s[14:15], s[14:15]
	v_pk_mov_b32 v[62:63], s[12:13], s[12:13] op_sel:[0,1]
	s_xor_b64 exec, exec, s[14:15]
	s_cbranch_execnz .LBB221_3293
.LBB221_3275:
	s_or_b64 exec, exec, s[14:15]
	s_and_saveexec_b64 s[12:13], s[10:11]
	s_cbranch_execz .LBB221_3277
.LBB221_3276:
	v_lshlrev_b32_e32 v11, 24, v10
	v_and_b32_e32 v10, 0xffff, v10
	v_and_b32_e32 v12, 7, v10
	v_ffbh_u32_e32 v14, v12
	v_min_u32_e32 v14, 32, v14
	v_subrev_u32_e32 v15, 28, v14
	v_bfe_u32 v13, v10, 3, 4
	v_lshlrev_b32_e32 v10, v15, v10
	v_sub_u32_e32 v14, 29, v14
	v_and_b32_e32 v10, 7, v10
	v_cmp_eq_u32_e32 vcc, 0, v13
	v_cndmask_b32_e32 v13, v13, v14, vcc
	v_cndmask_b32_e32 v10, v12, v10, vcc
	v_mov_b32_e32 v12, 0x3b800000
	v_lshlrev_b32_e32 v10, 20, v10
	v_and_b32_e32 v11, 0x80000000, v11
	v_lshl_add_u32 v12, v13, 23, v12
	v_or3_b32 v10, v11, v12, v10
	v_cvt_f64_f32_e32 v[62:63], v10
.LBB221_3277:
	s_or_b64 exec, exec, s[12:13]
.LBB221_3278:
	s_mov_b64 s[10:11], -1
.LBB221_3279:
	s_mov_b64 s[12:13], 0
.LBB221_3280:
	s_and_b64 vcc, exec, s[12:13]
	s_cbranch_vccz .LBB221_3313
; %bb.3281:
	v_mov_b32_e32 v10, 22
	v_cmp_gt_i16_sdwa s[8:9], v72, v10 src0_sel:BYTE_0 src1_sel:DWORD
	s_and_b64 vcc, exec, s[8:9]
	s_cbranch_vccz .LBB221_3291
; %bb.3282:
	v_mov_b32_e32 v10, 24
	v_cmp_lt_i16_sdwa s[8:9], v72, v10 src0_sel:BYTE_0 src1_sel:DWORD
	s_and_b64 vcc, exec, s[8:9]
	s_cbranch_vccnz .LBB221_3294
; %bb.3283:
	v_cmp_gt_i16_sdwa s[8:9], v72, v10 src0_sel:BYTE_0 src1_sel:DWORD
	s_and_b64 vcc, exec, s[8:9]
	s_cbranch_vccz .LBB221_3295
; %bb.3284:
	global_load_ubyte v10, v[6:7], off
	s_movk_i32 s8, 0x7f
                                        ; implicit-def: $sgpr10_sgpr11
	s_waitcnt vmcnt(0)
	v_cmp_lt_i16_e32 vcc, s8, v10
	s_mov_b64 s[8:9], 0
	s_and_saveexec_b64 s[12:13], vcc
	s_xor_b64 s[12:13], exec, s[12:13]
	s_cbranch_execz .LBB221_3307
; %bb.3285:
	s_movk_i32 s8, 0x80
	v_cmp_eq_u16_e32 vcc, s8, v10
	s_mov_b64 s[14:15], -1
                                        ; implicit-def: $sgpr10_sgpr11
	s_and_saveexec_b64 s[8:9], vcc
; %bb.3286:
	s_mov_b32 s11, 0x7ff80000
	s_brev_b32 s10, 4
	s_xor_b64 s[14:15], exec, -1
; %bb.3287:
	s_or_b64 exec, exec, s[8:9]
	s_and_b64 s[8:9], s[14:15], exec
	s_or_saveexec_b64 s[12:13], s[12:13]
	v_pk_mov_b32 v[62:63], s[10:11], s[10:11] op_sel:[0,1]
	s_xor_b64 exec, exec, s[12:13]
	s_cbranch_execnz .LBB221_3308
.LBB221_3288:
	s_or_b64 exec, exec, s[12:13]
	s_and_saveexec_b64 s[10:11], s[8:9]
	s_cbranch_execz .LBB221_3290
.LBB221_3289:
	v_lshlrev_b32_e32 v11, 24, v10
	v_and_b32_e32 v10, 0xffff, v10
	v_and_b32_e32 v12, 3, v10
	v_ffbh_u32_e32 v14, v12
	v_min_u32_e32 v14, 32, v14
	v_subrev_u32_e32 v15, 29, v14
	v_bfe_u32 v13, v10, 2, 5
	v_lshlrev_b32_e32 v10, v15, v10
	v_sub_u32_e32 v14, 30, v14
	v_and_b32_e32 v10, 3, v10
	v_cmp_eq_u32_e32 vcc, 0, v13
	v_cndmask_b32_e32 v13, v13, v14, vcc
	v_cndmask_b32_e32 v10, v12, v10, vcc
	v_mov_b32_e32 v12, 0x37800000
	v_lshlrev_b32_e32 v10, 21, v10
	v_and_b32_e32 v11, 0x80000000, v11
	v_lshl_add_u32 v12, v13, 23, v12
	v_or3_b32 v10, v11, v12, v10
	v_cvt_f64_f32_e32 v[62:63], v10
.LBB221_3290:
	s_or_b64 exec, exec, s[10:11]
	s_mov_b64 s[8:9], 0
	s_branch .LBB221_3296
.LBB221_3291:
	s_mov_b64 s[8:9], -1
                                        ; implicit-def: $vgpr62_vgpr63
	s_branch .LBB221_3302
.LBB221_3292:
	s_or_saveexec_b64 s[14:15], s[14:15]
	v_pk_mov_b32 v[62:63], s[12:13], s[12:13] op_sel:[0,1]
	s_xor_b64 exec, exec, s[14:15]
	s_cbranch_execz .LBB221_3275
.LBB221_3293:
	v_cmp_ne_u16_e32 vcc, 0, v10
	s_andn2_b64 s[10:11], s[10:11], exec
	s_and_b64 s[12:13], vcc, exec
	v_pk_mov_b32 v[62:63], 0, 0
	s_or_b64 s[10:11], s[10:11], s[12:13]
	s_or_b64 exec, exec, s[14:15]
	s_and_saveexec_b64 s[12:13], s[10:11]
	s_cbranch_execnz .LBB221_3276
	s_branch .LBB221_3277
.LBB221_3294:
	s_mov_b64 s[8:9], -1
                                        ; implicit-def: $vgpr62_vgpr63
	s_branch .LBB221_3299
.LBB221_3295:
	s_mov_b64 s[8:9], -1
                                        ; implicit-def: $vgpr62_vgpr63
.LBB221_3296:
	s_and_b64 vcc, exec, s[8:9]
	s_cbranch_vccz .LBB221_3298
; %bb.3297:
	global_load_ubyte v10, v[6:7], off
	s_mov_b32 s8, 0x7f800000
	s_waitcnt vmcnt(0)
	v_lshlrev_b32_e32 v10, 24, v10
	v_and_b32_e32 v11, 0x7f000000, v10
	v_ffbh_u32_e32 v12, v11
	v_min_u32_e32 v12, 32, v12
	v_sub_u32_e64 v12, v12, 4 clamp
	v_lshlrev_b32_e32 v14, v12, v11
	v_lshlrev_b32_e32 v12, 23, v12
	v_lshrrev_b32_e32 v14, 4, v14
	v_add_u32_e32 v13, 0x1000000, v11
	v_sub_u32_e32 v12, v14, v12
	v_ashrrev_i32_e32 v13, 8, v13
	v_add_u32_e32 v12, 0x3c000000, v12
	v_and_or_b32 v12, v13, s8, v12
	v_cmp_ne_u32_e32 vcc, 0, v11
	v_cndmask_b32_e32 v11, 0, v12, vcc
	s_brev_b32 s8, 1
	v_and_or_b32 v10, v10, s8, v11
	v_cvt_f64_f32_e32 v[62:63], v10
.LBB221_3298:
	s_mov_b64 s[8:9], 0
.LBB221_3299:
	s_andn2_b64 vcc, exec, s[8:9]
	s_cbranch_vccnz .LBB221_3301
; %bb.3300:
	global_load_ubyte v10, v[6:7], off
	s_movk_i32 s8, 0x7f00
	s_brev_b32 s9, 16
	s_waitcnt vmcnt(0)
	v_lshlrev_b16_e32 v11, 8, v10
	v_lshlrev_b32_e32 v10, 25, v10
	v_lshrrev_b32_e32 v12, 4, v10
	v_and_or_b32 v13, v11, s8, 0.5
	v_or_b32_e32 v12, 0x70000000, v12
	v_add_f32_e32 v13, -0.5, v13
	v_mul_f32_e32 v12, 0x7800000, v12
	v_cmp_gt_u32_e32 vcc, s9, v10
	v_bfe_i32 v11, v11, 0, 16
	v_cndmask_b32_e32 v10, v12, v13, vcc
	s_brev_b32 s8, 1
	v_and_or_b32 v10, v11, s8, v10
	v_cvt_f64_f32_e32 v[62:63], v10
.LBB221_3301:
	s_mov_b64 s[8:9], 0
	s_mov_b64 s[10:11], -1
.LBB221_3302:
	s_andn2_b64 vcc, exec, s[8:9]
	s_mov_b64 s[8:9], 0
	s_cbranch_vccnz .LBB221_3313
; %bb.3303:
	v_mov_b32_e32 v10, 14
	v_cmp_gt_i16_sdwa s[8:9], v72, v10 src0_sel:BYTE_0 src1_sel:DWORD
	s_and_b64 vcc, exec, s[8:9]
	s_cbranch_vccz .LBB221_3306
; %bb.3304:
	v_mov_b32_e32 v10, 15
	v_cmp_eq_u16_sdwa s[6:7], v72, v10 src0_sel:BYTE_0 src1_sel:DWORD
	s_and_b64 vcc, exec, s[6:7]
	s_cbranch_vccz .LBB221_3309
; %bb.3305:
	global_load_ushort v10, v[6:7], off
	s_mov_b64 s[6:7], 0
	s_mov_b64 s[10:11], -1
	s_waitcnt vmcnt(0)
	v_lshlrev_b32_e32 v10, 16, v10
	v_cvt_f64_f32_e32 v[62:63], v10
	s_branch .LBB221_3310
.LBB221_3306:
	s_mov_b64 s[12:13], -1
                                        ; implicit-def: $vgpr62_vgpr63
	s_branch .LBB221_3311
.LBB221_3307:
	s_or_saveexec_b64 s[12:13], s[12:13]
	v_pk_mov_b32 v[62:63], s[10:11], s[10:11] op_sel:[0,1]
	s_xor_b64 exec, exec, s[12:13]
	s_cbranch_execz .LBB221_3288
.LBB221_3308:
	v_cmp_ne_u16_e32 vcc, 0, v10
	s_andn2_b64 s[8:9], s[8:9], exec
	s_and_b64 s[10:11], vcc, exec
	v_pk_mov_b32 v[62:63], 0, 0
	s_or_b64 s[8:9], s[8:9], s[10:11]
	s_or_b64 exec, exec, s[12:13]
	s_and_saveexec_b64 s[10:11], s[8:9]
	s_cbranch_execnz .LBB221_3289
	s_branch .LBB221_3290
.LBB221_3309:
	s_mov_b64 s[6:7], -1
                                        ; implicit-def: $vgpr62_vgpr63
.LBB221_3310:
	s_mov_b64 s[12:13], 0
.LBB221_3311:
	s_mov_b64 s[8:9], 0
	s_and_b64 vcc, exec, s[12:13]
	s_cbranch_vccz .LBB221_3313
; %bb.3312:
	v_mov_b32_e32 v10, 11
	v_cmp_ne_u16_sdwa s[6:7], v72, v10 src0_sel:BYTE_0 src1_sel:DWORD
	s_mov_b64 s[8:9], -1
                                        ; implicit-def: $vgpr62_vgpr63
.LBB221_3313:
	s_and_b64 vcc, exec, s[6:7]
	s_cbranch_vccnz .LBB221_3378
; %bb.3314:
	s_andn2_b64 vcc, exec, s[8:9]
	s_cbranch_vccnz .LBB221_3316
.LBB221_3315:
	global_load_ubyte v10, v[6:7], off
	v_mov_b32_e32 v11, 0x3ff00000
	v_mov_b32_e32 v62, 0
	s_mov_b64 s[10:11], -1
	s_waitcnt vmcnt(0)
	v_cmp_ne_u16_e32 vcc, 0, v10
	v_cndmask_b32_e32 v63, 0, v11, vcc
.LBB221_3316:
	s_mov_b64 s[6:7], 0
.LBB221_3317:
	s_and_b64 vcc, exec, s[6:7]
	s_cbranch_vccz .LBB221_3366
; %bb.3318:
	v_mov_b32_e32 v10, 5
	v_cmp_lt_i16_sdwa s[6:7], v72, v10 src0_sel:BYTE_0 src1_sel:DWORD
	s_and_b64 vcc, exec, s[6:7]
	s_cbranch_vccnz .LBB221_3323
; %bb.3319:
	v_mov_b32_e32 v10, 8
	v_cmp_lt_i16_sdwa s[6:7], v72, v10 src0_sel:BYTE_0 src1_sel:DWORD
	s_and_b64 vcc, exec, s[6:7]
	s_cbranch_vccnz .LBB221_3324
	;; [unrolled: 5-line block ×3, first 2 shown]
; %bb.3321:
	v_cmp_gt_i16_sdwa s[6:7], v72, v10 src0_sel:BYTE_0 src1_sel:DWORD
	s_and_b64 vcc, exec, s[6:7]
	s_cbranch_vccz .LBB221_3326
; %bb.3322:
	global_load_dwordx2 v[62:63], v[6:7], off
	s_mov_b64 s[6:7], 0
	s_branch .LBB221_3327
.LBB221_3323:
	s_mov_b64 s[6:7], -1
                                        ; implicit-def: $vgpr62_vgpr63
	s_branch .LBB221_3345
.LBB221_3324:
	s_mov_b64 s[6:7], -1
                                        ; implicit-def: $vgpr62_vgpr63
	s_branch .LBB221_3333
.LBB221_3325:
	s_mov_b64 s[6:7], -1
                                        ; implicit-def: $vgpr62_vgpr63
	s_branch .LBB221_3330
.LBB221_3326:
	s_mov_b64 s[6:7], -1
                                        ; implicit-def: $vgpr62_vgpr63
.LBB221_3327:
	s_andn2_b64 vcc, exec, s[6:7]
	s_cbranch_vccnz .LBB221_3329
; %bb.3328:
	global_load_dword v10, v[6:7], off
	s_waitcnt vmcnt(0)
	v_cvt_f64_f32_e32 v[62:63], v10
.LBB221_3329:
	s_mov_b64 s[6:7], 0
.LBB221_3330:
	s_andn2_b64 vcc, exec, s[6:7]
	s_cbranch_vccnz .LBB221_3332
; %bb.3331:
	global_load_dword v10, v[6:7], off
	s_waitcnt vmcnt(0)
	v_cvt_f32_f16_e32 v10, v10
	v_cvt_f64_f32_e32 v[62:63], v10
.LBB221_3332:
	s_mov_b64 s[6:7], 0
.LBB221_3333:
	s_andn2_b64 vcc, exec, s[6:7]
	s_cbranch_vccnz .LBB221_3344
; %bb.3334:
	v_mov_b32_e32 v10, 6
	v_cmp_lt_i16_sdwa s[6:7], v72, v10 src0_sel:BYTE_0 src1_sel:DWORD
	s_and_b64 vcc, exec, s[6:7]
	s_cbranch_vccnz .LBB221_3337
; %bb.3335:
	v_cmp_gt_i16_sdwa s[6:7], v72, v10 src0_sel:BYTE_0 src1_sel:DWORD
	s_and_b64 vcc, exec, s[6:7]
	s_cbranch_vccz .LBB221_3338
; %bb.3336:
	global_load_dwordx2 v[62:63], v[6:7], off
	s_mov_b64 s[6:7], 0
	s_branch .LBB221_3339
.LBB221_3337:
	s_mov_b64 s[6:7], -1
                                        ; implicit-def: $vgpr62_vgpr63
	s_branch .LBB221_3342
.LBB221_3338:
	s_mov_b64 s[6:7], -1
                                        ; implicit-def: $vgpr62_vgpr63
.LBB221_3339:
	s_andn2_b64 vcc, exec, s[6:7]
	s_cbranch_vccnz .LBB221_3341
; %bb.3340:
	global_load_dword v10, v[6:7], off
	s_waitcnt vmcnt(0)
	v_cvt_f64_f32_e32 v[62:63], v10
.LBB221_3341:
	s_mov_b64 s[6:7], 0
.LBB221_3342:
	s_andn2_b64 vcc, exec, s[6:7]
	s_cbranch_vccnz .LBB221_3344
; %bb.3343:
	global_load_ushort v10, v[6:7], off
	s_waitcnt vmcnt(0)
	v_cvt_f32_f16_e32 v10, v10
	v_cvt_f64_f32_e32 v[62:63], v10
.LBB221_3344:
	s_mov_b64 s[6:7], 0
.LBB221_3345:
	s_andn2_b64 vcc, exec, s[6:7]
	s_cbranch_vccnz .LBB221_3365
; %bb.3346:
	v_mov_b32_e32 v10, 2
	v_cmp_lt_i16_sdwa s[6:7], v72, v10 src0_sel:BYTE_0 src1_sel:DWORD
	s_and_b64 vcc, exec, s[6:7]
	s_cbranch_vccnz .LBB221_3350
; %bb.3347:
	v_mov_b32_e32 v10, 3
	v_cmp_lt_i16_sdwa s[6:7], v72, v10 src0_sel:BYTE_0 src1_sel:DWORD
	s_and_b64 vcc, exec, s[6:7]
	s_cbranch_vccnz .LBB221_3351
; %bb.3348:
	v_cmp_gt_i16_sdwa s[6:7], v72, v10 src0_sel:BYTE_0 src1_sel:DWORD
	s_and_b64 vcc, exec, s[6:7]
	s_cbranch_vccz .LBB221_3352
; %bb.3349:
	global_load_dwordx2 v[10:11], v[6:7], off
	s_mov_b64 s[6:7], 0
	s_waitcnt vmcnt(0)
	v_cvt_f64_i32_e32 v[12:13], v11
	v_cvt_f64_u32_e32 v[10:11], v10
	v_ldexp_f64 v[12:13], v[12:13], 32
	v_add_f64 v[62:63], v[12:13], v[10:11]
	s_branch .LBB221_3353
.LBB221_3350:
	s_mov_b64 s[6:7], -1
                                        ; implicit-def: $vgpr62_vgpr63
	s_branch .LBB221_3359
.LBB221_3351:
	s_mov_b64 s[6:7], -1
                                        ; implicit-def: $vgpr62_vgpr63
	s_branch .LBB221_3356
.LBB221_3352:
	s_mov_b64 s[6:7], -1
                                        ; implicit-def: $vgpr62_vgpr63
.LBB221_3353:
	s_andn2_b64 vcc, exec, s[6:7]
	s_cbranch_vccnz .LBB221_3355
; %bb.3354:
	global_load_dword v10, v[6:7], off
	s_waitcnt vmcnt(0)
	v_cvt_f64_i32_e32 v[62:63], v10
.LBB221_3355:
	s_mov_b64 s[6:7], 0
.LBB221_3356:
	s_andn2_b64 vcc, exec, s[6:7]
	s_cbranch_vccnz .LBB221_3358
; %bb.3357:
	global_load_sshort v10, v[6:7], off
	s_waitcnt vmcnt(0)
	v_cvt_f64_i32_e32 v[62:63], v10
.LBB221_3358:
	s_mov_b64 s[6:7], 0
.LBB221_3359:
	s_andn2_b64 vcc, exec, s[6:7]
	s_cbranch_vccnz .LBB221_3365
; %bb.3360:
	v_mov_b32_e32 v10, 0
	v_cmp_gt_i16_sdwa s[6:7], v72, v10 src0_sel:BYTE_0 src1_sel:DWORD
	s_and_b64 vcc, exec, s[6:7]
	s_cbranch_vccz .LBB221_3362
; %bb.3361:
	global_load_sbyte v10, v[6:7], off
	s_mov_b64 s[6:7], 0
	s_waitcnt vmcnt(0)
	v_cvt_f64_i32_e32 v[62:63], v10
	s_branch .LBB221_3363
.LBB221_3362:
	s_mov_b64 s[6:7], -1
                                        ; implicit-def: $vgpr62_vgpr63
.LBB221_3363:
	s_andn2_b64 vcc, exec, s[6:7]
	s_cbranch_vccnz .LBB221_3365
; %bb.3364:
	global_load_ubyte v6, v[6:7], off
	s_waitcnt vmcnt(0)
	v_cvt_f64_u32_e32 v[62:63], v6
.LBB221_3365:
	s_mov_b64 s[10:11], -1
.LBB221_3366:
	s_andn2_b64 vcc, exec, s[10:11]
	s_cbranch_vccnz .LBB221_4080
; %bb.3367:
	v_add_u32_e32 v6, s19, v9
	v_ashrrev_i32_e32 v7, 31, v6
	v_mov_b32_e32 v9, s41
	v_add_co_u32_e32 v6, vcc, s40, v6
	s_movk_i32 s6, 0xff
	v_addc_co_u32_e32 v7, vcc, v9, v7, vcc
	v_and_b32_sdwa v9, v41, s6 dst_sel:DWORD dst_unused:UNUSED_PAD src0_sel:WORD_1 src1_sel:DWORD
	v_cmp_gt_i16_e32 vcc, 11, v9
	s_cbranch_vccnz .LBB221_3374
; %bb.3368:
	v_cmp_lt_i16_e32 vcc, 25, v9
	s_mov_b64 s[8:9], 0
	s_cbranch_vccz .LBB221_3375
; %bb.3369:
	v_cmp_lt_i16_e32 vcc, 28, v9
	s_cbranch_vccz .LBB221_3376
; %bb.3370:
	v_cmp_lt_i16_e32 vcc, 43, v9
	;; [unrolled: 3-line block ×3, first 2 shown]
	s_cbranch_vccz .LBB221_3379
; %bb.3372:
	v_cmp_eq_u16_e32 vcc, 46, v9
	s_mov_b64 s[12:13], 0
	s_cbranch_vccz .LBB221_3380
; %bb.3373:
	global_load_dword v10, v[6:7], off
	s_mov_b64 s[6:7], 0
	s_mov_b64 s[10:11], -1
	s_waitcnt vmcnt(0)
	v_lshlrev_b32_e32 v10, 16, v10
	v_cvt_f64_f32_e32 v[72:73], v10
	s_branch .LBB221_3381
.LBB221_3374:
	s_mov_b64 s[6:7], -1
	s_mov_b64 s[10:11], 0
                                        ; implicit-def: $vgpr72_vgpr73
	s_branch .LBB221_3447
.LBB221_3375:
	s_mov_b64 s[12:13], -1
	s_mov_b64 s[10:11], 0
	s_mov_b64 s[6:7], 0
                                        ; implicit-def: $vgpr72_vgpr73
	s_branch .LBB221_3410
.LBB221_3376:
	s_mov_b64 s[12:13], -1
	s_mov_b64 s[10:11], 0
	s_mov_b64 s[6:7], 0
                                        ; implicit-def: $vgpr72_vgpr73
	s_branch .LBB221_3391
.LBB221_3377:
	s_mov_b64 s[12:13], -1
	s_mov_b64 s[10:11], 0
	s_mov_b64 s[6:7], 0
                                        ; implicit-def: $vgpr72_vgpr73
	s_branch .LBB221_3386
.LBB221_3378:
	s_trap 2
	s_or_b64 s[92:93], s[92:93], exec
                                        ; implicit-def: $vgpr62_vgpr63
	s_cbranch_execz .LBB221_3315
	s_branch .LBB221_3316
.LBB221_3379:
	s_mov_b64 s[12:13], -1
	s_mov_b64 s[10:11], 0
	s_mov_b64 s[6:7], 0
                                        ; implicit-def: $vgpr72_vgpr73
	s_branch .LBB221_3381
.LBB221_3380:
	s_mov_b64 s[6:7], -1
                                        ; implicit-def: $vgpr72_vgpr73
	s_mov_b64 s[10:11], 0
.LBB221_3381:
	s_and_b64 vcc, exec, s[12:13]
	s_cbranch_vccz .LBB221_3385
; %bb.3382:
	v_cmp_eq_u16_e32 vcc, 44, v9
	s_cbranch_vccz .LBB221_3384
; %bb.3383:
	global_load_ubyte v12, v[6:7], off
	s_movk_i32 s10, 0xff
	v_bfrev_b32_e32 v13, 4
	v_mov_b32_e32 v14, 0x7ff80000
	v_bfrev_b32_e32 v15, 28
	s_mov_b64 s[6:7], 0
	s_waitcnt vmcnt(0)
	v_lshlrev_b32_e32 v10, 23, v12
	v_cvt_f64_f32_e32 v[10:11], v10
	v_cmp_ne_u32_e32 vcc, s10, v12
	v_cndmask_b32_e32 v10, v13, v10, vcc
	v_cndmask_b32_e32 v11, v14, v11, vcc
	v_cmp_ne_u32_e32 vcc, 0, v12
	v_cndmask_b32_e32 v73, v15, v11, vcc
	v_cndmask_b32_e32 v72, 0, v10, vcc
	s_mov_b64 s[10:11], -1
	s_branch .LBB221_3385
.LBB221_3384:
	s_mov_b64 s[6:7], -1
                                        ; implicit-def: $vgpr72_vgpr73
.LBB221_3385:
	s_mov_b64 s[12:13], 0
.LBB221_3386:
	s_and_b64 vcc, exec, s[12:13]
	s_cbranch_vccz .LBB221_3390
; %bb.3387:
	v_cmp_eq_u16_e32 vcc, 29, v9
	s_cbranch_vccz .LBB221_3389
; %bb.3388:
	global_load_dwordx2 v[10:11], v[6:7], off
	s_mov_b64 s[6:7], 0
	s_mov_b64 s[10:11], -1
	s_mov_b64 s[12:13], 0
	s_waitcnt vmcnt(0)
	v_cvt_f64_u32_e32 v[12:13], v11
	v_cvt_f64_u32_e32 v[10:11], v10
	v_ldexp_f64 v[12:13], v[12:13], 32
	v_add_f64 v[72:73], v[12:13], v[10:11]
	s_branch .LBB221_3391
.LBB221_3389:
	s_mov_b64 s[6:7], -1
                                        ; implicit-def: $vgpr72_vgpr73
.LBB221_3390:
	s_mov_b64 s[12:13], 0
.LBB221_3391:
	s_and_b64 vcc, exec, s[12:13]
	s_cbranch_vccz .LBB221_3409
; %bb.3392:
	v_cmp_gt_i16_e32 vcc, 27, v9
	s_cbranch_vccnz .LBB221_3395
; %bb.3393:
	v_cmp_lt_i16_e32 vcc, 27, v9
	s_cbranch_vccz .LBB221_3396
; %bb.3394:
	global_load_dword v10, v[6:7], off
	s_mov_b64 s[10:11], 0
	s_waitcnt vmcnt(0)
	v_cvt_f64_u32_e32 v[72:73], v10
	s_branch .LBB221_3397
.LBB221_3395:
	s_mov_b64 s[10:11], -1
                                        ; implicit-def: $vgpr72_vgpr73
	s_branch .LBB221_3400
.LBB221_3396:
	s_mov_b64 s[10:11], -1
                                        ; implicit-def: $vgpr72_vgpr73
.LBB221_3397:
	s_andn2_b64 vcc, exec, s[10:11]
	s_cbranch_vccnz .LBB221_3399
; %bb.3398:
	global_load_ushort v10, v[6:7], off
	s_waitcnt vmcnt(0)
	v_cvt_f64_u32_e32 v[72:73], v10
.LBB221_3399:
	s_mov_b64 s[10:11], 0
.LBB221_3400:
	s_andn2_b64 vcc, exec, s[10:11]
	s_cbranch_vccnz .LBB221_3408
; %bb.3401:
	global_load_ubyte v10, v[6:7], off
	s_movk_i32 s10, 0x7f
                                        ; implicit-def: $sgpr12_sgpr13
	s_waitcnt vmcnt(0)
	v_cmp_lt_i16_e32 vcc, s10, v10
	s_mov_b64 s[10:11], 0
	s_and_saveexec_b64 s[14:15], vcc
	s_xor_b64 s[14:15], exec, s[14:15]
	s_cbranch_execz .LBB221_3422
; %bb.3402:
	s_movk_i32 s10, 0x80
	v_cmp_eq_u16_e32 vcc, s10, v10
	s_mov_b64 s[16:17], -1
                                        ; implicit-def: $sgpr12_sgpr13
	s_and_saveexec_b64 s[10:11], vcc
; %bb.3403:
	s_mov_b32 s13, 0x7ff80000
	s_brev_b32 s12, 4
	s_xor_b64 s[16:17], exec, -1
; %bb.3404:
	s_or_b64 exec, exec, s[10:11]
	s_and_b64 s[10:11], s[16:17], exec
	s_or_saveexec_b64 s[14:15], s[14:15]
	v_pk_mov_b32 v[72:73], s[12:13], s[12:13] op_sel:[0,1]
	s_xor_b64 exec, exec, s[14:15]
	s_cbranch_execnz .LBB221_3423
.LBB221_3405:
	s_or_b64 exec, exec, s[14:15]
	s_and_saveexec_b64 s[12:13], s[10:11]
	s_cbranch_execz .LBB221_3407
.LBB221_3406:
	v_lshlrev_b32_e32 v11, 24, v10
	v_and_b32_e32 v10, 0xffff, v10
	v_and_b32_e32 v12, 7, v10
	v_ffbh_u32_e32 v14, v12
	v_min_u32_e32 v14, 32, v14
	v_subrev_u32_e32 v15, 28, v14
	v_bfe_u32 v13, v10, 3, 4
	v_lshlrev_b32_e32 v10, v15, v10
	v_sub_u32_e32 v14, 29, v14
	v_and_b32_e32 v10, 7, v10
	v_cmp_eq_u32_e32 vcc, 0, v13
	v_cndmask_b32_e32 v13, v13, v14, vcc
	v_cndmask_b32_e32 v10, v12, v10, vcc
	v_mov_b32_e32 v12, 0x3b800000
	v_lshlrev_b32_e32 v10, 20, v10
	v_and_b32_e32 v11, 0x80000000, v11
	v_lshl_add_u32 v12, v13, 23, v12
	v_or3_b32 v10, v11, v12, v10
	v_cvt_f64_f32_e32 v[72:73], v10
.LBB221_3407:
	s_or_b64 exec, exec, s[12:13]
.LBB221_3408:
	s_mov_b64 s[10:11], -1
.LBB221_3409:
	s_mov_b64 s[12:13], 0
.LBB221_3410:
	s_and_b64 vcc, exec, s[12:13]
	s_cbranch_vccz .LBB221_3443
; %bb.3411:
	v_cmp_lt_i16_e32 vcc, 22, v9
	s_cbranch_vccz .LBB221_3421
; %bb.3412:
	v_cmp_gt_i16_e32 vcc, 24, v9
	s_cbranch_vccnz .LBB221_3424
; %bb.3413:
	v_cmp_lt_i16_e32 vcc, 24, v9
	s_cbranch_vccz .LBB221_3425
; %bb.3414:
	global_load_ubyte v10, v[6:7], off
	s_movk_i32 s8, 0x7f
                                        ; implicit-def: $sgpr10_sgpr11
	s_waitcnt vmcnt(0)
	v_cmp_lt_i16_e32 vcc, s8, v10
	s_mov_b64 s[8:9], 0
	s_and_saveexec_b64 s[12:13], vcc
	s_xor_b64 s[12:13], exec, s[12:13]
	s_cbranch_execz .LBB221_3437
; %bb.3415:
	s_movk_i32 s8, 0x80
	v_cmp_eq_u16_e32 vcc, s8, v10
	s_mov_b64 s[14:15], -1
                                        ; implicit-def: $sgpr10_sgpr11
	s_and_saveexec_b64 s[8:9], vcc
; %bb.3416:
	s_mov_b32 s11, 0x7ff80000
	s_brev_b32 s10, 4
	s_xor_b64 s[14:15], exec, -1
; %bb.3417:
	s_or_b64 exec, exec, s[8:9]
	s_and_b64 s[8:9], s[14:15], exec
	s_or_saveexec_b64 s[12:13], s[12:13]
	v_pk_mov_b32 v[72:73], s[10:11], s[10:11] op_sel:[0,1]
	s_xor_b64 exec, exec, s[12:13]
	s_cbranch_execnz .LBB221_3438
.LBB221_3418:
	s_or_b64 exec, exec, s[12:13]
	s_and_saveexec_b64 s[10:11], s[8:9]
	s_cbranch_execz .LBB221_3420
.LBB221_3419:
	v_lshlrev_b32_e32 v11, 24, v10
	v_and_b32_e32 v10, 0xffff, v10
	v_and_b32_e32 v12, 3, v10
	v_ffbh_u32_e32 v14, v12
	v_min_u32_e32 v14, 32, v14
	v_subrev_u32_e32 v15, 29, v14
	v_bfe_u32 v13, v10, 2, 5
	v_lshlrev_b32_e32 v10, v15, v10
	v_sub_u32_e32 v14, 30, v14
	v_and_b32_e32 v10, 3, v10
	v_cmp_eq_u32_e32 vcc, 0, v13
	v_cndmask_b32_e32 v13, v13, v14, vcc
	v_cndmask_b32_e32 v10, v12, v10, vcc
	v_mov_b32_e32 v12, 0x37800000
	v_lshlrev_b32_e32 v10, 21, v10
	v_and_b32_e32 v11, 0x80000000, v11
	v_lshl_add_u32 v12, v13, 23, v12
	v_or3_b32 v10, v11, v12, v10
	v_cvt_f64_f32_e32 v[72:73], v10
.LBB221_3420:
	s_or_b64 exec, exec, s[10:11]
	s_mov_b64 s[8:9], 0
	s_branch .LBB221_3426
.LBB221_3421:
	s_mov_b64 s[8:9], -1
                                        ; implicit-def: $vgpr72_vgpr73
	s_branch .LBB221_3432
.LBB221_3422:
	s_or_saveexec_b64 s[14:15], s[14:15]
	v_pk_mov_b32 v[72:73], s[12:13], s[12:13] op_sel:[0,1]
	s_xor_b64 exec, exec, s[14:15]
	s_cbranch_execz .LBB221_3405
.LBB221_3423:
	v_cmp_ne_u16_e32 vcc, 0, v10
	s_andn2_b64 s[10:11], s[10:11], exec
	s_and_b64 s[12:13], vcc, exec
	v_pk_mov_b32 v[72:73], 0, 0
	s_or_b64 s[10:11], s[10:11], s[12:13]
	s_or_b64 exec, exec, s[14:15]
	s_and_saveexec_b64 s[12:13], s[10:11]
	s_cbranch_execnz .LBB221_3406
	s_branch .LBB221_3407
.LBB221_3424:
	s_mov_b64 s[8:9], -1
                                        ; implicit-def: $vgpr72_vgpr73
	s_branch .LBB221_3429
.LBB221_3425:
	s_mov_b64 s[8:9], -1
                                        ; implicit-def: $vgpr72_vgpr73
.LBB221_3426:
	s_and_b64 vcc, exec, s[8:9]
	s_cbranch_vccz .LBB221_3428
; %bb.3427:
	global_load_ubyte v10, v[6:7], off
	s_mov_b32 s8, 0x7f800000
	s_waitcnt vmcnt(0)
	v_lshlrev_b32_e32 v10, 24, v10
	v_and_b32_e32 v11, 0x7f000000, v10
	v_ffbh_u32_e32 v12, v11
	v_min_u32_e32 v12, 32, v12
	v_sub_u32_e64 v12, v12, 4 clamp
	v_lshlrev_b32_e32 v14, v12, v11
	v_lshlrev_b32_e32 v12, 23, v12
	v_lshrrev_b32_e32 v14, 4, v14
	v_add_u32_e32 v13, 0x1000000, v11
	v_sub_u32_e32 v12, v14, v12
	v_ashrrev_i32_e32 v13, 8, v13
	v_add_u32_e32 v12, 0x3c000000, v12
	v_and_or_b32 v12, v13, s8, v12
	v_cmp_ne_u32_e32 vcc, 0, v11
	v_cndmask_b32_e32 v11, 0, v12, vcc
	s_brev_b32 s8, 1
	v_and_or_b32 v10, v10, s8, v11
	v_cvt_f64_f32_e32 v[72:73], v10
.LBB221_3428:
	s_mov_b64 s[8:9], 0
.LBB221_3429:
	s_andn2_b64 vcc, exec, s[8:9]
	s_cbranch_vccnz .LBB221_3431
; %bb.3430:
	global_load_ubyte v10, v[6:7], off
	s_movk_i32 s8, 0x7f00
	s_brev_b32 s9, 16
	s_waitcnt vmcnt(0)
	v_lshlrev_b16_e32 v11, 8, v10
	v_lshlrev_b32_e32 v10, 25, v10
	v_lshrrev_b32_e32 v12, 4, v10
	v_and_or_b32 v13, v11, s8, 0.5
	v_or_b32_e32 v12, 0x70000000, v12
	v_add_f32_e32 v13, -0.5, v13
	v_mul_f32_e32 v12, 0x7800000, v12
	v_cmp_gt_u32_e32 vcc, s9, v10
	v_bfe_i32 v11, v11, 0, 16
	v_cndmask_b32_e32 v10, v12, v13, vcc
	s_brev_b32 s8, 1
	v_and_or_b32 v10, v11, s8, v10
	v_cvt_f64_f32_e32 v[72:73], v10
.LBB221_3431:
	s_mov_b64 s[8:9], 0
	s_mov_b64 s[10:11], -1
.LBB221_3432:
	s_andn2_b64 vcc, exec, s[8:9]
	s_mov_b64 s[8:9], 0
	s_cbranch_vccnz .LBB221_3443
; %bb.3433:
	v_cmp_lt_i16_e32 vcc, 14, v9
	s_cbranch_vccz .LBB221_3436
; %bb.3434:
	v_cmp_eq_u16_e32 vcc, 15, v9
	s_cbranch_vccz .LBB221_3439
; %bb.3435:
	global_load_ushort v10, v[6:7], off
	s_mov_b64 s[6:7], 0
	s_mov_b64 s[10:11], -1
	s_waitcnt vmcnt(0)
	v_lshlrev_b32_e32 v10, 16, v10
	v_cvt_f64_f32_e32 v[72:73], v10
	s_branch .LBB221_3440
.LBB221_3436:
	s_mov_b64 s[12:13], -1
                                        ; implicit-def: $vgpr72_vgpr73
	s_branch .LBB221_3441
.LBB221_3437:
	s_or_saveexec_b64 s[12:13], s[12:13]
	v_pk_mov_b32 v[72:73], s[10:11], s[10:11] op_sel:[0,1]
	s_xor_b64 exec, exec, s[12:13]
	s_cbranch_execz .LBB221_3418
.LBB221_3438:
	v_cmp_ne_u16_e32 vcc, 0, v10
	s_andn2_b64 s[8:9], s[8:9], exec
	s_and_b64 s[10:11], vcc, exec
	v_pk_mov_b32 v[72:73], 0, 0
	s_or_b64 s[8:9], s[8:9], s[10:11]
	s_or_b64 exec, exec, s[12:13]
	s_and_saveexec_b64 s[10:11], s[8:9]
	s_cbranch_execnz .LBB221_3419
	s_branch .LBB221_3420
.LBB221_3439:
	s_mov_b64 s[6:7], -1
                                        ; implicit-def: $vgpr72_vgpr73
.LBB221_3440:
	s_mov_b64 s[12:13], 0
.LBB221_3441:
	s_and_b64 vcc, exec, s[12:13]
	s_cbranch_vccz .LBB221_3443
; %bb.3442:
	v_cmp_ne_u16_e64 s[6:7], 11, v9
	s_mov_b64 s[8:9], -1
                                        ; implicit-def: $vgpr72_vgpr73
.LBB221_3443:
	s_and_b64 vcc, exec, s[6:7]
	s_cbranch_vccnz .LBB221_3508
; %bb.3444:
	s_andn2_b64 vcc, exec, s[8:9]
	s_cbranch_vccnz .LBB221_3446
.LBB221_3445:
	global_load_ubyte v10, v[6:7], off
	v_mov_b32_e32 v11, 0x3ff00000
	v_mov_b32_e32 v72, 0
	s_mov_b64 s[10:11], -1
	s_waitcnt vmcnt(0)
	v_cmp_ne_u16_e32 vcc, 0, v10
	v_cndmask_b32_e32 v73, 0, v11, vcc
.LBB221_3446:
	s_mov_b64 s[6:7], 0
.LBB221_3447:
	s_and_b64 vcc, exec, s[6:7]
	s_cbranch_vccz .LBB221_3496
; %bb.3448:
	v_cmp_gt_i16_e32 vcc, 5, v9
	s_cbranch_vccnz .LBB221_3453
; %bb.3449:
	v_cmp_gt_i16_e32 vcc, 8, v9
	s_cbranch_vccnz .LBB221_3454
	;; [unrolled: 3-line block ×3, first 2 shown]
; %bb.3451:
	v_cmp_lt_i16_e32 vcc, 9, v9
	s_cbranch_vccz .LBB221_3456
; %bb.3452:
	global_load_dwordx2 v[72:73], v[6:7], off
	s_mov_b64 s[6:7], 0
	s_branch .LBB221_3457
.LBB221_3453:
	s_mov_b64 s[6:7], -1
                                        ; implicit-def: $vgpr72_vgpr73
	s_branch .LBB221_3475
.LBB221_3454:
	s_mov_b64 s[6:7], -1
                                        ; implicit-def: $vgpr72_vgpr73
	s_branch .LBB221_3463
.LBB221_3455:
	s_mov_b64 s[6:7], -1
                                        ; implicit-def: $vgpr72_vgpr73
	s_branch .LBB221_3460
.LBB221_3456:
	s_mov_b64 s[6:7], -1
                                        ; implicit-def: $vgpr72_vgpr73
.LBB221_3457:
	s_andn2_b64 vcc, exec, s[6:7]
	s_cbranch_vccnz .LBB221_3459
; %bb.3458:
	global_load_dword v10, v[6:7], off
	s_waitcnt vmcnt(0)
	v_cvt_f64_f32_e32 v[72:73], v10
.LBB221_3459:
	s_mov_b64 s[6:7], 0
.LBB221_3460:
	s_andn2_b64 vcc, exec, s[6:7]
	s_cbranch_vccnz .LBB221_3462
; %bb.3461:
	global_load_dword v10, v[6:7], off
	s_waitcnt vmcnt(0)
	v_cvt_f32_f16_e32 v10, v10
	v_cvt_f64_f32_e32 v[72:73], v10
.LBB221_3462:
	s_mov_b64 s[6:7], 0
.LBB221_3463:
	s_andn2_b64 vcc, exec, s[6:7]
	s_cbranch_vccnz .LBB221_3474
; %bb.3464:
	v_cmp_gt_i16_e32 vcc, 6, v9
	s_cbranch_vccnz .LBB221_3467
; %bb.3465:
	v_cmp_lt_i16_e32 vcc, 6, v9
	s_cbranch_vccz .LBB221_3468
; %bb.3466:
	global_load_dwordx2 v[72:73], v[6:7], off
	s_mov_b64 s[6:7], 0
	s_branch .LBB221_3469
.LBB221_3467:
	s_mov_b64 s[6:7], -1
                                        ; implicit-def: $vgpr72_vgpr73
	s_branch .LBB221_3472
.LBB221_3468:
	s_mov_b64 s[6:7], -1
                                        ; implicit-def: $vgpr72_vgpr73
.LBB221_3469:
	s_andn2_b64 vcc, exec, s[6:7]
	s_cbranch_vccnz .LBB221_3471
; %bb.3470:
	global_load_dword v10, v[6:7], off
	s_waitcnt vmcnt(0)
	v_cvt_f64_f32_e32 v[72:73], v10
.LBB221_3471:
	s_mov_b64 s[6:7], 0
.LBB221_3472:
	s_andn2_b64 vcc, exec, s[6:7]
	s_cbranch_vccnz .LBB221_3474
; %bb.3473:
	global_load_ushort v10, v[6:7], off
	s_waitcnt vmcnt(0)
	v_cvt_f32_f16_e32 v10, v10
	v_cvt_f64_f32_e32 v[72:73], v10
.LBB221_3474:
	s_mov_b64 s[6:7], 0
.LBB221_3475:
	s_andn2_b64 vcc, exec, s[6:7]
	s_cbranch_vccnz .LBB221_3495
; %bb.3476:
	v_cmp_gt_i16_e32 vcc, 2, v9
	s_cbranch_vccnz .LBB221_3480
; %bb.3477:
	v_cmp_gt_i16_e32 vcc, 3, v9
	s_cbranch_vccnz .LBB221_3481
; %bb.3478:
	v_cmp_lt_i16_e32 vcc, 3, v9
	s_cbranch_vccz .LBB221_3482
; %bb.3479:
	global_load_dwordx2 v[10:11], v[6:7], off
	s_mov_b64 s[6:7], 0
	s_waitcnt vmcnt(0)
	v_cvt_f64_i32_e32 v[12:13], v11
	v_cvt_f64_u32_e32 v[10:11], v10
	v_ldexp_f64 v[12:13], v[12:13], 32
	v_add_f64 v[72:73], v[12:13], v[10:11]
	s_branch .LBB221_3483
.LBB221_3480:
	s_mov_b64 s[6:7], -1
                                        ; implicit-def: $vgpr72_vgpr73
	s_branch .LBB221_3489
.LBB221_3481:
	s_mov_b64 s[6:7], -1
                                        ; implicit-def: $vgpr72_vgpr73
	s_branch .LBB221_3486
.LBB221_3482:
	s_mov_b64 s[6:7], -1
                                        ; implicit-def: $vgpr72_vgpr73
.LBB221_3483:
	s_andn2_b64 vcc, exec, s[6:7]
	s_cbranch_vccnz .LBB221_3485
; %bb.3484:
	global_load_dword v10, v[6:7], off
	s_waitcnt vmcnt(0)
	v_cvt_f64_i32_e32 v[72:73], v10
.LBB221_3485:
	s_mov_b64 s[6:7], 0
.LBB221_3486:
	s_andn2_b64 vcc, exec, s[6:7]
	s_cbranch_vccnz .LBB221_3488
; %bb.3487:
	global_load_sshort v10, v[6:7], off
	s_waitcnt vmcnt(0)
	v_cvt_f64_i32_e32 v[72:73], v10
.LBB221_3488:
	s_mov_b64 s[6:7], 0
.LBB221_3489:
	s_andn2_b64 vcc, exec, s[6:7]
	s_cbranch_vccnz .LBB221_3495
; %bb.3490:
	v_cmp_lt_i16_e32 vcc, 0, v9
	s_cbranch_vccz .LBB221_3492
; %bb.3491:
	global_load_sbyte v9, v[6:7], off
	s_mov_b64 s[6:7], 0
	s_waitcnt vmcnt(0)
	v_cvt_f64_i32_e32 v[72:73], v9
	s_branch .LBB221_3493
.LBB221_3492:
	s_mov_b64 s[6:7], -1
                                        ; implicit-def: $vgpr72_vgpr73
.LBB221_3493:
	s_andn2_b64 vcc, exec, s[6:7]
	s_cbranch_vccnz .LBB221_3495
; %bb.3494:
	global_load_ubyte v6, v[6:7], off
	s_waitcnt vmcnt(0)
	v_cvt_f64_u32_e32 v[72:73], v6
.LBB221_3495:
	s_mov_b64 s[10:11], -1
.LBB221_3496:
	s_andn2_b64 vcc, exec, s[10:11]
	s_cbranch_vccnz .LBB221_4080
; %bb.3497:
	v_add_u32_e32 v6, s20, v8
	v_ashrrev_i32_e32 v7, 31, v6
	v_mov_b32_e32 v8, s43
	v_add_co_u32_e32 v6, vcc, s42, v6
	v_addc_co_u32_e32 v7, vcc, v8, v7, vcc
	s_and_b64 vcc, exec, s[4:5]
	s_cbranch_vccnz .LBB221_3504
; %bb.3498:
	v_cmp_lt_i16_e32 vcc, 25, v77
	s_mov_b64 s[6:7], 0
	s_cbranch_vccz .LBB221_3505
; %bb.3499:
	v_cmp_lt_i16_e32 vcc, 28, v77
	s_cbranch_vccz .LBB221_3506
; %bb.3500:
	v_cmp_lt_i16_e32 vcc, 43, v77
	;; [unrolled: 3-line block ×3, first 2 shown]
	s_cbranch_vccz .LBB221_3509
; %bb.3502:
	v_cmp_eq_u16_e32 vcc, 46, v77
	s_mov_b64 s[10:11], 0
	s_cbranch_vccz .LBB221_3510
; %bb.3503:
	global_load_dword v8, v[6:7], off
	s_mov_b64 s[4:5], 0
	s_mov_b64 s[8:9], -1
	s_waitcnt vmcnt(0)
	v_lshlrev_b32_e32 v8, 16, v8
	v_cvt_f64_f32_e32 v[74:75], v8
	s_branch .LBB221_3511
.LBB221_3504:
	s_mov_b64 s[4:5], -1
	s_mov_b64 s[8:9], 0
                                        ; implicit-def: $vgpr74_vgpr75
	s_branch .LBB221_3577
.LBB221_3505:
	s_mov_b64 s[10:11], -1
	s_mov_b64 s[8:9], 0
	s_mov_b64 s[4:5], 0
                                        ; implicit-def: $vgpr74_vgpr75
	s_branch .LBB221_3540
.LBB221_3506:
	s_mov_b64 s[10:11], -1
	s_mov_b64 s[8:9], 0
	s_mov_b64 s[4:5], 0
                                        ; implicit-def: $vgpr74_vgpr75
	s_branch .LBB221_3521
.LBB221_3507:
	s_mov_b64 s[10:11], -1
	s_mov_b64 s[8:9], 0
	s_mov_b64 s[4:5], 0
                                        ; implicit-def: $vgpr74_vgpr75
	s_branch .LBB221_3516
.LBB221_3508:
	s_trap 2
	s_or_b64 s[92:93], s[92:93], exec
                                        ; implicit-def: $vgpr72_vgpr73
	s_cbranch_execz .LBB221_3445
	s_branch .LBB221_3446
.LBB221_3509:
	s_mov_b64 s[10:11], -1
	s_mov_b64 s[8:9], 0
	s_mov_b64 s[4:5], 0
                                        ; implicit-def: $vgpr74_vgpr75
	s_branch .LBB221_3511
.LBB221_3510:
	s_mov_b64 s[4:5], -1
                                        ; implicit-def: $vgpr74_vgpr75
	s_mov_b64 s[8:9], 0
.LBB221_3511:
	s_and_b64 vcc, exec, s[10:11]
	s_cbranch_vccz .LBB221_3515
; %bb.3512:
	v_cmp_eq_u16_e32 vcc, 44, v77
	s_cbranch_vccz .LBB221_3514
; %bb.3513:
	global_load_ubyte v10, v[6:7], off
	s_movk_i32 s8, 0xff
	v_bfrev_b32_e32 v11, 4
	v_mov_b32_e32 v12, 0x7ff80000
	v_bfrev_b32_e32 v13, 28
	s_mov_b64 s[4:5], 0
	s_waitcnt vmcnt(0)
	v_lshlrev_b32_e32 v8, 23, v10
	v_cvt_f64_f32_e32 v[8:9], v8
	v_cmp_ne_u32_e32 vcc, s8, v10
	v_cndmask_b32_e32 v8, v11, v8, vcc
	v_cndmask_b32_e32 v9, v12, v9, vcc
	v_cmp_ne_u32_e32 vcc, 0, v10
	v_cndmask_b32_e32 v75, v13, v9, vcc
	v_cndmask_b32_e32 v74, 0, v8, vcc
	s_mov_b64 s[8:9], -1
	s_branch .LBB221_3515
.LBB221_3514:
	s_mov_b64 s[4:5], -1
                                        ; implicit-def: $vgpr74_vgpr75
.LBB221_3515:
	s_mov_b64 s[10:11], 0
.LBB221_3516:
	s_and_b64 vcc, exec, s[10:11]
	s_cbranch_vccz .LBB221_3520
; %bb.3517:
	v_cmp_eq_u16_e32 vcc, 29, v77
	s_cbranch_vccz .LBB221_3519
; %bb.3518:
	global_load_dwordx2 v[8:9], v[6:7], off
	s_mov_b64 s[4:5], 0
	s_mov_b64 s[8:9], -1
	s_mov_b64 s[10:11], 0
	s_waitcnt vmcnt(0)
	v_cvt_f64_u32_e32 v[10:11], v9
	v_cvt_f64_u32_e32 v[8:9], v8
	v_ldexp_f64 v[10:11], v[10:11], 32
	v_add_f64 v[74:75], v[10:11], v[8:9]
	s_branch .LBB221_3521
.LBB221_3519:
	s_mov_b64 s[4:5], -1
                                        ; implicit-def: $vgpr74_vgpr75
.LBB221_3520:
	s_mov_b64 s[10:11], 0
.LBB221_3521:
	s_and_b64 vcc, exec, s[10:11]
	s_cbranch_vccz .LBB221_3539
; %bb.3522:
	v_cmp_gt_i16_e32 vcc, 27, v77
	s_cbranch_vccnz .LBB221_3525
; %bb.3523:
	v_cmp_lt_i16_e32 vcc, 27, v77
	s_cbranch_vccz .LBB221_3526
; %bb.3524:
	global_load_dword v8, v[6:7], off
	s_mov_b64 s[8:9], 0
	s_waitcnt vmcnt(0)
	v_cvt_f64_u32_e32 v[74:75], v8
	s_branch .LBB221_3527
.LBB221_3525:
	s_mov_b64 s[8:9], -1
                                        ; implicit-def: $vgpr74_vgpr75
	s_branch .LBB221_3530
.LBB221_3526:
	s_mov_b64 s[8:9], -1
                                        ; implicit-def: $vgpr74_vgpr75
.LBB221_3527:
	s_andn2_b64 vcc, exec, s[8:9]
	s_cbranch_vccnz .LBB221_3529
; %bb.3528:
	global_load_ushort v8, v[6:7], off
	s_waitcnt vmcnt(0)
	v_cvt_f64_u32_e32 v[74:75], v8
.LBB221_3529:
	s_mov_b64 s[8:9], 0
.LBB221_3530:
	s_andn2_b64 vcc, exec, s[8:9]
	s_cbranch_vccnz .LBB221_3538
; %bb.3531:
	global_load_ubyte v8, v[6:7], off
	s_movk_i32 s8, 0x7f
                                        ; implicit-def: $sgpr10_sgpr11
	s_waitcnt vmcnt(0)
	v_cmp_lt_i16_e32 vcc, s8, v8
	s_mov_b64 s[8:9], 0
	s_and_saveexec_b64 s[12:13], vcc
	s_xor_b64 s[12:13], exec, s[12:13]
	s_cbranch_execz .LBB221_3552
; %bb.3532:
	s_movk_i32 s8, 0x80
	v_cmp_eq_u16_e32 vcc, s8, v8
	s_mov_b64 s[14:15], -1
                                        ; implicit-def: $sgpr10_sgpr11
	s_and_saveexec_b64 s[8:9], vcc
; %bb.3533:
	s_mov_b32 s11, 0x7ff80000
	s_brev_b32 s10, 4
	s_xor_b64 s[14:15], exec, -1
; %bb.3534:
	s_or_b64 exec, exec, s[8:9]
	s_and_b64 s[8:9], s[14:15], exec
	s_or_saveexec_b64 s[12:13], s[12:13]
	v_pk_mov_b32 v[74:75], s[10:11], s[10:11] op_sel:[0,1]
	s_xor_b64 exec, exec, s[12:13]
	s_cbranch_execnz .LBB221_3553
.LBB221_3535:
	s_or_b64 exec, exec, s[12:13]
	s_and_saveexec_b64 s[10:11], s[8:9]
	s_cbranch_execz .LBB221_3537
.LBB221_3536:
	v_lshlrev_b32_e32 v9, 24, v8
	v_and_b32_e32 v8, 0xffff, v8
	v_and_b32_e32 v10, 7, v8
	v_ffbh_u32_e32 v12, v10
	v_min_u32_e32 v12, 32, v12
	v_subrev_u32_e32 v13, 28, v12
	v_bfe_u32 v11, v8, 3, 4
	v_lshlrev_b32_e32 v8, v13, v8
	v_sub_u32_e32 v12, 29, v12
	v_and_b32_e32 v8, 7, v8
	v_cmp_eq_u32_e32 vcc, 0, v11
	v_cndmask_b32_e32 v11, v11, v12, vcc
	v_cndmask_b32_e32 v8, v10, v8, vcc
	v_mov_b32_e32 v10, 0x3b800000
	v_lshlrev_b32_e32 v8, 20, v8
	v_and_b32_e32 v9, 0x80000000, v9
	v_lshl_add_u32 v10, v11, 23, v10
	v_or3_b32 v8, v9, v10, v8
	v_cvt_f64_f32_e32 v[74:75], v8
.LBB221_3537:
	s_or_b64 exec, exec, s[10:11]
.LBB221_3538:
	s_mov_b64 s[8:9], -1
.LBB221_3539:
	s_mov_b64 s[10:11], 0
.LBB221_3540:
	s_and_b64 vcc, exec, s[10:11]
	s_cbranch_vccz .LBB221_3573
; %bb.3541:
	v_cmp_lt_i16_e32 vcc, 22, v77
	s_cbranch_vccz .LBB221_3551
; %bb.3542:
	v_cmp_gt_i16_e32 vcc, 24, v77
	s_cbranch_vccnz .LBB221_3554
; %bb.3543:
	v_cmp_lt_i16_e32 vcc, 24, v77
	s_cbranch_vccz .LBB221_3555
; %bb.3544:
	global_load_ubyte v8, v[6:7], off
	s_movk_i32 s6, 0x7f
                                        ; implicit-def: $sgpr8_sgpr9
	s_waitcnt vmcnt(0)
	v_cmp_lt_i16_e32 vcc, s6, v8
	s_mov_b64 s[6:7], 0
	s_and_saveexec_b64 s[10:11], vcc
	s_xor_b64 s[10:11], exec, s[10:11]
	s_cbranch_execz .LBB221_3567
; %bb.3545:
	s_movk_i32 s6, 0x80
	v_cmp_eq_u16_e32 vcc, s6, v8
	s_mov_b64 s[12:13], -1
                                        ; implicit-def: $sgpr8_sgpr9
	s_and_saveexec_b64 s[6:7], vcc
; %bb.3546:
	s_mov_b32 s9, 0x7ff80000
	s_brev_b32 s8, 4
	s_xor_b64 s[12:13], exec, -1
; %bb.3547:
	s_or_b64 exec, exec, s[6:7]
	s_and_b64 s[6:7], s[12:13], exec
	s_or_saveexec_b64 s[10:11], s[10:11]
	v_pk_mov_b32 v[74:75], s[8:9], s[8:9] op_sel:[0,1]
	s_xor_b64 exec, exec, s[10:11]
	s_cbranch_execnz .LBB221_3568
.LBB221_3548:
	s_or_b64 exec, exec, s[10:11]
	s_and_saveexec_b64 s[8:9], s[6:7]
	s_cbranch_execz .LBB221_3550
.LBB221_3549:
	v_lshlrev_b32_e32 v9, 24, v8
	v_and_b32_e32 v8, 0xffff, v8
	v_and_b32_e32 v10, 3, v8
	v_ffbh_u32_e32 v12, v10
	v_min_u32_e32 v12, 32, v12
	v_subrev_u32_e32 v13, 29, v12
	v_bfe_u32 v11, v8, 2, 5
	v_lshlrev_b32_e32 v8, v13, v8
	v_sub_u32_e32 v12, 30, v12
	v_and_b32_e32 v8, 3, v8
	v_cmp_eq_u32_e32 vcc, 0, v11
	v_cndmask_b32_e32 v11, v11, v12, vcc
	v_cndmask_b32_e32 v8, v10, v8, vcc
	v_mov_b32_e32 v10, 0x37800000
	v_lshlrev_b32_e32 v8, 21, v8
	v_and_b32_e32 v9, 0x80000000, v9
	v_lshl_add_u32 v10, v11, 23, v10
	v_or3_b32 v8, v9, v10, v8
	v_cvt_f64_f32_e32 v[74:75], v8
.LBB221_3550:
	s_or_b64 exec, exec, s[8:9]
	s_mov_b64 s[6:7], 0
	s_branch .LBB221_3556
.LBB221_3551:
	s_mov_b64 s[6:7], -1
                                        ; implicit-def: $vgpr74_vgpr75
	s_branch .LBB221_3562
.LBB221_3552:
	s_or_saveexec_b64 s[12:13], s[12:13]
	v_pk_mov_b32 v[74:75], s[10:11], s[10:11] op_sel:[0,1]
	s_xor_b64 exec, exec, s[12:13]
	s_cbranch_execz .LBB221_3535
.LBB221_3553:
	v_cmp_ne_u16_e32 vcc, 0, v8
	s_andn2_b64 s[8:9], s[8:9], exec
	s_and_b64 s[10:11], vcc, exec
	v_pk_mov_b32 v[74:75], 0, 0
	s_or_b64 s[8:9], s[8:9], s[10:11]
	s_or_b64 exec, exec, s[12:13]
	s_and_saveexec_b64 s[10:11], s[8:9]
	s_cbranch_execnz .LBB221_3536
	s_branch .LBB221_3537
.LBB221_3554:
	s_mov_b64 s[6:7], -1
                                        ; implicit-def: $vgpr74_vgpr75
	s_branch .LBB221_3559
.LBB221_3555:
	s_mov_b64 s[6:7], -1
                                        ; implicit-def: $vgpr74_vgpr75
.LBB221_3556:
	s_and_b64 vcc, exec, s[6:7]
	s_cbranch_vccz .LBB221_3558
; %bb.3557:
	global_load_ubyte v8, v[6:7], off
	s_mov_b32 s6, 0x7f800000
	s_waitcnt vmcnt(0)
	v_lshlrev_b32_e32 v8, 24, v8
	v_and_b32_e32 v9, 0x7f000000, v8
	v_ffbh_u32_e32 v10, v9
	v_min_u32_e32 v10, 32, v10
	v_sub_u32_e64 v10, v10, 4 clamp
	v_lshlrev_b32_e32 v12, v10, v9
	v_lshlrev_b32_e32 v10, 23, v10
	v_lshrrev_b32_e32 v12, 4, v12
	v_add_u32_e32 v11, 0x1000000, v9
	v_sub_u32_e32 v10, v12, v10
	v_ashrrev_i32_e32 v11, 8, v11
	v_add_u32_e32 v10, 0x3c000000, v10
	v_and_or_b32 v10, v11, s6, v10
	v_cmp_ne_u32_e32 vcc, 0, v9
	v_cndmask_b32_e32 v9, 0, v10, vcc
	s_brev_b32 s6, 1
	v_and_or_b32 v8, v8, s6, v9
	v_cvt_f64_f32_e32 v[74:75], v8
.LBB221_3558:
	s_mov_b64 s[6:7], 0
.LBB221_3559:
	s_andn2_b64 vcc, exec, s[6:7]
	s_cbranch_vccnz .LBB221_3561
; %bb.3560:
	global_load_ubyte v8, v[6:7], off
	s_movk_i32 s6, 0x7f00
	s_brev_b32 s7, 16
	s_waitcnt vmcnt(0)
	v_lshlrev_b16_e32 v9, 8, v8
	v_lshlrev_b32_e32 v8, 25, v8
	v_lshrrev_b32_e32 v10, 4, v8
	v_and_or_b32 v11, v9, s6, 0.5
	v_or_b32_e32 v10, 0x70000000, v10
	v_add_f32_e32 v11, -0.5, v11
	v_mul_f32_e32 v10, 0x7800000, v10
	v_cmp_gt_u32_e32 vcc, s7, v8
	v_bfe_i32 v9, v9, 0, 16
	v_cndmask_b32_e32 v8, v10, v11, vcc
	s_brev_b32 s6, 1
	v_and_or_b32 v8, v9, s6, v8
	v_cvt_f64_f32_e32 v[74:75], v8
.LBB221_3561:
	s_mov_b64 s[6:7], 0
	s_mov_b64 s[8:9], -1
.LBB221_3562:
	s_andn2_b64 vcc, exec, s[6:7]
	s_mov_b64 s[6:7], 0
	s_cbranch_vccnz .LBB221_3573
; %bb.3563:
	v_cmp_lt_i16_e32 vcc, 14, v77
	s_cbranch_vccz .LBB221_3566
; %bb.3564:
	v_cmp_eq_u16_e32 vcc, 15, v77
	s_cbranch_vccz .LBB221_3569
; %bb.3565:
	global_load_ushort v8, v[6:7], off
	s_mov_b64 s[4:5], 0
	s_mov_b64 s[8:9], -1
	s_waitcnt vmcnt(0)
	v_lshlrev_b32_e32 v8, 16, v8
	v_cvt_f64_f32_e32 v[74:75], v8
	s_branch .LBB221_3570
.LBB221_3566:
	s_mov_b64 s[10:11], -1
                                        ; implicit-def: $vgpr74_vgpr75
	s_branch .LBB221_3571
.LBB221_3567:
	s_or_saveexec_b64 s[10:11], s[10:11]
	v_pk_mov_b32 v[74:75], s[8:9], s[8:9] op_sel:[0,1]
	s_xor_b64 exec, exec, s[10:11]
	s_cbranch_execz .LBB221_3548
.LBB221_3568:
	v_cmp_ne_u16_e32 vcc, 0, v8
	s_andn2_b64 s[6:7], s[6:7], exec
	s_and_b64 s[8:9], vcc, exec
	v_pk_mov_b32 v[74:75], 0, 0
	s_or_b64 s[6:7], s[6:7], s[8:9]
	s_or_b64 exec, exec, s[10:11]
	s_and_saveexec_b64 s[8:9], s[6:7]
	s_cbranch_execnz .LBB221_3549
	s_branch .LBB221_3550
.LBB221_3569:
	s_mov_b64 s[4:5], -1
                                        ; implicit-def: $vgpr74_vgpr75
.LBB221_3570:
	s_mov_b64 s[10:11], 0
.LBB221_3571:
	s_and_b64 vcc, exec, s[10:11]
	s_cbranch_vccz .LBB221_3573
; %bb.3572:
	v_cmp_ne_u16_e64 s[4:5], 11, v77
	s_mov_b64 s[6:7], -1
                                        ; implicit-def: $vgpr74_vgpr75
.LBB221_3573:
	s_and_b64 vcc, exec, s[4:5]
	s_cbranch_vccnz .LBB221_3637
; %bb.3574:
	s_andn2_b64 vcc, exec, s[6:7]
	s_cbranch_vccnz .LBB221_3576
.LBB221_3575:
	global_load_ubyte v8, v[6:7], off
	v_mov_b32_e32 v9, 0x3ff00000
	v_mov_b32_e32 v74, 0
	s_mov_b64 s[8:9], -1
	s_waitcnt vmcnt(0)
	v_cmp_ne_u16_e32 vcc, 0, v8
	v_cndmask_b32_e32 v75, 0, v9, vcc
.LBB221_3576:
	s_mov_b64 s[4:5], 0
.LBB221_3577:
	s_and_b64 vcc, exec, s[4:5]
	s_cbranch_vccz .LBB221_3626
; %bb.3578:
	v_cmp_gt_i16_e32 vcc, 5, v77
	s_cbranch_vccnz .LBB221_3583
; %bb.3579:
	v_cmp_gt_i16_e32 vcc, 8, v77
	s_cbranch_vccnz .LBB221_3584
	;; [unrolled: 3-line block ×3, first 2 shown]
; %bb.3581:
	v_cmp_lt_i16_e32 vcc, 9, v77
	s_cbranch_vccz .LBB221_3586
; %bb.3582:
	global_load_dwordx2 v[74:75], v[6:7], off
	s_mov_b64 s[4:5], 0
	s_branch .LBB221_3587
.LBB221_3583:
	s_mov_b64 s[4:5], -1
                                        ; implicit-def: $vgpr74_vgpr75
	s_branch .LBB221_3605
.LBB221_3584:
	s_mov_b64 s[4:5], -1
                                        ; implicit-def: $vgpr74_vgpr75
	s_branch .LBB221_3593
.LBB221_3585:
	s_mov_b64 s[4:5], -1
                                        ; implicit-def: $vgpr74_vgpr75
	s_branch .LBB221_3590
.LBB221_3586:
	s_mov_b64 s[4:5], -1
                                        ; implicit-def: $vgpr74_vgpr75
.LBB221_3587:
	s_andn2_b64 vcc, exec, s[4:5]
	s_cbranch_vccnz .LBB221_3589
; %bb.3588:
	global_load_dword v8, v[6:7], off
	s_waitcnt vmcnt(0)
	v_cvt_f64_f32_e32 v[74:75], v8
.LBB221_3589:
	s_mov_b64 s[4:5], 0
.LBB221_3590:
	s_andn2_b64 vcc, exec, s[4:5]
	s_cbranch_vccnz .LBB221_3592
; %bb.3591:
	global_load_dword v8, v[6:7], off
	s_waitcnt vmcnt(0)
	v_cvt_f32_f16_e32 v8, v8
	v_cvt_f64_f32_e32 v[74:75], v8
.LBB221_3592:
	s_mov_b64 s[4:5], 0
.LBB221_3593:
	s_andn2_b64 vcc, exec, s[4:5]
	s_cbranch_vccnz .LBB221_3604
; %bb.3594:
	v_cmp_gt_i16_e32 vcc, 6, v77
	s_cbranch_vccnz .LBB221_3597
; %bb.3595:
	v_cmp_lt_i16_e32 vcc, 6, v77
	s_cbranch_vccz .LBB221_3598
; %bb.3596:
	global_load_dwordx2 v[74:75], v[6:7], off
	s_mov_b64 s[4:5], 0
	s_branch .LBB221_3599
.LBB221_3597:
	s_mov_b64 s[4:5], -1
                                        ; implicit-def: $vgpr74_vgpr75
	s_branch .LBB221_3602
.LBB221_3598:
	s_mov_b64 s[4:5], -1
                                        ; implicit-def: $vgpr74_vgpr75
.LBB221_3599:
	s_andn2_b64 vcc, exec, s[4:5]
	s_cbranch_vccnz .LBB221_3601
; %bb.3600:
	global_load_dword v8, v[6:7], off
	s_waitcnt vmcnt(0)
	v_cvt_f64_f32_e32 v[74:75], v8
.LBB221_3601:
	s_mov_b64 s[4:5], 0
.LBB221_3602:
	s_andn2_b64 vcc, exec, s[4:5]
	s_cbranch_vccnz .LBB221_3604
; %bb.3603:
	global_load_ushort v8, v[6:7], off
	s_waitcnt vmcnt(0)
	v_cvt_f32_f16_e32 v8, v8
	v_cvt_f64_f32_e32 v[74:75], v8
.LBB221_3604:
	s_mov_b64 s[4:5], 0
.LBB221_3605:
	s_andn2_b64 vcc, exec, s[4:5]
	s_cbranch_vccnz .LBB221_3625
; %bb.3606:
	v_cmp_gt_i16_e32 vcc, 2, v77
	s_cbranch_vccnz .LBB221_3610
; %bb.3607:
	v_cmp_gt_i16_e32 vcc, 3, v77
	s_cbranch_vccnz .LBB221_3611
; %bb.3608:
	v_cmp_lt_i16_e32 vcc, 3, v77
	s_cbranch_vccz .LBB221_3612
; %bb.3609:
	global_load_dwordx2 v[8:9], v[6:7], off
	s_mov_b64 s[4:5], 0
	s_waitcnt vmcnt(0)
	v_cvt_f64_i32_e32 v[10:11], v9
	v_cvt_f64_u32_e32 v[8:9], v8
	v_ldexp_f64 v[10:11], v[10:11], 32
	v_add_f64 v[74:75], v[10:11], v[8:9]
	s_branch .LBB221_3613
.LBB221_3610:
	s_mov_b64 s[4:5], -1
                                        ; implicit-def: $vgpr74_vgpr75
	s_branch .LBB221_3619
.LBB221_3611:
	s_mov_b64 s[4:5], -1
                                        ; implicit-def: $vgpr74_vgpr75
	s_branch .LBB221_3616
.LBB221_3612:
	s_mov_b64 s[4:5], -1
                                        ; implicit-def: $vgpr74_vgpr75
.LBB221_3613:
	s_andn2_b64 vcc, exec, s[4:5]
	s_cbranch_vccnz .LBB221_3615
; %bb.3614:
	global_load_dword v8, v[6:7], off
	s_waitcnt vmcnt(0)
	v_cvt_f64_i32_e32 v[74:75], v8
.LBB221_3615:
	s_mov_b64 s[4:5], 0
.LBB221_3616:
	s_andn2_b64 vcc, exec, s[4:5]
	s_cbranch_vccnz .LBB221_3618
; %bb.3617:
	global_load_sshort v8, v[6:7], off
	s_waitcnt vmcnt(0)
	v_cvt_f64_i32_e32 v[74:75], v8
.LBB221_3618:
	s_mov_b64 s[4:5], 0
.LBB221_3619:
	s_andn2_b64 vcc, exec, s[4:5]
	s_cbranch_vccnz .LBB221_3625
; %bb.3620:
	v_cmp_lt_i16_e32 vcc, 0, v77
	s_cbranch_vccz .LBB221_3622
; %bb.3621:
	global_load_sbyte v8, v[6:7], off
	s_mov_b64 s[4:5], 0
	s_waitcnt vmcnt(0)
	v_cvt_f64_i32_e32 v[74:75], v8
	s_branch .LBB221_3623
.LBB221_3622:
	s_mov_b64 s[4:5], -1
                                        ; implicit-def: $vgpr74_vgpr75
.LBB221_3623:
	s_andn2_b64 vcc, exec, s[4:5]
	s_cbranch_vccnz .LBB221_3625
; %bb.3624:
	global_load_ubyte v6, v[6:7], off
	s_waitcnt vmcnt(0)
	v_cvt_f64_u32_e32 v[74:75], v6
.LBB221_3625:
	s_mov_b64 s[8:9], -1
.LBB221_3626:
	s_andn2_b64 vcc, exec, s[8:9]
	s_cbranch_vccnz .LBB221_4080
; %bb.3627:
	v_writelane_b32 v78, s36, 4
	v_writelane_b32 v78, s37, 5
	;; [unrolled: 1-line block ×11, first 2 shown]
	s_getpc_b64 s[4:5]
	s_add_u32 s4, s4, _ZZZZN2at6native28launch_dirichlet_grad_kernelERNS_18TensorIteratorBaseEENKUlvE_clEvENKUlvE_clEvENKUldddE_clEddd@rel32@lo+4
	s_addc_u32 s5, s5, _ZZZZN2at6native28launch_dirichlet_grad_kernelERNS_18TensorIteratorBaseEENKUlvE_clEvENKUlvE_clEvENKUldddE_clEddd@rel32@hi+12
	v_writelane_b32 v78, s47, 15
	s_swappc_b64 s[30:31], s[4:5]
	v_readlane_b32 s4, v78, 4
	v_readlane_b32 s8, v78, 8
	;; [unrolled: 1-line block ×7, first 2 shown]
	v_mul_lo_u32 v76, s8, v76
	v_ashrrev_i32_e32 v2, 31, v76
	v_mov_b32_e32 v3, s5
	v_add_co_u32_e32 v4, vcc, s4, v76
	v_addc_co_u32_e32 v5, vcc, v3, v2, vcc
	v_mov_b32_e32 v2, 11
	v_cmp_lt_i16_sdwa s[4:5], v41, v2 src0_sel:BYTE_0 src1_sel:DWORD
	s_and_b64 vcc, exec, s[4:5]
	v_readlane_b32 s6, v78, 6
	v_readlane_b32 s7, v78, 7
	;; [unrolled: 1-line block ×5, first 2 shown]
	s_cbranch_vccnz .LBB221_3634
; %bb.3628:
	v_mov_b32_e32 v2, 25
	v_cmp_gt_i16_sdwa s[4:5], v41, v2 src0_sel:BYTE_0 src1_sel:DWORD
	s_mov_b64 s[10:11], -1
	s_mov_b64 s[6:7], 0
	s_and_b64 vcc, exec, s[4:5]
	s_mov_b64 s[8:9], 0
	s_mov_b64 s[4:5], 0
	s_cbranch_vccz .LBB221_3666
; %bb.3629:
	v_mov_b32_e32 v2, 28
	v_cmp_gt_i16_sdwa s[4:5], v41, v2 src0_sel:BYTE_0 src1_sel:DWORD
	s_and_b64 vcc, exec, s[4:5]
	s_cbranch_vccz .LBB221_3635
; %bb.3630:
	v_mov_b32_e32 v2, 43
	v_cmp_gt_i16_sdwa s[4:5], v41, v2 src0_sel:BYTE_0 src1_sel:DWORD
	s_and_b64 vcc, exec, s[4:5]
	;; [unrolled: 5-line block ×3, first 2 shown]
	s_cbranch_vccz .LBB221_3638
; %bb.3632:
	v_mov_b32_e32 v2, 46
	v_cmp_eq_u16_sdwa s[8:9], v41, v2 src0_sel:BYTE_0 src1_sel:DWORD
	s_mov_b64 s[4:5], -1
	s_mov_b64 s[10:11], 0
	s_and_b64 vcc, exec, s[8:9]
	s_mov_b64 s[8:9], 0
	s_cbranch_vccz .LBB221_3639
; %bb.3633:
	v_cvt_f32_f64_e32 v2, v[0:1]
	v_bfe_u32 v3, v2, 16, 1
	s_movk_i32 s4, 0x7fff
	v_add3_u32 v3, v2, v3, s4
	v_lshrrev_b32_e32 v3, 16, v3
	v_mov_b32_e32 v6, 0x7fc0
	v_cmp_o_f32_e32 vcc, v2, v2
	v_cndmask_b32_e32 v2, v6, v3, vcc
	global_store_dword v[4:5], v2, off
	s_mov_b64 s[4:5], 0
	s_mov_b64 s[8:9], -1
	s_branch .LBB221_3639
.LBB221_3634:
	s_mov_b64 s[4:5], -1
	s_mov_b64 s[8:9], 0
	s_branch .LBB221_3710
.LBB221_3635:
	s_mov_b64 s[4:5], 0
	s_branch .LBB221_3649
.LBB221_3636:
	s_mov_b64 s[4:5], 0
	s_branch .LBB221_3645
.LBB221_3637:
	s_trap 2
	s_or_b64 s[92:93], s[92:93], exec
                                        ; implicit-def: $vgpr74_vgpr75
	s_cbranch_execz .LBB221_3575
	s_branch .LBB221_3576
.LBB221_3638:
	s_mov_b64 s[4:5], 0
.LBB221_3639:
	s_and_b64 vcc, exec, s[10:11]
	s_cbranch_vccz .LBB221_3644
; %bb.3640:
	v_mov_b32_e32 v2, 44
	v_cmp_eq_u16_sdwa s[10:11], v41, v2 src0_sel:BYTE_0 src1_sel:DWORD
	s_mov_b64 s[4:5], -1
	s_and_b64 vcc, exec, s[10:11]
	s_cbranch_vccz .LBB221_3644
; %bb.3641:
	v_cvt_f32_f64_e32 v2, v[0:1]
	v_bfe_u32 v3, v2, 23, 8
	s_movk_i32 s4, 0xff
	v_cmp_ne_u32_e32 vcc, s4, v3
	v_mov_b32_e32 v6, 0xff
	s_and_saveexec_b64 s[8:9], vcc
; %bb.3642:
	s_mov_b32 s4, 0x3fffff
	v_lshrrev_b32_e32 v6, 23, v2
	v_and_b32_e32 v7, 0x400000, v2
	v_and_or_b32 v2, v2, s4, v3
	v_cmp_ne_u32_e32 vcc, 0, v7
	v_cmp_ne_u32_e64 s[4:5], 0, v2
	s_and_b64 s[4:5], vcc, s[4:5]
	v_cndmask_b32_e64 v2, 0, 1, s[4:5]
	v_add_u32_e32 v6, v6, v2
; %bb.3643:
	s_or_b64 exec, exec, s[8:9]
	s_mov_b64 s[4:5], 0
	s_mov_b64 s[8:9], -1
	global_store_byte v[4:5], v6, off
.LBB221_3644:
	s_mov_b64 s[10:11], 0
.LBB221_3645:
	s_and_b64 vcc, exec, s[10:11]
	s_cbranch_vccz .LBB221_3648
; %bb.3646:
	v_mov_b32_e32 v2, 29
	v_cmp_eq_u16_sdwa s[10:11], v41, v2 src0_sel:BYTE_0 src1_sel:DWORD
	s_mov_b64 s[4:5], -1
	s_and_b64 vcc, exec, s[10:11]
	s_cbranch_vccz .LBB221_3648
; %bb.3647:
	v_trunc_f64_e32 v[2:3], v[0:1]
	s_movk_i32 s4, 0xffe0
	v_ldexp_f64 v[6:7], v[2:3], s4
	v_floor_f64_e32 v[6:7], v[6:7]
	v_fmac_f64_e32 v[2:3], 0xc1f00000, v[6:7]
	v_cvt_u32_f64_e32 v9, v[6:7]
	v_cvt_u32_f64_e32 v8, v[2:3]
	global_store_dwordx2 v[4:5], v[8:9], off
	s_mov_b64 s[4:5], 0
	s_mov_b64 s[8:9], -1
.LBB221_3648:
	s_mov_b64 s[10:11], 0
.LBB221_3649:
	s_and_b64 vcc, exec, s[10:11]
	s_cbranch_vccz .LBB221_3665
; %bb.3650:
	v_mov_b32_e32 v2, 27
	v_cmp_lt_i16_sdwa s[10:11], v41, v2 src0_sel:BYTE_0 src1_sel:DWORD
	s_mov_b64 s[8:9], -1
	s_and_b64 vcc, exec, s[10:11]
	s_cbranch_vccnz .LBB221_3656
; %bb.3651:
	v_cmp_gt_i16_sdwa s[10:11], v41, v2 src0_sel:BYTE_0 src1_sel:DWORD
	s_and_b64 vcc, exec, s[10:11]
	v_cvt_u32_f64_e32 v2, v[0:1]
	s_cbranch_vccz .LBB221_3653
; %bb.3652:
	s_mov_b64 s[8:9], 0
	global_store_dword v[4:5], v2, off
.LBB221_3653:
	s_andn2_b64 vcc, exec, s[8:9]
	s_cbranch_vccnz .LBB221_3655
; %bb.3654:
	global_store_short v[4:5], v2, off
.LBB221_3655:
	s_mov_b64 s[8:9], 0
.LBB221_3656:
	s_andn2_b64 vcc, exec, s[8:9]
	s_cbranch_vccnz .LBB221_3664
; %bb.3657:
	v_cvt_f32_f64_e32 v2, v[0:1]
	v_and_b32_e32 v3, 0x7fffffff, v2
	s_mov_b32 s8, 0x43800000
	v_cmp_gt_u32_e32 vcc, s8, v3
	v_mov_b32_e32 v6, 0x80
	s_and_saveexec_b64 s[8:9], vcc
	s_cbranch_execz .LBB221_3663
; %bb.3658:
	s_mov_b32 s10, 0x3bffffff
	v_cmp_lt_u32_e32 vcc, s10, v3
	s_mov_b64 s[10:11], 0
                                        ; implicit-def: $vgpr3
	s_and_saveexec_b64 s[12:13], vcc
	s_xor_b64 s[12:13], exec, s[12:13]
	s_cbranch_execz .LBB221_3759
; %bb.3659:
	v_bfe_u32 v3, v2, 20, 1
	s_mov_b32 s14, 0x487ffff
	v_add3_u32 v3, v2, v3, s14
	s_mov_b64 s[10:11], exec
	v_lshrrev_b32_e32 v3, 20, v3
	s_or_saveexec_b64 s[12:13], s[12:13]
                                        ; implicit-def: $sgpr14
	s_xor_b64 exec, exec, s[12:13]
	s_cbranch_execnz .LBB221_3760
.LBB221_3660:
	s_or_b64 exec, exec, s[12:13]
	v_mov_b32_e32 v6, s14
	s_and_saveexec_b64 s[12:13], s[10:11]
.LBB221_3661:
	v_lshrrev_b32_e32 v2, 24, v2
	s_movk_i32 s10, 0x80
	v_and_or_b32 v6, v2, s10, v3
.LBB221_3662:
	s_or_b64 exec, exec, s[12:13]
.LBB221_3663:
	s_or_b64 exec, exec, s[8:9]
	global_store_byte v[4:5], v6, off
.LBB221_3664:
	s_mov_b64 s[8:9], -1
.LBB221_3665:
	s_mov_b64 s[10:11], 0
.LBB221_3666:
	s_and_b64 vcc, exec, s[10:11]
	s_cbranch_vccz .LBB221_3706
; %bb.3667:
	v_mov_b32_e32 v2, 22
	v_cmp_gt_i16_sdwa s[10:11], v41, v2 src0_sel:BYTE_0 src1_sel:DWORD
	s_mov_b64 s[6:7], -1
	s_and_b64 vcc, exec, s[10:11]
	s_cbranch_vccz .LBB221_3699
; %bb.3668:
	v_mov_b32_e32 v2, 24
	v_cmp_lt_i16_sdwa s[8:9], v41, v2 src0_sel:BYTE_0 src1_sel:DWORD
	s_and_b64 vcc, exec, s[8:9]
	s_cbranch_vccnz .LBB221_3688
; %bb.3669:
	v_cmp_gt_i16_sdwa s[8:9], v41, v2 src0_sel:BYTE_0 src1_sel:DWORD
	s_and_b64 vcc, exec, s[8:9]
	s_cbranch_vccz .LBB221_3677
; %bb.3670:
	v_cvt_f32_f64_e32 v2, v[0:1]
	v_and_b32_e32 v3, 0x7fffffff, v2
	s_mov_b32 s6, 0x47800000
	v_cmp_gt_u32_e32 vcc, s6, v3
	v_mov_b32_e32 v6, 0x80
	s_and_saveexec_b64 s[6:7], vcc
	s_cbranch_execz .LBB221_3676
; %bb.3671:
	s_mov_b32 s8, 0x37ffffff
	v_cmp_lt_u32_e32 vcc, s8, v3
	s_mov_b64 s[8:9], 0
                                        ; implicit-def: $vgpr3
	s_and_saveexec_b64 s[10:11], vcc
	s_xor_b64 s[10:11], exec, s[10:11]
	s_cbranch_execz .LBB221_3763
; %bb.3672:
	v_bfe_u32 v3, v2, 21, 1
	s_mov_b32 s12, 0x88fffff
	v_add3_u32 v3, v2, v3, s12
	s_mov_b64 s[8:9], exec
	v_lshrrev_b32_e32 v3, 21, v3
	s_or_saveexec_b64 s[10:11], s[10:11]
                                        ; implicit-def: $sgpr12
	s_xor_b64 exec, exec, s[10:11]
	s_cbranch_execnz .LBB221_3764
.LBB221_3673:
	s_or_b64 exec, exec, s[10:11]
	v_mov_b32_e32 v6, s12
	s_and_saveexec_b64 s[10:11], s[8:9]
.LBB221_3674:
	v_lshrrev_b32_e32 v2, 24, v2
	s_movk_i32 s8, 0x80
	v_and_or_b32 v6, v2, s8, v3
.LBB221_3675:
	s_or_b64 exec, exec, s[10:11]
.LBB221_3676:
	s_or_b64 exec, exec, s[6:7]
	s_mov_b64 s[6:7], 0
	global_store_byte v[4:5], v6, off
.LBB221_3677:
	s_and_b64 vcc, exec, s[6:7]
	s_cbranch_vccz .LBB221_3687
; %bb.3678:
	v_cvt_f32_f64_e32 v2, v[0:1]
	v_and_b32_e32 v6, 0x7fffffff, v2
	s_mov_b32 s6, 0x43f00000
	v_cmp_gt_u32_e32 vcc, s6, v6
                                        ; implicit-def: $vgpr3
	s_and_saveexec_b64 s[6:7], vcc
	s_xor_b64 s[6:7], exec, s[6:7]
	s_cbranch_execz .LBB221_3684
; %bb.3679:
	s_mov_b32 s8, 0x3c7fffff
	v_cmp_lt_u32_e32 vcc, s8, v6
                                        ; implicit-def: $vgpr3
	s_and_saveexec_b64 s[8:9], vcc
	s_xor_b64 s[8:9], exec, s[8:9]
; %bb.3680:
	v_bfe_u32 v3, v2, 20, 1
	s_mov_b32 s10, 0x407ffff
	v_add3_u32 v3, v2, v3, s10
	v_lshrrev_b32_e32 v6, 20, v3
	v_and_b32_e32 v3, 0xff00000, v3
	s_mov_b32 s10, 0x7f00000
	v_mov_b32_e32 v7, 0x7e
	v_cmp_ne_u32_e32 vcc, s10, v3
	v_cndmask_b32_e32 v3, v7, v6, vcc
; %bb.3681:
	s_andn2_saveexec_b64 s[8:9], s[8:9]
; %bb.3682:
	s_mov_b32 s10, 0x46800000
	v_add_f32_e64 v3, |v2|, s10
; %bb.3683:
	s_or_b64 exec, exec, s[8:9]
                                        ; implicit-def: $vgpr6
.LBB221_3684:
	s_andn2_saveexec_b64 s[6:7], s[6:7]
; %bb.3685:
	s_mov_b32 s8, 0x7f800000
	v_mov_b32_e32 v3, 0x7e
	v_mov_b32_e32 v7, 0x7f
	v_cmp_lt_u32_e32 vcc, s8, v6
	v_cndmask_b32_e32 v3, v3, v7, vcc
; %bb.3686:
	s_or_b64 exec, exec, s[6:7]
	v_lshrrev_b32_e32 v2, 24, v2
	s_movk_i32 s6, 0x80
	v_and_or_b32 v2, v2, s6, v3
	global_store_byte v[4:5], v2, off
.LBB221_3687:
	s_mov_b64 s[6:7], 0
.LBB221_3688:
	s_andn2_b64 vcc, exec, s[6:7]
	s_cbranch_vccnz .LBB221_3698
; %bb.3689:
	v_cvt_f32_f64_e32 v2, v[0:1]
	v_and_b32_e32 v6, 0x7fffffff, v2
	s_mov_b32 s6, 0x47800000
	v_cmp_gt_u32_e32 vcc, s6, v6
                                        ; implicit-def: $vgpr3
	s_and_saveexec_b64 s[6:7], vcc
	s_xor_b64 s[6:7], exec, s[6:7]
	s_cbranch_execz .LBB221_3695
; %bb.3690:
	s_mov_b32 s8, 0x387fffff
	v_cmp_lt_u32_e32 vcc, s8, v6
                                        ; implicit-def: $vgpr3
	s_and_saveexec_b64 s[8:9], vcc
	s_xor_b64 s[8:9], exec, s[8:9]
; %bb.3691:
	v_bfe_u32 v3, v2, 21, 1
	s_mov_b32 s10, 0x80fffff
	v_add3_u32 v3, v2, v3, s10
	v_lshrrev_b32_e32 v3, 21, v3
; %bb.3692:
	s_andn2_saveexec_b64 s[8:9], s[8:9]
; %bb.3693:
	s_mov_b32 s10, 0x43000000
	v_add_f32_e64 v3, |v2|, s10
; %bb.3694:
	s_or_b64 exec, exec, s[8:9]
                                        ; implicit-def: $vgpr6
.LBB221_3695:
	s_andn2_saveexec_b64 s[6:7], s[6:7]
; %bb.3696:
	s_mov_b32 s8, 0x7f800000
	v_mov_b32_e32 v3, 0x7c
	v_mov_b32_e32 v7, 0x7f
	v_cmp_lt_u32_e32 vcc, s8, v6
	v_cndmask_b32_e32 v3, v3, v7, vcc
; %bb.3697:
	s_or_b64 exec, exec, s[6:7]
	v_lshrrev_b32_e32 v2, 24, v2
	s_movk_i32 s6, 0x80
	v_and_or_b32 v2, v2, s6, v3
	global_store_byte v[4:5], v2, off
.LBB221_3698:
	s_mov_b64 s[6:7], 0
	s_mov_b64 s[8:9], -1
.LBB221_3699:
	s_andn2_b64 vcc, exec, s[6:7]
	s_mov_b64 s[6:7], 0
	s_cbranch_vccnz .LBB221_3706
; %bb.3700:
	v_mov_b32_e32 v2, 14
	v_cmp_gt_i16_sdwa s[6:7], v41, v2 src0_sel:BYTE_0 src1_sel:DWORD
	s_mov_b64 s[10:11], -1
	s_and_b64 vcc, exec, s[6:7]
	s_cbranch_vccz .LBB221_3704
; %bb.3701:
	v_mov_b32_e32 v2, 15
	v_cmp_eq_u16_sdwa s[6:7], v41, v2 src0_sel:BYTE_0 src1_sel:DWORD
	s_mov_b64 s[4:5], -1
	s_and_b64 vcc, exec, s[6:7]
	s_cbranch_vccz .LBB221_3703
; %bb.3702:
	v_cvt_f32_f64_e32 v2, v[0:1]
	v_bfe_u32 v3, v2, 16, 1
	s_movk_i32 s4, 0x7fff
	v_add3_u32 v3, v2, v3, s4
	v_lshrrev_b32_e32 v3, 16, v3
	v_mov_b32_e32 v6, 0x7fc0
	v_cmp_o_f32_e32 vcc, v2, v2
	v_cndmask_b32_e32 v2, v6, v3, vcc
	global_store_short v[4:5], v2, off
	s_mov_b64 s[4:5], 0
	s_mov_b64 s[8:9], -1
.LBB221_3703:
	s_mov_b64 s[10:11], 0
.LBB221_3704:
	s_mov_b64 s[6:7], 0
	s_and_b64 vcc, exec, s[10:11]
	s_cbranch_vccz .LBB221_3706
; %bb.3705:
	v_mov_b32_e32 v2, 11
	v_cmp_ne_u16_sdwa s[4:5], v41, v2 src0_sel:BYTE_0 src1_sel:DWORD
	s_mov_b64 s[6:7], -1
.LBB221_3706:
	s_and_b64 vcc, exec, s[4:5]
	s_cbranch_vccnz .LBB221_3762
; %bb.3707:
	s_andn2_b64 vcc, exec, s[6:7]
	s_cbranch_vccnz .LBB221_3709
.LBB221_3708:
	v_cmp_neq_f64_e32 vcc, 0, v[0:1]
	v_cndmask_b32_e64 v2, 0, 1, vcc
	s_mov_b64 s[8:9], -1
	global_store_byte v[4:5], v2, off
.LBB221_3709:
	s_mov_b64 s[4:5], 0
.LBB221_3710:
	s_and_b64 vcc, exec, s[4:5]
	s_cbranch_vccz .LBB221_3749
; %bb.3711:
	v_mov_b32_e32 v2, 5
	v_cmp_lt_i16_sdwa s[6:7], v41, v2 src0_sel:BYTE_0 src1_sel:DWORD
	s_mov_b64 s[4:5], -1
	s_and_b64 vcc, exec, s[6:7]
	s_cbranch_vccnz .LBB221_3732
; %bb.3712:
	v_mov_b32_e32 v2, 8
	v_cmp_lt_i16_sdwa s[6:7], v41, v2 src0_sel:BYTE_0 src1_sel:DWORD
	s_and_b64 vcc, exec, s[6:7]
	s_cbranch_vccnz .LBB221_3722
; %bb.3713:
	v_mov_b32_e32 v2, 9
	v_cmp_lt_i16_sdwa s[6:7], v41, v2 src0_sel:BYTE_0 src1_sel:DWORD
	s_and_b64 vcc, exec, s[6:7]
	s_cbranch_vccnz .LBB221_3719
; %bb.3714:
	v_cmp_gt_i16_sdwa s[6:7], v41, v2 src0_sel:BYTE_0 src1_sel:DWORD
	s_and_b64 vcc, exec, s[6:7]
	s_cbranch_vccz .LBB221_3716
; %bb.3715:
	v_mov_b32_e32 v2, 0
	v_mov_b32_e32 v3, v2
	global_store_dwordx4 v[4:5], v[0:3], off
	s_mov_b64 s[4:5], 0
.LBB221_3716:
	s_andn2_b64 vcc, exec, s[4:5]
	s_cbranch_vccnz .LBB221_3718
; %bb.3717:
	v_cvt_f32_f64_e32 v2, v[0:1]
	v_mov_b32_e32 v3, 0
	global_store_dwordx2 v[4:5], v[2:3], off
.LBB221_3718:
	s_mov_b64 s[4:5], 0
.LBB221_3719:
	s_andn2_b64 vcc, exec, s[4:5]
	s_cbranch_vccnz .LBB221_3721
; %bb.3720:
	v_cvt_f32_f64_e32 v2, v[0:1]
	v_cvt_f16_f32_e32 v2, v2
	global_store_dword v[4:5], v2, off
.LBB221_3721:
	s_mov_b64 s[4:5], 0
.LBB221_3722:
	s_andn2_b64 vcc, exec, s[4:5]
	s_cbranch_vccnz .LBB221_3731
; %bb.3723:
	v_mov_b32_e32 v2, 6
	v_cmp_lt_i16_sdwa s[6:7], v41, v2 src0_sel:BYTE_0 src1_sel:DWORD
	s_mov_b64 s[4:5], -1
	s_and_b64 vcc, exec, s[6:7]
	s_cbranch_vccnz .LBB221_3729
; %bb.3724:
	v_cmp_gt_i16_sdwa s[6:7], v41, v2 src0_sel:BYTE_0 src1_sel:DWORD
	s_and_b64 vcc, exec, s[6:7]
	s_cbranch_vccz .LBB221_3726
; %bb.3725:
	global_store_dwordx2 v[4:5], v[0:1], off
	s_mov_b64 s[4:5], 0
.LBB221_3726:
	s_andn2_b64 vcc, exec, s[4:5]
	s_cbranch_vccnz .LBB221_3728
; %bb.3727:
	v_cvt_f32_f64_e32 v2, v[0:1]
	global_store_dword v[4:5], v2, off
.LBB221_3728:
	s_mov_b64 s[4:5], 0
.LBB221_3729:
	s_andn2_b64 vcc, exec, s[4:5]
	s_cbranch_vccnz .LBB221_3731
; %bb.3730:
	v_cvt_f32_f64_e32 v2, v[0:1]
	v_cvt_f16_f32_e32 v2, v2
	global_store_short v[4:5], v2, off
.LBB221_3731:
	s_mov_b64 s[4:5], 0
.LBB221_3732:
	s_andn2_b64 vcc, exec, s[4:5]
	s_cbranch_vccnz .LBB221_3748
; %bb.3733:
	v_mov_b32_e32 v2, 2
	v_cmp_lt_i16_sdwa s[6:7], v41, v2 src0_sel:BYTE_0 src1_sel:DWORD
	s_mov_b64 s[4:5], -1
	s_and_b64 vcc, exec, s[6:7]
	s_cbranch_vccnz .LBB221_3743
; %bb.3734:
	v_mov_b32_e32 v2, 3
	v_cmp_lt_i16_sdwa s[6:7], v41, v2 src0_sel:BYTE_0 src1_sel:DWORD
	s_and_b64 vcc, exec, s[6:7]
	s_cbranch_vccnz .LBB221_3740
; %bb.3735:
	v_cmp_gt_i16_sdwa s[6:7], v41, v2 src0_sel:BYTE_0 src1_sel:DWORD
	s_and_b64 vcc, exec, s[6:7]
	s_cbranch_vccz .LBB221_3737
; %bb.3736:
	v_trunc_f64_e32 v[2:3], v[0:1]
	s_movk_i32 s4, 0xffe0
	v_ldexp_f64 v[6:7], v[2:3], s4
	v_floor_f64_e32 v[6:7], v[6:7]
	v_fmac_f64_e32 v[2:3], 0xc1f00000, v[6:7]
	v_cvt_i32_f64_e32 v9, v[6:7]
	v_cvt_u32_f64_e32 v8, v[2:3]
	global_store_dwordx2 v[4:5], v[8:9], off
	s_mov_b64 s[4:5], 0
.LBB221_3737:
	s_andn2_b64 vcc, exec, s[4:5]
	s_cbranch_vccnz .LBB221_3739
; %bb.3738:
	v_cvt_i32_f64_e32 v2, v[0:1]
	global_store_dword v[4:5], v2, off
.LBB221_3739:
	s_mov_b64 s[4:5], 0
.LBB221_3740:
	s_andn2_b64 vcc, exec, s[4:5]
	s_cbranch_vccnz .LBB221_3742
; %bb.3741:
	v_cvt_i32_f64_e32 v2, v[0:1]
	global_store_short v[4:5], v2, off
.LBB221_3742:
	s_mov_b64 s[4:5], 0
.LBB221_3743:
	s_andn2_b64 vcc, exec, s[4:5]
	s_cbranch_vccnz .LBB221_3748
; %bb.3744:
	v_mov_b32_e32 v2, 0
	v_cmp_gt_i16_sdwa s[6:7], v41, v2 src0_sel:BYTE_0 src1_sel:DWORD
	s_mov_b64 s[4:5], -1
	s_and_b64 vcc, exec, s[6:7]
	s_cbranch_vccz .LBB221_3746
; %bb.3745:
	v_cvt_i32_f64_e32 v2, v[0:1]
	global_store_byte v[4:5], v2, off
	s_mov_b64 s[4:5], 0
.LBB221_3746:
	s_andn2_b64 vcc, exec, s[4:5]
	s_cbranch_vccnz .LBB221_3748
; %bb.3747:
	v_trunc_f64_e32 v[0:1], v[0:1]
	s_movk_i32 s4, 0xffe0
	v_ldexp_f64 v[2:3], v[0:1], s4
	v_floor_f64_e32 v[2:3], v[2:3]
	v_fmac_f64_e32 v[0:1], 0xc1f00000, v[2:3]
	v_cvt_u32_f64_e32 v0, v[0:1]
	global_store_byte v[4:5], v0, off
.LBB221_3748:
	s_mov_b64 s[8:9], -1
.LBB221_3749:
	s_andn2_b64 vcc, exec, s[8:9]
	s_cbranch_vccnz .LBB221_4080
; %bb.3750:
	v_mov_b32_e32 v0, v42
	v_mov_b32_e32 v1, v43
	;; [unrolled: 1-line block ×6, first 2 shown]
	s_getpc_b64 s[4:5]
	s_add_u32 s4, s4, _ZZZZN2at6native28launch_dirichlet_grad_kernelERNS_18TensorIteratorBaseEENKUlvE_clEvENKUlvE_clEvENKUldddE_clEddd@rel32@lo+4
	s_addc_u32 s5, s5, _ZZZZN2at6native28launch_dirichlet_grad_kernelERNS_18TensorIteratorBaseEENKUlvE_clEvENKUlvE_clEvENKUldddE_clEddd@rel32@hi+12
	s_swappc_b64 s[30:31], s[4:5]
	v_readlane_b32 s4, v78, 12
	v_readlane_b32 s5, v78, 13
	;; [unrolled: 1-line block ×4, first 2 shown]
	s_lshl_b32 s33, s4, 7
	v_readlane_b32 s4, v78, 4
	v_add_u32_e32 v42, s33, v76
	v_readlane_b32 s5, v78, 5
	v_ashrrev_i32_e32 v2, 31, v42
	v_mov_b32_e32 v3, s5
	v_add_co_u32_e32 v4, vcc, s4, v42
	v_addc_co_u32_e32 v5, vcc, v3, v2, vcc
	v_mov_b32_e32 v2, 11
	v_cmp_lt_i16_sdwa s[4:5], v41, v2 src0_sel:BYTE_0 src1_sel:DWORD
	s_and_b64 vcc, exec, s[4:5]
	v_readlane_b32 s6, v78, 6
	v_readlane_b32 s7, v78, 7
	;; [unrolled: 1-line block ×6, first 2 shown]
	s_cbranch_vccnz .LBB221_3757
; %bb.3751:
	v_mov_b32_e32 v2, 25
	v_cmp_gt_i16_sdwa s[4:5], v41, v2 src0_sel:BYTE_0 src1_sel:DWORD
	s_mov_b64 s[10:11], -1
	s_mov_b64 s[6:7], 0
	s_and_b64 vcc, exec, s[4:5]
	s_mov_b64 s[8:9], 0
	s_mov_b64 s[4:5], 0
	s_cbranch_vccz .LBB221_3793
; %bb.3752:
	v_mov_b32_e32 v2, 28
	v_cmp_gt_i16_sdwa s[4:5], v41, v2 src0_sel:BYTE_0 src1_sel:DWORD
	s_and_b64 vcc, exec, s[4:5]
	s_cbranch_vccz .LBB221_3758
; %bb.3753:
	v_mov_b32_e32 v2, 43
	v_cmp_gt_i16_sdwa s[4:5], v41, v2 src0_sel:BYTE_0 src1_sel:DWORD
	s_and_b64 vcc, exec, s[4:5]
	;; [unrolled: 5-line block ×3, first 2 shown]
	s_cbranch_vccz .LBB221_3765
; %bb.3755:
	v_mov_b32_e32 v2, 46
	v_cmp_eq_u16_sdwa s[8:9], v41, v2 src0_sel:BYTE_0 src1_sel:DWORD
	s_mov_b64 s[4:5], -1
	s_mov_b64 s[10:11], 0
	s_and_b64 vcc, exec, s[8:9]
	s_mov_b64 s[8:9], 0
	s_cbranch_vccz .LBB221_3766
; %bb.3756:
	v_cvt_f32_f64_e32 v2, v[0:1]
	v_bfe_u32 v3, v2, 16, 1
	s_movk_i32 s4, 0x7fff
	v_add3_u32 v3, v2, v3, s4
	v_lshrrev_b32_e32 v3, 16, v3
	v_mov_b32_e32 v6, 0x7fc0
	v_cmp_o_f32_e32 vcc, v2, v2
	v_cndmask_b32_e32 v2, v6, v3, vcc
	global_store_dword v[4:5], v2, off
	s_mov_b64 s[4:5], 0
	s_mov_b64 s[8:9], -1
	s_branch .LBB221_3766
.LBB221_3757:
	s_mov_b64 s[4:5], -1
	s_mov_b64 s[8:9], 0
	s_branch .LBB221_3837
.LBB221_3758:
	s_mov_b64 s[4:5], 0
	s_branch .LBB221_3776
.LBB221_3759:
	s_or_saveexec_b64 s[12:13], s[12:13]
                                        ; implicit-def: $sgpr14
	s_xor_b64 exec, exec, s[12:13]
	s_cbranch_execz .LBB221_3660
.LBB221_3760:
	s_mov_b32 s14, 0x46000000
	v_add_f32_e64 v3, |v2|, s14
	v_and_b32_e32 v3, 0xff, v3
	v_cmp_ne_u32_e32 vcc, 0, v3
	s_andn2_b64 s[10:11], s[10:11], exec
	s_and_b64 s[16:17], vcc, exec
	s_mov_b32 s14, 0
	s_or_b64 s[10:11], s[10:11], s[16:17]
	s_or_b64 exec, exec, s[12:13]
	v_mov_b32_e32 v6, s14
	s_and_saveexec_b64 s[12:13], s[10:11]
	s_cbranch_execnz .LBB221_3661
	s_branch .LBB221_3662
.LBB221_3761:
	s_mov_b64 s[4:5], 0
	s_branch .LBB221_3772
.LBB221_3762:
	s_trap 2
	s_or_b64 s[92:93], s[92:93], exec
	s_cbranch_execz .LBB221_3708
	s_branch .LBB221_3709
.LBB221_3763:
	s_or_saveexec_b64 s[10:11], s[10:11]
                                        ; implicit-def: $sgpr12
	s_xor_b64 exec, exec, s[10:11]
	s_cbranch_execz .LBB221_3673
.LBB221_3764:
	s_mov_b32 s12, 0x42800000
	v_add_f32_e64 v3, |v2|, s12
	v_and_b32_e32 v3, 0xff, v3
	v_cmp_ne_u32_e32 vcc, 0, v3
	s_andn2_b64 s[8:9], s[8:9], exec
	s_and_b64 s[14:15], vcc, exec
	s_mov_b32 s12, 0
	s_or_b64 s[8:9], s[8:9], s[14:15]
	s_or_b64 exec, exec, s[10:11]
	v_mov_b32_e32 v6, s12
	s_and_saveexec_b64 s[10:11], s[8:9]
	s_cbranch_execnz .LBB221_3674
	s_branch .LBB221_3675
.LBB221_3765:
	s_mov_b64 s[4:5], 0
.LBB221_3766:
	s_and_b64 vcc, exec, s[10:11]
	s_cbranch_vccz .LBB221_3771
; %bb.3767:
	v_mov_b32_e32 v2, 44
	v_cmp_eq_u16_sdwa s[10:11], v41, v2 src0_sel:BYTE_0 src1_sel:DWORD
	s_mov_b64 s[4:5], -1
	s_and_b64 vcc, exec, s[10:11]
	s_cbranch_vccz .LBB221_3771
; %bb.3768:
	v_cvt_f32_f64_e32 v2, v[0:1]
	v_bfe_u32 v3, v2, 23, 8
	s_movk_i32 s4, 0xff
	v_cmp_ne_u32_e32 vcc, s4, v3
	v_mov_b32_e32 v6, 0xff
	s_and_saveexec_b64 s[8:9], vcc
; %bb.3769:
	s_mov_b32 s4, 0x3fffff
	v_lshrrev_b32_e32 v6, 23, v2
	v_and_b32_e32 v7, 0x400000, v2
	v_and_or_b32 v2, v2, s4, v3
	v_cmp_ne_u32_e32 vcc, 0, v7
	v_cmp_ne_u32_e64 s[4:5], 0, v2
	s_and_b64 s[4:5], vcc, s[4:5]
	v_cndmask_b32_e64 v2, 0, 1, s[4:5]
	v_add_u32_e32 v6, v6, v2
; %bb.3770:
	s_or_b64 exec, exec, s[8:9]
	s_mov_b64 s[4:5], 0
	s_mov_b64 s[8:9], -1
	global_store_byte v[4:5], v6, off
.LBB221_3771:
	s_mov_b64 s[10:11], 0
.LBB221_3772:
	s_and_b64 vcc, exec, s[10:11]
	s_cbranch_vccz .LBB221_3775
; %bb.3773:
	v_mov_b32_e32 v2, 29
	v_cmp_eq_u16_sdwa s[10:11], v41, v2 src0_sel:BYTE_0 src1_sel:DWORD
	s_mov_b64 s[4:5], -1
	s_and_b64 vcc, exec, s[10:11]
	s_cbranch_vccz .LBB221_3775
; %bb.3774:
	v_trunc_f64_e32 v[2:3], v[0:1]
	s_movk_i32 s4, 0xffe0
	v_ldexp_f64 v[6:7], v[2:3], s4
	v_floor_f64_e32 v[6:7], v[6:7]
	v_fmac_f64_e32 v[2:3], 0xc1f00000, v[6:7]
	v_cvt_u32_f64_e32 v9, v[6:7]
	v_cvt_u32_f64_e32 v8, v[2:3]
	global_store_dwordx2 v[4:5], v[8:9], off
	s_mov_b64 s[4:5], 0
	s_mov_b64 s[8:9], -1
.LBB221_3775:
	s_mov_b64 s[10:11], 0
.LBB221_3776:
	s_and_b64 vcc, exec, s[10:11]
	s_cbranch_vccz .LBB221_3792
; %bb.3777:
	v_mov_b32_e32 v2, 27
	v_cmp_lt_i16_sdwa s[10:11], v41, v2 src0_sel:BYTE_0 src1_sel:DWORD
	s_mov_b64 s[8:9], -1
	s_and_b64 vcc, exec, s[10:11]
	s_cbranch_vccnz .LBB221_3783
; %bb.3778:
	v_cmp_gt_i16_sdwa s[10:11], v41, v2 src0_sel:BYTE_0 src1_sel:DWORD
	s_and_b64 vcc, exec, s[10:11]
	v_cvt_u32_f64_e32 v2, v[0:1]
	s_cbranch_vccz .LBB221_3780
; %bb.3779:
	s_mov_b64 s[8:9], 0
	global_store_dword v[4:5], v2, off
.LBB221_3780:
	s_andn2_b64 vcc, exec, s[8:9]
	s_cbranch_vccnz .LBB221_3782
; %bb.3781:
	global_store_short v[4:5], v2, off
.LBB221_3782:
	s_mov_b64 s[8:9], 0
.LBB221_3783:
	s_andn2_b64 vcc, exec, s[8:9]
	s_cbranch_vccnz .LBB221_3791
; %bb.3784:
	v_cvt_f32_f64_e32 v2, v[0:1]
	v_and_b32_e32 v3, 0x7fffffff, v2
	s_mov_b32 s8, 0x43800000
	v_cmp_gt_u32_e32 vcc, s8, v3
	v_mov_b32_e32 v6, 0x80
	s_and_saveexec_b64 s[8:9], vcc
	s_cbranch_execz .LBB221_3790
; %bb.3785:
	s_mov_b32 s10, 0x3bffffff
	v_cmp_lt_u32_e32 vcc, s10, v3
	s_mov_b64 s[10:11], 0
                                        ; implicit-def: $vgpr3
	s_and_saveexec_b64 s[12:13], vcc
	s_xor_b64 s[12:13], exec, s[12:13]
	s_cbranch_execz .LBB221_3886
; %bb.3786:
	v_bfe_u32 v3, v2, 20, 1
	s_mov_b32 s14, 0x487ffff
	v_add3_u32 v3, v2, v3, s14
	s_mov_b64 s[10:11], exec
	v_lshrrev_b32_e32 v3, 20, v3
	s_or_saveexec_b64 s[12:13], s[12:13]
                                        ; implicit-def: $sgpr14
	s_xor_b64 exec, exec, s[12:13]
	s_cbranch_execnz .LBB221_3887
.LBB221_3787:
	s_or_b64 exec, exec, s[12:13]
	v_mov_b32_e32 v6, s14
	s_and_saveexec_b64 s[12:13], s[10:11]
.LBB221_3788:
	v_lshrrev_b32_e32 v2, 24, v2
	s_movk_i32 s10, 0x80
	v_and_or_b32 v6, v2, s10, v3
.LBB221_3789:
	s_or_b64 exec, exec, s[12:13]
.LBB221_3790:
	s_or_b64 exec, exec, s[8:9]
	global_store_byte v[4:5], v6, off
.LBB221_3791:
	s_mov_b64 s[8:9], -1
.LBB221_3792:
	s_mov_b64 s[10:11], 0
.LBB221_3793:
	s_and_b64 vcc, exec, s[10:11]
	s_cbranch_vccz .LBB221_3833
; %bb.3794:
	v_mov_b32_e32 v2, 22
	v_cmp_gt_i16_sdwa s[10:11], v41, v2 src0_sel:BYTE_0 src1_sel:DWORD
	s_mov_b64 s[6:7], -1
	s_and_b64 vcc, exec, s[10:11]
	s_cbranch_vccz .LBB221_3826
; %bb.3795:
	v_mov_b32_e32 v2, 24
	v_cmp_lt_i16_sdwa s[8:9], v41, v2 src0_sel:BYTE_0 src1_sel:DWORD
	s_and_b64 vcc, exec, s[8:9]
	s_cbranch_vccnz .LBB221_3815
; %bb.3796:
	v_cmp_gt_i16_sdwa s[8:9], v41, v2 src0_sel:BYTE_0 src1_sel:DWORD
	s_and_b64 vcc, exec, s[8:9]
	s_cbranch_vccz .LBB221_3804
; %bb.3797:
	v_cvt_f32_f64_e32 v2, v[0:1]
	v_and_b32_e32 v3, 0x7fffffff, v2
	s_mov_b32 s6, 0x47800000
	v_cmp_gt_u32_e32 vcc, s6, v3
	v_mov_b32_e32 v6, 0x80
	s_and_saveexec_b64 s[6:7], vcc
	s_cbranch_execz .LBB221_3803
; %bb.3798:
	s_mov_b32 s8, 0x37ffffff
	v_cmp_lt_u32_e32 vcc, s8, v3
	s_mov_b64 s[8:9], 0
                                        ; implicit-def: $vgpr3
	s_and_saveexec_b64 s[10:11], vcc
	s_xor_b64 s[10:11], exec, s[10:11]
	s_cbranch_execz .LBB221_3890
; %bb.3799:
	v_bfe_u32 v3, v2, 21, 1
	s_mov_b32 s12, 0x88fffff
	v_add3_u32 v3, v2, v3, s12
	s_mov_b64 s[8:9], exec
	v_lshrrev_b32_e32 v3, 21, v3
	s_or_saveexec_b64 s[10:11], s[10:11]
                                        ; implicit-def: $sgpr12
	s_xor_b64 exec, exec, s[10:11]
	s_cbranch_execnz .LBB221_3891
.LBB221_3800:
	s_or_b64 exec, exec, s[10:11]
	v_mov_b32_e32 v6, s12
	s_and_saveexec_b64 s[10:11], s[8:9]
.LBB221_3801:
	v_lshrrev_b32_e32 v2, 24, v2
	s_movk_i32 s8, 0x80
	v_and_or_b32 v6, v2, s8, v3
.LBB221_3802:
	s_or_b64 exec, exec, s[10:11]
.LBB221_3803:
	s_or_b64 exec, exec, s[6:7]
	s_mov_b64 s[6:7], 0
	global_store_byte v[4:5], v6, off
.LBB221_3804:
	s_and_b64 vcc, exec, s[6:7]
	s_cbranch_vccz .LBB221_3814
; %bb.3805:
	v_cvt_f32_f64_e32 v2, v[0:1]
	v_and_b32_e32 v6, 0x7fffffff, v2
	s_mov_b32 s6, 0x43f00000
	v_cmp_gt_u32_e32 vcc, s6, v6
                                        ; implicit-def: $vgpr3
	s_and_saveexec_b64 s[6:7], vcc
	s_xor_b64 s[6:7], exec, s[6:7]
	s_cbranch_execz .LBB221_3811
; %bb.3806:
	s_mov_b32 s8, 0x3c7fffff
	v_cmp_lt_u32_e32 vcc, s8, v6
                                        ; implicit-def: $vgpr3
	s_and_saveexec_b64 s[8:9], vcc
	s_xor_b64 s[8:9], exec, s[8:9]
; %bb.3807:
	v_bfe_u32 v3, v2, 20, 1
	s_mov_b32 s10, 0x407ffff
	v_add3_u32 v3, v2, v3, s10
	v_lshrrev_b32_e32 v6, 20, v3
	v_and_b32_e32 v3, 0xff00000, v3
	s_mov_b32 s10, 0x7f00000
	v_mov_b32_e32 v7, 0x7e
	v_cmp_ne_u32_e32 vcc, s10, v3
	v_cndmask_b32_e32 v3, v7, v6, vcc
; %bb.3808:
	s_andn2_saveexec_b64 s[8:9], s[8:9]
; %bb.3809:
	s_mov_b32 s10, 0x46800000
	v_add_f32_e64 v3, |v2|, s10
; %bb.3810:
	s_or_b64 exec, exec, s[8:9]
                                        ; implicit-def: $vgpr6
.LBB221_3811:
	s_andn2_saveexec_b64 s[6:7], s[6:7]
; %bb.3812:
	s_mov_b32 s8, 0x7f800000
	v_mov_b32_e32 v3, 0x7e
	v_mov_b32_e32 v7, 0x7f
	v_cmp_lt_u32_e32 vcc, s8, v6
	v_cndmask_b32_e32 v3, v3, v7, vcc
; %bb.3813:
	s_or_b64 exec, exec, s[6:7]
	v_lshrrev_b32_e32 v2, 24, v2
	s_movk_i32 s6, 0x80
	v_and_or_b32 v2, v2, s6, v3
	global_store_byte v[4:5], v2, off
.LBB221_3814:
	s_mov_b64 s[6:7], 0
.LBB221_3815:
	s_andn2_b64 vcc, exec, s[6:7]
	s_cbranch_vccnz .LBB221_3825
; %bb.3816:
	v_cvt_f32_f64_e32 v2, v[0:1]
	v_and_b32_e32 v6, 0x7fffffff, v2
	s_mov_b32 s6, 0x47800000
	v_cmp_gt_u32_e32 vcc, s6, v6
                                        ; implicit-def: $vgpr3
	s_and_saveexec_b64 s[6:7], vcc
	s_xor_b64 s[6:7], exec, s[6:7]
	s_cbranch_execz .LBB221_3822
; %bb.3817:
	s_mov_b32 s8, 0x387fffff
	v_cmp_lt_u32_e32 vcc, s8, v6
                                        ; implicit-def: $vgpr3
	s_and_saveexec_b64 s[8:9], vcc
	s_xor_b64 s[8:9], exec, s[8:9]
; %bb.3818:
	v_bfe_u32 v3, v2, 21, 1
	s_mov_b32 s10, 0x80fffff
	v_add3_u32 v3, v2, v3, s10
	v_lshrrev_b32_e32 v3, 21, v3
; %bb.3819:
	s_andn2_saveexec_b64 s[8:9], s[8:9]
; %bb.3820:
	s_mov_b32 s10, 0x43000000
	v_add_f32_e64 v3, |v2|, s10
; %bb.3821:
	s_or_b64 exec, exec, s[8:9]
                                        ; implicit-def: $vgpr6
.LBB221_3822:
	s_andn2_saveexec_b64 s[6:7], s[6:7]
; %bb.3823:
	s_mov_b32 s8, 0x7f800000
	v_mov_b32_e32 v3, 0x7c
	v_mov_b32_e32 v7, 0x7f
	v_cmp_lt_u32_e32 vcc, s8, v6
	v_cndmask_b32_e32 v3, v3, v7, vcc
; %bb.3824:
	s_or_b64 exec, exec, s[6:7]
	v_lshrrev_b32_e32 v2, 24, v2
	s_movk_i32 s6, 0x80
	v_and_or_b32 v2, v2, s6, v3
	global_store_byte v[4:5], v2, off
.LBB221_3825:
	s_mov_b64 s[6:7], 0
	s_mov_b64 s[8:9], -1
.LBB221_3826:
	s_andn2_b64 vcc, exec, s[6:7]
	s_mov_b64 s[6:7], 0
	s_cbranch_vccnz .LBB221_3833
; %bb.3827:
	v_mov_b32_e32 v2, 14
	v_cmp_gt_i16_sdwa s[6:7], v41, v2 src0_sel:BYTE_0 src1_sel:DWORD
	s_mov_b64 s[10:11], -1
	s_and_b64 vcc, exec, s[6:7]
	s_cbranch_vccz .LBB221_3831
; %bb.3828:
	v_mov_b32_e32 v2, 15
	v_cmp_eq_u16_sdwa s[6:7], v41, v2 src0_sel:BYTE_0 src1_sel:DWORD
	s_mov_b64 s[4:5], -1
	s_and_b64 vcc, exec, s[6:7]
	s_cbranch_vccz .LBB221_3830
; %bb.3829:
	v_cvt_f32_f64_e32 v2, v[0:1]
	v_bfe_u32 v3, v2, 16, 1
	s_movk_i32 s4, 0x7fff
	v_add3_u32 v3, v2, v3, s4
	v_lshrrev_b32_e32 v3, 16, v3
	v_mov_b32_e32 v6, 0x7fc0
	v_cmp_o_f32_e32 vcc, v2, v2
	v_cndmask_b32_e32 v2, v6, v3, vcc
	global_store_short v[4:5], v2, off
	s_mov_b64 s[4:5], 0
	s_mov_b64 s[8:9], -1
.LBB221_3830:
	s_mov_b64 s[10:11], 0
.LBB221_3831:
	s_mov_b64 s[6:7], 0
	s_and_b64 vcc, exec, s[10:11]
	s_cbranch_vccz .LBB221_3833
; %bb.3832:
	v_mov_b32_e32 v2, 11
	v_cmp_ne_u16_sdwa s[4:5], v41, v2 src0_sel:BYTE_0 src1_sel:DWORD
	s_mov_b64 s[6:7], -1
.LBB221_3833:
	s_and_b64 vcc, exec, s[4:5]
	s_cbranch_vccnz .LBB221_3889
; %bb.3834:
	s_andn2_b64 vcc, exec, s[6:7]
	s_cbranch_vccnz .LBB221_3836
.LBB221_3835:
	v_cmp_neq_f64_e32 vcc, 0, v[0:1]
	v_cndmask_b32_e64 v2, 0, 1, vcc
	s_mov_b64 s[8:9], -1
	global_store_byte v[4:5], v2, off
.LBB221_3836:
	s_mov_b64 s[4:5], 0
.LBB221_3837:
	s_and_b64 vcc, exec, s[4:5]
	s_cbranch_vccz .LBB221_3876
; %bb.3838:
	v_mov_b32_e32 v2, 5
	v_cmp_lt_i16_sdwa s[6:7], v41, v2 src0_sel:BYTE_0 src1_sel:DWORD
	s_mov_b64 s[4:5], -1
	s_and_b64 vcc, exec, s[6:7]
	s_cbranch_vccnz .LBB221_3859
; %bb.3839:
	v_mov_b32_e32 v2, 8
	v_cmp_lt_i16_sdwa s[6:7], v41, v2 src0_sel:BYTE_0 src1_sel:DWORD
	s_and_b64 vcc, exec, s[6:7]
	s_cbranch_vccnz .LBB221_3849
; %bb.3840:
	v_mov_b32_e32 v2, 9
	v_cmp_lt_i16_sdwa s[6:7], v41, v2 src0_sel:BYTE_0 src1_sel:DWORD
	s_and_b64 vcc, exec, s[6:7]
	s_cbranch_vccnz .LBB221_3846
; %bb.3841:
	v_cmp_gt_i16_sdwa s[6:7], v41, v2 src0_sel:BYTE_0 src1_sel:DWORD
	s_and_b64 vcc, exec, s[6:7]
	s_cbranch_vccz .LBB221_3843
; %bb.3842:
	v_mov_b32_e32 v2, 0
	v_mov_b32_e32 v3, v2
	global_store_dwordx4 v[4:5], v[0:3], off
	s_mov_b64 s[4:5], 0
.LBB221_3843:
	s_andn2_b64 vcc, exec, s[4:5]
	s_cbranch_vccnz .LBB221_3845
; %bb.3844:
	v_cvt_f32_f64_e32 v2, v[0:1]
	v_mov_b32_e32 v3, 0
	global_store_dwordx2 v[4:5], v[2:3], off
.LBB221_3845:
	s_mov_b64 s[4:5], 0
.LBB221_3846:
	s_andn2_b64 vcc, exec, s[4:5]
	s_cbranch_vccnz .LBB221_3848
; %bb.3847:
	v_cvt_f32_f64_e32 v2, v[0:1]
	v_cvt_f16_f32_e32 v2, v2
	global_store_dword v[4:5], v2, off
.LBB221_3848:
	s_mov_b64 s[4:5], 0
.LBB221_3849:
	s_andn2_b64 vcc, exec, s[4:5]
	s_cbranch_vccnz .LBB221_3858
; %bb.3850:
	v_mov_b32_e32 v2, 6
	v_cmp_lt_i16_sdwa s[6:7], v41, v2 src0_sel:BYTE_0 src1_sel:DWORD
	s_mov_b64 s[4:5], -1
	s_and_b64 vcc, exec, s[6:7]
	s_cbranch_vccnz .LBB221_3856
; %bb.3851:
	v_cmp_gt_i16_sdwa s[6:7], v41, v2 src0_sel:BYTE_0 src1_sel:DWORD
	s_and_b64 vcc, exec, s[6:7]
	s_cbranch_vccz .LBB221_3853
; %bb.3852:
	global_store_dwordx2 v[4:5], v[0:1], off
	s_mov_b64 s[4:5], 0
.LBB221_3853:
	s_andn2_b64 vcc, exec, s[4:5]
	s_cbranch_vccnz .LBB221_3855
; %bb.3854:
	v_cvt_f32_f64_e32 v2, v[0:1]
	global_store_dword v[4:5], v2, off
.LBB221_3855:
	s_mov_b64 s[4:5], 0
.LBB221_3856:
	s_andn2_b64 vcc, exec, s[4:5]
	s_cbranch_vccnz .LBB221_3858
; %bb.3857:
	v_cvt_f32_f64_e32 v2, v[0:1]
	v_cvt_f16_f32_e32 v2, v2
	global_store_short v[4:5], v2, off
.LBB221_3858:
	s_mov_b64 s[4:5], 0
.LBB221_3859:
	s_andn2_b64 vcc, exec, s[4:5]
	s_cbranch_vccnz .LBB221_3875
; %bb.3860:
	v_mov_b32_e32 v2, 2
	v_cmp_lt_i16_sdwa s[6:7], v41, v2 src0_sel:BYTE_0 src1_sel:DWORD
	s_mov_b64 s[4:5], -1
	s_and_b64 vcc, exec, s[6:7]
	s_cbranch_vccnz .LBB221_3870
; %bb.3861:
	v_mov_b32_e32 v2, 3
	v_cmp_lt_i16_sdwa s[6:7], v41, v2 src0_sel:BYTE_0 src1_sel:DWORD
	s_and_b64 vcc, exec, s[6:7]
	s_cbranch_vccnz .LBB221_3867
; %bb.3862:
	v_cmp_gt_i16_sdwa s[6:7], v41, v2 src0_sel:BYTE_0 src1_sel:DWORD
	s_and_b64 vcc, exec, s[6:7]
	s_cbranch_vccz .LBB221_3864
; %bb.3863:
	v_trunc_f64_e32 v[2:3], v[0:1]
	s_movk_i32 s4, 0xffe0
	v_ldexp_f64 v[6:7], v[2:3], s4
	v_floor_f64_e32 v[6:7], v[6:7]
	v_fmac_f64_e32 v[2:3], 0xc1f00000, v[6:7]
	v_cvt_i32_f64_e32 v9, v[6:7]
	v_cvt_u32_f64_e32 v8, v[2:3]
	global_store_dwordx2 v[4:5], v[8:9], off
	s_mov_b64 s[4:5], 0
.LBB221_3864:
	s_andn2_b64 vcc, exec, s[4:5]
	s_cbranch_vccnz .LBB221_3866
; %bb.3865:
	v_cvt_i32_f64_e32 v2, v[0:1]
	global_store_dword v[4:5], v2, off
.LBB221_3866:
	s_mov_b64 s[4:5], 0
.LBB221_3867:
	s_andn2_b64 vcc, exec, s[4:5]
	s_cbranch_vccnz .LBB221_3869
; %bb.3868:
	v_cvt_i32_f64_e32 v2, v[0:1]
	global_store_short v[4:5], v2, off
.LBB221_3869:
	s_mov_b64 s[4:5], 0
.LBB221_3870:
	s_andn2_b64 vcc, exec, s[4:5]
	s_cbranch_vccnz .LBB221_3875
; %bb.3871:
	v_mov_b32_e32 v2, 0
	v_cmp_gt_i16_sdwa s[6:7], v41, v2 src0_sel:BYTE_0 src1_sel:DWORD
	s_mov_b64 s[4:5], -1
	s_and_b64 vcc, exec, s[6:7]
	s_cbranch_vccz .LBB221_3873
; %bb.3872:
	v_cvt_i32_f64_e32 v2, v[0:1]
	global_store_byte v[4:5], v2, off
	s_mov_b64 s[4:5], 0
.LBB221_3873:
	s_andn2_b64 vcc, exec, s[4:5]
	s_cbranch_vccnz .LBB221_3875
; %bb.3874:
	v_trunc_f64_e32 v[0:1], v[0:1]
	s_movk_i32 s4, 0xffe0
	v_ldexp_f64 v[2:3], v[0:1], s4
	v_floor_f64_e32 v[2:3], v[2:3]
	v_fmac_f64_e32 v[0:1], 0xc1f00000, v[2:3]
	v_cvt_u32_f64_e32 v0, v[0:1]
	global_store_byte v[4:5], v0, off
.LBB221_3875:
	s_mov_b64 s[8:9], -1
.LBB221_3876:
	s_andn2_b64 vcc, exec, s[8:9]
	s_cbranch_vccnz .LBB221_4080
; %bb.3877:
	v_mov_b32_e32 v0, v56
	v_mov_b32_e32 v1, v57
	;; [unrolled: 1-line block ×6, first 2 shown]
	s_getpc_b64 s[4:5]
	s_add_u32 s4, s4, _ZZZZN2at6native28launch_dirichlet_grad_kernelERNS_18TensorIteratorBaseEENKUlvE_clEvENKUlvE_clEvENKUldddE_clEddd@rel32@lo+4
	s_addc_u32 s5, s5, _ZZZZN2at6native28launch_dirichlet_grad_kernelERNS_18TensorIteratorBaseEENKUlvE_clEvENKUlvE_clEvENKUldddE_clEddd@rel32@hi+12
	s_swappc_b64 s[30:31], s[4:5]
	v_readlane_b32 s4, v78, 4
	v_add_u32_e32 v42, s33, v42
	v_readlane_b32 s5, v78, 5
	v_ashrrev_i32_e32 v2, 31, v42
	v_mov_b32_e32 v3, s5
	v_add_co_u32_e32 v4, vcc, s4, v42
	v_addc_co_u32_e32 v5, vcc, v3, v2, vcc
	v_mov_b32_e32 v2, 11
	v_cmp_lt_i16_sdwa s[4:5], v41, v2 src0_sel:BYTE_0 src1_sel:DWORD
	s_and_b64 vcc, exec, s[4:5]
	v_readlane_b32 s6, v78, 6
	v_readlane_b32 s7, v78, 7
	;; [unrolled: 1-line block ×6, first 2 shown]
	s_cbranch_vccnz .LBB221_3884
; %bb.3878:
	v_mov_b32_e32 v2, 25
	v_cmp_gt_i16_sdwa s[4:5], v41, v2 src0_sel:BYTE_0 src1_sel:DWORD
	s_mov_b64 s[10:11], -1
	s_mov_b64 s[6:7], 0
	s_and_b64 vcc, exec, s[4:5]
	s_mov_b64 s[8:9], 0
	s_mov_b64 s[4:5], 0
	s_cbranch_vccz .LBB221_3920
; %bb.3879:
	v_mov_b32_e32 v2, 28
	v_cmp_gt_i16_sdwa s[4:5], v41, v2 src0_sel:BYTE_0 src1_sel:DWORD
	s_and_b64 vcc, exec, s[4:5]
	s_cbranch_vccz .LBB221_3885
; %bb.3880:
	v_mov_b32_e32 v2, 43
	v_cmp_gt_i16_sdwa s[4:5], v41, v2 src0_sel:BYTE_0 src1_sel:DWORD
	s_and_b64 vcc, exec, s[4:5]
	;; [unrolled: 5-line block ×3, first 2 shown]
	s_cbranch_vccz .LBB221_3892
; %bb.3882:
	v_mov_b32_e32 v2, 46
	v_cmp_eq_u16_sdwa s[8:9], v41, v2 src0_sel:BYTE_0 src1_sel:DWORD
	s_mov_b64 s[4:5], -1
	s_mov_b64 s[10:11], 0
	s_and_b64 vcc, exec, s[8:9]
	s_mov_b64 s[8:9], 0
	s_cbranch_vccz .LBB221_3893
; %bb.3883:
	v_cvt_f32_f64_e32 v2, v[0:1]
	v_bfe_u32 v3, v2, 16, 1
	s_movk_i32 s4, 0x7fff
	v_add3_u32 v3, v2, v3, s4
	v_lshrrev_b32_e32 v3, 16, v3
	v_mov_b32_e32 v6, 0x7fc0
	v_cmp_o_f32_e32 vcc, v2, v2
	v_cndmask_b32_e32 v2, v6, v3, vcc
	global_store_dword v[4:5], v2, off
	s_mov_b64 s[4:5], 0
	s_mov_b64 s[8:9], -1
	s_branch .LBB221_3893
.LBB221_3884:
	s_mov_b64 s[4:5], -1
	s_mov_b64 s[8:9], 0
	s_branch .LBB221_3964
.LBB221_3885:
	s_mov_b64 s[4:5], 0
	s_branch .LBB221_3903
.LBB221_3886:
	s_or_saveexec_b64 s[12:13], s[12:13]
                                        ; implicit-def: $sgpr14
	s_xor_b64 exec, exec, s[12:13]
	s_cbranch_execz .LBB221_3787
.LBB221_3887:
	s_mov_b32 s14, 0x46000000
	v_add_f32_e64 v3, |v2|, s14
	v_and_b32_e32 v3, 0xff, v3
	v_cmp_ne_u32_e32 vcc, 0, v3
	s_andn2_b64 s[10:11], s[10:11], exec
	s_and_b64 s[16:17], vcc, exec
	s_mov_b32 s14, 0
	s_or_b64 s[10:11], s[10:11], s[16:17]
	s_or_b64 exec, exec, s[12:13]
	v_mov_b32_e32 v6, s14
	s_and_saveexec_b64 s[12:13], s[10:11]
	s_cbranch_execnz .LBB221_3788
	s_branch .LBB221_3789
.LBB221_3888:
	s_mov_b64 s[4:5], 0
	s_branch .LBB221_3899
.LBB221_3889:
	s_trap 2
	s_or_b64 s[92:93], s[92:93], exec
	s_cbranch_execz .LBB221_3835
	s_branch .LBB221_3836
.LBB221_3890:
	s_or_saveexec_b64 s[10:11], s[10:11]
                                        ; implicit-def: $sgpr12
	s_xor_b64 exec, exec, s[10:11]
	s_cbranch_execz .LBB221_3800
.LBB221_3891:
	s_mov_b32 s12, 0x42800000
	v_add_f32_e64 v3, |v2|, s12
	v_and_b32_e32 v3, 0xff, v3
	v_cmp_ne_u32_e32 vcc, 0, v3
	s_andn2_b64 s[8:9], s[8:9], exec
	s_and_b64 s[14:15], vcc, exec
	s_mov_b32 s12, 0
	s_or_b64 s[8:9], s[8:9], s[14:15]
	s_or_b64 exec, exec, s[10:11]
	v_mov_b32_e32 v6, s12
	s_and_saveexec_b64 s[10:11], s[8:9]
	s_cbranch_execnz .LBB221_3801
	s_branch .LBB221_3802
.LBB221_3892:
	s_mov_b64 s[4:5], 0
.LBB221_3893:
	s_and_b64 vcc, exec, s[10:11]
	s_cbranch_vccz .LBB221_3898
; %bb.3894:
	v_mov_b32_e32 v2, 44
	v_cmp_eq_u16_sdwa s[10:11], v41, v2 src0_sel:BYTE_0 src1_sel:DWORD
	s_mov_b64 s[4:5], -1
	s_and_b64 vcc, exec, s[10:11]
	s_cbranch_vccz .LBB221_3898
; %bb.3895:
	v_cvt_f32_f64_e32 v2, v[0:1]
	v_bfe_u32 v3, v2, 23, 8
	s_movk_i32 s4, 0xff
	v_cmp_ne_u32_e32 vcc, s4, v3
	v_mov_b32_e32 v6, 0xff
	s_and_saveexec_b64 s[8:9], vcc
; %bb.3896:
	s_mov_b32 s4, 0x3fffff
	v_lshrrev_b32_e32 v6, 23, v2
	v_and_b32_e32 v7, 0x400000, v2
	v_and_or_b32 v2, v2, s4, v3
	v_cmp_ne_u32_e32 vcc, 0, v7
	v_cmp_ne_u32_e64 s[4:5], 0, v2
	s_and_b64 s[4:5], vcc, s[4:5]
	v_cndmask_b32_e64 v2, 0, 1, s[4:5]
	v_add_u32_e32 v6, v6, v2
; %bb.3897:
	s_or_b64 exec, exec, s[8:9]
	s_mov_b64 s[4:5], 0
	s_mov_b64 s[8:9], -1
	global_store_byte v[4:5], v6, off
.LBB221_3898:
	s_mov_b64 s[10:11], 0
.LBB221_3899:
	s_and_b64 vcc, exec, s[10:11]
	s_cbranch_vccz .LBB221_3902
; %bb.3900:
	v_mov_b32_e32 v2, 29
	v_cmp_eq_u16_sdwa s[10:11], v41, v2 src0_sel:BYTE_0 src1_sel:DWORD
	s_mov_b64 s[4:5], -1
	s_and_b64 vcc, exec, s[10:11]
	s_cbranch_vccz .LBB221_3902
; %bb.3901:
	v_trunc_f64_e32 v[2:3], v[0:1]
	s_movk_i32 s4, 0xffe0
	v_ldexp_f64 v[6:7], v[2:3], s4
	v_floor_f64_e32 v[6:7], v[6:7]
	v_fmac_f64_e32 v[2:3], 0xc1f00000, v[6:7]
	v_cvt_u32_f64_e32 v9, v[6:7]
	v_cvt_u32_f64_e32 v8, v[2:3]
	global_store_dwordx2 v[4:5], v[8:9], off
	s_mov_b64 s[4:5], 0
	s_mov_b64 s[8:9], -1
.LBB221_3902:
	s_mov_b64 s[10:11], 0
.LBB221_3903:
	s_and_b64 vcc, exec, s[10:11]
	s_cbranch_vccz .LBB221_3919
; %bb.3904:
	v_mov_b32_e32 v2, 27
	v_cmp_lt_i16_sdwa s[10:11], v41, v2 src0_sel:BYTE_0 src1_sel:DWORD
	s_mov_b64 s[8:9], -1
	s_and_b64 vcc, exec, s[10:11]
	s_cbranch_vccnz .LBB221_3910
; %bb.3905:
	v_cmp_gt_i16_sdwa s[10:11], v41, v2 src0_sel:BYTE_0 src1_sel:DWORD
	s_and_b64 vcc, exec, s[10:11]
	v_cvt_u32_f64_e32 v2, v[0:1]
	s_cbranch_vccz .LBB221_3907
; %bb.3906:
	s_mov_b64 s[8:9], 0
	global_store_dword v[4:5], v2, off
.LBB221_3907:
	s_andn2_b64 vcc, exec, s[8:9]
	s_cbranch_vccnz .LBB221_3909
; %bb.3908:
	global_store_short v[4:5], v2, off
.LBB221_3909:
	s_mov_b64 s[8:9], 0
.LBB221_3910:
	s_andn2_b64 vcc, exec, s[8:9]
	s_cbranch_vccnz .LBB221_3918
; %bb.3911:
	v_cvt_f32_f64_e32 v2, v[0:1]
	v_and_b32_e32 v3, 0x7fffffff, v2
	s_mov_b32 s8, 0x43800000
	v_cmp_gt_u32_e32 vcc, s8, v3
	v_mov_b32_e32 v6, 0x80
	s_and_saveexec_b64 s[8:9], vcc
	s_cbranch_execz .LBB221_3917
; %bb.3912:
	s_mov_b32 s10, 0x3bffffff
	v_cmp_lt_u32_e32 vcc, s10, v3
	s_mov_b64 s[10:11], 0
                                        ; implicit-def: $vgpr3
	s_and_saveexec_b64 s[12:13], vcc
	s_xor_b64 s[12:13], exec, s[12:13]
	s_cbranch_execz .LBB221_4126
; %bb.3913:
	v_bfe_u32 v3, v2, 20, 1
	s_mov_b32 s14, 0x487ffff
	v_add3_u32 v3, v2, v3, s14
	s_mov_b64 s[10:11], exec
	v_lshrrev_b32_e32 v3, 20, v3
	s_or_saveexec_b64 s[12:13], s[12:13]
                                        ; implicit-def: $sgpr14
	s_xor_b64 exec, exec, s[12:13]
	s_cbranch_execnz .LBB221_4127
.LBB221_3914:
	s_or_b64 exec, exec, s[12:13]
	v_mov_b32_e32 v6, s14
	s_and_saveexec_b64 s[12:13], s[10:11]
.LBB221_3915:
	v_lshrrev_b32_e32 v2, 24, v2
	s_movk_i32 s10, 0x80
	v_and_or_b32 v6, v2, s10, v3
.LBB221_3916:
	s_or_b64 exec, exec, s[12:13]
.LBB221_3917:
	s_or_b64 exec, exec, s[8:9]
	global_store_byte v[4:5], v6, off
.LBB221_3918:
	s_mov_b64 s[8:9], -1
.LBB221_3919:
	s_mov_b64 s[10:11], 0
.LBB221_3920:
	s_and_b64 vcc, exec, s[10:11]
	s_cbranch_vccz .LBB221_3960
; %bb.3921:
	v_mov_b32_e32 v2, 22
	v_cmp_gt_i16_sdwa s[10:11], v41, v2 src0_sel:BYTE_0 src1_sel:DWORD
	s_mov_b64 s[6:7], -1
	s_and_b64 vcc, exec, s[10:11]
	s_cbranch_vccz .LBB221_3953
; %bb.3922:
	v_mov_b32_e32 v2, 24
	v_cmp_lt_i16_sdwa s[8:9], v41, v2 src0_sel:BYTE_0 src1_sel:DWORD
	s_and_b64 vcc, exec, s[8:9]
	s_cbranch_vccnz .LBB221_3942
; %bb.3923:
	v_cmp_gt_i16_sdwa s[8:9], v41, v2 src0_sel:BYTE_0 src1_sel:DWORD
	s_and_b64 vcc, exec, s[8:9]
	s_cbranch_vccz .LBB221_3931
; %bb.3924:
	v_cvt_f32_f64_e32 v2, v[0:1]
	v_and_b32_e32 v3, 0x7fffffff, v2
	s_mov_b32 s6, 0x47800000
	v_cmp_gt_u32_e32 vcc, s6, v3
	v_mov_b32_e32 v6, 0x80
	s_and_saveexec_b64 s[6:7], vcc
	s_cbranch_execz .LBB221_3930
; %bb.3925:
	s_mov_b32 s8, 0x37ffffff
	v_cmp_lt_u32_e32 vcc, s8, v3
	s_mov_b64 s[8:9], 0
                                        ; implicit-def: $vgpr3
	s_and_saveexec_b64 s[10:11], vcc
	s_xor_b64 s[10:11], exec, s[10:11]
	s_cbranch_execz .LBB221_4129
; %bb.3926:
	v_bfe_u32 v3, v2, 21, 1
	s_mov_b32 s12, 0x88fffff
	v_add3_u32 v3, v2, v3, s12
	s_mov_b64 s[8:9], exec
	v_lshrrev_b32_e32 v3, 21, v3
	s_or_saveexec_b64 s[10:11], s[10:11]
                                        ; implicit-def: $sgpr12
	s_xor_b64 exec, exec, s[10:11]
	s_cbranch_execnz .LBB221_4130
.LBB221_3927:
	s_or_b64 exec, exec, s[10:11]
	v_mov_b32_e32 v6, s12
	s_and_saveexec_b64 s[10:11], s[8:9]
.LBB221_3928:
	v_lshrrev_b32_e32 v2, 24, v2
	s_movk_i32 s8, 0x80
	v_and_or_b32 v6, v2, s8, v3
.LBB221_3929:
	s_or_b64 exec, exec, s[10:11]
.LBB221_3930:
	s_or_b64 exec, exec, s[6:7]
	s_mov_b64 s[6:7], 0
	global_store_byte v[4:5], v6, off
.LBB221_3931:
	s_and_b64 vcc, exec, s[6:7]
	s_cbranch_vccz .LBB221_3941
; %bb.3932:
	v_cvt_f32_f64_e32 v2, v[0:1]
	v_and_b32_e32 v6, 0x7fffffff, v2
	s_mov_b32 s6, 0x43f00000
	v_cmp_gt_u32_e32 vcc, s6, v6
                                        ; implicit-def: $vgpr3
	s_and_saveexec_b64 s[6:7], vcc
	s_xor_b64 s[6:7], exec, s[6:7]
	s_cbranch_execz .LBB221_3938
; %bb.3933:
	s_mov_b32 s8, 0x3c7fffff
	v_cmp_lt_u32_e32 vcc, s8, v6
                                        ; implicit-def: $vgpr3
	s_and_saveexec_b64 s[8:9], vcc
	s_xor_b64 s[8:9], exec, s[8:9]
; %bb.3934:
	v_bfe_u32 v3, v2, 20, 1
	s_mov_b32 s10, 0x407ffff
	v_add3_u32 v3, v2, v3, s10
	v_lshrrev_b32_e32 v6, 20, v3
	v_and_b32_e32 v3, 0xff00000, v3
	s_mov_b32 s10, 0x7f00000
	v_mov_b32_e32 v7, 0x7e
	v_cmp_ne_u32_e32 vcc, s10, v3
	v_cndmask_b32_e32 v3, v7, v6, vcc
; %bb.3935:
	s_andn2_saveexec_b64 s[8:9], s[8:9]
; %bb.3936:
	s_mov_b32 s10, 0x46800000
	v_add_f32_e64 v3, |v2|, s10
; %bb.3937:
	s_or_b64 exec, exec, s[8:9]
                                        ; implicit-def: $vgpr6
.LBB221_3938:
	s_andn2_saveexec_b64 s[6:7], s[6:7]
; %bb.3939:
	s_mov_b32 s8, 0x7f800000
	v_mov_b32_e32 v3, 0x7e
	v_mov_b32_e32 v7, 0x7f
	v_cmp_lt_u32_e32 vcc, s8, v6
	v_cndmask_b32_e32 v3, v3, v7, vcc
; %bb.3940:
	s_or_b64 exec, exec, s[6:7]
	v_lshrrev_b32_e32 v2, 24, v2
	s_movk_i32 s6, 0x80
	v_and_or_b32 v2, v2, s6, v3
	global_store_byte v[4:5], v2, off
.LBB221_3941:
	s_mov_b64 s[6:7], 0
.LBB221_3942:
	s_andn2_b64 vcc, exec, s[6:7]
	s_cbranch_vccnz .LBB221_3952
; %bb.3943:
	v_cvt_f32_f64_e32 v2, v[0:1]
	v_and_b32_e32 v6, 0x7fffffff, v2
	s_mov_b32 s6, 0x47800000
	v_cmp_gt_u32_e32 vcc, s6, v6
                                        ; implicit-def: $vgpr3
	s_and_saveexec_b64 s[6:7], vcc
	s_xor_b64 s[6:7], exec, s[6:7]
	s_cbranch_execz .LBB221_3949
; %bb.3944:
	s_mov_b32 s8, 0x387fffff
	v_cmp_lt_u32_e32 vcc, s8, v6
                                        ; implicit-def: $vgpr3
	s_and_saveexec_b64 s[8:9], vcc
	s_xor_b64 s[8:9], exec, s[8:9]
; %bb.3945:
	v_bfe_u32 v3, v2, 21, 1
	s_mov_b32 s10, 0x80fffff
	v_add3_u32 v3, v2, v3, s10
	v_lshrrev_b32_e32 v3, 21, v3
; %bb.3946:
	s_andn2_saveexec_b64 s[8:9], s[8:9]
; %bb.3947:
	s_mov_b32 s10, 0x43000000
	v_add_f32_e64 v3, |v2|, s10
; %bb.3948:
	s_or_b64 exec, exec, s[8:9]
                                        ; implicit-def: $vgpr6
.LBB221_3949:
	s_andn2_saveexec_b64 s[6:7], s[6:7]
; %bb.3950:
	s_mov_b32 s8, 0x7f800000
	v_mov_b32_e32 v3, 0x7c
	v_mov_b32_e32 v7, 0x7f
	v_cmp_lt_u32_e32 vcc, s8, v6
	v_cndmask_b32_e32 v3, v3, v7, vcc
; %bb.3951:
	s_or_b64 exec, exec, s[6:7]
	v_lshrrev_b32_e32 v2, 24, v2
	s_movk_i32 s6, 0x80
	v_and_or_b32 v2, v2, s6, v3
	global_store_byte v[4:5], v2, off
.LBB221_3952:
	s_mov_b64 s[6:7], 0
	s_mov_b64 s[8:9], -1
.LBB221_3953:
	s_andn2_b64 vcc, exec, s[6:7]
	s_mov_b64 s[6:7], 0
	s_cbranch_vccnz .LBB221_3960
; %bb.3954:
	v_mov_b32_e32 v2, 14
	v_cmp_gt_i16_sdwa s[6:7], v41, v2 src0_sel:BYTE_0 src1_sel:DWORD
	s_mov_b64 s[10:11], -1
	s_and_b64 vcc, exec, s[6:7]
	s_cbranch_vccz .LBB221_3958
; %bb.3955:
	v_mov_b32_e32 v2, 15
	v_cmp_eq_u16_sdwa s[6:7], v41, v2 src0_sel:BYTE_0 src1_sel:DWORD
	s_mov_b64 s[4:5], -1
	s_and_b64 vcc, exec, s[6:7]
	s_cbranch_vccz .LBB221_3957
; %bb.3956:
	v_cvt_f32_f64_e32 v2, v[0:1]
	v_bfe_u32 v3, v2, 16, 1
	s_movk_i32 s4, 0x7fff
	v_add3_u32 v3, v2, v3, s4
	v_lshrrev_b32_e32 v3, 16, v3
	v_mov_b32_e32 v6, 0x7fc0
	v_cmp_o_f32_e32 vcc, v2, v2
	v_cndmask_b32_e32 v2, v6, v3, vcc
	global_store_short v[4:5], v2, off
	s_mov_b64 s[4:5], 0
	s_mov_b64 s[8:9], -1
.LBB221_3957:
	s_mov_b64 s[10:11], 0
.LBB221_3958:
	s_mov_b64 s[6:7], 0
	s_and_b64 vcc, exec, s[10:11]
	s_cbranch_vccz .LBB221_3960
; %bb.3959:
	v_mov_b32_e32 v2, 11
	v_cmp_ne_u16_sdwa s[4:5], v41, v2 src0_sel:BYTE_0 src1_sel:DWORD
	s_mov_b64 s[6:7], -1
.LBB221_3960:
	s_and_b64 vcc, exec, s[4:5]
	s_cbranch_vccnz .LBB221_4128
; %bb.3961:
	s_andn2_b64 vcc, exec, s[6:7]
	s_cbranch_vccnz .LBB221_3963
.LBB221_3962:
	v_cmp_neq_f64_e32 vcc, 0, v[0:1]
	v_cndmask_b32_e64 v2, 0, 1, vcc
	s_mov_b64 s[8:9], -1
	global_store_byte v[4:5], v2, off
.LBB221_3963:
	s_mov_b64 s[4:5], 0
.LBB221_3964:
	s_and_b64 vcc, exec, s[4:5]
	s_cbranch_vccz .LBB221_4003
; %bb.3965:
	v_mov_b32_e32 v2, 5
	v_cmp_lt_i16_sdwa s[6:7], v41, v2 src0_sel:BYTE_0 src1_sel:DWORD
	s_mov_b64 s[4:5], -1
	s_and_b64 vcc, exec, s[6:7]
	s_cbranch_vccnz .LBB221_3986
; %bb.3966:
	v_mov_b32_e32 v2, 8
	v_cmp_lt_i16_sdwa s[6:7], v41, v2 src0_sel:BYTE_0 src1_sel:DWORD
	s_and_b64 vcc, exec, s[6:7]
	s_cbranch_vccnz .LBB221_3976
; %bb.3967:
	v_mov_b32_e32 v2, 9
	v_cmp_lt_i16_sdwa s[6:7], v41, v2 src0_sel:BYTE_0 src1_sel:DWORD
	s_and_b64 vcc, exec, s[6:7]
	s_cbranch_vccnz .LBB221_3973
; %bb.3968:
	v_cmp_gt_i16_sdwa s[6:7], v41, v2 src0_sel:BYTE_0 src1_sel:DWORD
	s_and_b64 vcc, exec, s[6:7]
	s_cbranch_vccz .LBB221_3970
; %bb.3969:
	v_mov_b32_e32 v2, 0
	v_mov_b32_e32 v3, v2
	global_store_dwordx4 v[4:5], v[0:3], off
	s_mov_b64 s[4:5], 0
.LBB221_3970:
	s_andn2_b64 vcc, exec, s[4:5]
	s_cbranch_vccnz .LBB221_3972
; %bb.3971:
	v_cvt_f32_f64_e32 v2, v[0:1]
	v_mov_b32_e32 v3, 0
	global_store_dwordx2 v[4:5], v[2:3], off
.LBB221_3972:
	s_mov_b64 s[4:5], 0
.LBB221_3973:
	s_andn2_b64 vcc, exec, s[4:5]
	s_cbranch_vccnz .LBB221_3975
; %bb.3974:
	v_cvt_f32_f64_e32 v2, v[0:1]
	v_cvt_f16_f32_e32 v2, v2
	global_store_dword v[4:5], v2, off
.LBB221_3975:
	s_mov_b64 s[4:5], 0
.LBB221_3976:
	s_andn2_b64 vcc, exec, s[4:5]
	s_cbranch_vccnz .LBB221_3985
; %bb.3977:
	v_mov_b32_e32 v2, 6
	v_cmp_lt_i16_sdwa s[6:7], v41, v2 src0_sel:BYTE_0 src1_sel:DWORD
	s_mov_b64 s[4:5], -1
	s_and_b64 vcc, exec, s[6:7]
	s_cbranch_vccnz .LBB221_3983
; %bb.3978:
	v_cmp_gt_i16_sdwa s[6:7], v41, v2 src0_sel:BYTE_0 src1_sel:DWORD
	s_and_b64 vcc, exec, s[6:7]
	s_cbranch_vccz .LBB221_3980
; %bb.3979:
	global_store_dwordx2 v[4:5], v[0:1], off
	s_mov_b64 s[4:5], 0
.LBB221_3980:
	s_andn2_b64 vcc, exec, s[4:5]
	s_cbranch_vccnz .LBB221_3982
; %bb.3981:
	v_cvt_f32_f64_e32 v2, v[0:1]
	global_store_dword v[4:5], v2, off
.LBB221_3982:
	s_mov_b64 s[4:5], 0
.LBB221_3983:
	s_andn2_b64 vcc, exec, s[4:5]
	s_cbranch_vccnz .LBB221_3985
; %bb.3984:
	v_cvt_f32_f64_e32 v2, v[0:1]
	v_cvt_f16_f32_e32 v2, v2
	global_store_short v[4:5], v2, off
.LBB221_3985:
	s_mov_b64 s[4:5], 0
.LBB221_3986:
	s_andn2_b64 vcc, exec, s[4:5]
	s_cbranch_vccnz .LBB221_4002
; %bb.3987:
	v_mov_b32_e32 v2, 2
	v_cmp_lt_i16_sdwa s[6:7], v41, v2 src0_sel:BYTE_0 src1_sel:DWORD
	s_mov_b64 s[4:5], -1
	s_and_b64 vcc, exec, s[6:7]
	s_cbranch_vccnz .LBB221_3997
; %bb.3988:
	v_mov_b32_e32 v2, 3
	v_cmp_lt_i16_sdwa s[6:7], v41, v2 src0_sel:BYTE_0 src1_sel:DWORD
	s_and_b64 vcc, exec, s[6:7]
	s_cbranch_vccnz .LBB221_3994
; %bb.3989:
	v_cmp_gt_i16_sdwa s[6:7], v41, v2 src0_sel:BYTE_0 src1_sel:DWORD
	s_and_b64 vcc, exec, s[6:7]
	s_cbranch_vccz .LBB221_3991
; %bb.3990:
	v_trunc_f64_e32 v[2:3], v[0:1]
	s_movk_i32 s4, 0xffe0
	v_ldexp_f64 v[6:7], v[2:3], s4
	v_floor_f64_e32 v[6:7], v[6:7]
	v_fmac_f64_e32 v[2:3], 0xc1f00000, v[6:7]
	v_cvt_i32_f64_e32 v9, v[6:7]
	v_cvt_u32_f64_e32 v8, v[2:3]
	global_store_dwordx2 v[4:5], v[8:9], off
	s_mov_b64 s[4:5], 0
.LBB221_3991:
	s_andn2_b64 vcc, exec, s[4:5]
	s_cbranch_vccnz .LBB221_3993
; %bb.3992:
	v_cvt_i32_f64_e32 v2, v[0:1]
	global_store_dword v[4:5], v2, off
.LBB221_3993:
	s_mov_b64 s[4:5], 0
.LBB221_3994:
	s_andn2_b64 vcc, exec, s[4:5]
	s_cbranch_vccnz .LBB221_3996
; %bb.3995:
	v_cvt_i32_f64_e32 v2, v[0:1]
	global_store_short v[4:5], v2, off
.LBB221_3996:
	s_mov_b64 s[4:5], 0
.LBB221_3997:
	s_andn2_b64 vcc, exec, s[4:5]
	s_cbranch_vccnz .LBB221_4002
; %bb.3998:
	v_mov_b32_e32 v2, 0
	v_cmp_gt_i16_sdwa s[6:7], v41, v2 src0_sel:BYTE_0 src1_sel:DWORD
	s_mov_b64 s[4:5], -1
	s_and_b64 vcc, exec, s[6:7]
	s_cbranch_vccz .LBB221_4000
; %bb.3999:
	v_cvt_i32_f64_e32 v2, v[0:1]
	global_store_byte v[4:5], v2, off
	s_mov_b64 s[4:5], 0
.LBB221_4000:
	s_andn2_b64 vcc, exec, s[4:5]
	s_cbranch_vccnz .LBB221_4002
; %bb.4001:
	v_trunc_f64_e32 v[0:1], v[0:1]
	s_movk_i32 s4, 0xffe0
	v_ldexp_f64 v[2:3], v[0:1], s4
	v_floor_f64_e32 v[2:3], v[2:3]
	v_fmac_f64_e32 v[0:1], 0xc1f00000, v[2:3]
	v_cvt_u32_f64_e32 v0, v[0:1]
	global_store_byte v[4:5], v0, off
.LBB221_4002:
	s_mov_b64 s[8:9], -1
.LBB221_4003:
	s_andn2_b64 vcc, exec, s[8:9]
	s_cbranch_vccnz .LBB221_4080
; %bb.4004:
	v_mov_b32_e32 v0, v62
	v_mov_b32_e32 v1, v63
	;; [unrolled: 1-line block ×6, first 2 shown]
	s_getpc_b64 s[4:5]
	s_add_u32 s4, s4, _ZZZZN2at6native28launch_dirichlet_grad_kernelERNS_18TensorIteratorBaseEENKUlvE_clEvENKUlvE_clEvENKUldddE_clEddd@rel32@lo+4
	s_addc_u32 s5, s5, _ZZZZN2at6native28launch_dirichlet_grad_kernelERNS_18TensorIteratorBaseEENKUlvE_clEvENKUlvE_clEvENKUldddE_clEddd@rel32@hi+12
	s_swappc_b64 s[30:31], s[4:5]
	v_readlane_b32 s4, v78, 4
	v_add_u32_e32 v2, s33, v42
	v_readlane_b32 s5, v78, 5
	v_ashrrev_i32_e32 v3, 31, v2
	v_mov_b32_e32 v5, s5
	v_add_co_u32_e32 v4, vcc, s4, v2
	v_addc_co_u32_e32 v5, vcc, v5, v3, vcc
	v_and_b32_e32 v6, 0xff, v41
	v_cmp_gt_i16_e32 vcc, 11, v6
	s_and_b64 vcc, exec, vcc
	v_readlane_b32 s6, v78, 6
	v_readlane_b32 s7, v78, 7
	;; [unrolled: 1-line block ×6, first 2 shown]
	s_cbranch_vccnz .LBB221_4125
; %bb.4005:
	v_cmp_lt_i16_e32 vcc, 25, v6
	s_mov_b64 s[8:9], -1
	s_mov_b64 s[6:7], 0
	s_mov_b64 s[4:5], 0
	s_cbranch_vccz .LBB221_4038
; %bb.4006:
	v_cmp_lt_i16_e32 vcc, 28, v6
	s_cbranch_vccz .LBB221_4022
; %bb.4007:
	v_cmp_lt_i16_e32 vcc, 43, v6
	;; [unrolled: 3-line block ×3, first 2 shown]
	s_cbranch_vccz .LBB221_4012
; %bb.4009:
	v_cmp_eq_u16_e32 vcc, 46, v6
	s_mov_b64 s[4:5], -1
	s_cbranch_vccz .LBB221_4011
; %bb.4010:
	v_cvt_f32_f64_e32 v2, v[0:1]
	v_bfe_u32 v3, v2, 16, 1
	s_movk_i32 s4, 0x7fff
	v_add3_u32 v3, v2, v3, s4
	v_lshrrev_b32_e32 v3, 16, v3
	v_mov_b32_e32 v7, 0x7fc0
	v_cmp_o_f32_e32 vcc, v2, v2
	v_cndmask_b32_e32 v2, v7, v3, vcc
	global_store_dword v[4:5], v2, off
	s_mov_b64 s[4:5], 0
.LBB221_4011:
	s_mov_b64 s[8:9], 0
.LBB221_4012:
	s_and_b64 vcc, exec, s[8:9]
	s_cbranch_vccz .LBB221_4017
; %bb.4013:
	v_cmp_eq_u16_e32 vcc, 44, v6
	s_mov_b64 s[4:5], -1
	s_cbranch_vccz .LBB221_4017
; %bb.4014:
	v_cvt_f32_f64_e32 v2, v[0:1]
	v_bfe_u32 v3, v2, 23, 8
	s_movk_i32 s4, 0xff
	v_cmp_ne_u32_e32 vcc, s4, v3
	v_mov_b32_e32 v7, 0xff
	s_and_saveexec_b64 s[8:9], vcc
; %bb.4015:
	s_mov_b32 s4, 0x3fffff
	v_lshrrev_b32_e32 v7, 23, v2
	v_and_b32_e32 v8, 0x400000, v2
	v_and_or_b32 v2, v2, s4, v3
	v_cmp_ne_u32_e32 vcc, 0, v8
	v_cmp_ne_u32_e64 s[4:5], 0, v2
	s_and_b64 s[4:5], vcc, s[4:5]
	v_cndmask_b32_e64 v2, 0, 1, s[4:5]
	v_add_u32_e32 v7, v7, v2
; %bb.4016:
	s_or_b64 exec, exec, s[8:9]
	s_mov_b64 s[4:5], 0
	global_store_byte v[4:5], v7, off
.LBB221_4017:
	s_mov_b64 s[8:9], 0
.LBB221_4018:
	s_and_b64 vcc, exec, s[8:9]
	s_cbranch_vccz .LBB221_4021
; %bb.4019:
	v_cmp_eq_u16_e32 vcc, 29, v6
	s_mov_b64 s[4:5], -1
	s_cbranch_vccz .LBB221_4021
; %bb.4020:
	v_trunc_f64_e32 v[2:3], v[0:1]
	s_movk_i32 s4, 0xffe0
	v_ldexp_f64 v[8:9], v[2:3], s4
	v_floor_f64_e32 v[8:9], v[8:9]
	v_fmac_f64_e32 v[2:3], 0xc1f00000, v[8:9]
	v_cvt_u32_f64_e32 v11, v[8:9]
	v_cvt_u32_f64_e32 v10, v[2:3]
	global_store_dwordx2 v[4:5], v[10:11], off
	s_mov_b64 s[4:5], 0
.LBB221_4021:
	s_mov_b64 s[8:9], 0
.LBB221_4022:
	s_and_b64 vcc, exec, s[8:9]
	s_cbranch_vccz .LBB221_4037
; %bb.4023:
	v_cmp_gt_i16_e32 vcc, 27, v6
	s_mov_b64 s[8:9], -1
	s_cbranch_vccnz .LBB221_4029
; %bb.4024:
	v_cmp_lt_i16_e32 vcc, 27, v6
	v_cvt_u32_f64_e32 v2, v[0:1]
	s_cbranch_vccz .LBB221_4026
; %bb.4025:
	global_store_dword v[4:5], v2, off
	s_mov_b64 s[8:9], 0
.LBB221_4026:
	s_andn2_b64 vcc, exec, s[8:9]
	s_cbranch_vccnz .LBB221_4028
; %bb.4027:
	global_store_short v[4:5], v2, off
.LBB221_4028:
	s_mov_b64 s[8:9], 0
.LBB221_4029:
	s_andn2_b64 vcc, exec, s[8:9]
	s_cbranch_vccnz .LBB221_4037
; %bb.4030:
	v_cvt_f32_f64_e32 v2, v[0:1]
	v_and_b32_e32 v3, 0x7fffffff, v2
	s_mov_b32 s8, 0x43800000
	v_cmp_gt_u32_e32 vcc, s8, v3
	v_mov_b32_e32 v7, 0x80
	s_and_saveexec_b64 s[8:9], vcc
	s_cbranch_execz .LBB221_4036
; %bb.4031:
	s_mov_b32 s10, 0x3bffffff
	v_cmp_lt_u32_e32 vcc, s10, v3
	s_mov_b64 s[10:11], 0
                                        ; implicit-def: $vgpr3
	s_and_saveexec_b64 s[12:13], vcc
	s_xor_b64 s[12:13], exec, s[12:13]
	s_cbranch_execz .LBB221_4131
; %bb.4032:
	v_bfe_u32 v3, v2, 20, 1
	s_mov_b32 s14, 0x487ffff
	v_add3_u32 v3, v2, v3, s14
	s_mov_b64 s[10:11], exec
	v_lshrrev_b32_e32 v3, 20, v3
	s_or_saveexec_b64 s[12:13], s[12:13]
                                        ; implicit-def: $sgpr14
	s_xor_b64 exec, exec, s[12:13]
	s_cbranch_execnz .LBB221_4132
.LBB221_4033:
	s_or_b64 exec, exec, s[12:13]
	v_mov_b32_e32 v7, s14
	s_and_saveexec_b64 s[12:13], s[10:11]
.LBB221_4034:
	v_lshrrev_b32_e32 v2, 24, v2
	s_movk_i32 s10, 0x80
	v_and_or_b32 v7, v2, s10, v3
.LBB221_4035:
	s_or_b64 exec, exec, s[12:13]
.LBB221_4036:
	s_or_b64 exec, exec, s[8:9]
	global_store_byte v[4:5], v7, off
.LBB221_4037:
	s_mov_b64 s[8:9], 0
.LBB221_4038:
	s_and_b64 vcc, exec, s[8:9]
	s_cbranch_vccz .LBB221_4078
; %bb.4039:
	v_cmp_lt_i16_e32 vcc, 22, v6
	s_mov_b64 s[6:7], -1
	s_cbranch_vccz .LBB221_4071
; %bb.4040:
	v_cmp_gt_i16_e32 vcc, 24, v6
	s_cbranch_vccnz .LBB221_4060
; %bb.4041:
	v_cmp_lt_i16_e32 vcc, 24, v6
	s_cbranch_vccz .LBB221_4049
; %bb.4042:
	v_cvt_f32_f64_e32 v2, v[0:1]
	v_and_b32_e32 v3, 0x7fffffff, v2
	s_mov_b32 s6, 0x47800000
	v_cmp_gt_u32_e32 vcc, s6, v3
	v_mov_b32_e32 v7, 0x80
	s_and_saveexec_b64 s[6:7], vcc
	s_cbranch_execz .LBB221_4048
; %bb.4043:
	s_mov_b32 s8, 0x37ffffff
	v_cmp_lt_u32_e32 vcc, s8, v3
	s_mov_b64 s[8:9], 0
                                        ; implicit-def: $vgpr3
	s_and_saveexec_b64 s[10:11], vcc
	s_xor_b64 s[10:11], exec, s[10:11]
	s_cbranch_execz .LBB221_4134
; %bb.4044:
	v_bfe_u32 v3, v2, 21, 1
	s_mov_b32 s12, 0x88fffff
	v_add3_u32 v3, v2, v3, s12
	s_mov_b64 s[8:9], exec
	v_lshrrev_b32_e32 v3, 21, v3
	s_or_saveexec_b64 s[10:11], s[10:11]
                                        ; implicit-def: $sgpr12
	s_xor_b64 exec, exec, s[10:11]
	s_cbranch_execnz .LBB221_4135
.LBB221_4045:
	s_or_b64 exec, exec, s[10:11]
	v_mov_b32_e32 v7, s12
	s_and_saveexec_b64 s[10:11], s[8:9]
.LBB221_4046:
	v_lshrrev_b32_e32 v2, 24, v2
	s_movk_i32 s8, 0x80
	v_and_or_b32 v7, v2, s8, v3
.LBB221_4047:
	s_or_b64 exec, exec, s[10:11]
.LBB221_4048:
	s_or_b64 exec, exec, s[6:7]
	s_mov_b64 s[6:7], 0
	global_store_byte v[4:5], v7, off
.LBB221_4049:
	s_and_b64 vcc, exec, s[6:7]
	s_cbranch_vccz .LBB221_4059
; %bb.4050:
	v_cvt_f32_f64_e32 v2, v[0:1]
	v_and_b32_e32 v7, 0x7fffffff, v2
	s_mov_b32 s6, 0x43f00000
	v_cmp_gt_u32_e32 vcc, s6, v7
                                        ; implicit-def: $vgpr3
	s_and_saveexec_b64 s[6:7], vcc
	s_xor_b64 s[6:7], exec, s[6:7]
	s_cbranch_execz .LBB221_4056
; %bb.4051:
	s_mov_b32 s8, 0x3c7fffff
	v_cmp_lt_u32_e32 vcc, s8, v7
                                        ; implicit-def: $vgpr3
	s_and_saveexec_b64 s[8:9], vcc
	s_xor_b64 s[8:9], exec, s[8:9]
; %bb.4052:
	v_bfe_u32 v3, v2, 20, 1
	s_mov_b32 s10, 0x407ffff
	v_add3_u32 v3, v2, v3, s10
	v_lshrrev_b32_e32 v7, 20, v3
	v_and_b32_e32 v3, 0xff00000, v3
	s_mov_b32 s10, 0x7f00000
	v_mov_b32_e32 v8, 0x7e
	v_cmp_ne_u32_e32 vcc, s10, v3
	v_cndmask_b32_e32 v3, v8, v7, vcc
; %bb.4053:
	s_andn2_saveexec_b64 s[8:9], s[8:9]
; %bb.4054:
	s_mov_b32 s10, 0x46800000
	v_add_f32_e64 v3, |v2|, s10
; %bb.4055:
	s_or_b64 exec, exec, s[8:9]
                                        ; implicit-def: $vgpr7
.LBB221_4056:
	s_andn2_saveexec_b64 s[6:7], s[6:7]
; %bb.4057:
	s_mov_b32 s8, 0x7f800000
	v_mov_b32_e32 v3, 0x7e
	v_mov_b32_e32 v8, 0x7f
	v_cmp_lt_u32_e32 vcc, s8, v7
	v_cndmask_b32_e32 v3, v3, v8, vcc
; %bb.4058:
	s_or_b64 exec, exec, s[6:7]
	v_lshrrev_b32_e32 v2, 24, v2
	s_movk_i32 s6, 0x80
	v_and_or_b32 v2, v2, s6, v3
	global_store_byte v[4:5], v2, off
.LBB221_4059:
	s_mov_b64 s[6:7], 0
.LBB221_4060:
	s_andn2_b64 vcc, exec, s[6:7]
	s_cbranch_vccnz .LBB221_4070
; %bb.4061:
	v_cvt_f32_f64_e32 v2, v[0:1]
	v_and_b32_e32 v7, 0x7fffffff, v2
	s_mov_b32 s6, 0x47800000
	v_cmp_gt_u32_e32 vcc, s6, v7
                                        ; implicit-def: $vgpr3
	s_and_saveexec_b64 s[6:7], vcc
	s_xor_b64 s[6:7], exec, s[6:7]
	s_cbranch_execz .LBB221_4067
; %bb.4062:
	s_mov_b32 s8, 0x387fffff
	v_cmp_lt_u32_e32 vcc, s8, v7
                                        ; implicit-def: $vgpr3
	s_and_saveexec_b64 s[8:9], vcc
	s_xor_b64 s[8:9], exec, s[8:9]
; %bb.4063:
	v_bfe_u32 v3, v2, 21, 1
	s_mov_b32 s10, 0x80fffff
	v_add3_u32 v3, v2, v3, s10
	v_lshrrev_b32_e32 v3, 21, v3
; %bb.4064:
	s_andn2_saveexec_b64 s[8:9], s[8:9]
; %bb.4065:
	s_mov_b32 s10, 0x43000000
	v_add_f32_e64 v3, |v2|, s10
; %bb.4066:
	s_or_b64 exec, exec, s[8:9]
                                        ; implicit-def: $vgpr7
.LBB221_4067:
	s_andn2_saveexec_b64 s[6:7], s[6:7]
; %bb.4068:
	s_mov_b32 s8, 0x7f800000
	v_mov_b32_e32 v3, 0x7c
	v_mov_b32_e32 v8, 0x7f
	v_cmp_lt_u32_e32 vcc, s8, v7
	v_cndmask_b32_e32 v3, v3, v8, vcc
; %bb.4069:
	s_or_b64 exec, exec, s[6:7]
	v_lshrrev_b32_e32 v2, 24, v2
	s_movk_i32 s6, 0x80
	v_and_or_b32 v2, v2, s6, v3
	global_store_byte v[4:5], v2, off
.LBB221_4070:
	s_mov_b64 s[6:7], 0
.LBB221_4071:
	s_andn2_b64 vcc, exec, s[6:7]
	s_mov_b64 s[6:7], 0
	s_cbranch_vccnz .LBB221_4078
; %bb.4072:
	v_cmp_lt_i16_e32 vcc, 14, v6
	s_mov_b64 s[8:9], -1
	s_cbranch_vccz .LBB221_4076
; %bb.4073:
	v_cmp_eq_u16_e32 vcc, 15, v6
	s_mov_b64 s[4:5], -1
	s_cbranch_vccz .LBB221_4075
; %bb.4074:
	v_cvt_f32_f64_e32 v2, v[0:1]
	v_bfe_u32 v3, v2, 16, 1
	s_movk_i32 s4, 0x7fff
	v_add3_u32 v3, v2, v3, s4
	v_lshrrev_b32_e32 v3, 16, v3
	v_mov_b32_e32 v7, 0x7fc0
	v_cmp_o_f32_e32 vcc, v2, v2
	v_cndmask_b32_e32 v2, v7, v3, vcc
	global_store_short v[4:5], v2, off
	s_mov_b64 s[4:5], 0
.LBB221_4075:
	s_mov_b64 s[8:9], 0
.LBB221_4076:
	s_and_b64 vcc, exec, s[8:9]
	s_cbranch_vccz .LBB221_4078
; %bb.4077:
	v_cmp_ne_u16_e64 s[4:5], 11, v6
	s_mov_b64 s[6:7], -1
.LBB221_4078:
	s_and_b64 vcc, exec, s[4:5]
	s_cbranch_vccnz .LBB221_4133
.LBB221_4079:
	s_mov_b64 s[4:5], 0
	s_branch .LBB221_4081
.LBB221_4080:
	s_mov_b64 s[4:5], 0
	s_mov_b64 s[6:7], 0
                                        ; implicit-def: $vgpr6
                                        ; implicit-def: $vgpr4_vgpr5
                                        ; implicit-def: $vgpr0_vgpr1
.LBB221_4081:
	s_and_b64 s[50:51], s[6:7], exec
	s_andn2_b64 s[6:7], s[90:91], exec
	s_and_b64 s[8:9], s[92:93], exec
	s_and_b64 s[4:5], s[4:5], exec
	s_or_b64 s[90:91], s[6:7], s[8:9]
.LBB221_4082:
	s_or_b64 exec, exec, s[88:89]
	s_and_saveexec_b64 s[6:7], s[90:91]
	s_cbranch_execz .LBB221_4085
; %bb.4083:
	; divergent unreachable
	s_or_b64 exec, exec, s[6:7]
	s_and_saveexec_b64 s[6:7], s[50:51]
	s_xor_b64 s[6:7], exec, s[6:7]
	s_cbranch_execnz .LBB221_4086
.LBB221_4084:
	s_or_b64 exec, exec, s[6:7]
	s_and_saveexec_b64 s[6:7], s[4:5]
	s_cbranch_execnz .LBB221_4087
	s_branch .LBB221_4124
.LBB221_4085:
	s_or_b64 exec, exec, s[6:7]
	s_and_saveexec_b64 s[6:7], s[50:51]
	s_xor_b64 s[6:7], exec, s[6:7]
	s_cbranch_execz .LBB221_4084
.LBB221_4086:
	s_waitcnt vmcnt(0)
	v_cmp_neq_f64_e32 vcc, 0, v[0:1]
	v_cndmask_b32_e64 v2, 0, 1, vcc
	global_store_byte v[4:5], v2, off
	s_or_b64 exec, exec, s[6:7]
	s_and_saveexec_b64 s[6:7], s[4:5]
	s_cbranch_execz .LBB221_4124
.LBB221_4087:
	s_waitcnt vmcnt(0)
	v_cmp_gt_i16_e32 vcc, 5, v6
	s_mov_b64 s[4:5], -1
	s_cbranch_vccnz .LBB221_4108
; %bb.4088:
	v_cmp_gt_i16_e32 vcc, 8, v6
	s_cbranch_vccnz .LBB221_4098
; %bb.4089:
	v_cmp_gt_i16_e32 vcc, 9, v6
	s_cbranch_vccnz .LBB221_4095
; %bb.4090:
	v_cmp_lt_i16_e32 vcc, 9, v6
	s_cbranch_vccz .LBB221_4092
; %bb.4091:
	v_mov_b32_e32 v2, 0
	v_mov_b32_e32 v3, v2
	global_store_dwordx4 v[4:5], v[0:3], off
	s_mov_b64 s[4:5], 0
.LBB221_4092:
	s_andn2_b64 vcc, exec, s[4:5]
	s_cbranch_vccnz .LBB221_4094
; %bb.4093:
	v_cvt_f32_f64_e32 v2, v[0:1]
	v_mov_b32_e32 v3, 0
	global_store_dwordx2 v[4:5], v[2:3], off
.LBB221_4094:
	s_mov_b64 s[4:5], 0
.LBB221_4095:
	s_andn2_b64 vcc, exec, s[4:5]
	s_cbranch_vccnz .LBB221_4097
; %bb.4096:
	v_cvt_f32_f64_e32 v2, v[0:1]
	v_cvt_f16_f32_e32 v2, v2
	global_store_dword v[4:5], v2, off
.LBB221_4097:
	s_mov_b64 s[4:5], 0
.LBB221_4098:
	s_andn2_b64 vcc, exec, s[4:5]
	s_cbranch_vccnz .LBB221_4107
; %bb.4099:
	v_cmp_gt_i16_e32 vcc, 6, v6
	s_mov_b64 s[4:5], -1
	s_cbranch_vccnz .LBB221_4105
; %bb.4100:
	v_cmp_lt_i16_e32 vcc, 6, v6
	s_cbranch_vccz .LBB221_4102
; %bb.4101:
	global_store_dwordx2 v[4:5], v[0:1], off
	s_mov_b64 s[4:5], 0
.LBB221_4102:
	s_andn2_b64 vcc, exec, s[4:5]
	s_cbranch_vccnz .LBB221_4104
; %bb.4103:
	v_cvt_f32_f64_e32 v2, v[0:1]
	global_store_dword v[4:5], v2, off
.LBB221_4104:
	s_mov_b64 s[4:5], 0
.LBB221_4105:
	s_andn2_b64 vcc, exec, s[4:5]
	s_cbranch_vccnz .LBB221_4107
; %bb.4106:
	v_cvt_f32_f64_e32 v2, v[0:1]
	v_cvt_f16_f32_e32 v2, v2
	global_store_short v[4:5], v2, off
.LBB221_4107:
	s_mov_b64 s[4:5], 0
.LBB221_4108:
	s_andn2_b64 vcc, exec, s[4:5]
	s_cbranch_vccnz .LBB221_4124
; %bb.4109:
	v_cmp_gt_i16_e32 vcc, 2, v6
	s_mov_b64 s[4:5], -1
	s_cbranch_vccnz .LBB221_4119
; %bb.4110:
	v_cmp_gt_i16_e32 vcc, 3, v6
	s_cbranch_vccnz .LBB221_4116
; %bb.4111:
	v_cmp_lt_i16_e32 vcc, 3, v6
	s_cbranch_vccz .LBB221_4113
; %bb.4112:
	v_trunc_f64_e32 v[2:3], v[0:1]
	s_movk_i32 s4, 0xffe0
	v_ldexp_f64 v[8:9], v[2:3], s4
	v_floor_f64_e32 v[8:9], v[8:9]
	v_fmac_f64_e32 v[2:3], 0xc1f00000, v[8:9]
	v_cvt_i32_f64_e32 v11, v[8:9]
	v_cvt_u32_f64_e32 v10, v[2:3]
	global_store_dwordx2 v[4:5], v[10:11], off
	s_mov_b64 s[4:5], 0
.LBB221_4113:
	s_andn2_b64 vcc, exec, s[4:5]
	s_cbranch_vccnz .LBB221_4115
; %bb.4114:
	v_cvt_i32_f64_e32 v2, v[0:1]
	global_store_dword v[4:5], v2, off
.LBB221_4115:
	s_mov_b64 s[4:5], 0
.LBB221_4116:
	s_andn2_b64 vcc, exec, s[4:5]
	s_cbranch_vccnz .LBB221_4118
; %bb.4117:
	v_cvt_i32_f64_e32 v2, v[0:1]
	global_store_short v[4:5], v2, off
.LBB221_4118:
	s_mov_b64 s[4:5], 0
.LBB221_4119:
	s_andn2_b64 vcc, exec, s[4:5]
	s_cbranch_vccnz .LBB221_4124
; %bb.4120:
	v_cmp_lt_i16_e32 vcc, 0, v6
	s_mov_b64 s[4:5], -1
	s_cbranch_vccz .LBB221_4122
; %bb.4121:
	v_cvt_i32_f64_e32 v2, v[0:1]
	global_store_byte v[4:5], v2, off
	s_mov_b64 s[4:5], 0
.LBB221_4122:
	s_andn2_b64 vcc, exec, s[4:5]
	s_cbranch_vccnz .LBB221_4124
; %bb.4123:
	v_trunc_f64_e32 v[0:1], v[0:1]
	s_movk_i32 s4, 0xffe0
	v_ldexp_f64 v[2:3], v[0:1], s4
	v_floor_f64_e32 v[2:3], v[2:3]
	v_fmac_f64_e32 v[0:1], 0xc1f00000, v[2:3]
	v_cvt_u32_f64_e32 v0, v[0:1]
	global_store_byte v[4:5], v0, off
	s_endpgm
.LBB221_4124:
	s_endpgm
.LBB221_4125:
	s_mov_b64 s[6:7], 0
	s_mov_b64 s[4:5], -1
	s_branch .LBB221_4081
.LBB221_4126:
	s_or_saveexec_b64 s[12:13], s[12:13]
                                        ; implicit-def: $sgpr14
	s_xor_b64 exec, exec, s[12:13]
	s_cbranch_execz .LBB221_3914
.LBB221_4127:
	s_mov_b32 s14, 0x46000000
	v_add_f32_e64 v3, |v2|, s14
	v_and_b32_e32 v3, 0xff, v3
	v_cmp_ne_u32_e32 vcc, 0, v3
	s_andn2_b64 s[10:11], s[10:11], exec
	s_and_b64 s[16:17], vcc, exec
	s_mov_b32 s14, 0
	s_or_b64 s[10:11], s[10:11], s[16:17]
	s_or_b64 exec, exec, s[12:13]
	v_mov_b32_e32 v6, s14
	s_and_saveexec_b64 s[12:13], s[10:11]
	s_cbranch_execnz .LBB221_3915
	s_branch .LBB221_3916
.LBB221_4128:
	s_trap 2
	s_or_b64 s[92:93], s[92:93], exec
	s_cbranch_execz .LBB221_3962
	s_branch .LBB221_3963
.LBB221_4129:
	s_or_saveexec_b64 s[10:11], s[10:11]
                                        ; implicit-def: $sgpr12
	s_xor_b64 exec, exec, s[10:11]
	s_cbranch_execz .LBB221_3927
.LBB221_4130:
	s_mov_b32 s12, 0x42800000
	v_add_f32_e64 v3, |v2|, s12
	v_and_b32_e32 v3, 0xff, v3
	v_cmp_ne_u32_e32 vcc, 0, v3
	s_andn2_b64 s[8:9], s[8:9], exec
	s_and_b64 s[14:15], vcc, exec
	s_mov_b32 s12, 0
	s_or_b64 s[8:9], s[8:9], s[14:15]
	s_or_b64 exec, exec, s[10:11]
	v_mov_b32_e32 v6, s12
	s_and_saveexec_b64 s[10:11], s[8:9]
	s_cbranch_execnz .LBB221_3928
	s_branch .LBB221_3929
.LBB221_4131:
	s_or_saveexec_b64 s[12:13], s[12:13]
                                        ; implicit-def: $sgpr14
	s_xor_b64 exec, exec, s[12:13]
	s_cbranch_execz .LBB221_4033
.LBB221_4132:
	s_mov_b32 s14, 0x46000000
	v_add_f32_e64 v3, |v2|, s14
	v_and_b32_e32 v3, 0xff, v3
	v_cmp_ne_u32_e32 vcc, 0, v3
	s_andn2_b64 s[10:11], s[10:11], exec
	s_and_b64 s[16:17], vcc, exec
	s_mov_b32 s14, 0
	s_or_b64 s[10:11], s[10:11], s[16:17]
	s_or_b64 exec, exec, s[12:13]
	v_mov_b32_e32 v7, s14
	s_and_saveexec_b64 s[12:13], s[10:11]
	s_cbranch_execnz .LBB221_4034
	s_branch .LBB221_4035
.LBB221_4133:
	s_mov_b64 s[6:7], 0
	s_or_b64 s[92:93], s[92:93], exec
	s_trap 2
	s_branch .LBB221_4079
.LBB221_4134:
	s_or_saveexec_b64 s[10:11], s[10:11]
                                        ; implicit-def: $sgpr12
	s_xor_b64 exec, exec, s[10:11]
	s_cbranch_execz .LBB221_4045
.LBB221_4135:
	s_mov_b32 s12, 0x42800000
	v_add_f32_e64 v3, |v2|, s12
	v_and_b32_e32 v3, 0xff, v3
	v_cmp_ne_u32_e32 vcc, 0, v3
	s_andn2_b64 s[8:9], s[8:9], exec
	s_and_b64 s[14:15], vcc, exec
	s_mov_b32 s12, 0
	s_or_b64 s[8:9], s[8:9], s[14:15]
	s_or_b64 exec, exec, s[10:11]
	v_mov_b32_e32 v7, s12
	s_and_saveexec_b64 s[10:11], s[8:9]
	s_cbranch_execnz .LBB221_4046
	s_branch .LBB221_4047
	.section	.rodata,"a",@progbits
	.p2align	6, 0x0
	.amdhsa_kernel _ZN2at6native32elementwise_kernel_manual_unrollILi128ELi4EZNS0_15gpu_kernel_implIZZZNS0_28launch_dirichlet_grad_kernelERNS_18TensorIteratorBaseEENKUlvE_clEvENKUlvE_clEvEUldddE_EEvS4_RKT_EUlibE_EEviT1_
		.amdhsa_group_segment_fixed_size 0
		.amdhsa_private_segment_fixed_size 8
		.amdhsa_kernarg_size 64
		.amdhsa_user_sgpr_count 8
		.amdhsa_user_sgpr_private_segment_buffer 1
		.amdhsa_user_sgpr_dispatch_ptr 0
		.amdhsa_user_sgpr_queue_ptr 0
		.amdhsa_user_sgpr_kernarg_segment_ptr 1
		.amdhsa_user_sgpr_dispatch_id 0
		.amdhsa_user_sgpr_flat_scratch_init 1
		.amdhsa_user_sgpr_kernarg_preload_length 0
		.amdhsa_user_sgpr_kernarg_preload_offset 0
		.amdhsa_user_sgpr_private_segment_size 0
		.amdhsa_uses_dynamic_stack 0
		.amdhsa_system_sgpr_private_segment_wavefront_offset 1
		.amdhsa_system_sgpr_workgroup_id_x 1
		.amdhsa_system_sgpr_workgroup_id_y 0
		.amdhsa_system_sgpr_workgroup_id_z 0
		.amdhsa_system_sgpr_workgroup_info 0
		.amdhsa_system_vgpr_workitem_id 0
		.amdhsa_next_free_vgpr 82
		.amdhsa_next_free_sgpr 98
		.amdhsa_accum_offset 84
		.amdhsa_reserve_vcc 1
		.amdhsa_reserve_flat_scratch 1
		.amdhsa_float_round_mode_32 0
		.amdhsa_float_round_mode_16_64 0
		.amdhsa_float_denorm_mode_32 3
		.amdhsa_float_denorm_mode_16_64 3
		.amdhsa_dx10_clamp 1
		.amdhsa_ieee_mode 1
		.amdhsa_fp16_overflow 0
		.amdhsa_tg_split 0
		.amdhsa_exception_fp_ieee_invalid_op 0
		.amdhsa_exception_fp_denorm_src 0
		.amdhsa_exception_fp_ieee_div_zero 0
		.amdhsa_exception_fp_ieee_overflow 0
		.amdhsa_exception_fp_ieee_underflow 0
		.amdhsa_exception_fp_ieee_inexact 0
		.amdhsa_exception_int_div_zero 0
	.end_amdhsa_kernel
	.section	.text._ZN2at6native32elementwise_kernel_manual_unrollILi128ELi4EZNS0_15gpu_kernel_implIZZZNS0_28launch_dirichlet_grad_kernelERNS_18TensorIteratorBaseEENKUlvE_clEvENKUlvE_clEvEUldddE_EEvS4_RKT_EUlibE_EEviT1_,"axG",@progbits,_ZN2at6native32elementwise_kernel_manual_unrollILi128ELi4EZNS0_15gpu_kernel_implIZZZNS0_28launch_dirichlet_grad_kernelERNS_18TensorIteratorBaseEENKUlvE_clEvENKUlvE_clEvEUldddE_EEvS4_RKT_EUlibE_EEviT1_,comdat
.Lfunc_end221:
	.size	_ZN2at6native32elementwise_kernel_manual_unrollILi128ELi4EZNS0_15gpu_kernel_implIZZZNS0_28launch_dirichlet_grad_kernelERNS_18TensorIteratorBaseEENKUlvE_clEvENKUlvE_clEvEUldddE_EEvS4_RKT_EUlibE_EEviT1_, .Lfunc_end221-_ZN2at6native32elementwise_kernel_manual_unrollILi128ELi4EZNS0_15gpu_kernel_implIZZZNS0_28launch_dirichlet_grad_kernelERNS_18TensorIteratorBaseEENKUlvE_clEvENKUlvE_clEvEUldddE_EEvS4_RKT_EUlibE_EEviT1_
                                        ; -- End function
	.section	.AMDGPU.csdata,"",@progbits
; Kernel info:
; codeLenInByte = 71520
; NumSgprs: 104
; NumVgprs: 82
; NumAgprs: 0
; TotalNumVgprs: 82
; ScratchSize: 8
; MemoryBound: 1
; FloatMode: 240
; IeeeMode: 1
; LDSByteSize: 0 bytes/workgroup (compile time only)
; SGPRBlocks: 12
; VGPRBlocks: 10
; NumSGPRsForWavesPerEU: 104
; NumVGPRsForWavesPerEU: 82
; AccumOffset: 84
; Occupancy: 5
; WaveLimiterHint : 0
; COMPUTE_PGM_RSRC2:SCRATCH_EN: 1
; COMPUTE_PGM_RSRC2:USER_SGPR: 8
; COMPUTE_PGM_RSRC2:TRAP_HANDLER: 0
; COMPUTE_PGM_RSRC2:TGID_X_EN: 1
; COMPUTE_PGM_RSRC2:TGID_Y_EN: 0
; COMPUTE_PGM_RSRC2:TGID_Z_EN: 0
; COMPUTE_PGM_RSRC2:TIDIG_COMP_CNT: 0
; COMPUTE_PGM_RSRC3_GFX90A:ACCUM_OFFSET: 20
; COMPUTE_PGM_RSRC3_GFX90A:TG_SPLIT: 0
	.section	.text._ZN2at6native32elementwise_kernel_manual_unrollILi128ELi4EZNS0_15gpu_kernel_implIZZZNS0_28launch_dirichlet_grad_kernelERNS_18TensorIteratorBaseEENKUlvE_clEvENKUlvE_clEvEUldddE_EEvS4_RKT_EUlibE0_EEviT1_,"axG",@progbits,_ZN2at6native32elementwise_kernel_manual_unrollILi128ELi4EZNS0_15gpu_kernel_implIZZZNS0_28launch_dirichlet_grad_kernelERNS_18TensorIteratorBaseEENKUlvE_clEvENKUlvE_clEvEUldddE_EEvS4_RKT_EUlibE0_EEviT1_,comdat
	.globl	_ZN2at6native32elementwise_kernel_manual_unrollILi128ELi4EZNS0_15gpu_kernel_implIZZZNS0_28launch_dirichlet_grad_kernelERNS_18TensorIteratorBaseEENKUlvE_clEvENKUlvE_clEvEUldddE_EEvS4_RKT_EUlibE0_EEviT1_ ; -- Begin function _ZN2at6native32elementwise_kernel_manual_unrollILi128ELi4EZNS0_15gpu_kernel_implIZZZNS0_28launch_dirichlet_grad_kernelERNS_18TensorIteratorBaseEENKUlvE_clEvENKUlvE_clEvEUldddE_EEvS4_RKT_EUlibE0_EEviT1_
	.p2align	8
	.type	_ZN2at6native32elementwise_kernel_manual_unrollILi128ELi4EZNS0_15gpu_kernel_implIZZZNS0_28launch_dirichlet_grad_kernelERNS_18TensorIteratorBaseEENKUlvE_clEvENKUlvE_clEvEUldddE_EEvS4_RKT_EUlibE0_EEviT1_,@function
_ZN2at6native32elementwise_kernel_manual_unrollILi128ELi4EZNS0_15gpu_kernel_implIZZZNS0_28launch_dirichlet_grad_kernelERNS_18TensorIteratorBaseEENKUlvE_clEvENKUlvE_clEvEUldddE_EEvS4_RKT_EUlibE0_EEviT1_: ; @_ZN2at6native32elementwise_kernel_manual_unrollILi128ELi4EZNS0_15gpu_kernel_implIZZZNS0_28launch_dirichlet_grad_kernelERNS_18TensorIteratorBaseEENKUlvE_clEvENKUlvE_clEvEUldddE_EEvS4_RKT_EUlibE0_EEviT1_
; %bb.0:
	s_load_dword s16, s[4:5], 0x0
	s_load_dword s37, s[4:5], 0x8
	s_add_u32 flat_scratch_lo, s6, s9
	s_addc_u32 flat_scratch_hi, s7, 0
	s_add_u32 s0, s0, s9
	s_addc_u32 s1, s1, 0
	s_or_b32 s56, s4, 8
	v_lshl_or_b32 v45, s8, 9, v0
	s_waitcnt lgkmcnt(0)
	s_add_i32 s33, s37, -1
	v_or_b32_e32 v24, 0x180, v45
	s_cmp_gt_u32 s33, 1
	s_mov_b32 s57, s5
	v_cmp_le_i32_e32 vcc, s16, v24
	s_cselect_b64 s[44:45], -1, 0
	s_mov_b64 s[42:43], 0
	s_mov_b64 s[94:95], 0
	s_mov_b32 s32, 0
	s_and_saveexec_b64 s[6:7], vcc
	s_xor_b64 s[46:47], exec, s[6:7]
	s_cbranch_execz .LBB222_2123
; %bb.1:
	v_mov_b32_e32 v0, 0
	global_load_dword v41, v0, s[56:57] offset:489
	s_load_dwordx4 s[8:11], s[56:57], 0x4
                                        ; implicit-def: $vgpr87 : SGPR spill to VGPR lane
	s_load_dwordx2 s[6:7], s[56:57], 0x14
	s_cmp_lg_u32 s37, 0
	s_load_dwordx8 s[88:95], s[56:57], 0x1c8
	v_cmp_gt_i32_e32 vcc, s16, v45
	s_waitcnt lgkmcnt(0)
	v_writelane_b32 v87, s8, 0
	v_writelane_b32 v87, s9, 1
	;; [unrolled: 1-line block ×4, first 2 shown]
	s_load_dwordx8 s[8:15], s[56:57], 0xc4
	v_writelane_b32 v87, s6, 4
	v_writelane_b32 v87, s7, 5
	s_mov_b64 s[6:7], -1
	s_waitcnt lgkmcnt(0)
	v_writelane_b32 v87, s8, 6
	v_writelane_b32 v87, s9, 7
	;; [unrolled: 1-line block ×9, first 2 shown]
	s_mov_b64 s[8:9], 0
	v_writelane_b32 v87, s8, 15
	v_writelane_b32 v87, s9, 16
	s_mov_b64 s[8:9], 0
	v_writelane_b32 v87, s8, 17
	v_writelane_b32 v87, s9, 18
	;; [unrolled: 3-line block ×3, first 2 shown]
	s_cselect_b64 s[8:9], -1, 0
	v_writelane_b32 v87, s8, 21
	v_writelane_b32 v87, s9, 22
	s_min_u32 s8, s33, 15
	s_cmp_gt_u32 s37, 1
	v_writelane_b32 v87, s8, 23
	s_cselect_b64 s[8:9], -1, 0
	v_writelane_b32 v87, s8, 24
	v_writelane_b32 v87, s9, 25
	s_mov_b64 s[8:9], 0
	v_writelane_b32 v87, s8, 26
	v_writelane_b32 v87, s9, 27
	s_waitcnt vmcnt(0)
	v_lshrrev_b32_e32 v46, 8, v41
	v_lshrrev_b32_e32 v44, 24, v41
	s_mov_b64 s[8:9], exec
	v_writelane_b32 v87, s8, 28
	v_writelane_b32 v87, s9, 29
	s_and_b64 s[8:9], s[8:9], vcc
	s_mov_b64 exec, s[8:9]
	s_cbranch_execz .LBB222_531
; %bb.2:
	s_andn2_b64 vcc, exec, s[44:45]
	s_cbranch_vccnz .LBB222_9
; %bb.3:
	v_readlane_b32 s6, v87, 21
	v_readlane_b32 s7, v87, 22
	s_andn2_b64 vcc, exec, s[6:7]
	v_mov_b32_e32 v0, 0
	v_mov_b32_e32 v42, 0
	;; [unrolled: 1-line block ×4, first 2 shown]
	s_cbranch_vccnz .LBB222_8
; %bb.4:
	v_readlane_b32 s23, v87, 23
	s_add_i32 s6, s23, 1
	s_and_b32 s22, s6, 30
	s_add_u32 s6, s56, 0xa4
	s_addc_u32 s7, s57, 0
	v_mov_b32_e32 v2, 0
	s_mov_b64 s[20:21], s[56:57]
	v_mov_b32_e32 v1, v45
	v_mov_b32_e32 v4, 0
	;; [unrolled: 1-line block ×4, first 2 shown]
.LBB222_5:                              ; =>This Inner Loop Header: Depth=1
	s_load_dwordx4 s[16:19], s[20:21], 0x4
	s_load_dwordx2 s[26:27], s[20:21], 0x14
	s_mov_b64 s[24:25], s[6:7]
	s_load_dwordx8 s[8:15], s[24:25], 0x20
	s_add_u32 s6, s24, 32
	s_waitcnt lgkmcnt(0)
	v_mul_hi_u32 v3, s17, v1
	v_add_u32_e32 v3, v1, v3
	v_lshrrev_b32_e32 v3, s18, v3
	v_mul_lo_u32 v5, v3, s16
	v_mul_hi_u32 v6, s26, v3
	v_sub_u32_e32 v1, v1, v5
	v_add_u32_e32 v5, v3, v6
	v_mul_lo_u32 v6, v1, s8
	v_mul_lo_u32 v7, v1, s9
	v_mul_lo_u32 v8, v1, s10
	v_mul_lo_u32 v9, v1, s11
	v_lshrrev_b32_e32 v1, s27, v5
	s_addc_u32 s7, s25, 0
	v_mul_lo_u32 v5, v1, s19
	s_add_u32 s20, s20, 24
	v_sub_u32_e32 v3, v3, v5
	s_addc_u32 s21, s21, 0
	s_add_i32 s22, s22, -2
	v_mul_lo_u32 v5, v3, s12
	v_mul_lo_u32 v10, v3, s13
	;; [unrolled: 1-line block ×4, first 2 shown]
	s_cmp_lg_u32 s22, 0
	v_add3_u32 v0, v7, v0, v10
	v_add3_u32 v42, v6, v42, v5
	;; [unrolled: 1-line block ×4, first 2 shown]
	s_cbranch_scc1 .LBB222_5
; %bb.6:
	s_bitcmp1_b32 s23, 0
	s_cselect_b64 s[8:9], -1, 0
	s_and_b64 vcc, exec, s[8:9]
	s_cbranch_vccnz .LBB222_8
; %bb.7:
	s_load_dwordx2 s[12:13], s[20:21], 0x4
	s_load_dword s14, s[20:21], 0xc
	s_load_dwordx4 s[8:11], s[6:7], 0x20
	s_waitcnt lgkmcnt(0)
	v_mul_hi_u32 v3, s13, v1
	v_add_u32_e32 v3, v1, v3
	v_lshrrev_b32_e32 v3, s14, v3
	v_mul_lo_u32 v3, v3, s12
	v_sub_u32_e32 v5, v1, v3
	v_mad_u64_u32 v[42:43], s[6:7], v5, s8, v[42:43]
	v_mad_u64_u32 v[0:1], s[6:7], v5, s9, v[0:1]
	;; [unrolled: 1-line block ×4, first 2 shown]
.LBB222_8:
	s_cbranch_execz .LBB222_10
	s_branch .LBB222_12
.LBB222_9:
                                        ; implicit-def: $vgpr0
                                        ; implicit-def: $vgpr42
                                        ; implicit-def: $vgpr4
                                        ; implicit-def: $vgpr2
	s_andn2_b64 vcc, exec, s[6:7]
	s_cbranch_vccnz .LBB222_12
.LBB222_10:
	s_load_dwordx4 s[16:19], s[56:57], 0x4
	s_load_dwordx8 s[8:15], s[56:57], 0xc4
	v_readlane_b32 s6, v87, 24
	v_readlane_b32 s7, v87, 25
	s_andn2_b64 vcc, exec, s[6:7]
	s_waitcnt lgkmcnt(0)
	v_mul_hi_u32 v0, s17, v45
	v_add_u32_e32 v0, v45, v0
	v_lshrrev_b32_e32 v1, s18, v0
	v_mul_lo_u32 v0, v1, s16
	v_sub_u32_e32 v2, v45, v0
	v_mul_lo_u32 v0, v2, s9
	v_mul_lo_u32 v42, v2, s8
	;; [unrolled: 1-line block ×4, first 2 shown]
	s_cbranch_vccnz .LBB222_12
; %bb.11:
	s_load_dwordx2 s[6:7], s[56:57], 0x14
	s_waitcnt lgkmcnt(0)
	v_mul_hi_u32 v3, s6, v1
	v_add_u32_e32 v3, v1, v3
	v_lshrrev_b32_e32 v3, s7, v3
	v_mul_lo_u32 v3, v3, s19
	v_sub_u32_e32 v5, v1, v3
	v_mad_u64_u32 v[42:43], s[6:7], v5, s12, v[42:43]
	v_mad_u64_u32 v[0:1], s[6:7], v5, s13, v[0:1]
	;; [unrolled: 1-line block ×4, first 2 shown]
.LBB222_12:
	v_mov_b32_e32 v1, s91
	v_add_co_u32_e32 v6, vcc, s90, v0
	v_mov_b32_e32 v0, 11
	v_addc_co_u32_e32 v7, vcc, 0, v1, vcc
	v_cmp_lt_i16_sdwa s[6:7], v46, v0 src0_sel:BYTE_0 src1_sel:DWORD
	s_and_b64 vcc, exec, s[6:7]
	s_cbranch_vccnz .LBB222_19
; %bb.13:
	v_mov_b32_e32 v0, 25
	v_cmp_gt_i16_sdwa s[6:7], v46, v0 src0_sel:BYTE_0 src1_sel:DWORD
	s_and_b64 vcc, exec, s[6:7]
	s_cbranch_vccz .LBB222_28
; %bb.14:
	v_mov_b32_e32 v0, 28
	v_cmp_gt_i16_sdwa s[6:7], v46, v0 src0_sel:BYTE_0 src1_sel:DWORD
	s_and_b64 vcc, exec, s[6:7]
	s_cbranch_vccz .LBB222_38
; %bb.15:
	v_mov_b32_e32 v0, 43
	v_cmp_gt_i16_sdwa s[6:7], v46, v0 src0_sel:BYTE_0 src1_sel:DWORD
	s_and_b64 vcc, exec, s[6:7]
	s_cbranch_vccz .LBB222_41
; %bb.16:
	v_mov_b32_e32 v0, 45
	v_cmp_gt_i16_sdwa s[6:7], v46, v0 src0_sel:BYTE_0 src1_sel:DWORD
	s_and_b64 vcc, exec, s[6:7]
	s_cbranch_vccz .LBB222_44
; %bb.17:
	v_mov_b32_e32 v0, 46
	v_cmp_eq_u16_sdwa s[6:7], v46, v0 src0_sel:BYTE_0 src1_sel:DWORD
	s_mov_b64 s[8:9], 0
	s_and_b64 vcc, exec, s[6:7]
	s_cbranch_vccz .LBB222_47
; %bb.18:
	global_load_dword v0, v[6:7], off
	s_mov_b64 s[10:11], 0
	v_writelane_b32 v87, s10, 32
	s_mov_b64 s[6:7], -1
	v_writelane_b32 v87, s11, 33
	s_waitcnt vmcnt(0)
	v_lshlrev_b32_e32 v0, 16, v0
	v_cvt_f64_f32_e32 v[0:1], v0
	s_branch .LBB222_49
.LBB222_19:
	s_mov_b64 s[6:7], 0
	v_writelane_b32 v87, s6, 32
	v_writelane_b32 v87, s7, 33
                                        ; implicit-def: $vgpr0_vgpr1
	s_mov_b64 s[6:7], 0
	s_cbranch_execnz .LBB222_115
.LBB222_20:
	s_andn2_b64 vcc, exec, s[6:7]
	s_cbranch_vccnz .LBB222_162
.LBB222_21:
	v_mov_b32_e32 v3, s93
	v_add_co_u32_e32 v6, vcc, s92, v2
	s_movk_i32 s6, 0xff
	v_addc_co_u32_e32 v7, vcc, 0, v3, vcc
	v_and_b32_sdwa v5, v41, s6 dst_sel:DWORD dst_unused:UNUSED_PAD src0_sel:WORD_1 src1_sel:DWORD
	v_cmp_gt_i16_e32 vcc, 11, v5
	s_cbranch_vccnz .LBB222_29
; %bb.22:
	v_cmp_lt_i16_e32 vcc, 25, v5
	s_cbranch_vccz .LBB222_39
; %bb.23:
	v_cmp_lt_i16_e32 vcc, 28, v5
	s_cbranch_vccz .LBB222_42
	;; [unrolled: 3-line block ×4, first 2 shown]
; %bb.26:
	v_cmp_eq_u16_e32 vcc, 46, v5
	s_mov_b64 s[8:9], 0
	s_cbranch_vccz .LBB222_163
; %bb.27:
	global_load_dword v2, v[6:7], off
	s_mov_b64 s[10:11], 0
	v_writelane_b32 v87, s10, 34
	s_mov_b64 s[6:7], -1
	v_writelane_b32 v87, s11, 35
	s_waitcnt vmcnt(0)
	v_lshlrev_b32_e32 v2, 16, v2
	v_cvt_f64_f32_e32 v[2:3], v2
	s_branch .LBB222_165
.LBB222_28:
	s_mov_b64 s[6:7], 0
	v_writelane_b32 v87, s6, 32
	v_writelane_b32 v87, s7, 33
	s_mov_b64 s[6:7], 0
                                        ; implicit-def: $vgpr0_vgpr1
	s_cbranch_execnz .LBB222_80
	s_branch .LBB222_114
.LBB222_29:
	s_mov_b64 s[6:7], 0
	v_writelane_b32 v87, s6, 34
	v_writelane_b32 v87, s7, 35
                                        ; implicit-def: $vgpr2_vgpr3
	s_mov_b64 s[6:7], 0
	s_cbranch_execnz .LBB222_234
.LBB222_30:
	s_andn2_b64 vcc, exec, s[6:7]
	s_cbranch_vccnz .LBB222_283
.LBB222_31:
	v_mov_b32_e32 v5, s95
	v_add_co_u32_e32 v6, vcc, s94, v4
	v_addc_co_u32_e32 v7, vcc, 0, v5, vcc
	v_cmp_gt_i16_e32 vcc, 11, v44
	s_cbranch_vccnz .LBB222_40
; %bb.32:
	v_cmp_lt_i16_e32 vcc, 25, v44
	s_cbranch_vccz .LBB222_43
; %bb.33:
	v_cmp_lt_i16_e32 vcc, 28, v44
	s_cbranch_vccz .LBB222_46
	;; [unrolled: 3-line block ×4, first 2 shown]
; %bb.36:
	v_cmp_eq_u16_e32 vcc, 46, v44
	s_mov_b64 s[8:9], 0
	s_cbranch_vccz .LBB222_284
; %bb.37:
	global_load_dword v4, v[6:7], off
	s_mov_b64 s[10:11], 0
	v_writelane_b32 v87, s10, 36
	s_mov_b64 s[6:7], -1
	v_writelane_b32 v87, s11, 37
	s_waitcnt vmcnt(0)
	v_lshlrev_b32_e32 v4, 16, v4
	v_cvt_f64_f32_e32 v[4:5], v4
	s_branch .LBB222_286
.LBB222_38:
	s_mov_b64 s[6:7], 0
	v_writelane_b32 v87, s6, 32
	s_mov_b64 s[8:9], -1
	v_writelane_b32 v87, s7, 33
	s_mov_b64 s[6:7], 0
                                        ; implicit-def: $vgpr0_vgpr1
	s_branch .LBB222_61
.LBB222_39:
	s_mov_b64 s[6:7], 0
	v_writelane_b32 v87, s6, 34
	s_mov_b64 s[8:9], -1
	v_writelane_b32 v87, s7, 35
	s_mov_b64 s[6:7], 0
                                        ; implicit-def: $vgpr2_vgpr3
	s_branch .LBB222_197
.LBB222_40:
	s_mov_b64 s[6:7], 0
	v_writelane_b32 v87, s6, 36
	s_mov_b64 s[8:9], -1
	v_writelane_b32 v87, s7, 37
                                        ; implicit-def: $vgpr4_vgpr5
	s_mov_b64 s[6:7], 0
	s_branch .LBB222_354
.LBB222_41:
	s_mov_b64 s[6:7], 0
	v_writelane_b32 v87, s6, 32
	s_mov_b64 s[8:9], -1
	v_writelane_b32 v87, s7, 33
	s_mov_b64 s[6:7], 0
                                        ; implicit-def: $vgpr0_vgpr1
	s_branch .LBB222_56
.LBB222_42:
	s_mov_b64 s[6:7], 0
	v_writelane_b32 v87, s6, 34
	s_mov_b64 s[8:9], -1
	v_writelane_b32 v87, s7, 35
	s_mov_b64 s[6:7], 0
                                        ; implicit-def: $vgpr2_vgpr3
	s_branch .LBB222_178
.LBB222_43:
	s_mov_b64 s[6:7], 0
	v_writelane_b32 v87, s6, 36
	s_mov_b64 s[8:9], -1
	v_writelane_b32 v87, s7, 37
	s_mov_b64 s[6:7], 0
                                        ; implicit-def: $vgpr4_vgpr5
	s_branch .LBB222_317
.LBB222_44:
	s_mov_b64 s[8:9], -1
	s_mov_b64 s[6:7], 0
	s_branch .LBB222_48
.LBB222_45:
	s_mov_b64 s[6:7], 0
	v_writelane_b32 v87, s6, 34
	s_mov_b64 s[8:9], -1
	v_writelane_b32 v87, s7, 35
	s_mov_b64 s[6:7], 0
                                        ; implicit-def: $vgpr2_vgpr3
	s_branch .LBB222_172
.LBB222_46:
	s_mov_b64 s[6:7], 0
	v_writelane_b32 v87, s6, 36
	s_mov_b64 s[8:9], -1
	v_writelane_b32 v87, s7, 37
	s_mov_b64 s[6:7], 0
                                        ; implicit-def: $vgpr4_vgpr5
	s_branch .LBB222_298
.LBB222_47:
	s_mov_b64 s[6:7], -1
.LBB222_48:
	v_writelane_b32 v87, s6, 32
	v_writelane_b32 v87, s7, 33
	s_mov_b64 s[6:7], 0
                                        ; implicit-def: $vgpr0_vgpr1
.LBB222_49:
	s_and_b64 vcc, exec, s[8:9]
	s_cbranch_vccz .LBB222_55
; %bb.50:
	v_mov_b32_e32 v0, 44
	v_cmp_eq_u16_sdwa s[8:9], v46, v0 src0_sel:BYTE_0 src1_sel:DWORD
	s_and_b64 vcc, exec, s[8:9]
	s_cbranch_vccz .LBB222_54
; %bb.51:
	global_load_ubyte v3, v[6:7], off
	s_movk_i32 s8, 0xff
	v_bfrev_b32_e32 v5, 4
	v_mov_b32_e32 v8, 0x7ff80000
	v_bfrev_b32_e32 v9, 28
	s_mov_b64 s[6:7], -1
	s_waitcnt vmcnt(0)
	v_lshlrev_b32_e32 v0, 23, v3
	v_cvt_f64_f32_e32 v[0:1], v0
	v_cmp_ne_u32_e32 vcc, s8, v3
	v_cndmask_b32_e32 v0, v5, v0, vcc
	v_cndmask_b32_e32 v1, v8, v1, vcc
	v_cmp_ne_u32_e32 vcc, 0, v3
	s_mov_b64 s[8:9], 0
	v_cndmask_b32_e32 v1, v9, v1, vcc
	v_cndmask_b32_e32 v0, 0, v0, vcc
	v_writelane_b32 v87, s8, 32
	v_writelane_b32 v87, s9, 33
	s_branch .LBB222_55
.LBB222_52:
	s_mov_b64 s[8:9], -1
	s_mov_b64 s[6:7], 0
	s_branch .LBB222_164
.LBB222_53:
	s_mov_b64 s[6:7], 0
	v_writelane_b32 v87, s6, 36
	s_mov_b64 s[8:9], -1
	v_writelane_b32 v87, s7, 37
	s_mov_b64 s[6:7], 0
                                        ; implicit-def: $vgpr4_vgpr5
	s_branch .LBB222_292
.LBB222_54:
	s_mov_b64 s[8:9], -1
	v_writelane_b32 v87, s8, 32
	v_writelane_b32 v87, s9, 33
                                        ; implicit-def: $vgpr0_vgpr1
.LBB222_55:
	s_mov_b64 s[8:9], 0
.LBB222_56:
	s_and_b64 vcc, exec, s[8:9]
	s_cbranch_vccz .LBB222_60
; %bb.57:
	v_mov_b32_e32 v0, 29
	v_cmp_eq_u16_sdwa s[8:9], v46, v0 src0_sel:BYTE_0 src1_sel:DWORD
	s_and_b64 vcc, exec, s[8:9]
	s_cbranch_vccz .LBB222_59
; %bb.58:
	global_load_dwordx2 v[0:1], v[6:7], off
	s_mov_b64 s[8:9], 0
	v_writelane_b32 v87, s8, 32
	s_mov_b64 s[6:7], -1
	v_writelane_b32 v87, s9, 33
	s_mov_b64 s[8:9], 0
	s_waitcnt vmcnt(0)
	v_cvt_f64_u32_e32 v[8:9], v1
	v_cvt_f64_u32_e32 v[0:1], v0
	v_ldexp_f64 v[8:9], v[8:9], 32
	v_add_f64 v[0:1], v[8:9], v[0:1]
	s_branch .LBB222_61
.LBB222_59:
	s_mov_b64 s[8:9], -1
	v_writelane_b32 v87, s8, 32
	v_writelane_b32 v87, s9, 33
                                        ; implicit-def: $vgpr0_vgpr1
.LBB222_60:
	s_mov_b64 s[8:9], 0
.LBB222_61:
	s_and_b64 vcc, exec, s[8:9]
	s_cbranch_vccz .LBB222_79
; %bb.62:
	v_mov_b32_e32 v0, 27
	v_cmp_lt_i16_sdwa s[6:7], v46, v0 src0_sel:BYTE_0 src1_sel:DWORD
	s_and_b64 vcc, exec, s[6:7]
	s_cbranch_vccnz .LBB222_65
; %bb.63:
	v_cmp_gt_i16_sdwa s[6:7], v46, v0 src0_sel:BYTE_0 src1_sel:DWORD
	s_and_b64 vcc, exec, s[6:7]
	s_cbranch_vccz .LBB222_66
; %bb.64:
	global_load_dword v0, v[6:7], off
	s_mov_b64 s[6:7], 0
	s_waitcnt vmcnt(0)
	v_cvt_f64_u32_e32 v[0:1], v0
	s_branch .LBB222_67
.LBB222_65:
	s_mov_b64 s[6:7], -1
                                        ; implicit-def: $vgpr0_vgpr1
	s_branch .LBB222_70
.LBB222_66:
	s_mov_b64 s[6:7], -1
                                        ; implicit-def: $vgpr0_vgpr1
.LBB222_67:
	s_andn2_b64 vcc, exec, s[6:7]
	s_cbranch_vccnz .LBB222_69
; %bb.68:
	global_load_ushort v0, v[6:7], off
	s_waitcnt vmcnt(0)
	v_cvt_f64_u32_e32 v[0:1], v0
.LBB222_69:
	s_mov_b64 s[6:7], 0
.LBB222_70:
	s_andn2_b64 vcc, exec, s[6:7]
	s_cbranch_vccnz .LBB222_78
; %bb.71:
	global_load_ubyte v3, v[6:7], off
	s_movk_i32 s6, 0x7f
                                        ; implicit-def: $sgpr8_sgpr9
	s_waitcnt vmcnt(0)
	v_cmp_lt_i16_e32 vcc, s6, v3
	s_mov_b64 s[6:7], 0
	s_and_saveexec_b64 s[10:11], vcc
	s_xor_b64 s[10:11], exec, s[10:11]
	s_cbranch_execz .LBB222_91
; %bb.72:
	s_movk_i32 s6, 0x80
	v_cmp_eq_u16_e32 vcc, s6, v3
	s_mov_b64 s[12:13], -1
                                        ; implicit-def: $sgpr8_sgpr9
	s_and_saveexec_b64 s[6:7], vcc
; %bb.73:
	s_mov_b32 s9, 0x7ff80000
	s_brev_b32 s8, 4
	s_xor_b64 s[12:13], exec, -1
; %bb.74:
	s_or_b64 exec, exec, s[6:7]
	s_and_b64 s[6:7], s[12:13], exec
	s_or_saveexec_b64 s[10:11], s[10:11]
	v_pk_mov_b32 v[0:1], s[8:9], s[8:9] op_sel:[0,1]
	s_xor_b64 exec, exec, s[10:11]
	s_cbranch_execnz .LBB222_92
.LBB222_75:
	s_or_b64 exec, exec, s[10:11]
	s_and_saveexec_b64 s[8:9], s[6:7]
	s_cbranch_execz .LBB222_77
.LBB222_76:
	v_and_b32_e32 v1, 0xffff, v3
	v_lshlrev_b32_e32 v0, 24, v3
	v_and_b32_e32 v3, 7, v1
	v_ffbh_u32_e32 v8, v3
	v_min_u32_e32 v8, 32, v8
	v_subrev_u32_e32 v9, 28, v8
	v_bfe_u32 v5, v1, 3, 4
	v_lshlrev_b32_e32 v1, v9, v1
	v_sub_u32_e32 v8, 29, v8
	v_and_b32_e32 v1, 7, v1
	v_cmp_eq_u32_e32 vcc, 0, v5
	v_cndmask_b32_e32 v5, v5, v8, vcc
	v_cndmask_b32_e32 v1, v3, v1, vcc
	v_mov_b32_e32 v3, 0x3b800000
	v_lshlrev_b32_e32 v1, 20, v1
	v_and_b32_e32 v0, 0x80000000, v0
	v_lshl_add_u32 v3, v5, 23, v3
	v_or3_b32 v0, v0, v3, v1
	v_cvt_f64_f32_e32 v[0:1], v0
.LBB222_77:
	s_or_b64 exec, exec, s[8:9]
.LBB222_78:
	s_mov_b64 s[6:7], -1
.LBB222_79:
	s_branch .LBB222_114
.LBB222_80:
	v_mov_b32_e32 v0, 22
	v_cmp_gt_i16_sdwa s[8:9], v46, v0 src0_sel:BYTE_0 src1_sel:DWORD
	s_and_b64 vcc, exec, s[8:9]
	s_cbranch_vccz .LBB222_90
; %bb.81:
	v_mov_b32_e32 v0, 24
	v_cmp_lt_i16_sdwa s[6:7], v46, v0 src0_sel:BYTE_0 src1_sel:DWORD
	s_and_b64 vcc, exec, s[6:7]
	s_cbranch_vccnz .LBB222_93
; %bb.82:
	v_cmp_gt_i16_sdwa s[6:7], v46, v0 src0_sel:BYTE_0 src1_sel:DWORD
	s_and_b64 vcc, exec, s[6:7]
	s_cbranch_vccz .LBB222_94
; %bb.83:
	global_load_ubyte v3, v[6:7], off
	s_movk_i32 s6, 0x7f
                                        ; implicit-def: $sgpr8_sgpr9
	s_waitcnt vmcnt(0)
	v_cmp_lt_i16_e32 vcc, s6, v3
	s_mov_b64 s[6:7], 0
	s_and_saveexec_b64 s[10:11], vcc
	s_xor_b64 s[10:11], exec, s[10:11]
	s_cbranch_execz .LBB222_106
; %bb.84:
	s_movk_i32 s6, 0x80
	v_cmp_eq_u16_e32 vcc, s6, v3
	s_mov_b64 s[12:13], -1
                                        ; implicit-def: $sgpr8_sgpr9
	s_and_saveexec_b64 s[6:7], vcc
; %bb.85:
	s_mov_b32 s9, 0x7ff80000
	s_brev_b32 s8, 4
	s_xor_b64 s[12:13], exec, -1
; %bb.86:
	s_or_b64 exec, exec, s[6:7]
	s_and_b64 s[6:7], s[12:13], exec
	s_or_saveexec_b64 s[10:11], s[10:11]
	v_pk_mov_b32 v[0:1], s[8:9], s[8:9] op_sel:[0,1]
	s_xor_b64 exec, exec, s[10:11]
	s_cbranch_execnz .LBB222_107
.LBB222_87:
	s_or_b64 exec, exec, s[10:11]
	s_and_saveexec_b64 s[8:9], s[6:7]
	s_cbranch_execz .LBB222_89
.LBB222_88:
	v_and_b32_e32 v1, 0xffff, v3
	v_lshlrev_b32_e32 v0, 24, v3
	v_and_b32_e32 v3, 3, v1
	v_ffbh_u32_e32 v8, v3
	v_min_u32_e32 v8, 32, v8
	v_subrev_u32_e32 v9, 29, v8
	v_bfe_u32 v5, v1, 2, 5
	v_lshlrev_b32_e32 v1, v9, v1
	v_sub_u32_e32 v8, 30, v8
	v_and_b32_e32 v1, 3, v1
	v_cmp_eq_u32_e32 vcc, 0, v5
	v_cndmask_b32_e32 v5, v5, v8, vcc
	v_cndmask_b32_e32 v1, v3, v1, vcc
	v_mov_b32_e32 v3, 0x37800000
	v_lshlrev_b32_e32 v1, 21, v1
	v_and_b32_e32 v0, 0x80000000, v0
	v_lshl_add_u32 v3, v5, 23, v3
	v_or3_b32 v0, v0, v3, v1
	v_cvt_f64_f32_e32 v[0:1], v0
.LBB222_89:
	s_or_b64 exec, exec, s[8:9]
	s_mov_b64 s[6:7], 0
	s_branch .LBB222_95
.LBB222_90:
	s_mov_b64 s[8:9], -1
                                        ; implicit-def: $vgpr0_vgpr1
	s_branch .LBB222_101
.LBB222_91:
	s_or_saveexec_b64 s[10:11], s[10:11]
	v_pk_mov_b32 v[0:1], s[8:9], s[8:9] op_sel:[0,1]
	s_xor_b64 exec, exec, s[10:11]
	s_cbranch_execz .LBB222_75
.LBB222_92:
	v_cmp_ne_u16_e32 vcc, 0, v3
	s_andn2_b64 s[6:7], s[6:7], exec
	s_and_b64 s[8:9], vcc, exec
	v_pk_mov_b32 v[0:1], 0, 0
	s_or_b64 s[6:7], s[6:7], s[8:9]
	s_or_b64 exec, exec, s[10:11]
	s_and_saveexec_b64 s[8:9], s[6:7]
	s_cbranch_execnz .LBB222_76
	s_branch .LBB222_77
.LBB222_93:
	s_mov_b64 s[6:7], -1
                                        ; implicit-def: $vgpr0_vgpr1
	s_branch .LBB222_98
.LBB222_94:
	s_mov_b64 s[6:7], -1
                                        ; implicit-def: $vgpr0_vgpr1
.LBB222_95:
	s_and_b64 vcc, exec, s[6:7]
	s_cbranch_vccz .LBB222_97
; %bb.96:
	global_load_ubyte v0, v[6:7], off
	s_mov_b32 s6, 0x7f800000
	s_waitcnt vmcnt(0)
	v_lshlrev_b32_e32 v0, 24, v0
	v_and_b32_e32 v1, 0x7f000000, v0
	v_ffbh_u32_e32 v3, v1
	v_min_u32_e32 v3, 32, v3
	v_sub_u32_e64 v3, v3, 4 clamp
	v_lshlrev_b32_e32 v8, v3, v1
	v_lshlrev_b32_e32 v3, 23, v3
	v_lshrrev_b32_e32 v8, 4, v8
	v_add_u32_e32 v5, 0x1000000, v1
	v_sub_u32_e32 v3, v8, v3
	v_ashrrev_i32_e32 v5, 8, v5
	v_add_u32_e32 v3, 0x3c000000, v3
	v_and_or_b32 v3, v5, s6, v3
	v_cmp_ne_u32_e32 vcc, 0, v1
	v_cndmask_b32_e32 v1, 0, v3, vcc
	s_brev_b32 s6, 1
	v_and_or_b32 v0, v0, s6, v1
	v_cvt_f64_f32_e32 v[0:1], v0
.LBB222_97:
	s_mov_b64 s[6:7], 0
.LBB222_98:
	s_andn2_b64 vcc, exec, s[6:7]
	s_cbranch_vccnz .LBB222_100
; %bb.99:
	global_load_ubyte v0, v[6:7], off
	s_movk_i32 s6, 0x7f00
	s_brev_b32 s7, 16
	s_waitcnt vmcnt(0)
	v_lshlrev_b16_e32 v1, 8, v0
	v_lshlrev_b32_e32 v0, 25, v0
	v_lshrrev_b32_e32 v3, 4, v0
	v_and_or_b32 v5, v1, s6, 0.5
	v_or_b32_e32 v3, 0x70000000, v3
	v_add_f32_e32 v5, -0.5, v5
	v_mul_f32_e32 v3, 0x7800000, v3
	v_cmp_gt_u32_e32 vcc, s7, v0
	v_bfe_i32 v1, v1, 0, 16
	v_cndmask_b32_e32 v0, v3, v5, vcc
	s_brev_b32 s6, 1
	v_and_or_b32 v0, v1, s6, v0
	v_cvt_f64_f32_e32 v[0:1], v0
.LBB222_100:
	s_mov_b64 s[8:9], 0
	s_mov_b64 s[6:7], -1
.LBB222_101:
	s_andn2_b64 vcc, exec, s[8:9]
	s_cbranch_vccnz .LBB222_114
; %bb.102:
	v_mov_b32_e32 v0, 14
	v_cmp_gt_i16_sdwa s[8:9], v46, v0 src0_sel:BYTE_0 src1_sel:DWORD
	s_and_b64 vcc, exec, s[8:9]
	s_cbranch_vccz .LBB222_105
; %bb.103:
	v_mov_b32_e32 v0, 15
	v_cmp_eq_u16_sdwa s[8:9], v46, v0 src0_sel:BYTE_0 src1_sel:DWORD
	s_and_b64 vcc, exec, s[8:9]
	s_cbranch_vccz .LBB222_108
; %bb.104:
	global_load_ushort v0, v[6:7], off
	s_mov_b64 s[8:9], 0
	v_writelane_b32 v87, s8, 32
	s_mov_b64 s[6:7], -1
	v_writelane_b32 v87, s9, 33
	s_waitcnt vmcnt(0)
	v_lshlrev_b32_e32 v0, 16, v0
	v_cvt_f64_f32_e32 v[0:1], v0
	s_branch .LBB222_109
.LBB222_105:
	s_mov_b64 s[8:9], -1
                                        ; implicit-def: $vgpr0_vgpr1
	s_branch .LBB222_110
.LBB222_106:
	s_or_saveexec_b64 s[10:11], s[10:11]
	v_pk_mov_b32 v[0:1], s[8:9], s[8:9] op_sel:[0,1]
	s_xor_b64 exec, exec, s[10:11]
	s_cbranch_execz .LBB222_87
.LBB222_107:
	v_cmp_ne_u16_e32 vcc, 0, v3
	s_andn2_b64 s[6:7], s[6:7], exec
	s_and_b64 s[8:9], vcc, exec
	v_pk_mov_b32 v[0:1], 0, 0
	s_or_b64 s[6:7], s[6:7], s[8:9]
	s_or_b64 exec, exec, s[10:11]
	s_and_saveexec_b64 s[8:9], s[6:7]
	s_cbranch_execnz .LBB222_88
	s_branch .LBB222_89
.LBB222_108:
	s_mov_b64 s[8:9], -1
	v_writelane_b32 v87, s8, 32
	v_writelane_b32 v87, s9, 33
                                        ; implicit-def: $vgpr0_vgpr1
.LBB222_109:
	s_mov_b64 s[8:9], 0
.LBB222_110:
	s_and_b64 vcc, exec, s[8:9]
	s_cbranch_vccz .LBB222_114
; %bb.111:
	v_mov_b32_e32 v0, 11
	v_cmp_eq_u16_sdwa s[8:9], v46, v0 src0_sel:BYTE_0 src1_sel:DWORD
	s_and_b64 vcc, exec, s[8:9]
	s_cbranch_vccz .LBB222_113
; %bb.112:
	global_load_ubyte v1, v[6:7], off
	v_mov_b32_e32 v3, 0x3ff00000
	s_mov_b64 s[8:9], 0
	v_mov_b32_e32 v0, 0
	s_mov_b64 s[6:7], -1
	v_writelane_b32 v87, s8, 32
	v_writelane_b32 v87, s9, 33
	s_waitcnt vmcnt(0)
	v_cmp_ne_u16_e32 vcc, 0, v1
	v_cndmask_b32_e32 v1, 0, v3, vcc
	s_branch .LBB222_114
.LBB222_113:
	s_mov_b64 s[8:9], -1
	v_writelane_b32 v87, s8, 32
	v_writelane_b32 v87, s9, 33
                                        ; implicit-def: $vgpr0_vgpr1
.LBB222_114:
	s_branch .LBB222_20
.LBB222_115:
	v_mov_b32_e32 v0, 5
	v_cmp_lt_i16_sdwa s[6:7], v46, v0 src0_sel:BYTE_0 src1_sel:DWORD
	s_and_b64 vcc, exec, s[6:7]
	s_cbranch_vccnz .LBB222_120
; %bb.116:
	v_mov_b32_e32 v0, 8
	v_cmp_lt_i16_sdwa s[6:7], v46, v0 src0_sel:BYTE_0 src1_sel:DWORD
	s_and_b64 vcc, exec, s[6:7]
	s_cbranch_vccnz .LBB222_121
; %bb.117:
	;; [unrolled: 5-line block ×3, first 2 shown]
	v_cmp_gt_i16_sdwa s[6:7], v46, v0 src0_sel:BYTE_0 src1_sel:DWORD
	s_and_b64 vcc, exec, s[6:7]
	s_cbranch_vccz .LBB222_123
; %bb.119:
	global_load_dwordx2 v[0:1], v[6:7], off
	s_mov_b64 s[6:7], 0
	s_branch .LBB222_124
.LBB222_120:
                                        ; implicit-def: $vgpr0_vgpr1
	s_branch .LBB222_142
.LBB222_121:
	s_mov_b64 s[6:7], -1
                                        ; implicit-def: $vgpr0_vgpr1
	s_branch .LBB222_130
.LBB222_122:
	s_mov_b64 s[6:7], -1
                                        ; implicit-def: $vgpr0_vgpr1
	s_branch .LBB222_127
.LBB222_123:
	s_mov_b64 s[6:7], -1
                                        ; implicit-def: $vgpr0_vgpr1
.LBB222_124:
	s_andn2_b64 vcc, exec, s[6:7]
	s_cbranch_vccnz .LBB222_126
; %bb.125:
	global_load_dword v0, v[6:7], off
	s_waitcnt vmcnt(0)
	v_cvt_f64_f32_e32 v[0:1], v0
.LBB222_126:
	s_mov_b64 s[6:7], 0
.LBB222_127:
	s_andn2_b64 vcc, exec, s[6:7]
	s_cbranch_vccnz .LBB222_129
; %bb.128:
	global_load_dword v0, v[6:7], off
	s_waitcnt vmcnt(0)
	v_cvt_f32_f16_e32 v0, v0
	v_cvt_f64_f32_e32 v[0:1], v0
.LBB222_129:
	s_mov_b64 s[6:7], 0
.LBB222_130:
	s_andn2_b64 vcc, exec, s[6:7]
	s_cbranch_vccnz .LBB222_141
; %bb.131:
	s_waitcnt vmcnt(0)
	v_mov_b32_e32 v0, 6
	v_cmp_lt_i16_sdwa s[6:7], v46, v0 src0_sel:BYTE_0 src1_sel:DWORD
	s_and_b64 vcc, exec, s[6:7]
	s_cbranch_vccnz .LBB222_134
; %bb.132:
	v_cmp_gt_i16_sdwa s[6:7], v46, v0 src0_sel:BYTE_0 src1_sel:DWORD
	s_and_b64 vcc, exec, s[6:7]
	s_cbranch_vccz .LBB222_135
; %bb.133:
	global_load_dwordx2 v[0:1], v[6:7], off
	s_mov_b64 s[6:7], 0
	s_branch .LBB222_136
.LBB222_134:
	s_mov_b64 s[6:7], -1
                                        ; implicit-def: $vgpr0_vgpr1
	s_branch .LBB222_139
.LBB222_135:
	s_mov_b64 s[6:7], -1
                                        ; implicit-def: $vgpr0_vgpr1
.LBB222_136:
	s_andn2_b64 vcc, exec, s[6:7]
	s_cbranch_vccnz .LBB222_138
; %bb.137:
	global_load_dword v0, v[6:7], off
	s_waitcnt vmcnt(0)
	v_cvt_f64_f32_e32 v[0:1], v0
.LBB222_138:
	s_mov_b64 s[6:7], 0
.LBB222_139:
	s_andn2_b64 vcc, exec, s[6:7]
	s_cbranch_vccnz .LBB222_141
; %bb.140:
	global_load_ushort v0, v[6:7], off
	s_waitcnt vmcnt(0)
	v_cvt_f32_f16_e32 v0, v0
	v_cvt_f64_f32_e32 v[0:1], v0
.LBB222_141:
	s_cbranch_execnz .LBB222_161
.LBB222_142:
	s_waitcnt vmcnt(0)
	v_mov_b32_e32 v0, 2
	v_cmp_lt_i16_sdwa s[6:7], v46, v0 src0_sel:BYTE_0 src1_sel:DWORD
	s_and_b64 vcc, exec, s[6:7]
	s_cbranch_vccnz .LBB222_146
; %bb.143:
	v_mov_b32_e32 v0, 3
	v_cmp_lt_i16_sdwa s[6:7], v46, v0 src0_sel:BYTE_0 src1_sel:DWORD
	s_and_b64 vcc, exec, s[6:7]
	s_cbranch_vccnz .LBB222_147
; %bb.144:
	v_cmp_gt_i16_sdwa s[6:7], v46, v0 src0_sel:BYTE_0 src1_sel:DWORD
	s_and_b64 vcc, exec, s[6:7]
	s_cbranch_vccz .LBB222_148
; %bb.145:
	global_load_dwordx2 v[0:1], v[6:7], off
	s_mov_b64 s[6:7], 0
	s_waitcnt vmcnt(0)
	v_cvt_f64_i32_e32 v[8:9], v1
	v_cvt_f64_u32_e32 v[0:1], v0
	v_ldexp_f64 v[8:9], v[8:9], 32
	v_add_f64 v[0:1], v[8:9], v[0:1]
	s_branch .LBB222_149
.LBB222_146:
	s_mov_b64 s[6:7], -1
                                        ; implicit-def: $vgpr0_vgpr1
	s_branch .LBB222_155
.LBB222_147:
	s_mov_b64 s[6:7], -1
                                        ; implicit-def: $vgpr0_vgpr1
	s_branch .LBB222_152
.LBB222_148:
	s_mov_b64 s[6:7], -1
                                        ; implicit-def: $vgpr0_vgpr1
.LBB222_149:
	s_andn2_b64 vcc, exec, s[6:7]
	s_cbranch_vccnz .LBB222_151
; %bb.150:
	global_load_dword v0, v[6:7], off
	s_waitcnt vmcnt(0)
	v_cvt_f64_i32_e32 v[0:1], v0
.LBB222_151:
	s_mov_b64 s[6:7], 0
.LBB222_152:
	s_andn2_b64 vcc, exec, s[6:7]
	s_cbranch_vccnz .LBB222_154
; %bb.153:
	global_load_sshort v0, v[6:7], off
	s_waitcnt vmcnt(0)
	v_cvt_f64_i32_e32 v[0:1], v0
.LBB222_154:
	s_mov_b64 s[6:7], 0
.LBB222_155:
	s_andn2_b64 vcc, exec, s[6:7]
	s_cbranch_vccnz .LBB222_161
; %bb.156:
	v_mov_b32_e32 v0, 0
	v_cmp_gt_i16_sdwa s[6:7], v46, v0 src0_sel:BYTE_0 src1_sel:DWORD
	s_and_b64 vcc, exec, s[6:7]
	s_cbranch_vccz .LBB222_158
; %bb.157:
	global_load_sbyte v0, v[6:7], off
	s_mov_b64 s[6:7], 0
	s_waitcnt vmcnt(0)
	v_cvt_f64_i32_e32 v[0:1], v0
	s_branch .LBB222_159
.LBB222_158:
	s_mov_b64 s[6:7], -1
                                        ; implicit-def: $vgpr0_vgpr1
.LBB222_159:
	s_andn2_b64 vcc, exec, s[6:7]
	s_cbranch_vccnz .LBB222_161
; %bb.160:
	global_load_ubyte v0, v[6:7], off
	s_waitcnt vmcnt(0)
	v_cvt_f64_u32_e32 v[0:1], v0
.LBB222_161:
	s_branch .LBB222_21
.LBB222_162:
	s_mov_b64 s[6:7], 0
	s_mov_b64 s[12:13], 0
	s_mov_b64 s[10:11], 0
	s_mov_b64 s[8:9], 0
                                        ; implicit-def: $vgpr45
	s_branch .LBB222_530
.LBB222_163:
	s_mov_b64 s[6:7], -1
.LBB222_164:
	v_writelane_b32 v87, s6, 34
	v_writelane_b32 v87, s7, 35
	s_mov_b64 s[6:7], 0
                                        ; implicit-def: $vgpr2_vgpr3
.LBB222_165:
	s_and_b64 vcc, exec, s[8:9]
	s_cbranch_vccz .LBB222_171
; %bb.166:
	v_cmp_eq_u16_e32 vcc, 44, v5
	s_cbranch_vccz .LBB222_169
; %bb.167:
	global_load_ubyte v8, v[6:7], off
	s_movk_i32 s8, 0xff
	v_bfrev_b32_e32 v9, 4
	v_mov_b32_e32 v10, 0x7ff80000
	v_bfrev_b32_e32 v11, 28
	s_mov_b64 s[6:7], -1
	s_waitcnt vmcnt(0)
	v_lshlrev_b32_e32 v2, 23, v8
	v_cvt_f64_f32_e32 v[2:3], v2
	v_cmp_ne_u32_e32 vcc, s8, v8
	v_cndmask_b32_e32 v2, v9, v2, vcc
	v_cndmask_b32_e32 v3, v10, v3, vcc
	v_cmp_ne_u32_e32 vcc, 0, v8
	v_cndmask_b32_e32 v3, v11, v3, vcc
	v_cndmask_b32_e32 v2, 0, v2, vcc
	s_mov_b64 s[8:9], 0
	s_branch .LBB222_170
.LBB222_168:
	s_mov_b64 s[8:9], -1
	s_mov_b64 s[6:7], 0
	s_branch .LBB222_285
.LBB222_169:
	s_mov_b64 s[8:9], -1
                                        ; implicit-def: $vgpr2_vgpr3
.LBB222_170:
	v_writelane_b32 v87, s8, 34
	v_writelane_b32 v87, s9, 35
.LBB222_171:
	s_mov_b64 s[8:9], 0
.LBB222_172:
	s_and_b64 vcc, exec, s[8:9]
	s_cbranch_vccz .LBB222_177
; %bb.173:
	v_cmp_eq_u16_e32 vcc, 29, v5
	s_cbranch_vccz .LBB222_175
; %bb.174:
	global_load_dwordx2 v[2:3], v[6:7], off
	s_mov_b64 s[6:7], -1
	s_mov_b64 s[8:9], 0
	s_waitcnt vmcnt(0)
	v_cvt_f64_u32_e32 v[8:9], v3
	v_cvt_f64_u32_e32 v[2:3], v2
	v_ldexp_f64 v[8:9], v[8:9], 32
	v_add_f64 v[2:3], v[8:9], v[2:3]
	s_branch .LBB222_176
.LBB222_175:
	s_mov_b64 s[8:9], -1
                                        ; implicit-def: $vgpr2_vgpr3
.LBB222_176:
	v_writelane_b32 v87, s8, 34
	v_writelane_b32 v87, s9, 35
.LBB222_177:
	s_mov_b64 s[8:9], 0
.LBB222_178:
	s_and_b64 vcc, exec, s[8:9]
	s_cbranch_vccz .LBB222_196
; %bb.179:
	v_cmp_gt_i16_e32 vcc, 27, v5
	s_cbranch_vccnz .LBB222_182
; %bb.180:
	v_cmp_lt_i16_e32 vcc, 27, v5
	s_cbranch_vccz .LBB222_183
; %bb.181:
	global_load_dword v2, v[6:7], off
	s_mov_b64 s[6:7], 0
	s_waitcnt vmcnt(0)
	v_cvt_f64_u32_e32 v[2:3], v2
	s_branch .LBB222_184
.LBB222_182:
	s_mov_b64 s[6:7], -1
                                        ; implicit-def: $vgpr2_vgpr3
	s_branch .LBB222_187
.LBB222_183:
	s_mov_b64 s[6:7], -1
                                        ; implicit-def: $vgpr2_vgpr3
.LBB222_184:
	s_andn2_b64 vcc, exec, s[6:7]
	s_cbranch_vccnz .LBB222_186
; %bb.185:
	global_load_ushort v2, v[6:7], off
	s_waitcnt vmcnt(0)
	v_cvt_f64_u32_e32 v[2:3], v2
.LBB222_186:
	s_mov_b64 s[6:7], 0
.LBB222_187:
	s_andn2_b64 vcc, exec, s[6:7]
	s_cbranch_vccnz .LBB222_195
; %bb.188:
	global_load_ubyte v8, v[6:7], off
	s_movk_i32 s6, 0x7f
                                        ; implicit-def: $sgpr8_sgpr9
	s_waitcnt vmcnt(0)
	v_cmp_lt_i16_e32 vcc, s6, v8
	s_mov_b64 s[6:7], 0
	s_and_saveexec_b64 s[10:11], vcc
	s_xor_b64 s[10:11], exec, s[10:11]
	s_cbranch_execz .LBB222_209
; %bb.189:
	s_movk_i32 s6, 0x80
	v_cmp_eq_u16_e32 vcc, s6, v8
	s_mov_b64 s[12:13], -1
                                        ; implicit-def: $sgpr8_sgpr9
	s_and_saveexec_b64 s[6:7], vcc
; %bb.190:
	s_mov_b32 s9, 0x7ff80000
	s_brev_b32 s8, 4
	s_xor_b64 s[12:13], exec, -1
; %bb.191:
	s_or_b64 exec, exec, s[6:7]
	s_and_b64 s[6:7], s[12:13], exec
	s_or_saveexec_b64 s[10:11], s[10:11]
	v_pk_mov_b32 v[2:3], s[8:9], s[8:9] op_sel:[0,1]
	s_xor_b64 exec, exec, s[10:11]
	s_cbranch_execnz .LBB222_210
.LBB222_192:
	s_or_b64 exec, exec, s[10:11]
	s_and_saveexec_b64 s[8:9], s[6:7]
	s_cbranch_execz .LBB222_194
.LBB222_193:
	v_and_b32_e32 v3, 0xffff, v8
	v_lshlrev_b32_e32 v2, 24, v8
	v_and_b32_e32 v8, 7, v3
	v_ffbh_u32_e32 v10, v8
	v_min_u32_e32 v10, 32, v10
	v_subrev_u32_e32 v11, 28, v10
	v_bfe_u32 v9, v3, 3, 4
	v_lshlrev_b32_e32 v3, v11, v3
	v_sub_u32_e32 v10, 29, v10
	v_and_b32_e32 v3, 7, v3
	v_cmp_eq_u32_e32 vcc, 0, v9
	v_cndmask_b32_e32 v9, v9, v10, vcc
	v_cndmask_b32_e32 v3, v8, v3, vcc
	v_mov_b32_e32 v8, 0x3b800000
	v_lshlrev_b32_e32 v3, 20, v3
	v_and_b32_e32 v2, 0x80000000, v2
	v_lshl_add_u32 v8, v9, 23, v8
	v_or3_b32 v2, v2, v8, v3
	v_cvt_f64_f32_e32 v[2:3], v2
.LBB222_194:
	s_or_b64 exec, exec, s[8:9]
.LBB222_195:
	s_mov_b64 s[6:7], -1
.LBB222_196:
	s_mov_b64 s[8:9], 0
.LBB222_197:
	s_and_b64 vcc, exec, s[8:9]
	s_cbranch_vccz .LBB222_233
; %bb.198:
	v_cmp_lt_i16_e32 vcc, 22, v5
	s_cbranch_vccz .LBB222_208
; %bb.199:
	v_cmp_gt_i16_e32 vcc, 24, v5
	s_cbranch_vccnz .LBB222_211
; %bb.200:
	v_cmp_lt_i16_e32 vcc, 24, v5
	s_cbranch_vccz .LBB222_212
; %bb.201:
	global_load_ubyte v8, v[6:7], off
	s_movk_i32 s6, 0x7f
                                        ; implicit-def: $sgpr8_sgpr9
	s_waitcnt vmcnt(0)
	v_cmp_lt_i16_e32 vcc, s6, v8
	s_mov_b64 s[6:7], 0
	s_and_saveexec_b64 s[10:11], vcc
	s_xor_b64 s[10:11], exec, s[10:11]
	s_cbranch_execz .LBB222_224
; %bb.202:
	s_movk_i32 s6, 0x80
	v_cmp_eq_u16_e32 vcc, s6, v8
	s_mov_b64 s[12:13], -1
                                        ; implicit-def: $sgpr8_sgpr9
	s_and_saveexec_b64 s[6:7], vcc
; %bb.203:
	s_mov_b32 s9, 0x7ff80000
	s_brev_b32 s8, 4
	s_xor_b64 s[12:13], exec, -1
; %bb.204:
	s_or_b64 exec, exec, s[6:7]
	s_and_b64 s[6:7], s[12:13], exec
	s_or_saveexec_b64 s[10:11], s[10:11]
	v_pk_mov_b32 v[2:3], s[8:9], s[8:9] op_sel:[0,1]
	s_xor_b64 exec, exec, s[10:11]
	s_cbranch_execnz .LBB222_225
.LBB222_205:
	s_or_b64 exec, exec, s[10:11]
	s_and_saveexec_b64 s[8:9], s[6:7]
	s_cbranch_execz .LBB222_207
.LBB222_206:
	v_and_b32_e32 v3, 0xffff, v8
	v_lshlrev_b32_e32 v2, 24, v8
	v_and_b32_e32 v8, 3, v3
	v_ffbh_u32_e32 v10, v8
	v_min_u32_e32 v10, 32, v10
	v_subrev_u32_e32 v11, 29, v10
	v_bfe_u32 v9, v3, 2, 5
	v_lshlrev_b32_e32 v3, v11, v3
	v_sub_u32_e32 v10, 30, v10
	v_and_b32_e32 v3, 3, v3
	v_cmp_eq_u32_e32 vcc, 0, v9
	v_cndmask_b32_e32 v9, v9, v10, vcc
	v_cndmask_b32_e32 v3, v8, v3, vcc
	v_mov_b32_e32 v8, 0x37800000
	v_lshlrev_b32_e32 v3, 21, v3
	v_and_b32_e32 v2, 0x80000000, v2
	v_lshl_add_u32 v8, v9, 23, v8
	v_or3_b32 v2, v2, v8, v3
	v_cvt_f64_f32_e32 v[2:3], v2
.LBB222_207:
	s_or_b64 exec, exec, s[8:9]
	s_mov_b64 s[6:7], 0
	s_branch .LBB222_213
.LBB222_208:
	s_mov_b64 s[8:9], -1
                                        ; implicit-def: $vgpr2_vgpr3
	s_branch .LBB222_219
.LBB222_209:
	s_or_saveexec_b64 s[10:11], s[10:11]
	v_pk_mov_b32 v[2:3], s[8:9], s[8:9] op_sel:[0,1]
	s_xor_b64 exec, exec, s[10:11]
	s_cbranch_execz .LBB222_192
.LBB222_210:
	v_cmp_ne_u16_e32 vcc, 0, v8
	s_andn2_b64 s[6:7], s[6:7], exec
	s_and_b64 s[8:9], vcc, exec
	v_pk_mov_b32 v[2:3], 0, 0
	s_or_b64 s[6:7], s[6:7], s[8:9]
	s_or_b64 exec, exec, s[10:11]
	s_and_saveexec_b64 s[8:9], s[6:7]
	s_cbranch_execnz .LBB222_193
	s_branch .LBB222_194
.LBB222_211:
	s_mov_b64 s[6:7], -1
                                        ; implicit-def: $vgpr2_vgpr3
	s_branch .LBB222_216
.LBB222_212:
	s_mov_b64 s[6:7], -1
                                        ; implicit-def: $vgpr2_vgpr3
.LBB222_213:
	s_and_b64 vcc, exec, s[6:7]
	s_cbranch_vccz .LBB222_215
; %bb.214:
	global_load_ubyte v2, v[6:7], off
	s_mov_b32 s6, 0x7f800000
	s_waitcnt vmcnt(0)
	v_lshlrev_b32_e32 v2, 24, v2
	v_and_b32_e32 v3, 0x7f000000, v2
	v_ffbh_u32_e32 v8, v3
	v_min_u32_e32 v8, 32, v8
	v_sub_u32_e64 v8, v8, 4 clamp
	v_lshlrev_b32_e32 v10, v8, v3
	v_lshlrev_b32_e32 v8, 23, v8
	v_lshrrev_b32_e32 v10, 4, v10
	v_add_u32_e32 v9, 0x1000000, v3
	v_sub_u32_e32 v8, v10, v8
	v_ashrrev_i32_e32 v9, 8, v9
	v_add_u32_e32 v8, 0x3c000000, v8
	v_and_or_b32 v8, v9, s6, v8
	v_cmp_ne_u32_e32 vcc, 0, v3
	v_cndmask_b32_e32 v3, 0, v8, vcc
	s_brev_b32 s6, 1
	v_and_or_b32 v2, v2, s6, v3
	v_cvt_f64_f32_e32 v[2:3], v2
.LBB222_215:
	s_mov_b64 s[6:7], 0
.LBB222_216:
	s_andn2_b64 vcc, exec, s[6:7]
	s_cbranch_vccnz .LBB222_218
; %bb.217:
	global_load_ubyte v2, v[6:7], off
	s_movk_i32 s6, 0x7f00
	s_brev_b32 s7, 16
	s_waitcnt vmcnt(0)
	v_lshlrev_b16_e32 v3, 8, v2
	v_lshlrev_b32_e32 v2, 25, v2
	v_lshrrev_b32_e32 v8, 4, v2
	v_and_or_b32 v9, v3, s6, 0.5
	v_or_b32_e32 v8, 0x70000000, v8
	v_add_f32_e32 v9, -0.5, v9
	v_mul_f32_e32 v8, 0x7800000, v8
	v_cmp_gt_u32_e32 vcc, s7, v2
	v_bfe_i32 v3, v3, 0, 16
	v_cndmask_b32_e32 v2, v8, v9, vcc
	s_brev_b32 s6, 1
	v_and_or_b32 v2, v3, s6, v2
	v_cvt_f64_f32_e32 v[2:3], v2
.LBB222_218:
	s_mov_b64 s[8:9], 0
	s_mov_b64 s[6:7], -1
.LBB222_219:
	s_andn2_b64 vcc, exec, s[8:9]
	s_cbranch_vccnz .LBB222_231
; %bb.220:
	v_cmp_lt_i16_e32 vcc, 14, v5
	s_cbranch_vccz .LBB222_223
; %bb.221:
	v_cmp_eq_u16_e32 vcc, 15, v5
	s_cbranch_vccz .LBB222_226
; %bb.222:
	global_load_ushort v2, v[6:7], off
	s_mov_b64 s[8:9], 0
	v_writelane_b32 v87, s8, 34
	s_mov_b64 s[6:7], -1
	v_writelane_b32 v87, s9, 35
	s_waitcnt vmcnt(0)
	v_lshlrev_b32_e32 v2, 16, v2
	v_cvt_f64_f32_e32 v[2:3], v2
	s_branch .LBB222_227
.LBB222_223:
	s_mov_b64 s[8:9], -1
                                        ; implicit-def: $vgpr2_vgpr3
	s_branch .LBB222_228
.LBB222_224:
	s_or_saveexec_b64 s[10:11], s[10:11]
	v_pk_mov_b32 v[2:3], s[8:9], s[8:9] op_sel:[0,1]
	s_xor_b64 exec, exec, s[10:11]
	s_cbranch_execz .LBB222_205
.LBB222_225:
	v_cmp_ne_u16_e32 vcc, 0, v8
	s_andn2_b64 s[6:7], s[6:7], exec
	s_and_b64 s[8:9], vcc, exec
	v_pk_mov_b32 v[2:3], 0, 0
	s_or_b64 s[6:7], s[6:7], s[8:9]
	s_or_b64 exec, exec, s[10:11]
	s_and_saveexec_b64 s[8:9], s[6:7]
	s_cbranch_execnz .LBB222_206
	s_branch .LBB222_207
.LBB222_226:
	s_mov_b64 s[8:9], -1
	v_writelane_b32 v87, s8, 34
	v_writelane_b32 v87, s9, 35
                                        ; implicit-def: $vgpr2_vgpr3
.LBB222_227:
	s_mov_b64 s[8:9], 0
.LBB222_228:
	s_and_b64 vcc, exec, s[8:9]
	s_cbranch_vccz .LBB222_231
; %bb.229:
	v_cmp_eq_u16_e32 vcc, 11, v5
	s_cbranch_vccz .LBB222_242
; %bb.230:
	global_load_ubyte v3, v[6:7], off
	v_mov_b32_e32 v8, 0x3ff00000
	v_mov_b32_e32 v2, 0
	s_mov_b64 s[6:7], -1
	s_mov_b64 s[8:9], 0
	s_waitcnt vmcnt(0)
	v_cmp_ne_u16_e32 vcc, 0, v3
	v_cndmask_b32_e32 v3, 0, v8, vcc
	s_branch .LBB222_232
.LBB222_231:
	v_readlane_b32 s8, v87, 34
	v_readlane_b32 s9, v87, 35
.LBB222_232:
	v_writelane_b32 v87, s8, 34
	v_writelane_b32 v87, s9, 35
.LBB222_233:
	s_branch .LBB222_30
.LBB222_234:
	v_cmp_gt_i16_e32 vcc, 5, v5
	s_cbranch_vccnz .LBB222_239
; %bb.235:
	v_cmp_gt_i16_e32 vcc, 8, v5
	s_cbranch_vccnz .LBB222_240
; %bb.236:
	;; [unrolled: 3-line block ×3, first 2 shown]
	v_cmp_lt_i16_e32 vcc, 9, v5
	s_cbranch_vccz .LBB222_243
; %bb.238:
	global_load_dwordx2 v[2:3], v[6:7], off
	s_mov_b64 s[6:7], 0
	s_branch .LBB222_244
.LBB222_239:
	s_mov_b64 s[6:7], -1
                                        ; implicit-def: $vgpr2_vgpr3
	s_branch .LBB222_262
.LBB222_240:
	s_mov_b64 s[6:7], -1
                                        ; implicit-def: $vgpr2_vgpr3
	s_branch .LBB222_250
.LBB222_241:
	s_mov_b64 s[6:7], -1
                                        ; implicit-def: $vgpr2_vgpr3
	s_branch .LBB222_247
.LBB222_242:
	s_mov_b64 s[8:9], -1
                                        ; implicit-def: $vgpr2_vgpr3
	s_branch .LBB222_232
.LBB222_243:
	s_mov_b64 s[6:7], -1
                                        ; implicit-def: $vgpr2_vgpr3
.LBB222_244:
	s_andn2_b64 vcc, exec, s[6:7]
	s_cbranch_vccnz .LBB222_246
; %bb.245:
	global_load_dword v2, v[6:7], off
	s_waitcnt vmcnt(0)
	v_cvt_f64_f32_e32 v[2:3], v2
.LBB222_246:
	s_mov_b64 s[6:7], 0
.LBB222_247:
	s_andn2_b64 vcc, exec, s[6:7]
	s_cbranch_vccnz .LBB222_249
; %bb.248:
	global_load_dword v2, v[6:7], off
	s_waitcnt vmcnt(0)
	v_cvt_f32_f16_e32 v2, v2
	v_cvt_f64_f32_e32 v[2:3], v2
.LBB222_249:
	s_mov_b64 s[6:7], 0
.LBB222_250:
	s_andn2_b64 vcc, exec, s[6:7]
	s_cbranch_vccnz .LBB222_261
; %bb.251:
	v_cmp_gt_i16_e32 vcc, 6, v5
	s_cbranch_vccnz .LBB222_254
; %bb.252:
	v_cmp_lt_i16_e32 vcc, 6, v5
	s_cbranch_vccz .LBB222_255
; %bb.253:
	global_load_dwordx2 v[2:3], v[6:7], off
	s_mov_b64 s[6:7], 0
	s_branch .LBB222_256
.LBB222_254:
	s_mov_b64 s[6:7], -1
                                        ; implicit-def: $vgpr2_vgpr3
	s_branch .LBB222_259
.LBB222_255:
	s_mov_b64 s[6:7], -1
                                        ; implicit-def: $vgpr2_vgpr3
.LBB222_256:
	s_andn2_b64 vcc, exec, s[6:7]
	s_cbranch_vccnz .LBB222_258
; %bb.257:
	global_load_dword v2, v[6:7], off
	s_waitcnt vmcnt(0)
	v_cvt_f64_f32_e32 v[2:3], v2
.LBB222_258:
	s_mov_b64 s[6:7], 0
.LBB222_259:
	s_andn2_b64 vcc, exec, s[6:7]
	s_cbranch_vccnz .LBB222_261
; %bb.260:
	global_load_ushort v2, v[6:7], off
	s_waitcnt vmcnt(0)
	v_cvt_f32_f16_e32 v2, v2
	v_cvt_f64_f32_e32 v[2:3], v2
.LBB222_261:
	s_mov_b64 s[6:7], 0
.LBB222_262:
	s_andn2_b64 vcc, exec, s[6:7]
	s_cbranch_vccnz .LBB222_282
; %bb.263:
	v_cmp_gt_i16_e32 vcc, 2, v5
	s_cbranch_vccnz .LBB222_267
; %bb.264:
	v_cmp_gt_i16_e32 vcc, 3, v5
	s_cbranch_vccnz .LBB222_268
; %bb.265:
	v_cmp_lt_i16_e32 vcc, 3, v5
	s_cbranch_vccz .LBB222_269
; %bb.266:
	global_load_dwordx2 v[2:3], v[6:7], off
	s_mov_b64 s[6:7], 0
	s_waitcnt vmcnt(0)
	v_cvt_f64_i32_e32 v[8:9], v3
	v_cvt_f64_u32_e32 v[2:3], v2
	v_ldexp_f64 v[8:9], v[8:9], 32
	v_add_f64 v[2:3], v[8:9], v[2:3]
	s_branch .LBB222_270
.LBB222_267:
	s_mov_b64 s[6:7], -1
                                        ; implicit-def: $vgpr2_vgpr3
	s_branch .LBB222_276
.LBB222_268:
	s_mov_b64 s[6:7], -1
                                        ; implicit-def: $vgpr2_vgpr3
	s_branch .LBB222_273
.LBB222_269:
	s_mov_b64 s[6:7], -1
                                        ; implicit-def: $vgpr2_vgpr3
.LBB222_270:
	s_andn2_b64 vcc, exec, s[6:7]
	s_cbranch_vccnz .LBB222_272
; %bb.271:
	global_load_dword v2, v[6:7], off
	s_waitcnt vmcnt(0)
	v_cvt_f64_i32_e32 v[2:3], v2
.LBB222_272:
	s_mov_b64 s[6:7], 0
.LBB222_273:
	s_andn2_b64 vcc, exec, s[6:7]
	s_cbranch_vccnz .LBB222_275
; %bb.274:
	global_load_sshort v2, v[6:7], off
	s_waitcnt vmcnt(0)
	v_cvt_f64_i32_e32 v[2:3], v2
.LBB222_275:
	s_mov_b64 s[6:7], 0
.LBB222_276:
	s_andn2_b64 vcc, exec, s[6:7]
	s_cbranch_vccnz .LBB222_282
; %bb.277:
	v_cmp_lt_i16_e32 vcc, 0, v5
	s_cbranch_vccz .LBB222_279
; %bb.278:
	global_load_sbyte v2, v[6:7], off
	s_mov_b64 s[6:7], 0
	s_waitcnt vmcnt(0)
	v_cvt_f64_i32_e32 v[2:3], v2
	s_branch .LBB222_280
.LBB222_279:
	s_mov_b64 s[6:7], -1
                                        ; implicit-def: $vgpr2_vgpr3
.LBB222_280:
	s_andn2_b64 vcc, exec, s[6:7]
	s_cbranch_vccnz .LBB222_282
; %bb.281:
	global_load_ubyte v2, v[6:7], off
	s_waitcnt vmcnt(0)
	v_cvt_f64_u32_e32 v[2:3], v2
.LBB222_282:
	s_branch .LBB222_31
.LBB222_283:
	s_mov_b64 s[8:9], 0
	v_writelane_b32 v87, s8, 36
	s_mov_b64 s[6:7], 0
                                        ; implicit-def: $vgpr45
	v_writelane_b32 v87, s9, 37
	s_mov_b64 s[8:9], 0
	s_branch .LBB222_529
.LBB222_284:
	s_mov_b64 s[6:7], -1
.LBB222_285:
	v_writelane_b32 v87, s6, 36
	v_writelane_b32 v87, s7, 37
	s_mov_b64 s[6:7], 0
                                        ; implicit-def: $vgpr4_vgpr5
.LBB222_286:
	s_and_b64 vcc, exec, s[8:9]
	s_cbranch_vccz .LBB222_291
; %bb.287:
	v_cmp_eq_u16_e32 vcc, 44, v44
	s_cbranch_vccz .LBB222_289
; %bb.288:
	global_load_ubyte v8, v[6:7], off
	s_movk_i32 s8, 0xff
	v_bfrev_b32_e32 v9, 4
	v_mov_b32_e32 v10, 0x7ff80000
	v_bfrev_b32_e32 v11, 28
	s_mov_b64 s[6:7], -1
	s_waitcnt vmcnt(0)
	v_lshlrev_b32_e32 v4, 23, v8
	v_cvt_f64_f32_e32 v[4:5], v4
	v_cmp_ne_u32_e32 vcc, s8, v8
	v_cndmask_b32_e32 v4, v9, v4, vcc
	v_cndmask_b32_e32 v5, v10, v5, vcc
	v_cmp_ne_u32_e32 vcc, 0, v8
	v_cndmask_b32_e32 v5, v11, v5, vcc
	v_cndmask_b32_e32 v4, 0, v4, vcc
	s_mov_b64 s[8:9], 0
	s_branch .LBB222_290
.LBB222_289:
	s_mov_b64 s[8:9], -1
                                        ; implicit-def: $vgpr4_vgpr5
.LBB222_290:
	v_writelane_b32 v87, s8, 36
	v_writelane_b32 v87, s9, 37
.LBB222_291:
	s_mov_b64 s[8:9], 0
.LBB222_292:
	s_and_b64 vcc, exec, s[8:9]
	s_cbranch_vccz .LBB222_297
; %bb.293:
	v_cmp_eq_u16_e32 vcc, 29, v44
	s_cbranch_vccz .LBB222_295
; %bb.294:
	global_load_dwordx2 v[4:5], v[6:7], off
	s_mov_b64 s[6:7], -1
	s_mov_b64 s[8:9], 0
	s_waitcnt vmcnt(0)
	v_cvt_f64_u32_e32 v[8:9], v5
	v_cvt_f64_u32_e32 v[4:5], v4
	v_ldexp_f64 v[8:9], v[8:9], 32
	v_add_f64 v[4:5], v[8:9], v[4:5]
	s_branch .LBB222_296
.LBB222_295:
	s_mov_b64 s[8:9], -1
                                        ; implicit-def: $vgpr4_vgpr5
.LBB222_296:
	v_writelane_b32 v87, s8, 36
	v_writelane_b32 v87, s9, 37
.LBB222_297:
	s_mov_b64 s[8:9], 0
.LBB222_298:
	s_and_b64 vcc, exec, s[8:9]
	s_cbranch_vccz .LBB222_316
; %bb.299:
	v_cmp_gt_i16_e32 vcc, 27, v44
	s_cbranch_vccnz .LBB222_302
; %bb.300:
	v_cmp_lt_i16_e32 vcc, 27, v44
	s_cbranch_vccz .LBB222_303
; %bb.301:
	global_load_dword v4, v[6:7], off
	s_mov_b64 s[6:7], 0
	s_waitcnt vmcnt(0)
	v_cvt_f64_u32_e32 v[4:5], v4
	s_branch .LBB222_304
.LBB222_302:
	s_mov_b64 s[6:7], -1
                                        ; implicit-def: $vgpr4_vgpr5
	s_branch .LBB222_307
.LBB222_303:
	s_mov_b64 s[6:7], -1
                                        ; implicit-def: $vgpr4_vgpr5
.LBB222_304:
	s_andn2_b64 vcc, exec, s[6:7]
	s_cbranch_vccnz .LBB222_306
; %bb.305:
	global_load_ushort v4, v[6:7], off
	s_waitcnt vmcnt(0)
	v_cvt_f64_u32_e32 v[4:5], v4
.LBB222_306:
	s_mov_b64 s[6:7], 0
.LBB222_307:
	s_andn2_b64 vcc, exec, s[6:7]
	s_cbranch_vccnz .LBB222_315
; %bb.308:
	global_load_ubyte v8, v[6:7], off
	s_movk_i32 s6, 0x7f
                                        ; implicit-def: $sgpr8_sgpr9
	s_waitcnt vmcnt(0)
	v_cmp_lt_i16_e32 vcc, s6, v8
	s_mov_b64 s[6:7], 0
	s_and_saveexec_b64 s[10:11], vcc
	s_xor_b64 s[10:11], exec, s[10:11]
	s_cbranch_execz .LBB222_329
; %bb.309:
	s_movk_i32 s6, 0x80
	v_cmp_eq_u16_e32 vcc, s6, v8
	s_mov_b64 s[12:13], -1
                                        ; implicit-def: $sgpr8_sgpr9
	s_and_saveexec_b64 s[6:7], vcc
; %bb.310:
	s_mov_b32 s9, 0x7ff80000
	s_brev_b32 s8, 4
	s_xor_b64 s[12:13], exec, -1
; %bb.311:
	s_or_b64 exec, exec, s[6:7]
	s_and_b64 s[6:7], s[12:13], exec
	s_or_saveexec_b64 s[10:11], s[10:11]
	v_pk_mov_b32 v[4:5], s[8:9], s[8:9] op_sel:[0,1]
	s_xor_b64 exec, exec, s[10:11]
	s_cbranch_execnz .LBB222_330
.LBB222_312:
	s_or_b64 exec, exec, s[10:11]
	s_and_saveexec_b64 s[8:9], s[6:7]
	s_cbranch_execz .LBB222_314
.LBB222_313:
	v_and_b32_e32 v5, 0xffff, v8
	v_lshlrev_b32_e32 v4, 24, v8
	v_and_b32_e32 v8, 7, v5
	v_ffbh_u32_e32 v10, v8
	v_min_u32_e32 v10, 32, v10
	v_subrev_u32_e32 v11, 28, v10
	v_bfe_u32 v9, v5, 3, 4
	v_lshlrev_b32_e32 v5, v11, v5
	v_sub_u32_e32 v10, 29, v10
	v_and_b32_e32 v5, 7, v5
	v_cmp_eq_u32_e32 vcc, 0, v9
	v_cndmask_b32_e32 v9, v9, v10, vcc
	v_cndmask_b32_e32 v5, v8, v5, vcc
	v_mov_b32_e32 v8, 0x3b800000
	v_lshlrev_b32_e32 v5, 20, v5
	v_and_b32_e32 v4, 0x80000000, v4
	v_lshl_add_u32 v8, v9, 23, v8
	v_or3_b32 v4, v4, v8, v5
	v_cvt_f64_f32_e32 v[4:5], v4
.LBB222_314:
	s_or_b64 exec, exec, s[8:9]
.LBB222_315:
	s_mov_b64 s[6:7], -1
.LBB222_316:
	s_mov_b64 s[8:9], 0
.LBB222_317:
	s_and_b64 vcc, exec, s[8:9]
	s_cbranch_vccz .LBB222_353
; %bb.318:
	v_cmp_lt_i16_e32 vcc, 22, v44
	s_cbranch_vccz .LBB222_328
; %bb.319:
	v_cmp_gt_i16_e32 vcc, 24, v44
	s_cbranch_vccnz .LBB222_331
; %bb.320:
	v_cmp_lt_i16_e32 vcc, 24, v44
	s_cbranch_vccz .LBB222_332
; %bb.321:
	global_load_ubyte v8, v[6:7], off
	s_movk_i32 s6, 0x7f
                                        ; implicit-def: $sgpr8_sgpr9
	s_waitcnt vmcnt(0)
	v_cmp_lt_i16_e32 vcc, s6, v8
	s_mov_b64 s[6:7], 0
	s_and_saveexec_b64 s[10:11], vcc
	s_xor_b64 s[10:11], exec, s[10:11]
	s_cbranch_execz .LBB222_344
; %bb.322:
	s_movk_i32 s6, 0x80
	v_cmp_eq_u16_e32 vcc, s6, v8
	s_mov_b64 s[12:13], -1
                                        ; implicit-def: $sgpr8_sgpr9
	s_and_saveexec_b64 s[6:7], vcc
; %bb.323:
	s_mov_b32 s9, 0x7ff80000
	s_brev_b32 s8, 4
	s_xor_b64 s[12:13], exec, -1
; %bb.324:
	s_or_b64 exec, exec, s[6:7]
	s_and_b64 s[6:7], s[12:13], exec
	s_or_saveexec_b64 s[10:11], s[10:11]
	v_pk_mov_b32 v[4:5], s[8:9], s[8:9] op_sel:[0,1]
	s_xor_b64 exec, exec, s[10:11]
	s_cbranch_execnz .LBB222_345
.LBB222_325:
	s_or_b64 exec, exec, s[10:11]
	s_and_saveexec_b64 s[8:9], s[6:7]
	s_cbranch_execz .LBB222_327
.LBB222_326:
	v_and_b32_e32 v5, 0xffff, v8
	v_lshlrev_b32_e32 v4, 24, v8
	v_and_b32_e32 v8, 3, v5
	v_ffbh_u32_e32 v10, v8
	v_min_u32_e32 v10, 32, v10
	v_subrev_u32_e32 v11, 29, v10
	v_bfe_u32 v9, v5, 2, 5
	v_lshlrev_b32_e32 v5, v11, v5
	v_sub_u32_e32 v10, 30, v10
	v_and_b32_e32 v5, 3, v5
	v_cmp_eq_u32_e32 vcc, 0, v9
	v_cndmask_b32_e32 v9, v9, v10, vcc
	v_cndmask_b32_e32 v5, v8, v5, vcc
	v_mov_b32_e32 v8, 0x37800000
	v_lshlrev_b32_e32 v5, 21, v5
	v_and_b32_e32 v4, 0x80000000, v4
	v_lshl_add_u32 v8, v9, 23, v8
	v_or3_b32 v4, v4, v8, v5
	v_cvt_f64_f32_e32 v[4:5], v4
.LBB222_327:
	s_or_b64 exec, exec, s[8:9]
	s_mov_b64 s[6:7], 0
	s_branch .LBB222_333
.LBB222_328:
	s_mov_b64 s[8:9], -1
                                        ; implicit-def: $vgpr4_vgpr5
	s_branch .LBB222_339
.LBB222_329:
	s_or_saveexec_b64 s[10:11], s[10:11]
	v_pk_mov_b32 v[4:5], s[8:9], s[8:9] op_sel:[0,1]
	s_xor_b64 exec, exec, s[10:11]
	s_cbranch_execz .LBB222_312
.LBB222_330:
	v_cmp_ne_u16_e32 vcc, 0, v8
	s_andn2_b64 s[6:7], s[6:7], exec
	s_and_b64 s[8:9], vcc, exec
	v_pk_mov_b32 v[4:5], 0, 0
	s_or_b64 s[6:7], s[6:7], s[8:9]
	s_or_b64 exec, exec, s[10:11]
	s_and_saveexec_b64 s[8:9], s[6:7]
	s_cbranch_execnz .LBB222_313
	s_branch .LBB222_314
.LBB222_331:
	s_mov_b64 s[6:7], -1
                                        ; implicit-def: $vgpr4_vgpr5
	s_branch .LBB222_336
.LBB222_332:
	s_mov_b64 s[6:7], -1
                                        ; implicit-def: $vgpr4_vgpr5
.LBB222_333:
	s_and_b64 vcc, exec, s[6:7]
	s_cbranch_vccz .LBB222_335
; %bb.334:
	global_load_ubyte v4, v[6:7], off
	s_mov_b32 s6, 0x7f800000
	s_waitcnt vmcnt(0)
	v_lshlrev_b32_e32 v4, 24, v4
	v_and_b32_e32 v5, 0x7f000000, v4
	v_ffbh_u32_e32 v8, v5
	v_min_u32_e32 v8, 32, v8
	v_sub_u32_e64 v8, v8, 4 clamp
	v_lshlrev_b32_e32 v10, v8, v5
	v_lshlrev_b32_e32 v8, 23, v8
	v_lshrrev_b32_e32 v10, 4, v10
	v_add_u32_e32 v9, 0x1000000, v5
	v_sub_u32_e32 v8, v10, v8
	v_ashrrev_i32_e32 v9, 8, v9
	v_add_u32_e32 v8, 0x3c000000, v8
	v_and_or_b32 v8, v9, s6, v8
	v_cmp_ne_u32_e32 vcc, 0, v5
	v_cndmask_b32_e32 v5, 0, v8, vcc
	s_brev_b32 s6, 1
	v_and_or_b32 v4, v4, s6, v5
	v_cvt_f64_f32_e32 v[4:5], v4
.LBB222_335:
	s_mov_b64 s[6:7], 0
.LBB222_336:
	s_andn2_b64 vcc, exec, s[6:7]
	s_cbranch_vccnz .LBB222_338
; %bb.337:
	global_load_ubyte v4, v[6:7], off
	s_movk_i32 s6, 0x7f00
	s_brev_b32 s7, 16
	s_waitcnt vmcnt(0)
	v_lshlrev_b16_e32 v5, 8, v4
	v_lshlrev_b32_e32 v4, 25, v4
	v_lshrrev_b32_e32 v8, 4, v4
	v_and_or_b32 v9, v5, s6, 0.5
	v_or_b32_e32 v8, 0x70000000, v8
	v_add_f32_e32 v9, -0.5, v9
	v_mul_f32_e32 v8, 0x7800000, v8
	v_cmp_gt_u32_e32 vcc, s7, v4
	v_bfe_i32 v5, v5, 0, 16
	v_cndmask_b32_e32 v4, v8, v9, vcc
	s_brev_b32 s6, 1
	v_and_or_b32 v4, v5, s6, v4
	v_cvt_f64_f32_e32 v[4:5], v4
.LBB222_338:
	s_mov_b64 s[8:9], 0
	s_mov_b64 s[6:7], -1
.LBB222_339:
	s_andn2_b64 vcc, exec, s[8:9]
	s_cbranch_vccnz .LBB222_351
; %bb.340:
	v_cmp_lt_i16_e32 vcc, 14, v44
	s_cbranch_vccz .LBB222_343
; %bb.341:
	v_cmp_eq_u16_e32 vcc, 15, v44
	s_cbranch_vccz .LBB222_346
; %bb.342:
	global_load_ushort v4, v[6:7], off
	s_mov_b64 s[8:9], 0
	v_writelane_b32 v87, s8, 36
	s_mov_b64 s[6:7], -1
	v_writelane_b32 v87, s9, 37
	s_waitcnt vmcnt(0)
	v_lshlrev_b32_e32 v4, 16, v4
	v_cvt_f64_f32_e32 v[4:5], v4
	s_branch .LBB222_347
.LBB222_343:
	s_mov_b64 s[8:9], -1
                                        ; implicit-def: $vgpr4_vgpr5
	s_branch .LBB222_348
.LBB222_344:
	s_or_saveexec_b64 s[10:11], s[10:11]
	v_pk_mov_b32 v[4:5], s[8:9], s[8:9] op_sel:[0,1]
	s_xor_b64 exec, exec, s[10:11]
	s_cbranch_execz .LBB222_325
.LBB222_345:
	v_cmp_ne_u16_e32 vcc, 0, v8
	s_andn2_b64 s[6:7], s[6:7], exec
	s_and_b64 s[8:9], vcc, exec
	v_pk_mov_b32 v[4:5], 0, 0
	s_or_b64 s[6:7], s[6:7], s[8:9]
	s_or_b64 exec, exec, s[10:11]
	s_and_saveexec_b64 s[8:9], s[6:7]
	s_cbranch_execnz .LBB222_326
	s_branch .LBB222_327
.LBB222_346:
	s_mov_b64 s[8:9], -1
	v_writelane_b32 v87, s8, 36
	v_writelane_b32 v87, s9, 37
                                        ; implicit-def: $vgpr4_vgpr5
.LBB222_347:
	s_mov_b64 s[8:9], 0
.LBB222_348:
	s_and_b64 vcc, exec, s[8:9]
	s_cbranch_vccz .LBB222_351
; %bb.349:
	v_cmp_eq_u16_e32 vcc, 11, v44
	s_cbranch_vccz .LBB222_363
; %bb.350:
	global_load_ubyte v5, v[6:7], off
	v_mov_b32_e32 v8, 0x3ff00000
	v_mov_b32_e32 v4, 0
	s_mov_b64 s[6:7], -1
	s_mov_b64 s[8:9], 0
	s_waitcnt vmcnt(0)
	v_cmp_ne_u16_e32 vcc, 0, v5
	v_cndmask_b32_e32 v5, 0, v8, vcc
	s_branch .LBB222_352
.LBB222_351:
	v_readlane_b32 s8, v87, 36
	v_readlane_b32 s9, v87, 37
.LBB222_352:
	v_writelane_b32 v87, s8, 36
	v_writelane_b32 v87, s9, 37
.LBB222_353:
	s_mov_b64 s[8:9], 0
.LBB222_354:
	s_and_b64 vcc, exec, s[8:9]
	s_cbranch_vccz .LBB222_404
; %bb.355:
	v_cmp_gt_i16_e32 vcc, 5, v44
	s_cbranch_vccnz .LBB222_360
; %bb.356:
	v_cmp_gt_i16_e32 vcc, 8, v44
	s_cbranch_vccnz .LBB222_361
	;; [unrolled: 3-line block ×3, first 2 shown]
; %bb.358:
	v_cmp_lt_i16_e32 vcc, 9, v44
	s_cbranch_vccz .LBB222_364
; %bb.359:
	global_load_dwordx2 v[4:5], v[6:7], off
	s_mov_b64 s[6:7], 0
	s_branch .LBB222_365
.LBB222_360:
	s_mov_b64 s[6:7], -1
                                        ; implicit-def: $vgpr4_vgpr5
	s_branch .LBB222_383
.LBB222_361:
	s_mov_b64 s[6:7], -1
                                        ; implicit-def: $vgpr4_vgpr5
	s_branch .LBB222_371
.LBB222_362:
	s_mov_b64 s[6:7], -1
                                        ; implicit-def: $vgpr4_vgpr5
	s_branch .LBB222_368
.LBB222_363:
	s_mov_b64 s[8:9], -1
                                        ; implicit-def: $vgpr4_vgpr5
	s_branch .LBB222_352
.LBB222_364:
	s_mov_b64 s[6:7], -1
                                        ; implicit-def: $vgpr4_vgpr5
.LBB222_365:
	s_andn2_b64 vcc, exec, s[6:7]
	s_cbranch_vccnz .LBB222_367
; %bb.366:
	global_load_dword v4, v[6:7], off
	s_waitcnt vmcnt(0)
	v_cvt_f64_f32_e32 v[4:5], v4
.LBB222_367:
	s_mov_b64 s[6:7], 0
.LBB222_368:
	s_andn2_b64 vcc, exec, s[6:7]
	s_cbranch_vccnz .LBB222_370
; %bb.369:
	global_load_dword v4, v[6:7], off
	s_waitcnt vmcnt(0)
	v_cvt_f32_f16_e32 v4, v4
	v_cvt_f64_f32_e32 v[4:5], v4
.LBB222_370:
	s_mov_b64 s[6:7], 0
.LBB222_371:
	s_andn2_b64 vcc, exec, s[6:7]
	s_cbranch_vccnz .LBB222_382
; %bb.372:
	v_cmp_gt_i16_e32 vcc, 6, v44
	s_cbranch_vccnz .LBB222_375
; %bb.373:
	v_cmp_lt_i16_e32 vcc, 6, v44
	s_cbranch_vccz .LBB222_376
; %bb.374:
	global_load_dwordx2 v[4:5], v[6:7], off
	s_mov_b64 s[6:7], 0
	s_branch .LBB222_377
.LBB222_375:
	s_mov_b64 s[6:7], -1
                                        ; implicit-def: $vgpr4_vgpr5
	s_branch .LBB222_380
.LBB222_376:
	s_mov_b64 s[6:7], -1
                                        ; implicit-def: $vgpr4_vgpr5
.LBB222_377:
	s_andn2_b64 vcc, exec, s[6:7]
	s_cbranch_vccnz .LBB222_379
; %bb.378:
	global_load_dword v4, v[6:7], off
	s_waitcnt vmcnt(0)
	v_cvt_f64_f32_e32 v[4:5], v4
.LBB222_379:
	s_mov_b64 s[6:7], 0
.LBB222_380:
	s_andn2_b64 vcc, exec, s[6:7]
	s_cbranch_vccnz .LBB222_382
; %bb.381:
	global_load_ushort v4, v[6:7], off
	s_waitcnt vmcnt(0)
	v_cvt_f32_f16_e32 v4, v4
	v_cvt_f64_f32_e32 v[4:5], v4
.LBB222_382:
	s_mov_b64 s[6:7], 0
.LBB222_383:
	s_andn2_b64 vcc, exec, s[6:7]
	s_cbranch_vccnz .LBB222_403
; %bb.384:
	v_cmp_gt_i16_e32 vcc, 2, v44
	s_cbranch_vccnz .LBB222_388
; %bb.385:
	v_cmp_gt_i16_e32 vcc, 3, v44
	s_cbranch_vccnz .LBB222_389
; %bb.386:
	v_cmp_lt_i16_e32 vcc, 3, v44
	s_cbranch_vccz .LBB222_390
; %bb.387:
	global_load_dwordx2 v[4:5], v[6:7], off
	s_mov_b64 s[6:7], 0
	s_waitcnt vmcnt(0)
	v_cvt_f64_i32_e32 v[8:9], v5
	v_cvt_f64_u32_e32 v[4:5], v4
	v_ldexp_f64 v[8:9], v[8:9], 32
	v_add_f64 v[4:5], v[8:9], v[4:5]
	s_branch .LBB222_391
.LBB222_388:
	s_mov_b64 s[6:7], -1
                                        ; implicit-def: $vgpr4_vgpr5
	s_branch .LBB222_397
.LBB222_389:
	s_mov_b64 s[6:7], -1
                                        ; implicit-def: $vgpr4_vgpr5
	s_branch .LBB222_394
.LBB222_390:
	s_mov_b64 s[6:7], -1
                                        ; implicit-def: $vgpr4_vgpr5
.LBB222_391:
	s_andn2_b64 vcc, exec, s[6:7]
	s_cbranch_vccnz .LBB222_393
; %bb.392:
	global_load_dword v4, v[6:7], off
	s_waitcnt vmcnt(0)
	v_cvt_f64_i32_e32 v[4:5], v4
.LBB222_393:
	s_mov_b64 s[6:7], 0
.LBB222_394:
	s_andn2_b64 vcc, exec, s[6:7]
	s_cbranch_vccnz .LBB222_396
; %bb.395:
	global_load_sshort v4, v[6:7], off
	s_waitcnt vmcnt(0)
	v_cvt_f64_i32_e32 v[4:5], v4
.LBB222_396:
	s_mov_b64 s[6:7], 0
.LBB222_397:
	s_andn2_b64 vcc, exec, s[6:7]
	s_cbranch_vccnz .LBB222_403
; %bb.398:
	v_cmp_lt_i16_e32 vcc, 0, v44
	s_cbranch_vccz .LBB222_400
; %bb.399:
	global_load_sbyte v4, v[6:7], off
	s_mov_b64 s[6:7], 0
	s_waitcnt vmcnt(0)
	v_cvt_f64_i32_e32 v[4:5], v4
	s_branch .LBB222_401
.LBB222_400:
	s_mov_b64 s[6:7], -1
                                        ; implicit-def: $vgpr4_vgpr5
.LBB222_401:
	s_andn2_b64 vcc, exec, s[6:7]
	s_cbranch_vccnz .LBB222_403
; %bb.402:
	global_load_ubyte v4, v[6:7], off
	s_waitcnt vmcnt(0)
	v_cvt_f64_u32_e32 v[4:5], v4
.LBB222_403:
	s_mov_b64 s[6:7], -1
.LBB222_404:
	s_andn2_b64 vcc, exec, s[6:7]
	s_cbranch_vccnz .LBB222_412
; %bb.405:
	v_writelane_b32 v87, s56, 38
	v_writelane_b32 v87, s57, 39
	;; [unrolled: 1-line block ×6, first 2 shown]
	s_mov_b64 s[96:97], s[46:47]
	v_writelane_b32 v87, s5, 44
	s_getpc_b64 s[4:5]
	s_add_u32 s4, s4, _ZZZZN2at6native28launch_dirichlet_grad_kernelERNS_18TensorIteratorBaseEENKUlvE_clEvENKUlvE_clEvENKUldddE_clEddd@rel32@lo+4
	s_addc_u32 s5, s5, _ZZZZN2at6native28launch_dirichlet_grad_kernelERNS_18TensorIteratorBaseEENKUlvE_clEvENKUlvE_clEvENKUldddE_clEddd@rel32@hi+12
	s_swappc_b64 s[30:31], s[4:5]
	v_mov_b32_e32 v2, s89
	v_add_co_u32_e32 v4, vcc, s88, v42
	v_addc_co_u32_e32 v5, vcc, 0, v2, vcc
	v_mov_b32_e32 v2, 11
	v_cmp_lt_i16_sdwa s[4:5], v41, v2 src0_sel:BYTE_0 src1_sel:DWORD
	s_and_b64 vcc, exec, s[4:5]
	s_cbranch_vccnz .LBB222_413
; %bb.406:
	v_mov_b32_e32 v2, 25
	v_cmp_gt_i16_sdwa s[4:5], v41, v2 src0_sel:BYTE_0 src1_sel:DWORD
	s_and_b64 vcc, exec, s[4:5]
	s_cbranch_vccz .LBB222_414
; %bb.407:
	v_mov_b32_e32 v2, 28
	v_cmp_gt_i16_sdwa s[4:5], v41, v2 src0_sel:BYTE_0 src1_sel:DWORD
	s_and_b64 vcc, exec, s[4:5]
	v_readlane_b32 s4, v87, 43
	v_readlane_b32 s44, v87, 40
	;; [unrolled: 1-line block ×4, first 2 shown]
	s_mov_b64 s[42:43], 0
	v_readlane_b32 s45, v87, 41
	s_cbranch_vccz .LBB222_415
; %bb.408:
	v_mov_b32_e32 v2, 43
	v_cmp_gt_i16_sdwa s[6:7], v41, v2 src0_sel:BYTE_0 src1_sel:DWORD
	s_and_b64 vcc, exec, s[6:7]
	s_mov_b64 s[46:47], s[96:97]
	s_cbranch_vccz .LBB222_416
; %bb.409:
	v_mov_b32_e32 v2, 45
	v_cmp_gt_i16_sdwa s[6:7], v41, v2 src0_sel:BYTE_0 src1_sel:DWORD
	v_readlane_b32 s56, v87, 38
	s_and_b64 vcc, exec, s[6:7]
	v_readlane_b32 s57, v87, 39
	s_cbranch_vccz .LBB222_417
; %bb.410:
	v_mov_b32_e32 v2, 46
	v_cmp_eq_u16_sdwa s[8:9], v41, v2 src0_sel:BYTE_0 src1_sel:DWORD
	s_mov_b64 s[10:11], 0
	s_mov_b64 s[6:7], -1
	s_and_b64 vcc, exec, s[8:9]
	s_mov_b64 s[8:9], 0
	s_cbranch_vccz .LBB222_418
; %bb.411:
	v_cvt_f32_f64_e32 v2, v[0:1]
	v_bfe_u32 v3, v2, 16, 1
	s_movk_i32 s6, 0x7fff
	v_add3_u32 v3, v2, v3, s6
	v_lshrrev_b32_e32 v3, 16, v3
	v_mov_b32_e32 v6, 0x7fc0
	v_cmp_o_f32_e32 vcc, v2, v2
	v_cndmask_b32_e32 v2, v6, v3, vcc
	global_store_dword v[4:5], v2, off
	s_mov_b64 s[8:9], -1
	s_mov_b64 s[6:7], 0
	s_branch .LBB222_418
.LBB222_412:
	s_mov_b64 s[6:7], 0
                                        ; implicit-def: $vgpr45
	s_mov_b64 s[8:9], 0
	s_branch .LBB222_529
.LBB222_413:
	v_readlane_b32 s4, v87, 43
	v_readlane_b32 s44, v87, 40
	;; [unrolled: 1-line block ×3, first 2 shown]
	s_mov_b64 s[10:11], -1
	s_mov_b64 s[6:7], 0
	s_mov_b64 s[8:9], 0
	v_readlane_b32 s5, v87, 44
	v_readlane_b32 s37, v87, 42
	s_mov_b64 s[42:43], 0
	v_readlane_b32 s45, v87, 41
	s_mov_b64 s[46:47], s[96:97]
	v_readlane_b32 s57, v87, 39
	s_branch .LBB222_487
.LBB222_414:
	v_readlane_b32 s4, v87, 43
	v_readlane_b32 s44, v87, 40
	;; [unrolled: 1-line block ×3, first 2 shown]
	s_mov_b64 s[10:11], -1
	s_mov_b64 s[6:7], 0
	s_mov_b64 s[8:9], 0
	v_readlane_b32 s5, v87, 44
	v_readlane_b32 s37, v87, 42
	s_mov_b64 s[42:43], 0
	v_readlane_b32 s45, v87, 41
	s_mov_b64 s[46:47], s[96:97]
	v_readlane_b32 s57, v87, 39
	s_branch .LBB222_445
.LBB222_415:
	v_readlane_b32 s56, v87, 38
	s_mov_b64 s[10:11], -1
	s_mov_b64 s[6:7], 0
	s_mov_b64 s[8:9], 0
	;; [unrolled: 1-line block ×3, first 2 shown]
	v_readlane_b32 s57, v87, 39
	s_branch .LBB222_428
.LBB222_416:
	v_readlane_b32 s56, v87, 38
	s_mov_b64 s[10:11], -1
	s_mov_b64 s[6:7], 0
	s_mov_b64 s[8:9], 0
	v_readlane_b32 s57, v87, 39
	s_branch .LBB222_424
.LBB222_417:
	s_mov_b64 s[10:11], -1
	s_mov_b64 s[6:7], 0
	s_mov_b64 s[8:9], 0
.LBB222_418:
	s_and_b64 vcc, exec, s[10:11]
	s_cbranch_vccz .LBB222_423
; %bb.419:
	v_mov_b32_e32 v2, 44
	v_cmp_eq_u16_sdwa s[10:11], v41, v2 src0_sel:BYTE_0 src1_sel:DWORD
	s_mov_b64 s[6:7], -1
	s_and_b64 vcc, exec, s[10:11]
	s_cbranch_vccz .LBB222_423
; %bb.420:
	v_cvt_f32_f64_e32 v2, v[0:1]
	v_bfe_u32 v3, v2, 23, 8
	s_movk_i32 s6, 0xff
	v_cmp_ne_u32_e32 vcc, s6, v3
	v_mov_b32_e32 v6, 0xff
	s_and_saveexec_b64 s[8:9], vcc
; %bb.421:
	s_mov_b32 s6, 0x3fffff
	v_lshrrev_b32_e32 v6, 23, v2
	v_and_b32_e32 v7, 0x400000, v2
	v_and_or_b32 v2, v2, s6, v3
	v_cmp_ne_u32_e32 vcc, 0, v7
	v_cmp_ne_u32_e64 s[6:7], 0, v2
	s_and_b64 s[6:7], vcc, s[6:7]
	v_cndmask_b32_e64 v2, 0, 1, s[6:7]
	v_add_u32_e32 v6, v6, v2
; %bb.422:
	s_or_b64 exec, exec, s[8:9]
	s_mov_b64 s[8:9], -1
	s_mov_b64 s[6:7], 0
	global_store_byte v[4:5], v6, off
.LBB222_423:
	s_mov_b64 s[10:11], 0
.LBB222_424:
	s_and_b64 vcc, exec, s[10:11]
	s_cbranch_vccz .LBB222_427
; %bb.425:
	v_mov_b32_e32 v2, 29
	v_cmp_eq_u16_sdwa s[10:11], v41, v2 src0_sel:BYTE_0 src1_sel:DWORD
	s_mov_b64 s[6:7], -1
	s_and_b64 vcc, exec, s[10:11]
	s_cbranch_vccz .LBB222_427
; %bb.426:
	v_trunc_f64_e32 v[2:3], v[0:1]
	s_movk_i32 s6, 0xffe0
	v_ldexp_f64 v[6:7], v[2:3], s6
	v_floor_f64_e32 v[6:7], v[6:7]
	v_fmac_f64_e32 v[2:3], 0xc1f00000, v[6:7]
	v_cvt_u32_f64_e32 v9, v[6:7]
	v_cvt_u32_f64_e32 v8, v[2:3]
	global_store_dwordx2 v[4:5], v[8:9], off
	s_mov_b64 s[8:9], -1
	s_mov_b64 s[6:7], 0
.LBB222_427:
	s_mov_b64 s[10:11], 0
.LBB222_428:
	s_and_b64 vcc, exec, s[10:11]
	s_cbranch_vccz .LBB222_444
; %bb.429:
	v_mov_b32_e32 v2, 27
	v_cmp_lt_i16_sdwa s[10:11], v41, v2 src0_sel:BYTE_0 src1_sel:DWORD
	s_mov_b64 s[8:9], -1
	s_and_b64 vcc, exec, s[10:11]
	s_cbranch_vccnz .LBB222_435
; %bb.430:
	v_cmp_gt_i16_sdwa s[10:11], v41, v2 src0_sel:BYTE_0 src1_sel:DWORD
	s_and_b64 vcc, exec, s[10:11]
	v_cvt_u32_f64_e32 v2, v[0:1]
	s_cbranch_vccz .LBB222_432
; %bb.431:
	s_mov_b64 s[8:9], 0
	global_store_dword v[4:5], v2, off
.LBB222_432:
	s_andn2_b64 vcc, exec, s[8:9]
	s_cbranch_vccnz .LBB222_434
; %bb.433:
	global_store_short v[4:5], v2, off
.LBB222_434:
	s_mov_b64 s[8:9], 0
.LBB222_435:
	s_andn2_b64 vcc, exec, s[8:9]
	s_cbranch_vccnz .LBB222_443
; %bb.436:
	v_cvt_f32_f64_e32 v2, v[0:1]
	v_and_b32_e32 v3, 0x7fffffff, v2
	s_mov_b32 s8, 0x43800000
	v_cmp_gt_u32_e32 vcc, s8, v3
	v_mov_b32_e32 v6, 0x80
	s_and_saveexec_b64 s[8:9], vcc
	s_cbranch_execz .LBB222_442
; %bb.437:
	s_mov_b32 s10, 0x3bffffff
	v_cmp_lt_u32_e32 vcc, s10, v3
	s_mov_b64 s[10:11], 0
                                        ; implicit-def: $vgpr3
	s_and_saveexec_b64 s[12:13], vcc
	s_xor_b64 s[12:13], exec, s[12:13]
	s_cbranch_execz .LBB222_683
; %bb.438:
	v_bfe_u32 v3, v2, 20, 1
	s_mov_b32 s14, 0x487ffff
	v_add3_u32 v3, v2, v3, s14
	s_mov_b64 s[10:11], exec
	v_lshrrev_b32_e32 v3, 20, v3
	s_or_saveexec_b64 s[12:13], s[12:13]
                                        ; implicit-def: $sgpr14
	s_xor_b64 exec, exec, s[12:13]
	s_cbranch_execnz .LBB222_684
.LBB222_439:
	s_or_b64 exec, exec, s[12:13]
	v_mov_b32_e32 v6, s14
	s_and_saveexec_b64 s[12:13], s[10:11]
.LBB222_440:
	v_lshrrev_b32_e32 v2, 24, v2
	s_movk_i32 s10, 0x80
	v_and_or_b32 v6, v2, s10, v3
.LBB222_441:
	s_or_b64 exec, exec, s[12:13]
.LBB222_442:
	s_or_b64 exec, exec, s[8:9]
	global_store_byte v[4:5], v6, off
.LBB222_443:
	s_mov_b64 s[8:9], -1
.LBB222_444:
	s_mov_b64 s[10:11], 0
.LBB222_445:
	s_and_b64 vcc, exec, s[10:11]
	s_cbranch_vccz .LBB222_486
; %bb.446:
	v_mov_b32_e32 v2, 22
	v_cmp_gt_i16_sdwa s[12:13], v41, v2 src0_sel:BYTE_0 src1_sel:DWORD
	s_mov_b64 s[10:11], -1
	s_and_b64 vcc, exec, s[12:13]
	s_cbranch_vccz .LBB222_478
; %bb.447:
	v_mov_b32_e32 v2, 24
	v_cmp_lt_i16_sdwa s[10:11], v41, v2 src0_sel:BYTE_0 src1_sel:DWORD
	s_mov_b64 s[8:9], -1
	s_and_b64 vcc, exec, s[10:11]
	s_cbranch_vccnz .LBB222_467
; %bb.448:
	v_cmp_gt_i16_sdwa s[10:11], v41, v2 src0_sel:BYTE_0 src1_sel:DWORD
	s_and_b64 vcc, exec, s[10:11]
	s_cbranch_vccz .LBB222_456
; %bb.449:
	v_cvt_f32_f64_e32 v2, v[0:1]
	v_and_b32_e32 v3, 0x7fffffff, v2
	s_mov_b32 s8, 0x47800000
	v_cmp_gt_u32_e32 vcc, s8, v3
	v_mov_b32_e32 v6, 0x80
	s_and_saveexec_b64 s[8:9], vcc
	s_cbranch_execz .LBB222_455
; %bb.450:
	s_mov_b32 s10, 0x37ffffff
	v_cmp_lt_u32_e32 vcc, s10, v3
	s_mov_b64 s[10:11], 0
                                        ; implicit-def: $vgpr3
	s_and_saveexec_b64 s[12:13], vcc
	s_xor_b64 s[12:13], exec, s[12:13]
	s_cbranch_execz .LBB222_818
; %bb.451:
	v_bfe_u32 v3, v2, 21, 1
	s_mov_b32 s14, 0x88fffff
	v_add3_u32 v3, v2, v3, s14
	s_mov_b64 s[10:11], exec
	v_lshrrev_b32_e32 v3, 21, v3
	s_or_saveexec_b64 s[12:13], s[12:13]
                                        ; implicit-def: $sgpr14
	s_xor_b64 exec, exec, s[12:13]
	s_cbranch_execnz .LBB222_819
.LBB222_452:
	s_or_b64 exec, exec, s[12:13]
	v_mov_b32_e32 v6, s14
	s_and_saveexec_b64 s[12:13], s[10:11]
.LBB222_453:
	v_lshrrev_b32_e32 v2, 24, v2
	s_movk_i32 s10, 0x80
	v_and_or_b32 v6, v2, s10, v3
.LBB222_454:
	s_or_b64 exec, exec, s[12:13]
.LBB222_455:
	s_or_b64 exec, exec, s[8:9]
	s_mov_b64 s[8:9], 0
	global_store_byte v[4:5], v6, off
.LBB222_456:
	s_and_b64 vcc, exec, s[8:9]
	s_cbranch_vccz .LBB222_466
; %bb.457:
	v_cvt_f32_f64_e32 v2, v[0:1]
	v_and_b32_e32 v6, 0x7fffffff, v2
	s_mov_b32 s8, 0x43f00000
	v_cmp_gt_u32_e32 vcc, s8, v6
                                        ; implicit-def: $vgpr3
	s_and_saveexec_b64 s[8:9], vcc
	s_xor_b64 s[8:9], exec, s[8:9]
	s_cbranch_execz .LBB222_463
; %bb.458:
	s_mov_b32 s10, 0x3c7fffff
	v_cmp_lt_u32_e32 vcc, s10, v6
                                        ; implicit-def: $vgpr3
	s_and_saveexec_b64 s[10:11], vcc
	s_xor_b64 s[10:11], exec, s[10:11]
; %bb.459:
	v_bfe_u32 v3, v2, 20, 1
	s_mov_b32 s12, 0x407ffff
	v_add3_u32 v3, v2, v3, s12
	v_lshrrev_b32_e32 v6, 20, v3
	v_and_b32_e32 v3, 0xff00000, v3
	s_mov_b32 s12, 0x7f00000
	v_mov_b32_e32 v7, 0x7e
	v_cmp_ne_u32_e32 vcc, s12, v3
	v_cndmask_b32_e32 v3, v7, v6, vcc
; %bb.460:
	s_andn2_saveexec_b64 s[10:11], s[10:11]
; %bb.461:
	s_mov_b32 s12, 0x46800000
	v_add_f32_e64 v3, |v2|, s12
; %bb.462:
	s_or_b64 exec, exec, s[10:11]
                                        ; implicit-def: $vgpr6
.LBB222_463:
	s_andn2_saveexec_b64 s[8:9], s[8:9]
; %bb.464:
	s_mov_b32 s10, 0x7f800000
	v_mov_b32_e32 v3, 0x7e
	v_mov_b32_e32 v7, 0x7f
	v_cmp_lt_u32_e32 vcc, s10, v6
	v_cndmask_b32_e32 v3, v3, v7, vcc
; %bb.465:
	s_or_b64 exec, exec, s[8:9]
	v_lshrrev_b32_e32 v2, 24, v2
	s_movk_i32 s8, 0x80
	v_and_or_b32 v2, v2, s8, v3
	global_store_byte v[4:5], v2, off
.LBB222_466:
	s_mov_b64 s[8:9], 0
.LBB222_467:
	s_andn2_b64 vcc, exec, s[8:9]
	s_cbranch_vccnz .LBB222_477
; %bb.468:
	v_cvt_f32_f64_e32 v2, v[0:1]
	v_and_b32_e32 v6, 0x7fffffff, v2
	s_mov_b32 s8, 0x47800000
	v_cmp_gt_u32_e32 vcc, s8, v6
                                        ; implicit-def: $vgpr3
	s_and_saveexec_b64 s[8:9], vcc
	s_xor_b64 s[8:9], exec, s[8:9]
	s_cbranch_execz .LBB222_474
; %bb.469:
	s_mov_b32 s10, 0x387fffff
	v_cmp_lt_u32_e32 vcc, s10, v6
                                        ; implicit-def: $vgpr3
	s_and_saveexec_b64 s[10:11], vcc
	s_xor_b64 s[10:11], exec, s[10:11]
; %bb.470:
	v_bfe_u32 v3, v2, 21, 1
	s_mov_b32 s12, 0x80fffff
	v_add3_u32 v3, v2, v3, s12
	v_lshrrev_b32_e32 v3, 21, v3
; %bb.471:
	s_andn2_saveexec_b64 s[10:11], s[10:11]
; %bb.472:
	s_mov_b32 s12, 0x43000000
	v_add_f32_e64 v3, |v2|, s12
; %bb.473:
	s_or_b64 exec, exec, s[10:11]
                                        ; implicit-def: $vgpr6
.LBB222_474:
	s_andn2_saveexec_b64 s[8:9], s[8:9]
; %bb.475:
	s_mov_b32 s10, 0x7f800000
	v_mov_b32_e32 v3, 0x7c
	v_mov_b32_e32 v7, 0x7f
	v_cmp_lt_u32_e32 vcc, s10, v6
	v_cndmask_b32_e32 v3, v3, v7, vcc
; %bb.476:
	s_or_b64 exec, exec, s[8:9]
	v_lshrrev_b32_e32 v2, 24, v2
	s_movk_i32 s8, 0x80
	v_and_or_b32 v2, v2, s8, v3
	global_store_byte v[4:5], v2, off
.LBB222_477:
	s_mov_b64 s[10:11], 0
	s_mov_b64 s[8:9], -1
.LBB222_478:
	s_andn2_b64 vcc, exec, s[10:11]
	s_cbranch_vccnz .LBB222_486
; %bb.479:
	v_mov_b32_e32 v2, 14
	v_cmp_gt_i16_sdwa s[12:13], v41, v2 src0_sel:BYTE_0 src1_sel:DWORD
	s_mov_b64 s[10:11], -1
	s_and_b64 vcc, exec, s[12:13]
	s_cbranch_vccz .LBB222_483
; %bb.480:
	v_mov_b32_e32 v2, 15
	v_cmp_eq_u16_sdwa s[10:11], v41, v2 src0_sel:BYTE_0 src1_sel:DWORD
	s_mov_b64 s[6:7], -1
	s_and_b64 vcc, exec, s[10:11]
	s_cbranch_vccz .LBB222_482
; %bb.481:
	v_cvt_f32_f64_e32 v2, v[0:1]
	v_bfe_u32 v3, v2, 16, 1
	s_movk_i32 s6, 0x7fff
	v_add3_u32 v3, v2, v3, s6
	v_lshrrev_b32_e32 v3, 16, v3
	v_mov_b32_e32 v6, 0x7fc0
	v_cmp_o_f32_e32 vcc, v2, v2
	v_cndmask_b32_e32 v2, v6, v3, vcc
	global_store_short v[4:5], v2, off
	s_mov_b64 s[8:9], -1
	s_mov_b64 s[6:7], 0
.LBB222_482:
	s_mov_b64 s[10:11], 0
.LBB222_483:
	s_and_b64 vcc, exec, s[10:11]
	s_cbranch_vccz .LBB222_486
; %bb.484:
	v_mov_b32_e32 v2, 11
	v_cmp_eq_u16_sdwa s[10:11], v41, v2 src0_sel:BYTE_0 src1_sel:DWORD
	s_mov_b64 s[6:7], -1
	s_and_b64 vcc, exec, s[10:11]
	s_cbranch_vccz .LBB222_486
; %bb.485:
	v_cmp_neq_f64_e32 vcc, 0, v[0:1]
	s_mov_b64 s[6:7], 0
	v_cndmask_b32_e64 v2, 0, 1, vcc
	s_mov_b64 s[8:9], -1
	global_store_byte v[4:5], v2, off
.LBB222_486:
	s_mov_b64 s[10:11], 0
.LBB222_487:
	s_and_b64 vcc, exec, s[10:11]
	s_cbranch_vccz .LBB222_526
; %bb.488:
	v_mov_b32_e32 v2, 5
	v_cmp_lt_i16_sdwa s[10:11], v41, v2 src0_sel:BYTE_0 src1_sel:DWORD
	s_mov_b64 s[8:9], -1
	s_and_b64 vcc, exec, s[10:11]
	s_cbranch_vccnz .LBB222_509
; %bb.489:
	v_mov_b32_e32 v2, 8
	v_cmp_lt_i16_sdwa s[10:11], v41, v2 src0_sel:BYTE_0 src1_sel:DWORD
	s_and_b64 vcc, exec, s[10:11]
	s_cbranch_vccnz .LBB222_499
; %bb.490:
	v_mov_b32_e32 v2, 9
	v_cmp_lt_i16_sdwa s[10:11], v41, v2 src0_sel:BYTE_0 src1_sel:DWORD
	s_and_b64 vcc, exec, s[10:11]
	s_cbranch_vccnz .LBB222_496
; %bb.491:
	v_cmp_gt_i16_sdwa s[10:11], v41, v2 src0_sel:BYTE_0 src1_sel:DWORD
	s_and_b64 vcc, exec, s[10:11]
	s_cbranch_vccz .LBB222_493
; %bb.492:
	v_mov_b32_e32 v2, 0
	v_mov_b32_e32 v3, v2
	global_store_dwordx4 v[4:5], v[0:3], off
	s_mov_b64 s[8:9], 0
.LBB222_493:
	s_andn2_b64 vcc, exec, s[8:9]
	s_cbranch_vccnz .LBB222_495
; %bb.494:
	v_cvt_f32_f64_e32 v2, v[0:1]
	v_mov_b32_e32 v3, 0
	global_store_dwordx2 v[4:5], v[2:3], off
.LBB222_495:
	s_mov_b64 s[8:9], 0
.LBB222_496:
	s_andn2_b64 vcc, exec, s[8:9]
	s_cbranch_vccnz .LBB222_498
; %bb.497:
	v_cvt_f32_f64_e32 v2, v[0:1]
	v_cvt_f16_f32_e32 v2, v2
	global_store_dword v[4:5], v2, off
.LBB222_498:
	s_mov_b64 s[8:9], 0
.LBB222_499:
	s_andn2_b64 vcc, exec, s[8:9]
	s_cbranch_vccnz .LBB222_508
; %bb.500:
	v_mov_b32_e32 v2, 6
	v_cmp_lt_i16_sdwa s[10:11], v41, v2 src0_sel:BYTE_0 src1_sel:DWORD
	s_mov_b64 s[8:9], -1
	s_and_b64 vcc, exec, s[10:11]
	s_cbranch_vccnz .LBB222_506
; %bb.501:
	v_cmp_gt_i16_sdwa s[10:11], v41, v2 src0_sel:BYTE_0 src1_sel:DWORD
	s_and_b64 vcc, exec, s[10:11]
	s_cbranch_vccz .LBB222_503
; %bb.502:
	global_store_dwordx2 v[4:5], v[0:1], off
	s_mov_b64 s[8:9], 0
.LBB222_503:
	s_andn2_b64 vcc, exec, s[8:9]
	s_cbranch_vccnz .LBB222_505
; %bb.504:
	v_cvt_f32_f64_e32 v2, v[0:1]
	global_store_dword v[4:5], v2, off
.LBB222_505:
	s_mov_b64 s[8:9], 0
.LBB222_506:
	s_andn2_b64 vcc, exec, s[8:9]
	s_cbranch_vccnz .LBB222_508
; %bb.507:
	v_cvt_f32_f64_e32 v2, v[0:1]
	v_cvt_f16_f32_e32 v2, v2
	global_store_short v[4:5], v2, off
.LBB222_508:
	s_mov_b64 s[8:9], 0
.LBB222_509:
	s_andn2_b64 vcc, exec, s[8:9]
	s_cbranch_vccnz .LBB222_525
; %bb.510:
	v_mov_b32_e32 v2, 2
	v_cmp_lt_i16_sdwa s[10:11], v41, v2 src0_sel:BYTE_0 src1_sel:DWORD
	s_mov_b64 s[8:9], -1
	s_and_b64 vcc, exec, s[10:11]
	s_cbranch_vccnz .LBB222_520
; %bb.511:
	v_mov_b32_e32 v2, 3
	v_cmp_lt_i16_sdwa s[10:11], v41, v2 src0_sel:BYTE_0 src1_sel:DWORD
	s_and_b64 vcc, exec, s[10:11]
	s_cbranch_vccnz .LBB222_517
; %bb.512:
	v_cmp_gt_i16_sdwa s[10:11], v41, v2 src0_sel:BYTE_0 src1_sel:DWORD
	s_and_b64 vcc, exec, s[10:11]
	s_cbranch_vccz .LBB222_514
; %bb.513:
	v_trunc_f64_e32 v[2:3], v[0:1]
	s_movk_i32 s8, 0xffe0
	v_ldexp_f64 v[6:7], v[2:3], s8
	v_floor_f64_e32 v[6:7], v[6:7]
	v_fmac_f64_e32 v[2:3], 0xc1f00000, v[6:7]
	v_cvt_i32_f64_e32 v9, v[6:7]
	v_cvt_u32_f64_e32 v8, v[2:3]
	global_store_dwordx2 v[4:5], v[8:9], off
	s_mov_b64 s[8:9], 0
.LBB222_514:
	s_andn2_b64 vcc, exec, s[8:9]
	s_cbranch_vccnz .LBB222_516
; %bb.515:
	v_cvt_i32_f64_e32 v2, v[0:1]
	global_store_dword v[4:5], v2, off
.LBB222_516:
	s_mov_b64 s[8:9], 0
.LBB222_517:
	s_andn2_b64 vcc, exec, s[8:9]
	s_cbranch_vccnz .LBB222_519
; %bb.518:
	v_cvt_i32_f64_e32 v2, v[0:1]
	global_store_short v[4:5], v2, off
.LBB222_519:
	s_mov_b64 s[8:9], 0
.LBB222_520:
	s_andn2_b64 vcc, exec, s[8:9]
	s_cbranch_vccnz .LBB222_525
; %bb.521:
	v_mov_b32_e32 v2, 0
	v_cmp_gt_i16_sdwa s[10:11], v41, v2 src0_sel:BYTE_0 src1_sel:DWORD
	s_mov_b64 s[8:9], -1
	s_and_b64 vcc, exec, s[10:11]
	s_cbranch_vccz .LBB222_523
; %bb.522:
	v_cvt_i32_f64_e32 v2, v[0:1]
	global_store_byte v[4:5], v2, off
	s_mov_b64 s[8:9], 0
.LBB222_523:
	s_andn2_b64 vcc, exec, s[8:9]
	s_cbranch_vccnz .LBB222_525
; %bb.524:
	v_trunc_f64_e32 v[0:1], v[0:1]
	s_movk_i32 s8, 0xffe0
	v_ldexp_f64 v[2:3], v[0:1], s8
	v_floor_f64_e32 v[2:3], v[2:3]
	v_fmac_f64_e32 v[0:1], 0xc1f00000, v[2:3]
	v_cvt_u32_f64_e32 v0, v[0:1]
	global_store_byte v[4:5], v0, off
.LBB222_525:
	s_mov_b64 s[8:9], -1
.LBB222_526:
	s_andn2_b64 vcc, exec, s[8:9]
	s_cbranch_vccnz .LBB222_528
; %bb.527:
	v_add_u32_e32 v45, 0x80, v45
	s_mov_b64 s[8:9], -1
	s_branch .LBB222_529
.LBB222_528:
	s_mov_b64 s[8:9], 0
                                        ; implicit-def: $vgpr45
.LBB222_529:
	v_readlane_b32 s10, v87, 34
	v_readlane_b32 s12, v87, 36
	;; [unrolled: 1-line block ×4, first 2 shown]
.LBB222_530:
	s_and_b64 s[6:7], s[6:7], exec
	v_writelane_b32 v87, s6, 26
	v_writelane_b32 v87, s7, 27
	s_and_b64 s[6:7], s[12:13], exec
	v_writelane_b32 v87, s6, 19
	v_writelane_b32 v87, s7, 20
	;; [unrolled: 3-line block ×3, first 2 shown]
	v_readlane_b32 s6, v87, 32
	v_readlane_b32 s7, v87, 33
	s_and_b64 s[6:7], s[6:7], exec
	v_writelane_b32 v87, s6, 15
	v_writelane_b32 v87, s7, 16
	s_orn2_b64 s[6:7], s[8:9], exec
.LBB222_531:
	v_readlane_b32 s8, v87, 28
	v_readlane_b32 s9, v87, 29
	s_or_b64 exec, exec, s[8:9]
	s_mov_b64 s[10:11], 0
	s_mov_b64 s[8:9], 0
                                        ; implicit-def: $vgpr1
                                        ; implicit-def: $vgpr2_vgpr3
                                        ; implicit-def: $vgpr42
                                        ; implicit-def: $vgpr0
                                        ; implicit-def: $vgpr4
                                        ; implicit-def: $vgpr6_vgpr7
	s_mov_b64 s[12:13], exec
	v_writelane_b32 v87, s12, 30
	s_and_b64 s[6:7], s[12:13], s[6:7]
	s_mov_b64 s[14:15], 0
	v_writelane_b32 v87, s13, 31
                                        ; implicit-def: $vgpr86 : SGPR spill to VGPR lane
	s_mov_b64 exec, s[6:7]
	s_cbranch_execz .LBB222_1696
; %bb.532:
	v_readlane_b32 s8, v87, 15
	v_readlane_b32 s9, v87, 16
	;; [unrolled: 1-line block ×3, first 2 shown]
	v_writelane_b32 v87, s8, 45
	v_writelane_b32 v87, s9, 46
	v_readlane_b32 s8, v87, 17
	v_readlane_b32 s9, v87, 18
	v_writelane_b32 v87, s8, 47
	v_writelane_b32 v87, s9, 48
	v_readlane_b32 s8, v87, 19
	v_readlane_b32 s9, v87, 20
	v_writelane_b32 v87, s8, 49
	v_writelane_b32 v87, s9, 50
	v_readlane_b32 s96, v87, 26
	v_cmp_gt_i32_e32 vcc, s6, v45
	s_mov_b64 s[6:7], -1
	v_readlane_b32 s97, v87, 27
	s_mov_b64 s[8:9], exec
	v_writelane_b32 v87, s8, 51
	v_writelane_b32 v87, s9, 52
	s_and_b64 s[8:9], s[8:9], vcc
	s_mov_b64 exec, s[8:9]
	s_cbranch_execz .LBB222_1066
; %bb.533:
	s_andn2_b64 vcc, exec, s[44:45]
	s_cbranch_vccnz .LBB222_540
; %bb.534:
	v_readlane_b32 s6, v87, 21
	v_readlane_b32 s7, v87, 22
	s_andn2_b64 vcc, exec, s[6:7]
	s_waitcnt vmcnt(0)
	v_mov_b32_e32 v0, 0
	v_mov_b32_e32 v42, 0
	;; [unrolled: 1-line block ×4, first 2 shown]
	s_cbranch_vccnz .LBB222_539
; %bb.535:
	v_readlane_b32 s23, v87, 23
	s_add_i32 s6, s23, 1
	s_and_b32 s22, s6, 30
	s_add_u32 s6, s56, 0xa4
	s_addc_u32 s7, s57, 0
	v_mov_b32_e32 v2, 0
	s_mov_b64 s[20:21], s[56:57]
	v_mov_b32_e32 v1, v45
	v_mov_b32_e32 v4, 0
	;; [unrolled: 1-line block ×4, first 2 shown]
.LBB222_536:                            ; =>This Inner Loop Header: Depth=1
	s_load_dwordx4 s[16:19], s[20:21], 0x4
	s_load_dwordx2 s[26:27], s[20:21], 0x14
	s_mov_b64 s[24:25], s[6:7]
	s_load_dwordx8 s[8:15], s[24:25], 0x20
	s_add_u32 s6, s24, 32
	s_waitcnt lgkmcnt(0)
	v_mul_hi_u32 v3, s17, v1
	v_add_u32_e32 v3, v1, v3
	v_lshrrev_b32_e32 v3, s18, v3
	v_mul_lo_u32 v5, v3, s16
	v_mul_hi_u32 v6, s26, v3
	v_sub_u32_e32 v1, v1, v5
	v_add_u32_e32 v5, v3, v6
	v_mul_lo_u32 v6, v1, s8
	v_mul_lo_u32 v7, v1, s9
	;; [unrolled: 1-line block ×4, first 2 shown]
	v_lshrrev_b32_e32 v1, s27, v5
	s_addc_u32 s7, s25, 0
	v_mul_lo_u32 v5, v1, s19
	s_add_u32 s20, s20, 24
	v_sub_u32_e32 v3, v3, v5
	s_addc_u32 s21, s21, 0
	s_add_i32 s22, s22, -2
	v_mul_lo_u32 v5, v3, s12
	v_mul_lo_u32 v10, v3, s13
	;; [unrolled: 1-line block ×4, first 2 shown]
	s_cmp_eq_u32 s22, 0
	v_add3_u32 v0, v7, v0, v10
	v_add3_u32 v42, v6, v42, v5
	;; [unrolled: 1-line block ×4, first 2 shown]
	s_cbranch_scc0 .LBB222_536
; %bb.537:
	s_bitcmp1_b32 s23, 0
	s_cselect_b64 s[8:9], -1, 0
	s_and_b64 vcc, exec, s[8:9]
	s_cbranch_vccnz .LBB222_539
; %bb.538:
	s_load_dwordx2 s[12:13], s[20:21], 0x4
	s_load_dword s14, s[20:21], 0xc
	s_load_dwordx4 s[8:11], s[6:7], 0x20
	s_waitcnt lgkmcnt(0)
	v_mul_hi_u32 v3, s13, v1
	v_add_u32_e32 v3, v1, v3
	v_lshrrev_b32_e32 v3, s14, v3
	v_mul_lo_u32 v3, v3, s12
	v_sub_u32_e32 v5, v1, v3
	v_mad_u64_u32 v[42:43], s[6:7], v5, s8, v[42:43]
	v_mad_u64_u32 v[0:1], s[6:7], v5, s9, v[0:1]
	;; [unrolled: 1-line block ×4, first 2 shown]
.LBB222_539:
	s_cbranch_execz .LBB222_541
	s_branch .LBB222_543
.LBB222_540:
                                        ; implicit-def: $vgpr0
                                        ; implicit-def: $vgpr42
                                        ; implicit-def: $vgpr4
                                        ; implicit-def: $vgpr2
	s_andn2_b64 vcc, exec, s[6:7]
	s_cbranch_vccnz .LBB222_543
.LBB222_541:
	v_readlane_b32 s16, v87, 0
	v_readlane_b32 s17, v87, 1
	s_waitcnt vmcnt(0)
	v_mul_hi_u32 v0, s17, v45
	v_readlane_b32 s18, v87, 2
	v_add_u32_e32 v0, v45, v0
	v_lshrrev_b32_e32 v1, s18, v0
	v_mul_lo_u32 v0, v1, s16
	v_readlane_b32 s8, v87, 6
	v_readlane_b32 s6, v87, 24
	v_sub_u32_e32 v2, v45, v0
	v_readlane_b32 s9, v87, 7
	v_readlane_b32 s10, v87, 8
	;; [unrolled: 1-line block ×9, first 2 shown]
	v_mul_lo_u32 v0, v2, s9
	v_mul_lo_u32 v42, v2, s8
	;; [unrolled: 1-line block ×3, first 2 shown]
	s_andn2_b64 vcc, exec, s[6:7]
	v_mul_lo_u32 v2, v2, s10
	s_cbranch_vccnz .LBB222_543
; %bb.542:
	v_readlane_b32 s6, v87, 4
	v_mul_hi_u32 v3, s6, v1
	v_readlane_b32 s7, v87, 5
	v_add_u32_e32 v3, v1, v3
	v_lshrrev_b32_e32 v3, s7, v3
	v_mul_lo_u32 v3, v3, s19
	v_sub_u32_e32 v5, v1, v3
	v_mad_u64_u32 v[42:43], s[6:7], v5, s12, v[42:43]
	v_mad_u64_u32 v[0:1], s[6:7], v5, s13, v[0:1]
	;; [unrolled: 1-line block ×4, first 2 shown]
.LBB222_543:
	s_waitcnt vmcnt(0)
	v_mov_b32_e32 v1, s91
	v_add_co_u32_e32 v6, vcc, s90, v0
	v_mov_b32_e32 v0, 11
	v_addc_co_u32_e32 v7, vcc, 0, v1, vcc
	v_cmp_lt_i16_sdwa s[6:7], v46, v0 src0_sel:BYTE_0 src1_sel:DWORD
	s_and_b64 vcc, exec, s[6:7]
	s_cbranch_vccnz .LBB222_550
; %bb.544:
	v_mov_b32_e32 v0, 25
	v_cmp_gt_i16_sdwa s[6:7], v46, v0 src0_sel:BYTE_0 src1_sel:DWORD
	s_and_b64 vcc, exec, s[6:7]
	s_cbranch_vccz .LBB222_559
; %bb.545:
	v_mov_b32_e32 v0, 28
	v_cmp_gt_i16_sdwa s[6:7], v46, v0 src0_sel:BYTE_0 src1_sel:DWORD
	s_and_b64 vcc, exec, s[6:7]
	s_cbranch_vccz .LBB222_561
	;; [unrolled: 5-line block ×4, first 2 shown]
; %bb.548:
	v_mov_b32_e32 v0, 46
	v_cmp_eq_u16_sdwa s[6:7], v46, v0 src0_sel:BYTE_0 src1_sel:DWORD
	s_mov_b64 s[8:9], 0
	s_and_b64 vcc, exec, s[6:7]
	s_cbranch_vccz .LBB222_567
; %bb.549:
	global_load_dword v0, v[6:7], off
	s_mov_b64 s[10:11], 0
	v_writelane_b32 v87, s10, 55
	s_mov_b64 s[6:7], -1
	v_writelane_b32 v87, s11, 56
	s_waitcnt vmcnt(0)
	v_lshlrev_b32_e32 v0, 16, v0
	v_cvt_f64_f32_e32 v[0:1], v0
	s_branch .LBB222_568
.LBB222_550:
	v_readlane_b32 s10, v87, 15
	v_readlane_b32 s11, v87, 16
	v_writelane_b32 v87, s10, 55
	s_mov_b64 s[6:7], 0
                                        ; implicit-def: $vgpr0_vgpr1
	v_writelane_b32 v87, s11, 56
	s_cbranch_execnz .LBB222_634
.LBB222_551:
	s_andn2_b64 vcc, exec, s[6:7]
	s_cbranch_vccnz .LBB222_682
.LBB222_552:
	v_mov_b32_e32 v3, s93
	v_add_co_u32_e32 v6, vcc, s92, v2
	s_movk_i32 s6, 0xff
	v_addc_co_u32_e32 v7, vcc, 0, v3, vcc
	v_and_b32_sdwa v5, v41, s6 dst_sel:DWORD dst_unused:UNUSED_PAD src0_sel:WORD_1 src1_sel:DWORD
	v_cmp_gt_i16_e32 vcc, 11, v5
	s_cbranch_vccnz .LBB222_560
; %bb.553:
	v_cmp_lt_i16_e32 vcc, 25, v5
	s_cbranch_vccz .LBB222_562
; %bb.554:
	v_cmp_lt_i16_e32 vcc, 28, v5
	s_cbranch_vccz .LBB222_564
	;; [unrolled: 3-line block ×4, first 2 shown]
; %bb.557:
	v_cmp_eq_u16_e32 vcc, 46, v5
	s_mov_b64 s[8:9], 0
	s_cbranch_vccz .LBB222_685
; %bb.558:
	global_load_dword v2, v[6:7], off
	s_mov_b64 s[10:11], 0
	v_writelane_b32 v87, s10, 57
	s_mov_b64 s[6:7], -1
	v_writelane_b32 v87, s11, 58
	s_waitcnt vmcnt(0)
	v_lshlrev_b32_e32 v2, 16, v2
	v_cvt_f64_f32_e32 v[2:3], v2
	s_branch .LBB222_686
.LBB222_559:
	v_readlane_b32 s10, v87, 15
	v_readlane_b32 s11, v87, 16
	s_mov_b64 s[8:9], -1
	s_mov_b64 s[6:7], 0
	v_writelane_b32 v87, s10, 55
                                        ; implicit-def: $vgpr0_vgpr1
	v_writelane_b32 v87, s11, 56
	s_branch .LBB222_598
.LBB222_560:
	v_readlane_b32 s10, v87, 17
	v_readlane_b32 s11, v87, 18
	v_writelane_b32 v87, s10, 57
	s_mov_b64 s[8:9], -1
	s_mov_b64 s[6:7], 0
                                        ; implicit-def: $vgpr2_vgpr3
	v_writelane_b32 v87, s11, 58
	s_branch .LBB222_754
.LBB222_561:
	v_readlane_b32 s10, v87, 15
	v_readlane_b32 s11, v87, 16
	s_mov_b64 s[8:9], -1
	s_mov_b64 s[6:7], 0
	v_writelane_b32 v87, s10, 55
                                        ; implicit-def: $vgpr0_vgpr1
	v_writelane_b32 v87, s11, 56
	s_branch .LBB222_579
.LBB222_562:
	v_readlane_b32 s10, v87, 17
	v_readlane_b32 s11, v87, 18
	s_mov_b64 s[8:9], -1
	s_mov_b64 s[6:7], 0
	v_writelane_b32 v87, s10, 57
                                        ; implicit-def: $vgpr2_vgpr3
	v_writelane_b32 v87, s11, 58
	s_branch .LBB222_717
.LBB222_563:
	v_readlane_b32 s10, v87, 15
	v_readlane_b32 s11, v87, 16
	s_mov_b64 s[8:9], -1
	s_mov_b64 s[6:7], 0
	v_writelane_b32 v87, s10, 55
                                        ; implicit-def: $vgpr0_vgpr1
	v_writelane_b32 v87, s11, 56
	s_branch .LBB222_574
.LBB222_564:
	v_readlane_b32 s10, v87, 17
	v_readlane_b32 s11, v87, 18
	s_mov_b64 s[8:9], -1
	s_mov_b64 s[6:7], 0
	v_writelane_b32 v87, s10, 57
                                        ; implicit-def: $vgpr2_vgpr3
	v_writelane_b32 v87, s11, 58
	s_branch .LBB222_698
.LBB222_565:
	v_readlane_b32 s10, v87, 15
	v_readlane_b32 s11, v87, 16
	s_mov_b64 s[8:9], -1
	s_mov_b64 s[6:7], 0
	v_writelane_b32 v87, s10, 55
	v_writelane_b32 v87, s11, 56
                                        ; implicit-def: $vgpr0_vgpr1
	s_branch .LBB222_568
.LBB222_566:
	v_readlane_b32 s10, v87, 17
	v_readlane_b32 s11, v87, 18
	s_mov_b64 s[8:9], -1
	s_mov_b64 s[6:7], 0
	v_writelane_b32 v87, s10, 57
                                        ; implicit-def: $vgpr2_vgpr3
	v_writelane_b32 v87, s11, 58
	s_branch .LBB222_692
.LBB222_567:
	s_mov_b64 s[6:7], -1
	v_writelane_b32 v87, s6, 55
	v_writelane_b32 v87, s7, 56
                                        ; implicit-def: $vgpr0_vgpr1
	s_mov_b64 s[6:7], 0
.LBB222_568:
	s_and_b64 vcc, exec, s[8:9]
	s_cbranch_vccz .LBB222_573
; %bb.569:
	v_mov_b32_e32 v0, 44
	v_cmp_eq_u16_sdwa s[8:9], v46, v0 src0_sel:BYTE_0 src1_sel:DWORD
	s_and_b64 vcc, exec, s[8:9]
	s_cbranch_vccz .LBB222_572
; %bb.570:
	global_load_ubyte v3, v[6:7], off
	s_movk_i32 s8, 0xff
	v_bfrev_b32_e32 v5, 4
	v_mov_b32_e32 v8, 0x7ff80000
	v_bfrev_b32_e32 v9, 28
	s_mov_b64 s[6:7], -1
	s_waitcnt vmcnt(0)
	v_lshlrev_b32_e32 v0, 23, v3
	v_cvt_f64_f32_e32 v[0:1], v0
	v_cmp_ne_u32_e32 vcc, s8, v3
	v_cndmask_b32_e32 v0, v5, v0, vcc
	v_cndmask_b32_e32 v1, v8, v1, vcc
	v_cmp_ne_u32_e32 vcc, 0, v3
	s_mov_b64 s[8:9], 0
	v_cndmask_b32_e32 v1, v9, v1, vcc
	v_cndmask_b32_e32 v0, 0, v0, vcc
	v_writelane_b32 v87, s8, 55
	v_writelane_b32 v87, s9, 56
	s_branch .LBB222_573
.LBB222_571:
	v_readlane_b32 s10, v87, 17
	v_readlane_b32 s11, v87, 18
	s_mov_b64 s[8:9], -1
	s_mov_b64 s[6:7], 0
	v_writelane_b32 v87, s10, 57
	v_writelane_b32 v87, s11, 58
                                        ; implicit-def: $vgpr2_vgpr3
	s_branch .LBB222_686
.LBB222_572:
	s_mov_b64 s[8:9], -1
	v_writelane_b32 v87, s8, 55
	v_writelane_b32 v87, s9, 56
                                        ; implicit-def: $vgpr0_vgpr1
.LBB222_573:
	s_mov_b64 s[8:9], 0
.LBB222_574:
	s_and_b64 vcc, exec, s[8:9]
	s_cbranch_vccz .LBB222_578
; %bb.575:
	v_mov_b32_e32 v0, 29
	v_cmp_eq_u16_sdwa s[8:9], v46, v0 src0_sel:BYTE_0 src1_sel:DWORD
	s_and_b64 vcc, exec, s[8:9]
	s_cbranch_vccz .LBB222_577
; %bb.576:
	global_load_dwordx2 v[0:1], v[6:7], off
	s_mov_b64 s[8:9], 0
	v_writelane_b32 v87, s8, 55
	s_mov_b64 s[6:7], -1
	v_writelane_b32 v87, s9, 56
	s_mov_b64 s[8:9], 0
	s_waitcnt vmcnt(0)
	v_cvt_f64_u32_e32 v[8:9], v1
	v_cvt_f64_u32_e32 v[0:1], v0
	v_ldexp_f64 v[8:9], v[8:9], 32
	v_add_f64 v[0:1], v[8:9], v[0:1]
	s_branch .LBB222_579
.LBB222_577:
	s_mov_b64 s[8:9], -1
	v_writelane_b32 v87, s8, 55
	v_writelane_b32 v87, s9, 56
                                        ; implicit-def: $vgpr0_vgpr1
.LBB222_578:
	s_mov_b64 s[8:9], 0
.LBB222_579:
	s_and_b64 vcc, exec, s[8:9]
	s_cbranch_vccz .LBB222_597
; %bb.580:
	v_mov_b32_e32 v0, 27
	v_cmp_lt_i16_sdwa s[6:7], v46, v0 src0_sel:BYTE_0 src1_sel:DWORD
	s_and_b64 vcc, exec, s[6:7]
	s_cbranch_vccnz .LBB222_583
; %bb.581:
	v_cmp_gt_i16_sdwa s[6:7], v46, v0 src0_sel:BYTE_0 src1_sel:DWORD
	s_and_b64 vcc, exec, s[6:7]
	s_cbranch_vccz .LBB222_584
; %bb.582:
	global_load_dword v0, v[6:7], off
	s_mov_b64 s[6:7], 0
	s_waitcnt vmcnt(0)
	v_cvt_f64_u32_e32 v[0:1], v0
	s_branch .LBB222_585
.LBB222_583:
	s_mov_b64 s[6:7], -1
                                        ; implicit-def: $vgpr0_vgpr1
	s_branch .LBB222_588
.LBB222_584:
	s_mov_b64 s[6:7], -1
                                        ; implicit-def: $vgpr0_vgpr1
.LBB222_585:
	s_andn2_b64 vcc, exec, s[6:7]
	s_cbranch_vccnz .LBB222_587
; %bb.586:
	global_load_ushort v0, v[6:7], off
	s_waitcnt vmcnt(0)
	v_cvt_f64_u32_e32 v[0:1], v0
.LBB222_587:
	s_mov_b64 s[6:7], 0
.LBB222_588:
	s_andn2_b64 vcc, exec, s[6:7]
	s_cbranch_vccnz .LBB222_596
; %bb.589:
	global_load_ubyte v3, v[6:7], off
	s_movk_i32 s6, 0x7f
                                        ; implicit-def: $sgpr8_sgpr9
	s_waitcnt vmcnt(0)
	v_cmp_lt_i16_e32 vcc, s6, v3
	s_mov_b64 s[6:7], 0
	s_and_saveexec_b64 s[10:11], vcc
	s_xor_b64 s[10:11], exec, s[10:11]
	s_cbranch_execz .LBB222_610
; %bb.590:
	s_movk_i32 s6, 0x80
	v_cmp_eq_u16_e32 vcc, s6, v3
	s_mov_b64 s[12:13], -1
                                        ; implicit-def: $sgpr8_sgpr9
	s_and_saveexec_b64 s[6:7], vcc
; %bb.591:
	s_mov_b32 s9, 0x7ff80000
	s_brev_b32 s8, 4
	s_xor_b64 s[12:13], exec, -1
; %bb.592:
	s_or_b64 exec, exec, s[6:7]
	s_and_b64 s[6:7], s[12:13], exec
	s_or_saveexec_b64 s[10:11], s[10:11]
	v_pk_mov_b32 v[0:1], s[8:9], s[8:9] op_sel:[0,1]
	s_xor_b64 exec, exec, s[10:11]
	s_cbranch_execnz .LBB222_611
.LBB222_593:
	s_or_b64 exec, exec, s[10:11]
	s_and_saveexec_b64 s[8:9], s[6:7]
	s_cbranch_execz .LBB222_595
.LBB222_594:
	v_and_b32_e32 v1, 0xffff, v3
	v_lshlrev_b32_e32 v0, 24, v3
	v_and_b32_e32 v3, 7, v1
	v_ffbh_u32_e32 v8, v3
	v_min_u32_e32 v8, 32, v8
	v_subrev_u32_e32 v9, 28, v8
	v_bfe_u32 v5, v1, 3, 4
	v_lshlrev_b32_e32 v1, v9, v1
	v_sub_u32_e32 v8, 29, v8
	v_and_b32_e32 v1, 7, v1
	v_cmp_eq_u32_e32 vcc, 0, v5
	v_cndmask_b32_e32 v5, v5, v8, vcc
	v_cndmask_b32_e32 v1, v3, v1, vcc
	v_mov_b32_e32 v3, 0x3b800000
	v_lshlrev_b32_e32 v1, 20, v1
	v_and_b32_e32 v0, 0x80000000, v0
	v_lshl_add_u32 v3, v5, 23, v3
	v_or3_b32 v0, v0, v3, v1
	v_cvt_f64_f32_e32 v[0:1], v0
.LBB222_595:
	s_or_b64 exec, exec, s[8:9]
.LBB222_596:
	s_mov_b64 s[6:7], -1
.LBB222_597:
	s_mov_b64 s[8:9], 0
.LBB222_598:
	s_and_b64 vcc, exec, s[8:9]
	s_cbranch_vccz .LBB222_633
; %bb.599:
	v_mov_b32_e32 v0, 22
	v_cmp_gt_i16_sdwa s[8:9], v46, v0 src0_sel:BYTE_0 src1_sel:DWORD
	s_and_b64 vcc, exec, s[8:9]
	s_cbranch_vccz .LBB222_609
; %bb.600:
	v_mov_b32_e32 v0, 24
	v_cmp_lt_i16_sdwa s[6:7], v46, v0 src0_sel:BYTE_0 src1_sel:DWORD
	s_and_b64 vcc, exec, s[6:7]
	s_cbranch_vccnz .LBB222_612
; %bb.601:
	v_cmp_gt_i16_sdwa s[6:7], v46, v0 src0_sel:BYTE_0 src1_sel:DWORD
	s_and_b64 vcc, exec, s[6:7]
	s_cbranch_vccz .LBB222_613
; %bb.602:
	global_load_ubyte v3, v[6:7], off
	s_movk_i32 s6, 0x7f
                                        ; implicit-def: $sgpr8_sgpr9
	s_waitcnt vmcnt(0)
	v_cmp_lt_i16_e32 vcc, s6, v3
	s_mov_b64 s[6:7], 0
	s_and_saveexec_b64 s[10:11], vcc
	s_xor_b64 s[10:11], exec, s[10:11]
	s_cbranch_execz .LBB222_625
; %bb.603:
	s_movk_i32 s6, 0x80
	v_cmp_eq_u16_e32 vcc, s6, v3
	s_mov_b64 s[12:13], -1
                                        ; implicit-def: $sgpr8_sgpr9
	s_and_saveexec_b64 s[6:7], vcc
; %bb.604:
	s_mov_b32 s9, 0x7ff80000
	s_brev_b32 s8, 4
	s_xor_b64 s[12:13], exec, -1
; %bb.605:
	s_or_b64 exec, exec, s[6:7]
	s_and_b64 s[6:7], s[12:13], exec
	s_or_saveexec_b64 s[10:11], s[10:11]
	v_pk_mov_b32 v[0:1], s[8:9], s[8:9] op_sel:[0,1]
	s_xor_b64 exec, exec, s[10:11]
	s_cbranch_execnz .LBB222_626
.LBB222_606:
	s_or_b64 exec, exec, s[10:11]
	s_and_saveexec_b64 s[8:9], s[6:7]
	s_cbranch_execz .LBB222_608
.LBB222_607:
	v_and_b32_e32 v1, 0xffff, v3
	v_lshlrev_b32_e32 v0, 24, v3
	v_and_b32_e32 v3, 3, v1
	v_ffbh_u32_e32 v8, v3
	v_min_u32_e32 v8, 32, v8
	v_subrev_u32_e32 v9, 29, v8
	v_bfe_u32 v5, v1, 2, 5
	v_lshlrev_b32_e32 v1, v9, v1
	v_sub_u32_e32 v8, 30, v8
	v_and_b32_e32 v1, 3, v1
	v_cmp_eq_u32_e32 vcc, 0, v5
	v_cndmask_b32_e32 v5, v5, v8, vcc
	v_cndmask_b32_e32 v1, v3, v1, vcc
	v_mov_b32_e32 v3, 0x37800000
	v_lshlrev_b32_e32 v1, 21, v1
	v_and_b32_e32 v0, 0x80000000, v0
	v_lshl_add_u32 v3, v5, 23, v3
	v_or3_b32 v0, v0, v3, v1
	v_cvt_f64_f32_e32 v[0:1], v0
.LBB222_608:
	s_or_b64 exec, exec, s[8:9]
	s_mov_b64 s[6:7], 0
	s_branch .LBB222_614
.LBB222_609:
	s_mov_b64 s[8:9], -1
                                        ; implicit-def: $vgpr0_vgpr1
	s_branch .LBB222_620
.LBB222_610:
	s_or_saveexec_b64 s[10:11], s[10:11]
	v_pk_mov_b32 v[0:1], s[8:9], s[8:9] op_sel:[0,1]
	s_xor_b64 exec, exec, s[10:11]
	s_cbranch_execz .LBB222_593
.LBB222_611:
	v_cmp_ne_u16_e32 vcc, 0, v3
	s_andn2_b64 s[6:7], s[6:7], exec
	s_and_b64 s[8:9], vcc, exec
	v_pk_mov_b32 v[0:1], 0, 0
	s_or_b64 s[6:7], s[6:7], s[8:9]
	s_or_b64 exec, exec, s[10:11]
	s_and_saveexec_b64 s[8:9], s[6:7]
	s_cbranch_execnz .LBB222_594
	s_branch .LBB222_595
.LBB222_612:
	s_mov_b64 s[6:7], -1
                                        ; implicit-def: $vgpr0_vgpr1
	s_branch .LBB222_617
.LBB222_613:
	s_mov_b64 s[6:7], -1
                                        ; implicit-def: $vgpr0_vgpr1
.LBB222_614:
	s_and_b64 vcc, exec, s[6:7]
	s_cbranch_vccz .LBB222_616
; %bb.615:
	global_load_ubyte v0, v[6:7], off
	s_mov_b32 s6, 0x7f800000
	s_waitcnt vmcnt(0)
	v_lshlrev_b32_e32 v0, 24, v0
	v_and_b32_e32 v1, 0x7f000000, v0
	v_ffbh_u32_e32 v3, v1
	v_min_u32_e32 v3, 32, v3
	v_sub_u32_e64 v3, v3, 4 clamp
	v_lshlrev_b32_e32 v8, v3, v1
	v_lshlrev_b32_e32 v3, 23, v3
	v_lshrrev_b32_e32 v8, 4, v8
	v_add_u32_e32 v5, 0x1000000, v1
	v_sub_u32_e32 v3, v8, v3
	v_ashrrev_i32_e32 v5, 8, v5
	v_add_u32_e32 v3, 0x3c000000, v3
	v_and_or_b32 v3, v5, s6, v3
	v_cmp_ne_u32_e32 vcc, 0, v1
	v_cndmask_b32_e32 v1, 0, v3, vcc
	s_brev_b32 s6, 1
	v_and_or_b32 v0, v0, s6, v1
	v_cvt_f64_f32_e32 v[0:1], v0
.LBB222_616:
	s_mov_b64 s[6:7], 0
.LBB222_617:
	s_andn2_b64 vcc, exec, s[6:7]
	s_cbranch_vccnz .LBB222_619
; %bb.618:
	global_load_ubyte v0, v[6:7], off
	s_movk_i32 s6, 0x7f00
	s_brev_b32 s7, 16
	s_waitcnt vmcnt(0)
	v_lshlrev_b16_e32 v1, 8, v0
	v_lshlrev_b32_e32 v0, 25, v0
	v_lshrrev_b32_e32 v3, 4, v0
	v_and_or_b32 v5, v1, s6, 0.5
	v_or_b32_e32 v3, 0x70000000, v3
	v_add_f32_e32 v5, -0.5, v5
	v_mul_f32_e32 v3, 0x7800000, v3
	v_cmp_gt_u32_e32 vcc, s7, v0
	v_bfe_i32 v1, v1, 0, 16
	v_cndmask_b32_e32 v0, v3, v5, vcc
	s_brev_b32 s6, 1
	v_and_or_b32 v0, v1, s6, v0
	v_cvt_f64_f32_e32 v[0:1], v0
.LBB222_619:
	s_mov_b64 s[8:9], 0
	s_mov_b64 s[6:7], -1
.LBB222_620:
	s_andn2_b64 vcc, exec, s[8:9]
	s_cbranch_vccnz .LBB222_633
; %bb.621:
	v_mov_b32_e32 v0, 14
	v_cmp_gt_i16_sdwa s[8:9], v46, v0 src0_sel:BYTE_0 src1_sel:DWORD
	s_and_b64 vcc, exec, s[8:9]
	s_cbranch_vccz .LBB222_624
; %bb.622:
	v_mov_b32_e32 v0, 15
	v_cmp_eq_u16_sdwa s[8:9], v46, v0 src0_sel:BYTE_0 src1_sel:DWORD
	s_and_b64 vcc, exec, s[8:9]
	s_cbranch_vccz .LBB222_627
; %bb.623:
	global_load_ushort v0, v[6:7], off
	s_mov_b64 s[8:9], 0
	v_writelane_b32 v87, s8, 55
	s_mov_b64 s[6:7], -1
	v_writelane_b32 v87, s9, 56
	s_waitcnt vmcnt(0)
	v_lshlrev_b32_e32 v0, 16, v0
	v_cvt_f64_f32_e32 v[0:1], v0
	s_branch .LBB222_628
.LBB222_624:
	s_mov_b64 s[8:9], -1
                                        ; implicit-def: $vgpr0_vgpr1
	s_branch .LBB222_629
.LBB222_625:
	s_or_saveexec_b64 s[10:11], s[10:11]
	v_pk_mov_b32 v[0:1], s[8:9], s[8:9] op_sel:[0,1]
	s_xor_b64 exec, exec, s[10:11]
	s_cbranch_execz .LBB222_606
.LBB222_626:
	v_cmp_ne_u16_e32 vcc, 0, v3
	s_andn2_b64 s[6:7], s[6:7], exec
	s_and_b64 s[8:9], vcc, exec
	v_pk_mov_b32 v[0:1], 0, 0
	s_or_b64 s[6:7], s[6:7], s[8:9]
	s_or_b64 exec, exec, s[10:11]
	s_and_saveexec_b64 s[8:9], s[6:7]
	s_cbranch_execnz .LBB222_607
	s_branch .LBB222_608
.LBB222_627:
	s_mov_b64 s[8:9], -1
	v_writelane_b32 v87, s8, 55
	v_writelane_b32 v87, s9, 56
                                        ; implicit-def: $vgpr0_vgpr1
.LBB222_628:
	s_mov_b64 s[8:9], 0
.LBB222_629:
	s_and_b64 vcc, exec, s[8:9]
	s_cbranch_vccz .LBB222_633
; %bb.630:
	v_mov_b32_e32 v0, 11
	v_cmp_eq_u16_sdwa s[8:9], v46, v0 src0_sel:BYTE_0 src1_sel:DWORD
	s_and_b64 vcc, exec, s[8:9]
	s_cbranch_vccz .LBB222_632
; %bb.631:
	global_load_ubyte v1, v[6:7], off
	v_mov_b32_e32 v3, 0x3ff00000
	s_mov_b64 s[8:9], 0
	v_mov_b32_e32 v0, 0
	s_mov_b64 s[6:7], -1
	v_writelane_b32 v87, s8, 55
	v_writelane_b32 v87, s9, 56
	s_waitcnt vmcnt(0)
	v_cmp_ne_u16_e32 vcc, 0, v1
	v_cndmask_b32_e32 v1, 0, v3, vcc
	s_branch .LBB222_633
.LBB222_632:
	s_mov_b64 s[8:9], -1
	v_writelane_b32 v87, s8, 55
	v_writelane_b32 v87, s9, 56
                                        ; implicit-def: $vgpr0_vgpr1
.LBB222_633:
	s_branch .LBB222_551
.LBB222_634:
	v_mov_b32_e32 v0, 5
	v_cmp_lt_i16_sdwa s[6:7], v46, v0 src0_sel:BYTE_0 src1_sel:DWORD
	s_and_b64 vcc, exec, s[6:7]
	s_cbranch_vccnz .LBB222_639
; %bb.635:
	v_mov_b32_e32 v0, 8
	v_cmp_lt_i16_sdwa s[6:7], v46, v0 src0_sel:BYTE_0 src1_sel:DWORD
	s_and_b64 vcc, exec, s[6:7]
	s_cbranch_vccnz .LBB222_640
; %bb.636:
	;; [unrolled: 5-line block ×3, first 2 shown]
	v_cmp_gt_i16_sdwa s[6:7], v46, v0 src0_sel:BYTE_0 src1_sel:DWORD
	s_and_b64 vcc, exec, s[6:7]
	s_cbranch_vccz .LBB222_642
; %bb.638:
	global_load_dwordx2 v[0:1], v[6:7], off
	s_mov_b64 s[6:7], 0
	s_branch .LBB222_643
.LBB222_639:
	s_mov_b64 s[6:7], -1
                                        ; implicit-def: $vgpr0_vgpr1
	s_branch .LBB222_661
.LBB222_640:
	s_mov_b64 s[6:7], -1
                                        ; implicit-def: $vgpr0_vgpr1
	s_branch .LBB222_649
.LBB222_641:
	s_mov_b64 s[6:7], -1
                                        ; implicit-def: $vgpr0_vgpr1
	s_branch .LBB222_646
.LBB222_642:
	s_mov_b64 s[6:7], -1
                                        ; implicit-def: $vgpr0_vgpr1
.LBB222_643:
	s_andn2_b64 vcc, exec, s[6:7]
	s_cbranch_vccnz .LBB222_645
; %bb.644:
	global_load_dword v0, v[6:7], off
	s_waitcnt vmcnt(0)
	v_cvt_f64_f32_e32 v[0:1], v0
.LBB222_645:
	s_mov_b64 s[6:7], 0
.LBB222_646:
	s_andn2_b64 vcc, exec, s[6:7]
	s_cbranch_vccnz .LBB222_648
; %bb.647:
	global_load_dword v0, v[6:7], off
	s_waitcnt vmcnt(0)
	v_cvt_f32_f16_e32 v0, v0
	v_cvt_f64_f32_e32 v[0:1], v0
.LBB222_648:
	s_mov_b64 s[6:7], 0
.LBB222_649:
	s_andn2_b64 vcc, exec, s[6:7]
	s_cbranch_vccnz .LBB222_660
; %bb.650:
	s_waitcnt vmcnt(0)
	v_mov_b32_e32 v0, 6
	v_cmp_lt_i16_sdwa s[6:7], v46, v0 src0_sel:BYTE_0 src1_sel:DWORD
	s_and_b64 vcc, exec, s[6:7]
	s_cbranch_vccnz .LBB222_653
; %bb.651:
	v_cmp_gt_i16_sdwa s[6:7], v46, v0 src0_sel:BYTE_0 src1_sel:DWORD
	s_and_b64 vcc, exec, s[6:7]
	s_cbranch_vccz .LBB222_654
; %bb.652:
	global_load_dwordx2 v[0:1], v[6:7], off
	s_mov_b64 s[6:7], 0
	s_branch .LBB222_655
.LBB222_653:
	s_mov_b64 s[6:7], -1
                                        ; implicit-def: $vgpr0_vgpr1
	s_branch .LBB222_658
.LBB222_654:
	s_mov_b64 s[6:7], -1
                                        ; implicit-def: $vgpr0_vgpr1
.LBB222_655:
	s_andn2_b64 vcc, exec, s[6:7]
	s_cbranch_vccnz .LBB222_657
; %bb.656:
	global_load_dword v0, v[6:7], off
	s_waitcnt vmcnt(0)
	v_cvt_f64_f32_e32 v[0:1], v0
.LBB222_657:
	s_mov_b64 s[6:7], 0
.LBB222_658:
	s_andn2_b64 vcc, exec, s[6:7]
	s_cbranch_vccnz .LBB222_660
; %bb.659:
	global_load_ushort v0, v[6:7], off
	s_waitcnt vmcnt(0)
	v_cvt_f32_f16_e32 v0, v0
	v_cvt_f64_f32_e32 v[0:1], v0
.LBB222_660:
	s_mov_b64 s[6:7], 0
.LBB222_661:
	s_andn2_b64 vcc, exec, s[6:7]
	s_cbranch_vccnz .LBB222_681
; %bb.662:
	s_waitcnt vmcnt(0)
	v_mov_b32_e32 v0, 2
	v_cmp_lt_i16_sdwa s[6:7], v46, v0 src0_sel:BYTE_0 src1_sel:DWORD
	s_and_b64 vcc, exec, s[6:7]
	s_cbranch_vccnz .LBB222_666
; %bb.663:
	v_mov_b32_e32 v0, 3
	v_cmp_lt_i16_sdwa s[6:7], v46, v0 src0_sel:BYTE_0 src1_sel:DWORD
	s_and_b64 vcc, exec, s[6:7]
	s_cbranch_vccnz .LBB222_667
; %bb.664:
	v_cmp_gt_i16_sdwa s[6:7], v46, v0 src0_sel:BYTE_0 src1_sel:DWORD
	s_and_b64 vcc, exec, s[6:7]
	s_cbranch_vccz .LBB222_668
; %bb.665:
	global_load_dwordx2 v[0:1], v[6:7], off
	s_mov_b64 s[6:7], 0
	s_waitcnt vmcnt(0)
	v_cvt_f64_i32_e32 v[8:9], v1
	v_cvt_f64_u32_e32 v[0:1], v0
	v_ldexp_f64 v[8:9], v[8:9], 32
	v_add_f64 v[0:1], v[8:9], v[0:1]
	s_branch .LBB222_669
.LBB222_666:
	s_mov_b64 s[6:7], -1
                                        ; implicit-def: $vgpr0_vgpr1
	s_branch .LBB222_675
.LBB222_667:
	s_mov_b64 s[6:7], -1
                                        ; implicit-def: $vgpr0_vgpr1
	s_branch .LBB222_672
.LBB222_668:
	s_mov_b64 s[6:7], -1
                                        ; implicit-def: $vgpr0_vgpr1
.LBB222_669:
	s_andn2_b64 vcc, exec, s[6:7]
	s_cbranch_vccnz .LBB222_671
; %bb.670:
	global_load_dword v0, v[6:7], off
	s_waitcnt vmcnt(0)
	v_cvt_f64_i32_e32 v[0:1], v0
.LBB222_671:
	s_mov_b64 s[6:7], 0
.LBB222_672:
	s_andn2_b64 vcc, exec, s[6:7]
	s_cbranch_vccnz .LBB222_674
; %bb.673:
	global_load_sshort v0, v[6:7], off
	s_waitcnt vmcnt(0)
	v_cvt_f64_i32_e32 v[0:1], v0
.LBB222_674:
	s_mov_b64 s[6:7], 0
.LBB222_675:
	s_andn2_b64 vcc, exec, s[6:7]
	s_cbranch_vccnz .LBB222_681
; %bb.676:
	v_mov_b32_e32 v0, 0
	v_cmp_gt_i16_sdwa s[6:7], v46, v0 src0_sel:BYTE_0 src1_sel:DWORD
	s_and_b64 vcc, exec, s[6:7]
	s_cbranch_vccz .LBB222_678
; %bb.677:
	global_load_sbyte v0, v[6:7], off
	s_mov_b64 s[6:7], 0
	s_waitcnt vmcnt(0)
	v_cvt_f64_i32_e32 v[0:1], v0
	s_branch .LBB222_679
.LBB222_678:
	s_mov_b64 s[6:7], -1
                                        ; implicit-def: $vgpr0_vgpr1
.LBB222_679:
	s_andn2_b64 vcc, exec, s[6:7]
	s_cbranch_vccnz .LBB222_681
; %bb.680:
	global_load_ubyte v0, v[6:7], off
	s_waitcnt vmcnt(0)
	v_cvt_f64_u32_e32 v[0:1], v0
.LBB222_681:
	s_branch .LBB222_552
.LBB222_682:
	v_readlane_b32 s10, v87, 26
	v_readlane_b32 s12, v87, 19
	;; [unrolled: 1-line block ×6, first 2 shown]
	s_mov_b64 s[8:9], 0
	s_mov_b64 s[6:7], s[10:11]
	;; [unrolled: 1-line block ×4, first 2 shown]
                                        ; implicit-def: $vgpr45
	s_branch .LBB222_1065
.LBB222_683:
	s_or_saveexec_b64 s[12:13], s[12:13]
                                        ; implicit-def: $sgpr14
	s_xor_b64 exec, exec, s[12:13]
	s_cbranch_execz .LBB222_439
.LBB222_684:
	s_mov_b32 s14, 0x46000000
	v_add_f32_e64 v3, |v2|, s14
	v_and_b32_e32 v3, 0xff, v3
	v_cmp_ne_u32_e32 vcc, 0, v3
	s_andn2_b64 s[10:11], s[10:11], exec
	s_and_b64 s[16:17], vcc, exec
	s_mov_b32 s14, 0
	s_or_b64 s[10:11], s[10:11], s[16:17]
	s_or_b64 exec, exec, s[12:13]
	v_mov_b32_e32 v6, s14
	s_and_saveexec_b64 s[12:13], s[10:11]
	s_cbranch_execnz .LBB222_440
	s_branch .LBB222_441
.LBB222_685:
	s_mov_b64 s[6:7], -1
	v_writelane_b32 v87, s6, 57
	v_writelane_b32 v87, s7, 58
                                        ; implicit-def: $vgpr2_vgpr3
	s_mov_b64 s[6:7], 0
.LBB222_686:
	s_and_b64 vcc, exec, s[8:9]
	s_cbranch_vccz .LBB222_691
; %bb.687:
	v_cmp_eq_u16_e32 vcc, 44, v5
	s_cbranch_vccz .LBB222_689
; %bb.688:
	global_load_ubyte v8, v[6:7], off
	s_movk_i32 s8, 0xff
	v_bfrev_b32_e32 v9, 4
	v_mov_b32_e32 v10, 0x7ff80000
	v_bfrev_b32_e32 v11, 28
	s_mov_b64 s[6:7], -1
	s_waitcnt vmcnt(0)
	v_lshlrev_b32_e32 v2, 23, v8
	v_cvt_f64_f32_e32 v[2:3], v2
	v_cmp_ne_u32_e32 vcc, s8, v8
	v_cndmask_b32_e32 v2, v9, v2, vcc
	v_cndmask_b32_e32 v3, v10, v3, vcc
	v_cmp_ne_u32_e32 vcc, 0, v8
	v_cndmask_b32_e32 v3, v11, v3, vcc
	v_cndmask_b32_e32 v2, 0, v2, vcc
	s_mov_b64 s[8:9], 0
	s_branch .LBB222_690
.LBB222_689:
	s_mov_b64 s[8:9], -1
                                        ; implicit-def: $vgpr2_vgpr3
.LBB222_690:
	v_writelane_b32 v87, s8, 57
	v_writelane_b32 v87, s9, 58
.LBB222_691:
	s_mov_b64 s[8:9], 0
.LBB222_692:
	s_and_b64 vcc, exec, s[8:9]
	s_cbranch_vccz .LBB222_697
; %bb.693:
	v_cmp_eq_u16_e32 vcc, 29, v5
	s_cbranch_vccz .LBB222_695
; %bb.694:
	global_load_dwordx2 v[2:3], v[6:7], off
	s_mov_b64 s[6:7], -1
	s_mov_b64 s[8:9], 0
	s_waitcnt vmcnt(0)
	v_cvt_f64_u32_e32 v[8:9], v3
	v_cvt_f64_u32_e32 v[2:3], v2
	v_ldexp_f64 v[8:9], v[8:9], 32
	v_add_f64 v[2:3], v[8:9], v[2:3]
	s_branch .LBB222_696
.LBB222_695:
	s_mov_b64 s[8:9], -1
                                        ; implicit-def: $vgpr2_vgpr3
.LBB222_696:
	v_writelane_b32 v87, s8, 57
	v_writelane_b32 v87, s9, 58
.LBB222_697:
	s_mov_b64 s[8:9], 0
.LBB222_698:
	s_and_b64 vcc, exec, s[8:9]
	s_cbranch_vccz .LBB222_716
; %bb.699:
	v_cmp_gt_i16_e32 vcc, 27, v5
	s_cbranch_vccnz .LBB222_702
; %bb.700:
	v_cmp_lt_i16_e32 vcc, 27, v5
	s_cbranch_vccz .LBB222_703
; %bb.701:
	global_load_dword v2, v[6:7], off
	s_mov_b64 s[6:7], 0
	s_waitcnt vmcnt(0)
	v_cvt_f64_u32_e32 v[2:3], v2
	s_branch .LBB222_704
.LBB222_702:
	s_mov_b64 s[6:7], -1
                                        ; implicit-def: $vgpr2_vgpr3
	s_branch .LBB222_707
.LBB222_703:
	s_mov_b64 s[6:7], -1
                                        ; implicit-def: $vgpr2_vgpr3
.LBB222_704:
	s_andn2_b64 vcc, exec, s[6:7]
	s_cbranch_vccnz .LBB222_706
; %bb.705:
	global_load_ushort v2, v[6:7], off
	s_waitcnt vmcnt(0)
	v_cvt_f64_u32_e32 v[2:3], v2
.LBB222_706:
	s_mov_b64 s[6:7], 0
.LBB222_707:
	s_andn2_b64 vcc, exec, s[6:7]
	s_cbranch_vccnz .LBB222_715
; %bb.708:
	global_load_ubyte v8, v[6:7], off
	s_movk_i32 s6, 0x7f
                                        ; implicit-def: $sgpr8_sgpr9
	s_waitcnt vmcnt(0)
	v_cmp_lt_i16_e32 vcc, s6, v8
	s_mov_b64 s[6:7], 0
	s_and_saveexec_b64 s[10:11], vcc
	s_xor_b64 s[10:11], exec, s[10:11]
	s_cbranch_execz .LBB222_729
; %bb.709:
	s_movk_i32 s6, 0x80
	v_cmp_eq_u16_e32 vcc, s6, v8
	s_mov_b64 s[12:13], -1
                                        ; implicit-def: $sgpr8_sgpr9
	s_and_saveexec_b64 s[6:7], vcc
; %bb.710:
	s_mov_b32 s9, 0x7ff80000
	s_brev_b32 s8, 4
	s_xor_b64 s[12:13], exec, -1
; %bb.711:
	s_or_b64 exec, exec, s[6:7]
	s_and_b64 s[6:7], s[12:13], exec
	s_or_saveexec_b64 s[10:11], s[10:11]
	v_pk_mov_b32 v[2:3], s[8:9], s[8:9] op_sel:[0,1]
	s_xor_b64 exec, exec, s[10:11]
	s_cbranch_execnz .LBB222_730
.LBB222_712:
	s_or_b64 exec, exec, s[10:11]
	s_and_saveexec_b64 s[8:9], s[6:7]
	s_cbranch_execz .LBB222_714
.LBB222_713:
	v_and_b32_e32 v3, 0xffff, v8
	v_lshlrev_b32_e32 v2, 24, v8
	v_and_b32_e32 v8, 7, v3
	v_ffbh_u32_e32 v10, v8
	v_min_u32_e32 v10, 32, v10
	v_subrev_u32_e32 v11, 28, v10
	v_bfe_u32 v9, v3, 3, 4
	v_lshlrev_b32_e32 v3, v11, v3
	v_sub_u32_e32 v10, 29, v10
	v_and_b32_e32 v3, 7, v3
	v_cmp_eq_u32_e32 vcc, 0, v9
	v_cndmask_b32_e32 v9, v9, v10, vcc
	v_cndmask_b32_e32 v3, v8, v3, vcc
	v_mov_b32_e32 v8, 0x3b800000
	v_lshlrev_b32_e32 v3, 20, v3
	v_and_b32_e32 v2, 0x80000000, v2
	v_lshl_add_u32 v8, v9, 23, v8
	v_or3_b32 v2, v2, v8, v3
	v_cvt_f64_f32_e32 v[2:3], v2
.LBB222_714:
	s_or_b64 exec, exec, s[8:9]
.LBB222_715:
	s_mov_b64 s[6:7], -1
.LBB222_716:
	s_mov_b64 s[8:9], 0
.LBB222_717:
	s_and_b64 vcc, exec, s[8:9]
	s_cbranch_vccz .LBB222_753
; %bb.718:
	v_cmp_lt_i16_e32 vcc, 22, v5
	s_cbranch_vccz .LBB222_728
; %bb.719:
	v_cmp_gt_i16_e32 vcc, 24, v5
	s_cbranch_vccnz .LBB222_731
; %bb.720:
	v_cmp_lt_i16_e32 vcc, 24, v5
	s_cbranch_vccz .LBB222_732
; %bb.721:
	global_load_ubyte v8, v[6:7], off
	s_movk_i32 s6, 0x7f
                                        ; implicit-def: $sgpr8_sgpr9
	s_waitcnt vmcnt(0)
	v_cmp_lt_i16_e32 vcc, s6, v8
	s_mov_b64 s[6:7], 0
	s_and_saveexec_b64 s[10:11], vcc
	s_xor_b64 s[10:11], exec, s[10:11]
	s_cbranch_execz .LBB222_744
; %bb.722:
	s_movk_i32 s6, 0x80
	v_cmp_eq_u16_e32 vcc, s6, v8
	s_mov_b64 s[12:13], -1
                                        ; implicit-def: $sgpr8_sgpr9
	s_and_saveexec_b64 s[6:7], vcc
; %bb.723:
	s_mov_b32 s9, 0x7ff80000
	s_brev_b32 s8, 4
	s_xor_b64 s[12:13], exec, -1
; %bb.724:
	s_or_b64 exec, exec, s[6:7]
	s_and_b64 s[6:7], s[12:13], exec
	s_or_saveexec_b64 s[10:11], s[10:11]
	v_pk_mov_b32 v[2:3], s[8:9], s[8:9] op_sel:[0,1]
	s_xor_b64 exec, exec, s[10:11]
	s_cbranch_execnz .LBB222_745
.LBB222_725:
	s_or_b64 exec, exec, s[10:11]
	s_and_saveexec_b64 s[8:9], s[6:7]
	s_cbranch_execz .LBB222_727
.LBB222_726:
	v_and_b32_e32 v3, 0xffff, v8
	v_lshlrev_b32_e32 v2, 24, v8
	v_and_b32_e32 v8, 3, v3
	v_ffbh_u32_e32 v10, v8
	v_min_u32_e32 v10, 32, v10
	v_subrev_u32_e32 v11, 29, v10
	v_bfe_u32 v9, v3, 2, 5
	v_lshlrev_b32_e32 v3, v11, v3
	v_sub_u32_e32 v10, 30, v10
	v_and_b32_e32 v3, 3, v3
	v_cmp_eq_u32_e32 vcc, 0, v9
	v_cndmask_b32_e32 v9, v9, v10, vcc
	v_cndmask_b32_e32 v3, v8, v3, vcc
	v_mov_b32_e32 v8, 0x37800000
	v_lshlrev_b32_e32 v3, 21, v3
	v_and_b32_e32 v2, 0x80000000, v2
	v_lshl_add_u32 v8, v9, 23, v8
	v_or3_b32 v2, v2, v8, v3
	v_cvt_f64_f32_e32 v[2:3], v2
.LBB222_727:
	s_or_b64 exec, exec, s[8:9]
	s_mov_b64 s[6:7], 0
	s_branch .LBB222_733
.LBB222_728:
	s_mov_b64 s[8:9], -1
                                        ; implicit-def: $vgpr2_vgpr3
	s_branch .LBB222_739
.LBB222_729:
	s_or_saveexec_b64 s[10:11], s[10:11]
	v_pk_mov_b32 v[2:3], s[8:9], s[8:9] op_sel:[0,1]
	s_xor_b64 exec, exec, s[10:11]
	s_cbranch_execz .LBB222_712
.LBB222_730:
	v_cmp_ne_u16_e32 vcc, 0, v8
	s_andn2_b64 s[6:7], s[6:7], exec
	s_and_b64 s[8:9], vcc, exec
	v_pk_mov_b32 v[2:3], 0, 0
	s_or_b64 s[6:7], s[6:7], s[8:9]
	s_or_b64 exec, exec, s[10:11]
	s_and_saveexec_b64 s[8:9], s[6:7]
	s_cbranch_execnz .LBB222_713
	s_branch .LBB222_714
.LBB222_731:
	s_mov_b64 s[6:7], -1
                                        ; implicit-def: $vgpr2_vgpr3
	s_branch .LBB222_736
.LBB222_732:
	s_mov_b64 s[6:7], -1
                                        ; implicit-def: $vgpr2_vgpr3
.LBB222_733:
	s_and_b64 vcc, exec, s[6:7]
	s_cbranch_vccz .LBB222_735
; %bb.734:
	global_load_ubyte v2, v[6:7], off
	s_mov_b32 s6, 0x7f800000
	s_waitcnt vmcnt(0)
	v_lshlrev_b32_e32 v2, 24, v2
	v_and_b32_e32 v3, 0x7f000000, v2
	v_ffbh_u32_e32 v8, v3
	v_min_u32_e32 v8, 32, v8
	v_sub_u32_e64 v8, v8, 4 clamp
	v_lshlrev_b32_e32 v10, v8, v3
	v_lshlrev_b32_e32 v8, 23, v8
	v_lshrrev_b32_e32 v10, 4, v10
	v_add_u32_e32 v9, 0x1000000, v3
	v_sub_u32_e32 v8, v10, v8
	v_ashrrev_i32_e32 v9, 8, v9
	v_add_u32_e32 v8, 0x3c000000, v8
	v_and_or_b32 v8, v9, s6, v8
	v_cmp_ne_u32_e32 vcc, 0, v3
	v_cndmask_b32_e32 v3, 0, v8, vcc
	s_brev_b32 s6, 1
	v_and_or_b32 v2, v2, s6, v3
	v_cvt_f64_f32_e32 v[2:3], v2
.LBB222_735:
	s_mov_b64 s[6:7], 0
.LBB222_736:
	s_andn2_b64 vcc, exec, s[6:7]
	s_cbranch_vccnz .LBB222_738
; %bb.737:
	global_load_ubyte v2, v[6:7], off
	s_movk_i32 s6, 0x7f00
	s_brev_b32 s7, 16
	s_waitcnt vmcnt(0)
	v_lshlrev_b16_e32 v3, 8, v2
	v_lshlrev_b32_e32 v2, 25, v2
	v_lshrrev_b32_e32 v8, 4, v2
	v_and_or_b32 v9, v3, s6, 0.5
	v_or_b32_e32 v8, 0x70000000, v8
	v_add_f32_e32 v9, -0.5, v9
	v_mul_f32_e32 v8, 0x7800000, v8
	v_cmp_gt_u32_e32 vcc, s7, v2
	v_bfe_i32 v3, v3, 0, 16
	v_cndmask_b32_e32 v2, v8, v9, vcc
	s_brev_b32 s6, 1
	v_and_or_b32 v2, v3, s6, v2
	v_cvt_f64_f32_e32 v[2:3], v2
.LBB222_738:
	s_mov_b64 s[8:9], 0
	s_mov_b64 s[6:7], -1
.LBB222_739:
	s_andn2_b64 vcc, exec, s[8:9]
	s_cbranch_vccnz .LBB222_751
; %bb.740:
	v_cmp_lt_i16_e32 vcc, 14, v5
	s_cbranch_vccz .LBB222_743
; %bb.741:
	v_cmp_eq_u16_e32 vcc, 15, v5
	s_cbranch_vccz .LBB222_746
; %bb.742:
	global_load_ushort v2, v[6:7], off
	s_mov_b64 s[8:9], 0
	v_writelane_b32 v87, s8, 57
	s_mov_b64 s[6:7], -1
	v_writelane_b32 v87, s9, 58
	s_waitcnt vmcnt(0)
	v_lshlrev_b32_e32 v2, 16, v2
	v_cvt_f64_f32_e32 v[2:3], v2
	s_branch .LBB222_747
.LBB222_743:
	s_mov_b64 s[8:9], -1
                                        ; implicit-def: $vgpr2_vgpr3
	s_branch .LBB222_748
.LBB222_744:
	s_or_saveexec_b64 s[10:11], s[10:11]
	v_pk_mov_b32 v[2:3], s[8:9], s[8:9] op_sel:[0,1]
	s_xor_b64 exec, exec, s[10:11]
	s_cbranch_execz .LBB222_725
.LBB222_745:
	v_cmp_ne_u16_e32 vcc, 0, v8
	s_andn2_b64 s[6:7], s[6:7], exec
	s_and_b64 s[8:9], vcc, exec
	v_pk_mov_b32 v[2:3], 0, 0
	s_or_b64 s[6:7], s[6:7], s[8:9]
	s_or_b64 exec, exec, s[10:11]
	s_and_saveexec_b64 s[8:9], s[6:7]
	s_cbranch_execnz .LBB222_726
	s_branch .LBB222_727
.LBB222_746:
	s_mov_b64 s[8:9], -1
	v_writelane_b32 v87, s8, 57
	v_writelane_b32 v87, s9, 58
                                        ; implicit-def: $vgpr2_vgpr3
.LBB222_747:
	s_mov_b64 s[8:9], 0
.LBB222_748:
	s_and_b64 vcc, exec, s[8:9]
	s_cbranch_vccz .LBB222_751
; %bb.749:
	v_cmp_eq_u16_e32 vcc, 11, v5
	s_cbranch_vccz .LBB222_763
; %bb.750:
	global_load_ubyte v3, v[6:7], off
	v_mov_b32_e32 v8, 0x3ff00000
	v_mov_b32_e32 v2, 0
	s_mov_b64 s[6:7], -1
	s_mov_b64 s[8:9], 0
	s_waitcnt vmcnt(0)
	v_cmp_ne_u16_e32 vcc, 0, v3
	v_cndmask_b32_e32 v3, 0, v8, vcc
	s_branch .LBB222_752
.LBB222_751:
	v_readlane_b32 s8, v87, 57
	v_readlane_b32 s9, v87, 58
.LBB222_752:
	v_writelane_b32 v87, s8, 57
	v_writelane_b32 v87, s9, 58
.LBB222_753:
	s_mov_b64 s[8:9], 0
.LBB222_754:
	s_and_b64 vcc, exec, s[8:9]
	s_cbranch_vccz .LBB222_804
; %bb.755:
	v_cmp_gt_i16_e32 vcc, 5, v5
	s_cbranch_vccnz .LBB222_760
; %bb.756:
	v_cmp_gt_i16_e32 vcc, 8, v5
	s_cbranch_vccnz .LBB222_761
	;; [unrolled: 3-line block ×3, first 2 shown]
; %bb.758:
	v_cmp_lt_i16_e32 vcc, 9, v5
	s_cbranch_vccz .LBB222_764
; %bb.759:
	global_load_dwordx2 v[2:3], v[6:7], off
	s_mov_b64 s[6:7], 0
	s_branch .LBB222_765
.LBB222_760:
	s_mov_b64 s[6:7], -1
                                        ; implicit-def: $vgpr2_vgpr3
	s_branch .LBB222_783
.LBB222_761:
	s_mov_b64 s[6:7], -1
                                        ; implicit-def: $vgpr2_vgpr3
	s_branch .LBB222_771
.LBB222_762:
	s_mov_b64 s[6:7], -1
                                        ; implicit-def: $vgpr2_vgpr3
	s_branch .LBB222_768
.LBB222_763:
	s_mov_b64 s[8:9], -1
                                        ; implicit-def: $vgpr2_vgpr3
	s_branch .LBB222_752
.LBB222_764:
	s_mov_b64 s[6:7], -1
                                        ; implicit-def: $vgpr2_vgpr3
.LBB222_765:
	s_andn2_b64 vcc, exec, s[6:7]
	s_cbranch_vccnz .LBB222_767
; %bb.766:
	global_load_dword v2, v[6:7], off
	s_waitcnt vmcnt(0)
	v_cvt_f64_f32_e32 v[2:3], v2
.LBB222_767:
	s_mov_b64 s[6:7], 0
.LBB222_768:
	s_andn2_b64 vcc, exec, s[6:7]
	s_cbranch_vccnz .LBB222_770
; %bb.769:
	global_load_dword v2, v[6:7], off
	s_waitcnt vmcnt(0)
	v_cvt_f32_f16_e32 v2, v2
	v_cvt_f64_f32_e32 v[2:3], v2
.LBB222_770:
	s_mov_b64 s[6:7], 0
.LBB222_771:
	s_andn2_b64 vcc, exec, s[6:7]
	s_cbranch_vccnz .LBB222_782
; %bb.772:
	v_cmp_gt_i16_e32 vcc, 6, v5
	s_cbranch_vccnz .LBB222_775
; %bb.773:
	v_cmp_lt_i16_e32 vcc, 6, v5
	s_cbranch_vccz .LBB222_776
; %bb.774:
	global_load_dwordx2 v[2:3], v[6:7], off
	s_mov_b64 s[6:7], 0
	s_branch .LBB222_777
.LBB222_775:
	s_mov_b64 s[6:7], -1
                                        ; implicit-def: $vgpr2_vgpr3
	s_branch .LBB222_780
.LBB222_776:
	s_mov_b64 s[6:7], -1
                                        ; implicit-def: $vgpr2_vgpr3
.LBB222_777:
	s_andn2_b64 vcc, exec, s[6:7]
	s_cbranch_vccnz .LBB222_779
; %bb.778:
	global_load_dword v2, v[6:7], off
	s_waitcnt vmcnt(0)
	v_cvt_f64_f32_e32 v[2:3], v2
.LBB222_779:
	s_mov_b64 s[6:7], 0
.LBB222_780:
	s_andn2_b64 vcc, exec, s[6:7]
	s_cbranch_vccnz .LBB222_782
; %bb.781:
	global_load_ushort v2, v[6:7], off
	s_waitcnt vmcnt(0)
	v_cvt_f32_f16_e32 v2, v2
	v_cvt_f64_f32_e32 v[2:3], v2
.LBB222_782:
	s_mov_b64 s[6:7], 0
.LBB222_783:
	s_andn2_b64 vcc, exec, s[6:7]
	s_cbranch_vccnz .LBB222_803
; %bb.784:
	v_cmp_gt_i16_e32 vcc, 2, v5
	s_cbranch_vccnz .LBB222_788
; %bb.785:
	v_cmp_gt_i16_e32 vcc, 3, v5
	s_cbranch_vccnz .LBB222_789
; %bb.786:
	v_cmp_lt_i16_e32 vcc, 3, v5
	s_cbranch_vccz .LBB222_790
; %bb.787:
	global_load_dwordx2 v[2:3], v[6:7], off
	s_mov_b64 s[6:7], 0
	s_waitcnt vmcnt(0)
	v_cvt_f64_i32_e32 v[8:9], v3
	v_cvt_f64_u32_e32 v[2:3], v2
	v_ldexp_f64 v[8:9], v[8:9], 32
	v_add_f64 v[2:3], v[8:9], v[2:3]
	s_branch .LBB222_791
.LBB222_788:
	s_mov_b64 s[6:7], -1
                                        ; implicit-def: $vgpr2_vgpr3
	s_branch .LBB222_797
.LBB222_789:
	s_mov_b64 s[6:7], -1
                                        ; implicit-def: $vgpr2_vgpr3
	s_branch .LBB222_794
.LBB222_790:
	s_mov_b64 s[6:7], -1
                                        ; implicit-def: $vgpr2_vgpr3
.LBB222_791:
	s_andn2_b64 vcc, exec, s[6:7]
	s_cbranch_vccnz .LBB222_793
; %bb.792:
	global_load_dword v2, v[6:7], off
	s_waitcnt vmcnt(0)
	v_cvt_f64_i32_e32 v[2:3], v2
.LBB222_793:
	s_mov_b64 s[6:7], 0
.LBB222_794:
	s_andn2_b64 vcc, exec, s[6:7]
	s_cbranch_vccnz .LBB222_796
; %bb.795:
	global_load_sshort v2, v[6:7], off
	s_waitcnt vmcnt(0)
	v_cvt_f64_i32_e32 v[2:3], v2
.LBB222_796:
	s_mov_b64 s[6:7], 0
.LBB222_797:
	s_andn2_b64 vcc, exec, s[6:7]
	s_cbranch_vccnz .LBB222_803
; %bb.798:
	v_cmp_lt_i16_e32 vcc, 0, v5
	s_cbranch_vccz .LBB222_800
; %bb.799:
	global_load_sbyte v2, v[6:7], off
	s_mov_b64 s[6:7], 0
	s_waitcnt vmcnt(0)
	v_cvt_f64_i32_e32 v[2:3], v2
	s_branch .LBB222_801
.LBB222_800:
	s_mov_b64 s[6:7], -1
                                        ; implicit-def: $vgpr2_vgpr3
.LBB222_801:
	s_andn2_b64 vcc, exec, s[6:7]
	s_cbranch_vccnz .LBB222_803
; %bb.802:
	global_load_ubyte v2, v[6:7], off
	s_waitcnt vmcnt(0)
	v_cvt_f64_u32_e32 v[2:3], v2
.LBB222_803:
	s_mov_b64 s[6:7], -1
.LBB222_804:
	s_andn2_b64 vcc, exec, s[6:7]
	s_cbranch_vccnz .LBB222_812
; %bb.805:
	v_mov_b32_e32 v5, s95
	v_add_co_u32_e32 v6, vcc, s94, v4
	v_addc_co_u32_e32 v7, vcc, 0, v5, vcc
	v_cmp_gt_i16_e32 vcc, 11, v44
	s_cbranch_vccnz .LBB222_813
; %bb.806:
	v_cmp_lt_i16_e32 vcc, 25, v44
	s_cbranch_vccz .LBB222_814
; %bb.807:
	v_cmp_lt_i16_e32 vcc, 28, v44
	s_cbranch_vccz .LBB222_815
	;; [unrolled: 3-line block ×4, first 2 shown]
; %bb.810:
	v_cmp_eq_u16_e32 vcc, 46, v44
	s_mov_b64 s[8:9], 0
	s_cbranch_vccz .LBB222_820
; %bb.811:
	global_load_dword v4, v[6:7], off
	s_mov_b64 s[10:11], 0
	v_writelane_b32 v87, s10, 59
	s_mov_b64 s[6:7], -1
	v_writelane_b32 v87, s11, 60
	s_waitcnt vmcnt(0)
	v_lshlrev_b32_e32 v4, 16, v4
	v_cvt_f64_f32_e32 v[4:5], v4
	s_branch .LBB222_821
.LBB222_812:
	v_readlane_b32 s10, v87, 19
	v_readlane_b32 s6, v87, 26
	;; [unrolled: 1-line block ×3, first 2 shown]
	s_mov_b64 s[8:9], 0
	v_readlane_b32 s7, v87, 27
	v_writelane_b32 v87, s10, 59
                                        ; implicit-def: $vgpr45
	v_writelane_b32 v87, s11, 60
	s_branch .LBB222_1064
.LBB222_813:
	v_readlane_b32 s10, v87, 19
	v_readlane_b32 s11, v87, 20
	v_writelane_b32 v87, s10, 59
	s_mov_b64 s[8:9], -1
	s_mov_b64 s[6:7], 0
                                        ; implicit-def: $vgpr4_vgpr5
	v_writelane_b32 v87, s11, 60
	s_branch .LBB222_889
.LBB222_814:
	v_readlane_b32 s10, v87, 19
	v_readlane_b32 s11, v87, 20
	s_mov_b64 s[8:9], -1
	s_mov_b64 s[6:7], 0
	v_writelane_b32 v87, s10, 59
                                        ; implicit-def: $vgpr4_vgpr5
	v_writelane_b32 v87, s11, 60
	s_branch .LBB222_852
.LBB222_815:
	v_readlane_b32 s10, v87, 19
	v_readlane_b32 s11, v87, 20
	s_mov_b64 s[8:9], -1
	s_mov_b64 s[6:7], 0
	v_writelane_b32 v87, s10, 59
                                        ; implicit-def: $vgpr4_vgpr5
	v_writelane_b32 v87, s11, 60
	s_branch .LBB222_833
.LBB222_816:
	v_readlane_b32 s10, v87, 19
	v_readlane_b32 s11, v87, 20
	s_mov_b64 s[8:9], -1
	s_mov_b64 s[6:7], 0
	v_writelane_b32 v87, s10, 59
                                        ; implicit-def: $vgpr4_vgpr5
	v_writelane_b32 v87, s11, 60
	s_branch .LBB222_827
.LBB222_817:
	v_readlane_b32 s10, v87, 19
	v_readlane_b32 s11, v87, 20
	s_mov_b64 s[8:9], -1
	s_mov_b64 s[6:7], 0
	v_writelane_b32 v87, s10, 59
	v_writelane_b32 v87, s11, 60
                                        ; implicit-def: $vgpr4_vgpr5
	s_branch .LBB222_821
.LBB222_818:
	s_or_saveexec_b64 s[12:13], s[12:13]
                                        ; implicit-def: $sgpr14
	s_xor_b64 exec, exec, s[12:13]
	s_cbranch_execz .LBB222_452
.LBB222_819:
	s_mov_b32 s14, 0x42800000
	v_add_f32_e64 v3, |v2|, s14
	v_and_b32_e32 v3, 0xff, v3
	v_cmp_ne_u32_e32 vcc, 0, v3
	s_andn2_b64 s[10:11], s[10:11], exec
	s_and_b64 s[16:17], vcc, exec
	s_mov_b32 s14, 0
	s_or_b64 s[10:11], s[10:11], s[16:17]
	s_or_b64 exec, exec, s[12:13]
	v_mov_b32_e32 v6, s14
	s_and_saveexec_b64 s[12:13], s[10:11]
	s_cbranch_execnz .LBB222_453
	s_branch .LBB222_454
.LBB222_820:
	s_mov_b64 s[6:7], -1
	v_writelane_b32 v87, s6, 59
	v_writelane_b32 v87, s7, 60
                                        ; implicit-def: $vgpr4_vgpr5
	s_mov_b64 s[6:7], 0
.LBB222_821:
	s_and_b64 vcc, exec, s[8:9]
	s_cbranch_vccz .LBB222_826
; %bb.822:
	v_cmp_eq_u16_e32 vcc, 44, v44
	s_cbranch_vccz .LBB222_824
; %bb.823:
	global_load_ubyte v8, v[6:7], off
	s_movk_i32 s8, 0xff
	v_bfrev_b32_e32 v9, 4
	v_mov_b32_e32 v10, 0x7ff80000
	v_bfrev_b32_e32 v11, 28
	s_mov_b64 s[6:7], -1
	s_waitcnt vmcnt(0)
	v_lshlrev_b32_e32 v4, 23, v8
	v_cvt_f64_f32_e32 v[4:5], v4
	v_cmp_ne_u32_e32 vcc, s8, v8
	v_cndmask_b32_e32 v4, v9, v4, vcc
	v_cndmask_b32_e32 v5, v10, v5, vcc
	v_cmp_ne_u32_e32 vcc, 0, v8
	v_cndmask_b32_e32 v5, v11, v5, vcc
	v_cndmask_b32_e32 v4, 0, v4, vcc
	s_mov_b64 s[8:9], 0
	s_branch .LBB222_825
.LBB222_824:
	s_mov_b64 s[8:9], -1
                                        ; implicit-def: $vgpr4_vgpr5
.LBB222_825:
	v_writelane_b32 v87, s8, 59
	v_writelane_b32 v87, s9, 60
.LBB222_826:
	s_mov_b64 s[8:9], 0
.LBB222_827:
	s_and_b64 vcc, exec, s[8:9]
	s_cbranch_vccz .LBB222_832
; %bb.828:
	v_cmp_eq_u16_e32 vcc, 29, v44
	s_cbranch_vccz .LBB222_830
; %bb.829:
	global_load_dwordx2 v[4:5], v[6:7], off
	s_mov_b64 s[6:7], -1
	s_mov_b64 s[8:9], 0
	s_waitcnt vmcnt(0)
	v_cvt_f64_u32_e32 v[8:9], v5
	v_cvt_f64_u32_e32 v[4:5], v4
	v_ldexp_f64 v[8:9], v[8:9], 32
	v_add_f64 v[4:5], v[8:9], v[4:5]
	s_branch .LBB222_831
.LBB222_830:
	s_mov_b64 s[8:9], -1
                                        ; implicit-def: $vgpr4_vgpr5
.LBB222_831:
	v_writelane_b32 v87, s8, 59
	v_writelane_b32 v87, s9, 60
.LBB222_832:
	s_mov_b64 s[8:9], 0
.LBB222_833:
	s_and_b64 vcc, exec, s[8:9]
	s_cbranch_vccz .LBB222_851
; %bb.834:
	v_cmp_gt_i16_e32 vcc, 27, v44
	s_cbranch_vccnz .LBB222_837
; %bb.835:
	v_cmp_lt_i16_e32 vcc, 27, v44
	s_cbranch_vccz .LBB222_838
; %bb.836:
	global_load_dword v4, v[6:7], off
	s_mov_b64 s[6:7], 0
	s_waitcnt vmcnt(0)
	v_cvt_f64_u32_e32 v[4:5], v4
	s_branch .LBB222_839
.LBB222_837:
	s_mov_b64 s[6:7], -1
                                        ; implicit-def: $vgpr4_vgpr5
	s_branch .LBB222_842
.LBB222_838:
	s_mov_b64 s[6:7], -1
                                        ; implicit-def: $vgpr4_vgpr5
.LBB222_839:
	s_andn2_b64 vcc, exec, s[6:7]
	s_cbranch_vccnz .LBB222_841
; %bb.840:
	global_load_ushort v4, v[6:7], off
	s_waitcnt vmcnt(0)
	v_cvt_f64_u32_e32 v[4:5], v4
.LBB222_841:
	s_mov_b64 s[6:7], 0
.LBB222_842:
	s_andn2_b64 vcc, exec, s[6:7]
	s_cbranch_vccnz .LBB222_850
; %bb.843:
	global_load_ubyte v8, v[6:7], off
	s_movk_i32 s6, 0x7f
                                        ; implicit-def: $sgpr8_sgpr9
	s_waitcnt vmcnt(0)
	v_cmp_lt_i16_e32 vcc, s6, v8
	s_mov_b64 s[6:7], 0
	s_and_saveexec_b64 s[10:11], vcc
	s_xor_b64 s[10:11], exec, s[10:11]
	s_cbranch_execz .LBB222_864
; %bb.844:
	s_movk_i32 s6, 0x80
	v_cmp_eq_u16_e32 vcc, s6, v8
	s_mov_b64 s[12:13], -1
                                        ; implicit-def: $sgpr8_sgpr9
	s_and_saveexec_b64 s[6:7], vcc
; %bb.845:
	s_mov_b32 s9, 0x7ff80000
	s_brev_b32 s8, 4
	s_xor_b64 s[12:13], exec, -1
; %bb.846:
	s_or_b64 exec, exec, s[6:7]
	s_and_b64 s[6:7], s[12:13], exec
	s_or_saveexec_b64 s[10:11], s[10:11]
	v_pk_mov_b32 v[4:5], s[8:9], s[8:9] op_sel:[0,1]
	s_xor_b64 exec, exec, s[10:11]
	s_cbranch_execnz .LBB222_865
.LBB222_847:
	s_or_b64 exec, exec, s[10:11]
	s_and_saveexec_b64 s[8:9], s[6:7]
	s_cbranch_execz .LBB222_849
.LBB222_848:
	v_and_b32_e32 v5, 0xffff, v8
	v_lshlrev_b32_e32 v4, 24, v8
	v_and_b32_e32 v8, 7, v5
	v_ffbh_u32_e32 v10, v8
	v_min_u32_e32 v10, 32, v10
	v_subrev_u32_e32 v11, 28, v10
	v_bfe_u32 v9, v5, 3, 4
	v_lshlrev_b32_e32 v5, v11, v5
	v_sub_u32_e32 v10, 29, v10
	v_and_b32_e32 v5, 7, v5
	v_cmp_eq_u32_e32 vcc, 0, v9
	v_cndmask_b32_e32 v9, v9, v10, vcc
	v_cndmask_b32_e32 v5, v8, v5, vcc
	v_mov_b32_e32 v8, 0x3b800000
	v_lshlrev_b32_e32 v5, 20, v5
	v_and_b32_e32 v4, 0x80000000, v4
	v_lshl_add_u32 v8, v9, 23, v8
	v_or3_b32 v4, v4, v8, v5
	v_cvt_f64_f32_e32 v[4:5], v4
.LBB222_849:
	s_or_b64 exec, exec, s[8:9]
.LBB222_850:
	s_mov_b64 s[6:7], -1
.LBB222_851:
	s_mov_b64 s[8:9], 0
.LBB222_852:
	s_and_b64 vcc, exec, s[8:9]
	s_cbranch_vccz .LBB222_888
; %bb.853:
	v_cmp_lt_i16_e32 vcc, 22, v44
	s_cbranch_vccz .LBB222_863
; %bb.854:
	v_cmp_gt_i16_e32 vcc, 24, v44
	s_cbranch_vccnz .LBB222_866
; %bb.855:
	v_cmp_lt_i16_e32 vcc, 24, v44
	s_cbranch_vccz .LBB222_867
; %bb.856:
	global_load_ubyte v8, v[6:7], off
	s_movk_i32 s6, 0x7f
                                        ; implicit-def: $sgpr8_sgpr9
	s_waitcnt vmcnt(0)
	v_cmp_lt_i16_e32 vcc, s6, v8
	s_mov_b64 s[6:7], 0
	s_and_saveexec_b64 s[10:11], vcc
	s_xor_b64 s[10:11], exec, s[10:11]
	s_cbranch_execz .LBB222_879
; %bb.857:
	s_movk_i32 s6, 0x80
	v_cmp_eq_u16_e32 vcc, s6, v8
	s_mov_b64 s[12:13], -1
                                        ; implicit-def: $sgpr8_sgpr9
	s_and_saveexec_b64 s[6:7], vcc
; %bb.858:
	s_mov_b32 s9, 0x7ff80000
	s_brev_b32 s8, 4
	s_xor_b64 s[12:13], exec, -1
; %bb.859:
	s_or_b64 exec, exec, s[6:7]
	s_and_b64 s[6:7], s[12:13], exec
	s_or_saveexec_b64 s[10:11], s[10:11]
	v_pk_mov_b32 v[4:5], s[8:9], s[8:9] op_sel:[0,1]
	s_xor_b64 exec, exec, s[10:11]
	s_cbranch_execnz .LBB222_880
.LBB222_860:
	s_or_b64 exec, exec, s[10:11]
	s_and_saveexec_b64 s[8:9], s[6:7]
	s_cbranch_execz .LBB222_862
.LBB222_861:
	v_and_b32_e32 v5, 0xffff, v8
	v_lshlrev_b32_e32 v4, 24, v8
	v_and_b32_e32 v8, 3, v5
	v_ffbh_u32_e32 v10, v8
	v_min_u32_e32 v10, 32, v10
	v_subrev_u32_e32 v11, 29, v10
	v_bfe_u32 v9, v5, 2, 5
	v_lshlrev_b32_e32 v5, v11, v5
	v_sub_u32_e32 v10, 30, v10
	v_and_b32_e32 v5, 3, v5
	v_cmp_eq_u32_e32 vcc, 0, v9
	v_cndmask_b32_e32 v9, v9, v10, vcc
	v_cndmask_b32_e32 v5, v8, v5, vcc
	v_mov_b32_e32 v8, 0x37800000
	v_lshlrev_b32_e32 v5, 21, v5
	v_and_b32_e32 v4, 0x80000000, v4
	v_lshl_add_u32 v8, v9, 23, v8
	v_or3_b32 v4, v4, v8, v5
	v_cvt_f64_f32_e32 v[4:5], v4
.LBB222_862:
	s_or_b64 exec, exec, s[8:9]
	s_mov_b64 s[6:7], 0
	s_branch .LBB222_868
.LBB222_863:
	s_mov_b64 s[8:9], -1
                                        ; implicit-def: $vgpr4_vgpr5
	s_branch .LBB222_874
.LBB222_864:
	s_or_saveexec_b64 s[10:11], s[10:11]
	v_pk_mov_b32 v[4:5], s[8:9], s[8:9] op_sel:[0,1]
	s_xor_b64 exec, exec, s[10:11]
	s_cbranch_execz .LBB222_847
.LBB222_865:
	v_cmp_ne_u16_e32 vcc, 0, v8
	s_andn2_b64 s[6:7], s[6:7], exec
	s_and_b64 s[8:9], vcc, exec
	v_pk_mov_b32 v[4:5], 0, 0
	s_or_b64 s[6:7], s[6:7], s[8:9]
	s_or_b64 exec, exec, s[10:11]
	s_and_saveexec_b64 s[8:9], s[6:7]
	s_cbranch_execnz .LBB222_848
	s_branch .LBB222_849
.LBB222_866:
	s_mov_b64 s[6:7], -1
                                        ; implicit-def: $vgpr4_vgpr5
	s_branch .LBB222_871
.LBB222_867:
	s_mov_b64 s[6:7], -1
                                        ; implicit-def: $vgpr4_vgpr5
.LBB222_868:
	s_and_b64 vcc, exec, s[6:7]
	s_cbranch_vccz .LBB222_870
; %bb.869:
	global_load_ubyte v4, v[6:7], off
	s_mov_b32 s6, 0x7f800000
	s_waitcnt vmcnt(0)
	v_lshlrev_b32_e32 v4, 24, v4
	v_and_b32_e32 v5, 0x7f000000, v4
	v_ffbh_u32_e32 v8, v5
	v_min_u32_e32 v8, 32, v8
	v_sub_u32_e64 v8, v8, 4 clamp
	v_lshlrev_b32_e32 v10, v8, v5
	v_lshlrev_b32_e32 v8, 23, v8
	v_lshrrev_b32_e32 v10, 4, v10
	v_add_u32_e32 v9, 0x1000000, v5
	v_sub_u32_e32 v8, v10, v8
	v_ashrrev_i32_e32 v9, 8, v9
	v_add_u32_e32 v8, 0x3c000000, v8
	v_and_or_b32 v8, v9, s6, v8
	v_cmp_ne_u32_e32 vcc, 0, v5
	v_cndmask_b32_e32 v5, 0, v8, vcc
	s_brev_b32 s6, 1
	v_and_or_b32 v4, v4, s6, v5
	v_cvt_f64_f32_e32 v[4:5], v4
.LBB222_870:
	s_mov_b64 s[6:7], 0
.LBB222_871:
	s_andn2_b64 vcc, exec, s[6:7]
	s_cbranch_vccnz .LBB222_873
; %bb.872:
	global_load_ubyte v4, v[6:7], off
	s_movk_i32 s6, 0x7f00
	s_brev_b32 s7, 16
	s_waitcnt vmcnt(0)
	v_lshlrev_b16_e32 v5, 8, v4
	v_lshlrev_b32_e32 v4, 25, v4
	v_lshrrev_b32_e32 v8, 4, v4
	v_and_or_b32 v9, v5, s6, 0.5
	v_or_b32_e32 v8, 0x70000000, v8
	v_add_f32_e32 v9, -0.5, v9
	v_mul_f32_e32 v8, 0x7800000, v8
	v_cmp_gt_u32_e32 vcc, s7, v4
	v_bfe_i32 v5, v5, 0, 16
	v_cndmask_b32_e32 v4, v8, v9, vcc
	s_brev_b32 s6, 1
	v_and_or_b32 v4, v5, s6, v4
	v_cvt_f64_f32_e32 v[4:5], v4
.LBB222_873:
	s_mov_b64 s[8:9], 0
	s_mov_b64 s[6:7], -1
.LBB222_874:
	s_andn2_b64 vcc, exec, s[8:9]
	s_cbranch_vccnz .LBB222_886
; %bb.875:
	v_cmp_lt_i16_e32 vcc, 14, v44
	s_cbranch_vccz .LBB222_878
; %bb.876:
	v_cmp_eq_u16_e32 vcc, 15, v44
	s_cbranch_vccz .LBB222_881
; %bb.877:
	global_load_ushort v4, v[6:7], off
	s_mov_b64 s[8:9], 0
	v_writelane_b32 v87, s8, 59
	s_mov_b64 s[6:7], -1
	v_writelane_b32 v87, s9, 60
	s_waitcnt vmcnt(0)
	v_lshlrev_b32_e32 v4, 16, v4
	v_cvt_f64_f32_e32 v[4:5], v4
	s_branch .LBB222_882
.LBB222_878:
	s_mov_b64 s[8:9], -1
                                        ; implicit-def: $vgpr4_vgpr5
	s_branch .LBB222_883
.LBB222_879:
	s_or_saveexec_b64 s[10:11], s[10:11]
	v_pk_mov_b32 v[4:5], s[8:9], s[8:9] op_sel:[0,1]
	s_xor_b64 exec, exec, s[10:11]
	s_cbranch_execz .LBB222_860
.LBB222_880:
	v_cmp_ne_u16_e32 vcc, 0, v8
	s_andn2_b64 s[6:7], s[6:7], exec
	s_and_b64 s[8:9], vcc, exec
	v_pk_mov_b32 v[4:5], 0, 0
	s_or_b64 s[6:7], s[6:7], s[8:9]
	s_or_b64 exec, exec, s[10:11]
	s_and_saveexec_b64 s[8:9], s[6:7]
	s_cbranch_execnz .LBB222_861
	s_branch .LBB222_862
.LBB222_881:
	s_mov_b64 s[8:9], -1
	v_writelane_b32 v87, s8, 59
	v_writelane_b32 v87, s9, 60
                                        ; implicit-def: $vgpr4_vgpr5
.LBB222_882:
	s_mov_b64 s[8:9], 0
.LBB222_883:
	s_and_b64 vcc, exec, s[8:9]
	s_cbranch_vccz .LBB222_886
; %bb.884:
	v_cmp_eq_u16_e32 vcc, 11, v44
	s_cbranch_vccz .LBB222_898
; %bb.885:
	global_load_ubyte v5, v[6:7], off
	v_mov_b32_e32 v8, 0x3ff00000
	v_mov_b32_e32 v4, 0
	s_mov_b64 s[6:7], -1
	s_mov_b64 s[8:9], 0
	s_waitcnt vmcnt(0)
	v_cmp_ne_u16_e32 vcc, 0, v5
	v_cndmask_b32_e32 v5, 0, v8, vcc
	s_branch .LBB222_887
.LBB222_886:
	v_readlane_b32 s8, v87, 59
	v_readlane_b32 s9, v87, 60
.LBB222_887:
	v_writelane_b32 v87, s8, 59
	v_writelane_b32 v87, s9, 60
.LBB222_888:
	s_mov_b64 s[8:9], 0
.LBB222_889:
	s_and_b64 vcc, exec, s[8:9]
	s_cbranch_vccz .LBB222_939
; %bb.890:
	v_cmp_gt_i16_e32 vcc, 5, v44
	s_cbranch_vccnz .LBB222_895
; %bb.891:
	v_cmp_gt_i16_e32 vcc, 8, v44
	s_cbranch_vccnz .LBB222_896
	;; [unrolled: 3-line block ×3, first 2 shown]
; %bb.893:
	v_cmp_lt_i16_e32 vcc, 9, v44
	s_cbranch_vccz .LBB222_899
; %bb.894:
	global_load_dwordx2 v[4:5], v[6:7], off
	s_mov_b64 s[6:7], 0
	s_branch .LBB222_900
.LBB222_895:
	s_mov_b64 s[6:7], -1
                                        ; implicit-def: $vgpr4_vgpr5
	s_branch .LBB222_918
.LBB222_896:
	s_mov_b64 s[6:7], -1
                                        ; implicit-def: $vgpr4_vgpr5
	s_branch .LBB222_906
.LBB222_897:
	s_mov_b64 s[6:7], -1
                                        ; implicit-def: $vgpr4_vgpr5
	s_branch .LBB222_903
.LBB222_898:
	s_mov_b64 s[8:9], -1
                                        ; implicit-def: $vgpr4_vgpr5
	s_branch .LBB222_887
.LBB222_899:
	s_mov_b64 s[6:7], -1
                                        ; implicit-def: $vgpr4_vgpr5
.LBB222_900:
	s_andn2_b64 vcc, exec, s[6:7]
	s_cbranch_vccnz .LBB222_902
; %bb.901:
	global_load_dword v4, v[6:7], off
	s_waitcnt vmcnt(0)
	v_cvt_f64_f32_e32 v[4:5], v4
.LBB222_902:
	s_mov_b64 s[6:7], 0
.LBB222_903:
	s_andn2_b64 vcc, exec, s[6:7]
	s_cbranch_vccnz .LBB222_905
; %bb.904:
	global_load_dword v4, v[6:7], off
	s_waitcnt vmcnt(0)
	v_cvt_f32_f16_e32 v4, v4
	v_cvt_f64_f32_e32 v[4:5], v4
.LBB222_905:
	s_mov_b64 s[6:7], 0
.LBB222_906:
	s_andn2_b64 vcc, exec, s[6:7]
	s_cbranch_vccnz .LBB222_917
; %bb.907:
	v_cmp_gt_i16_e32 vcc, 6, v44
	s_cbranch_vccnz .LBB222_910
; %bb.908:
	v_cmp_lt_i16_e32 vcc, 6, v44
	s_cbranch_vccz .LBB222_911
; %bb.909:
	global_load_dwordx2 v[4:5], v[6:7], off
	s_mov_b64 s[6:7], 0
	s_branch .LBB222_912
.LBB222_910:
	s_mov_b64 s[6:7], -1
                                        ; implicit-def: $vgpr4_vgpr5
	s_branch .LBB222_915
.LBB222_911:
	s_mov_b64 s[6:7], -1
                                        ; implicit-def: $vgpr4_vgpr5
.LBB222_912:
	s_andn2_b64 vcc, exec, s[6:7]
	s_cbranch_vccnz .LBB222_914
; %bb.913:
	global_load_dword v4, v[6:7], off
	s_waitcnt vmcnt(0)
	v_cvt_f64_f32_e32 v[4:5], v4
.LBB222_914:
	s_mov_b64 s[6:7], 0
.LBB222_915:
	s_andn2_b64 vcc, exec, s[6:7]
	s_cbranch_vccnz .LBB222_917
; %bb.916:
	global_load_ushort v4, v[6:7], off
	s_waitcnt vmcnt(0)
	v_cvt_f32_f16_e32 v4, v4
	v_cvt_f64_f32_e32 v[4:5], v4
.LBB222_917:
	s_mov_b64 s[6:7], 0
.LBB222_918:
	s_andn2_b64 vcc, exec, s[6:7]
	s_cbranch_vccnz .LBB222_938
; %bb.919:
	v_cmp_gt_i16_e32 vcc, 2, v44
	s_cbranch_vccnz .LBB222_923
; %bb.920:
	v_cmp_gt_i16_e32 vcc, 3, v44
	s_cbranch_vccnz .LBB222_924
; %bb.921:
	v_cmp_lt_i16_e32 vcc, 3, v44
	s_cbranch_vccz .LBB222_925
; %bb.922:
	global_load_dwordx2 v[4:5], v[6:7], off
	s_mov_b64 s[6:7], 0
	s_waitcnt vmcnt(0)
	v_cvt_f64_i32_e32 v[8:9], v5
	v_cvt_f64_u32_e32 v[4:5], v4
	v_ldexp_f64 v[8:9], v[8:9], 32
	v_add_f64 v[4:5], v[8:9], v[4:5]
	s_branch .LBB222_926
.LBB222_923:
	s_mov_b64 s[6:7], -1
                                        ; implicit-def: $vgpr4_vgpr5
	s_branch .LBB222_932
.LBB222_924:
	s_mov_b64 s[6:7], -1
                                        ; implicit-def: $vgpr4_vgpr5
	s_branch .LBB222_929
.LBB222_925:
	s_mov_b64 s[6:7], -1
                                        ; implicit-def: $vgpr4_vgpr5
.LBB222_926:
	s_andn2_b64 vcc, exec, s[6:7]
	s_cbranch_vccnz .LBB222_928
; %bb.927:
	global_load_dword v4, v[6:7], off
	s_waitcnt vmcnt(0)
	v_cvt_f64_i32_e32 v[4:5], v4
.LBB222_928:
	s_mov_b64 s[6:7], 0
.LBB222_929:
	s_andn2_b64 vcc, exec, s[6:7]
	s_cbranch_vccnz .LBB222_931
; %bb.930:
	global_load_sshort v4, v[6:7], off
	s_waitcnt vmcnt(0)
	v_cvt_f64_i32_e32 v[4:5], v4
.LBB222_931:
	s_mov_b64 s[6:7], 0
.LBB222_932:
	s_andn2_b64 vcc, exec, s[6:7]
	s_cbranch_vccnz .LBB222_938
; %bb.933:
	v_cmp_lt_i16_e32 vcc, 0, v44
	s_cbranch_vccz .LBB222_935
; %bb.934:
	global_load_sbyte v4, v[6:7], off
	s_mov_b64 s[6:7], 0
	s_waitcnt vmcnt(0)
	v_cvt_f64_i32_e32 v[4:5], v4
	s_branch .LBB222_936
.LBB222_935:
	s_mov_b64 s[6:7], -1
                                        ; implicit-def: $vgpr4_vgpr5
.LBB222_936:
	s_andn2_b64 vcc, exec, s[6:7]
	s_cbranch_vccnz .LBB222_938
; %bb.937:
	global_load_ubyte v4, v[6:7], off
	s_waitcnt vmcnt(0)
	v_cvt_f64_u32_e32 v[4:5], v4
.LBB222_938:
	s_mov_b64 s[6:7], -1
.LBB222_939:
	s_andn2_b64 vcc, exec, s[6:7]
	s_cbranch_vccnz .LBB222_947
; %bb.940:
	v_writelane_b32 v87, s56, 38
	v_writelane_b32 v87, s57, 39
	;; [unrolled: 1-line block ×6, first 2 shown]
	s_mov_b64 s[96:97], s[46:47]
	s_mov_b32 s33, s37
	v_writelane_b32 v87, s5, 44
	s_getpc_b64 s[4:5]
	s_add_u32 s4, s4, _ZZZZN2at6native28launch_dirichlet_grad_kernelERNS_18TensorIteratorBaseEENKUlvE_clEvENKUlvE_clEvENKUldddE_clEddd@rel32@lo+4
	s_addc_u32 s5, s5, _ZZZZN2at6native28launch_dirichlet_grad_kernelERNS_18TensorIteratorBaseEENKUlvE_clEvENKUlvE_clEvENKUldddE_clEddd@rel32@hi+12
	s_swappc_b64 s[30:31], s[4:5]
	v_mov_b32_e32 v2, s89
	v_add_co_u32_e32 v4, vcc, s88, v42
	v_addc_co_u32_e32 v5, vcc, 0, v2, vcc
	v_mov_b32_e32 v2, 11
	v_cmp_lt_i16_sdwa s[4:5], v41, v2 src0_sel:BYTE_0 src1_sel:DWORD
	s_and_b64 vcc, exec, s[4:5]
	s_cbranch_vccnz .LBB222_948
; %bb.941:
	v_mov_b32_e32 v2, 25
	v_cmp_gt_i16_sdwa s[4:5], v41, v2 src0_sel:BYTE_0 src1_sel:DWORD
	s_and_b64 vcc, exec, s[4:5]
	s_cbranch_vccz .LBB222_949
; %bb.942:
	v_mov_b32_e32 v2, 28
	v_cmp_gt_i16_sdwa s[4:5], v41, v2 src0_sel:BYTE_0 src1_sel:DWORD
	s_and_b64 vcc, exec, s[4:5]
	v_readlane_b32 s4, v87, 43
	v_readlane_b32 s44, v87, 40
	;; [unrolled: 1-line block ×3, first 2 shown]
	s_mov_b32 s37, s33
	s_mov_b64 s[42:43], 0
	v_readlane_b32 s45, v87, 41
	s_cbranch_vccz .LBB222_950
; %bb.943:
	v_mov_b32_e32 v2, 43
	v_cmp_gt_i16_sdwa s[6:7], v41, v2 src0_sel:BYTE_0 src1_sel:DWORD
	s_and_b64 vcc, exec, s[6:7]
	v_readlane_b32 s33, v87, 61
	s_mov_b64 s[46:47], s[96:97]
	s_cbranch_vccz .LBB222_951
; %bb.944:
	v_mov_b32_e32 v2, 45
	v_cmp_gt_i16_sdwa s[6:7], v41, v2 src0_sel:BYTE_0 src1_sel:DWORD
	v_readlane_b32 s56, v87, 38
	s_and_b64 vcc, exec, s[6:7]
	v_readlane_b32 s57, v87, 39
	s_cbranch_vccz .LBB222_952
; %bb.945:
	v_mov_b32_e32 v2, 46
	v_cmp_eq_u16_sdwa s[8:9], v41, v2 src0_sel:BYTE_0 src1_sel:DWORD
	s_mov_b64 s[10:11], 0
	s_mov_b64 s[6:7], -1
	s_and_b64 vcc, exec, s[8:9]
	s_mov_b64 s[8:9], 0
	s_cbranch_vccz .LBB222_953
; %bb.946:
	v_cvt_f32_f64_e32 v2, v[0:1]
	v_bfe_u32 v3, v2, 16, 1
	s_movk_i32 s6, 0x7fff
	v_add3_u32 v3, v2, v3, s6
	v_lshrrev_b32_e32 v3, 16, v3
	v_mov_b32_e32 v6, 0x7fc0
	v_cmp_o_f32_e32 vcc, v2, v2
	v_cndmask_b32_e32 v2, v6, v3, vcc
	global_store_dword v[4:5], v2, off
	s_mov_b64 s[8:9], -1
	s_mov_b64 s[6:7], 0
	s_branch .LBB222_953
.LBB222_947:
	v_readlane_b32 s6, v87, 26
	s_mov_b64 s[8:9], 0
                                        ; implicit-def: $vgpr45
	v_readlane_b32 s7, v87, 27
	s_branch .LBB222_1064
.LBB222_948:
	v_readlane_b32 s6, v87, 26
	v_readlane_b32 s4, v87, 43
	;; [unrolled: 1-line block ×4, first 2 shown]
	s_mov_b64 s[10:11], -1
	s_mov_b64 s[8:9], 0
	v_readlane_b32 s7, v87, 27
	v_readlane_b32 s5, v87, 44
	s_mov_b32 s37, s33
	v_readlane_b32 s33, v87, 61
	s_mov_b64 s[42:43], 0
	v_readlane_b32 s45, v87, 41
	s_mov_b64 s[46:47], s[96:97]
	v_readlane_b32 s57, v87, 39
	s_branch .LBB222_1022
.LBB222_949:
	v_readlane_b32 s6, v87, 26
	v_readlane_b32 s4, v87, 43
	;; [unrolled: 1-line block ×4, first 2 shown]
	s_mov_b64 s[10:11], -1
	s_mov_b64 s[8:9], 0
	v_readlane_b32 s7, v87, 27
	v_readlane_b32 s5, v87, 44
	s_mov_b32 s37, s33
	v_readlane_b32 s33, v87, 61
	s_mov_b64 s[42:43], 0
	v_readlane_b32 s45, v87, 41
	s_mov_b64 s[46:47], s[96:97]
	v_readlane_b32 s57, v87, 39
	s_branch .LBB222_980
.LBB222_950:
	v_readlane_b32 s6, v87, 26
	v_readlane_b32 s56, v87, 38
	s_mov_b64 s[10:11], -1
	s_mov_b64 s[8:9], 0
	v_readlane_b32 s7, v87, 27
	v_readlane_b32 s33, v87, 61
	s_mov_b64 s[46:47], s[96:97]
	v_readlane_b32 s57, v87, 39
	s_branch .LBB222_963
.LBB222_951:
	v_readlane_b32 s6, v87, 26
	v_readlane_b32 s56, v87, 38
	s_mov_b64 s[10:11], -1
	s_mov_b64 s[8:9], 0
	v_readlane_b32 s7, v87, 27
	v_readlane_b32 s57, v87, 39
	s_branch .LBB222_959
.LBB222_952:
	v_readlane_b32 s6, v87, 26
	s_mov_b64 s[10:11], -1
	s_mov_b64 s[8:9], 0
	v_readlane_b32 s7, v87, 27
.LBB222_953:
	s_and_b64 vcc, exec, s[10:11]
	s_cbranch_vccz .LBB222_958
; %bb.954:
	v_mov_b32_e32 v2, 44
	v_cmp_eq_u16_sdwa s[10:11], v41, v2 src0_sel:BYTE_0 src1_sel:DWORD
	s_mov_b64 s[6:7], -1
	s_and_b64 vcc, exec, s[10:11]
	s_cbranch_vccz .LBB222_958
; %bb.955:
	v_cvt_f32_f64_e32 v2, v[0:1]
	v_bfe_u32 v3, v2, 23, 8
	s_movk_i32 s6, 0xff
	v_cmp_ne_u32_e32 vcc, s6, v3
	v_mov_b32_e32 v6, 0xff
	s_and_saveexec_b64 s[8:9], vcc
; %bb.956:
	s_mov_b32 s6, 0x3fffff
	v_lshrrev_b32_e32 v6, 23, v2
	v_and_b32_e32 v7, 0x400000, v2
	v_and_or_b32 v2, v2, s6, v3
	v_cmp_ne_u32_e32 vcc, 0, v7
	v_cmp_ne_u32_e64 s[6:7], 0, v2
	s_and_b64 s[6:7], vcc, s[6:7]
	v_cndmask_b32_e64 v2, 0, 1, s[6:7]
	v_add_u32_e32 v6, v6, v2
; %bb.957:
	s_or_b64 exec, exec, s[8:9]
	s_mov_b64 s[8:9], -1
	s_mov_b64 s[6:7], 0
	global_store_byte v[4:5], v6, off
.LBB222_958:
	s_mov_b64 s[10:11], 0
.LBB222_959:
	s_and_b64 vcc, exec, s[10:11]
	s_cbranch_vccz .LBB222_962
; %bb.960:
	v_mov_b32_e32 v2, 29
	v_cmp_eq_u16_sdwa s[10:11], v41, v2 src0_sel:BYTE_0 src1_sel:DWORD
	s_mov_b64 s[6:7], -1
	s_and_b64 vcc, exec, s[10:11]
	s_cbranch_vccz .LBB222_962
; %bb.961:
	v_trunc_f64_e32 v[2:3], v[0:1]
	s_movk_i32 s6, 0xffe0
	v_ldexp_f64 v[6:7], v[2:3], s6
	v_floor_f64_e32 v[6:7], v[6:7]
	v_fmac_f64_e32 v[2:3], 0xc1f00000, v[6:7]
	v_cvt_u32_f64_e32 v9, v[6:7]
	v_cvt_u32_f64_e32 v8, v[2:3]
	global_store_dwordx2 v[4:5], v[8:9], off
	s_mov_b64 s[8:9], -1
	s_mov_b64 s[6:7], 0
.LBB222_962:
	s_mov_b64 s[10:11], 0
.LBB222_963:
	s_and_b64 vcc, exec, s[10:11]
	s_cbranch_vccz .LBB222_979
; %bb.964:
	v_mov_b32_e32 v2, 27
	v_cmp_lt_i16_sdwa s[10:11], v41, v2 src0_sel:BYTE_0 src1_sel:DWORD
	s_mov_b64 s[8:9], -1
	s_and_b64 vcc, exec, s[10:11]
	s_cbranch_vccnz .LBB222_970
; %bb.965:
	v_cmp_gt_i16_sdwa s[10:11], v41, v2 src0_sel:BYTE_0 src1_sel:DWORD
	s_and_b64 vcc, exec, s[10:11]
	s_cbranch_vccz .LBB222_967
; %bb.966:
	v_cvt_u32_f64_e32 v2, v[0:1]
	s_mov_b64 s[8:9], 0
	global_store_dword v[4:5], v2, off
.LBB222_967:
	s_andn2_b64 vcc, exec, s[8:9]
	s_cbranch_vccnz .LBB222_969
; %bb.968:
	v_cvt_u32_f64_e32 v2, v[0:1]
	global_store_short v[4:5], v2, off
.LBB222_969:
	s_mov_b64 s[8:9], 0
.LBB222_970:
	s_andn2_b64 vcc, exec, s[8:9]
	s_cbranch_vccnz .LBB222_978
; %bb.971:
	v_cvt_f32_f64_e32 v2, v[0:1]
	v_and_b32_e32 v3, 0x7fffffff, v2
	s_mov_b32 s8, 0x43800000
	v_cmp_gt_u32_e32 vcc, s8, v3
	v_mov_b32_e32 v6, 0x80
	s_and_saveexec_b64 s[8:9], vcc
	s_cbranch_execz .LBB222_977
; %bb.972:
	s_mov_b32 s10, 0x3bffffff
	v_cmp_lt_u32_e32 vcc, s10, v3
	s_mov_b64 s[10:11], 0
                                        ; implicit-def: $vgpr3
	s_and_saveexec_b64 s[12:13], vcc
	s_xor_b64 s[12:13], exec, s[12:13]
	s_cbranch_execz .LBB222_1220
; %bb.973:
	v_bfe_u32 v3, v2, 20, 1
	s_mov_b32 s14, 0x487ffff
	v_add3_u32 v3, v2, v3, s14
	s_mov_b64 s[10:11], exec
	v_lshrrev_b32_e32 v3, 20, v3
	s_or_saveexec_b64 s[12:13], s[12:13]
                                        ; implicit-def: $sgpr14
	s_xor_b64 exec, exec, s[12:13]
	s_cbranch_execnz .LBB222_1221
.LBB222_974:
	s_or_b64 exec, exec, s[12:13]
	v_mov_b32_e32 v6, s14
	s_and_saveexec_b64 s[12:13], s[10:11]
.LBB222_975:
	v_lshrrev_b32_e32 v2, 24, v2
	s_movk_i32 s10, 0x80
	v_and_or_b32 v6, v2, s10, v3
.LBB222_976:
	s_or_b64 exec, exec, s[12:13]
.LBB222_977:
	s_or_b64 exec, exec, s[8:9]
	global_store_byte v[4:5], v6, off
.LBB222_978:
	s_mov_b64 s[8:9], -1
.LBB222_979:
	s_mov_b64 s[10:11], 0
.LBB222_980:
	s_and_b64 vcc, exec, s[10:11]
	s_cbranch_vccz .LBB222_1021
; %bb.981:
	v_mov_b32_e32 v2, 22
	v_cmp_gt_i16_sdwa s[12:13], v41, v2 src0_sel:BYTE_0 src1_sel:DWORD
	s_mov_b64 s[10:11], -1
	s_and_b64 vcc, exec, s[12:13]
	s_cbranch_vccz .LBB222_1013
; %bb.982:
	v_mov_b32_e32 v2, 24
	v_cmp_lt_i16_sdwa s[10:11], v41, v2 src0_sel:BYTE_0 src1_sel:DWORD
	s_mov_b64 s[8:9], -1
	s_and_b64 vcc, exec, s[10:11]
	s_cbranch_vccnz .LBB222_1002
; %bb.983:
	v_cmp_gt_i16_sdwa s[10:11], v41, v2 src0_sel:BYTE_0 src1_sel:DWORD
	s_and_b64 vcc, exec, s[10:11]
	s_cbranch_vccz .LBB222_991
; %bb.984:
	v_cvt_f32_f64_e32 v2, v[0:1]
	v_and_b32_e32 v3, 0x7fffffff, v2
	s_mov_b32 s8, 0x47800000
	v_cmp_gt_u32_e32 vcc, s8, v3
	v_mov_b32_e32 v6, 0x80
	s_and_saveexec_b64 s[8:9], vcc
	s_cbranch_execz .LBB222_990
; %bb.985:
	s_mov_b32 s10, 0x37ffffff
	v_cmp_lt_u32_e32 vcc, s10, v3
	s_mov_b64 s[10:11], 0
                                        ; implicit-def: $vgpr3
	s_and_saveexec_b64 s[12:13], vcc
	s_xor_b64 s[12:13], exec, s[12:13]
	s_cbranch_execz .LBB222_1355
; %bb.986:
	v_bfe_u32 v3, v2, 21, 1
	s_mov_b32 s14, 0x88fffff
	v_add3_u32 v3, v2, v3, s14
	s_mov_b64 s[10:11], exec
	v_lshrrev_b32_e32 v3, 21, v3
	s_or_saveexec_b64 s[12:13], s[12:13]
                                        ; implicit-def: $sgpr14
	s_xor_b64 exec, exec, s[12:13]
	s_cbranch_execnz .LBB222_1356
.LBB222_987:
	s_or_b64 exec, exec, s[12:13]
	v_mov_b32_e32 v6, s14
	s_and_saveexec_b64 s[12:13], s[10:11]
.LBB222_988:
	v_lshrrev_b32_e32 v2, 24, v2
	s_movk_i32 s10, 0x80
	v_and_or_b32 v6, v2, s10, v3
.LBB222_989:
	s_or_b64 exec, exec, s[12:13]
.LBB222_990:
	s_or_b64 exec, exec, s[8:9]
	s_mov_b64 s[8:9], 0
	global_store_byte v[4:5], v6, off
.LBB222_991:
	s_and_b64 vcc, exec, s[8:9]
	s_cbranch_vccz .LBB222_1001
; %bb.992:
	v_cvt_f32_f64_e32 v2, v[0:1]
	v_and_b32_e32 v6, 0x7fffffff, v2
	s_mov_b32 s8, 0x43f00000
	v_cmp_gt_u32_e32 vcc, s8, v6
                                        ; implicit-def: $vgpr3
	s_and_saveexec_b64 s[8:9], vcc
	s_xor_b64 s[8:9], exec, s[8:9]
	s_cbranch_execz .LBB222_998
; %bb.993:
	s_mov_b32 s10, 0x3c7fffff
	v_cmp_lt_u32_e32 vcc, s10, v6
                                        ; implicit-def: $vgpr3
	s_and_saveexec_b64 s[10:11], vcc
	s_xor_b64 s[10:11], exec, s[10:11]
; %bb.994:
	v_bfe_u32 v3, v2, 20, 1
	s_mov_b32 s12, 0x407ffff
	v_add3_u32 v3, v2, v3, s12
	v_lshrrev_b32_e32 v6, 20, v3
	v_and_b32_e32 v3, 0xff00000, v3
	s_mov_b32 s12, 0x7f00000
	v_mov_b32_e32 v7, 0x7e
	v_cmp_ne_u32_e32 vcc, s12, v3
	v_cndmask_b32_e32 v3, v7, v6, vcc
; %bb.995:
	s_andn2_saveexec_b64 s[10:11], s[10:11]
; %bb.996:
	s_mov_b32 s12, 0x46800000
	v_add_f32_e64 v3, |v2|, s12
; %bb.997:
	s_or_b64 exec, exec, s[10:11]
                                        ; implicit-def: $vgpr6
.LBB222_998:
	s_andn2_saveexec_b64 s[8:9], s[8:9]
; %bb.999:
	s_mov_b32 s10, 0x7f800000
	v_mov_b32_e32 v3, 0x7e
	v_mov_b32_e32 v7, 0x7f
	v_cmp_lt_u32_e32 vcc, s10, v6
	v_cndmask_b32_e32 v3, v3, v7, vcc
; %bb.1000:
	s_or_b64 exec, exec, s[8:9]
	v_lshrrev_b32_e32 v2, 24, v2
	s_movk_i32 s8, 0x80
	v_and_or_b32 v2, v2, s8, v3
	global_store_byte v[4:5], v2, off
.LBB222_1001:
	s_mov_b64 s[8:9], 0
.LBB222_1002:
	s_andn2_b64 vcc, exec, s[8:9]
	s_cbranch_vccnz .LBB222_1012
; %bb.1003:
	v_cvt_f32_f64_e32 v2, v[0:1]
	v_and_b32_e32 v6, 0x7fffffff, v2
	s_mov_b32 s8, 0x47800000
	v_cmp_gt_u32_e32 vcc, s8, v6
                                        ; implicit-def: $vgpr3
	s_and_saveexec_b64 s[8:9], vcc
	s_xor_b64 s[8:9], exec, s[8:9]
	s_cbranch_execz .LBB222_1009
; %bb.1004:
	s_mov_b32 s10, 0x387fffff
	v_cmp_lt_u32_e32 vcc, s10, v6
                                        ; implicit-def: $vgpr3
	s_and_saveexec_b64 s[10:11], vcc
	s_xor_b64 s[10:11], exec, s[10:11]
; %bb.1005:
	v_bfe_u32 v3, v2, 21, 1
	s_mov_b32 s12, 0x80fffff
	v_add3_u32 v3, v2, v3, s12
	v_lshrrev_b32_e32 v3, 21, v3
; %bb.1006:
	s_andn2_saveexec_b64 s[10:11], s[10:11]
; %bb.1007:
	s_mov_b32 s12, 0x43000000
	v_add_f32_e64 v3, |v2|, s12
; %bb.1008:
	s_or_b64 exec, exec, s[10:11]
                                        ; implicit-def: $vgpr6
.LBB222_1009:
	s_andn2_saveexec_b64 s[8:9], s[8:9]
; %bb.1010:
	s_mov_b32 s10, 0x7f800000
	v_mov_b32_e32 v3, 0x7c
	v_mov_b32_e32 v7, 0x7f
	v_cmp_lt_u32_e32 vcc, s10, v6
	v_cndmask_b32_e32 v3, v3, v7, vcc
; %bb.1011:
	s_or_b64 exec, exec, s[8:9]
	v_lshrrev_b32_e32 v2, 24, v2
	s_movk_i32 s8, 0x80
	v_and_or_b32 v2, v2, s8, v3
	global_store_byte v[4:5], v2, off
.LBB222_1012:
	s_mov_b64 s[10:11], 0
	s_mov_b64 s[8:9], -1
.LBB222_1013:
	s_andn2_b64 vcc, exec, s[10:11]
	s_cbranch_vccnz .LBB222_1021
; %bb.1014:
	v_mov_b32_e32 v2, 14
	v_cmp_gt_i16_sdwa s[12:13], v41, v2 src0_sel:BYTE_0 src1_sel:DWORD
	s_mov_b64 s[10:11], -1
	s_and_b64 vcc, exec, s[12:13]
	s_cbranch_vccz .LBB222_1018
; %bb.1015:
	v_mov_b32_e32 v2, 15
	v_cmp_eq_u16_sdwa s[10:11], v41, v2 src0_sel:BYTE_0 src1_sel:DWORD
	s_mov_b64 s[6:7], -1
	s_and_b64 vcc, exec, s[10:11]
	s_cbranch_vccz .LBB222_1017
; %bb.1016:
	v_cvt_f32_f64_e32 v2, v[0:1]
	v_bfe_u32 v3, v2, 16, 1
	s_movk_i32 s6, 0x7fff
	v_add3_u32 v3, v2, v3, s6
	v_lshrrev_b32_e32 v3, 16, v3
	v_mov_b32_e32 v6, 0x7fc0
	v_cmp_o_f32_e32 vcc, v2, v2
	v_cndmask_b32_e32 v2, v6, v3, vcc
	global_store_short v[4:5], v2, off
	s_mov_b64 s[8:9], -1
	s_mov_b64 s[6:7], 0
.LBB222_1017:
	s_mov_b64 s[10:11], 0
.LBB222_1018:
	s_and_b64 vcc, exec, s[10:11]
	s_cbranch_vccz .LBB222_1021
; %bb.1019:
	v_mov_b32_e32 v2, 11
	v_cmp_eq_u16_sdwa s[10:11], v41, v2 src0_sel:BYTE_0 src1_sel:DWORD
	s_mov_b64 s[6:7], -1
	s_and_b64 vcc, exec, s[10:11]
	s_cbranch_vccz .LBB222_1021
; %bb.1020:
	v_cmp_neq_f64_e32 vcc, 0, v[0:1]
	s_mov_b64 s[6:7], 0
	v_cndmask_b32_e64 v2, 0, 1, vcc
	s_mov_b64 s[8:9], -1
	global_store_byte v[4:5], v2, off
.LBB222_1021:
	s_mov_b64 s[10:11], 0
.LBB222_1022:
	s_and_b64 vcc, exec, s[10:11]
	s_cbranch_vccz .LBB222_1061
; %bb.1023:
	v_mov_b32_e32 v2, 5
	v_cmp_lt_i16_sdwa s[10:11], v41, v2 src0_sel:BYTE_0 src1_sel:DWORD
	s_mov_b64 s[8:9], -1
	s_and_b64 vcc, exec, s[10:11]
	s_cbranch_vccnz .LBB222_1044
; %bb.1024:
	v_mov_b32_e32 v2, 8
	v_cmp_lt_i16_sdwa s[10:11], v41, v2 src0_sel:BYTE_0 src1_sel:DWORD
	s_and_b64 vcc, exec, s[10:11]
	s_cbranch_vccnz .LBB222_1034
; %bb.1025:
	v_mov_b32_e32 v2, 9
	v_cmp_lt_i16_sdwa s[10:11], v41, v2 src0_sel:BYTE_0 src1_sel:DWORD
	s_and_b64 vcc, exec, s[10:11]
	s_cbranch_vccnz .LBB222_1031
; %bb.1026:
	v_cmp_gt_i16_sdwa s[10:11], v41, v2 src0_sel:BYTE_0 src1_sel:DWORD
	s_and_b64 vcc, exec, s[10:11]
	s_cbranch_vccz .LBB222_1028
; %bb.1027:
	v_mov_b32_e32 v2, 0
	v_mov_b32_e32 v3, v2
	s_mov_b64 s[8:9], 0
	global_store_dwordx4 v[4:5], v[0:3], off
.LBB222_1028:
	s_andn2_b64 vcc, exec, s[8:9]
	s_cbranch_vccnz .LBB222_1030
; %bb.1029:
	v_cvt_f32_f64_e32 v2, v[0:1]
	v_mov_b32_e32 v3, 0
	global_store_dwordx2 v[4:5], v[2:3], off
.LBB222_1030:
	s_mov_b64 s[8:9], 0
.LBB222_1031:
	s_andn2_b64 vcc, exec, s[8:9]
	s_cbranch_vccnz .LBB222_1033
; %bb.1032:
	v_cvt_f32_f64_e32 v2, v[0:1]
	v_cvt_f16_f32_e32 v2, v2
	global_store_dword v[4:5], v2, off
.LBB222_1033:
	s_mov_b64 s[8:9], 0
.LBB222_1034:
	s_andn2_b64 vcc, exec, s[8:9]
	s_cbranch_vccnz .LBB222_1043
; %bb.1035:
	v_mov_b32_e32 v2, 6
	v_cmp_lt_i16_sdwa s[10:11], v41, v2 src0_sel:BYTE_0 src1_sel:DWORD
	s_mov_b64 s[8:9], -1
	s_and_b64 vcc, exec, s[10:11]
	s_cbranch_vccnz .LBB222_1041
; %bb.1036:
	v_cmp_gt_i16_sdwa s[10:11], v41, v2 src0_sel:BYTE_0 src1_sel:DWORD
	s_and_b64 vcc, exec, s[10:11]
	s_cbranch_vccz .LBB222_1038
; %bb.1037:
	s_mov_b64 s[8:9], 0
	global_store_dwordx2 v[4:5], v[0:1], off
.LBB222_1038:
	s_andn2_b64 vcc, exec, s[8:9]
	s_cbranch_vccnz .LBB222_1040
; %bb.1039:
	v_cvt_f32_f64_e32 v2, v[0:1]
	global_store_dword v[4:5], v2, off
.LBB222_1040:
	s_mov_b64 s[8:9], 0
.LBB222_1041:
	s_andn2_b64 vcc, exec, s[8:9]
	s_cbranch_vccnz .LBB222_1043
; %bb.1042:
	v_cvt_f32_f64_e32 v2, v[0:1]
	v_cvt_f16_f32_e32 v2, v2
	global_store_short v[4:5], v2, off
.LBB222_1043:
	s_mov_b64 s[8:9], 0
.LBB222_1044:
	s_andn2_b64 vcc, exec, s[8:9]
	s_cbranch_vccnz .LBB222_1060
; %bb.1045:
	v_mov_b32_e32 v2, 2
	v_cmp_lt_i16_sdwa s[10:11], v41, v2 src0_sel:BYTE_0 src1_sel:DWORD
	s_mov_b64 s[8:9], -1
	s_and_b64 vcc, exec, s[10:11]
	s_cbranch_vccnz .LBB222_1055
; %bb.1046:
	v_mov_b32_e32 v2, 3
	v_cmp_lt_i16_sdwa s[10:11], v41, v2 src0_sel:BYTE_0 src1_sel:DWORD
	s_and_b64 vcc, exec, s[10:11]
	s_cbranch_vccnz .LBB222_1052
; %bb.1047:
	v_cmp_gt_i16_sdwa s[10:11], v41, v2 src0_sel:BYTE_0 src1_sel:DWORD
	s_and_b64 vcc, exec, s[10:11]
	s_cbranch_vccz .LBB222_1049
; %bb.1048:
	v_trunc_f64_e32 v[2:3], v[0:1]
	s_movk_i32 s8, 0xffe0
	v_ldexp_f64 v[6:7], v[2:3], s8
	v_floor_f64_e32 v[6:7], v[6:7]
	v_fmac_f64_e32 v[2:3], 0xc1f00000, v[6:7]
	v_cvt_i32_f64_e32 v9, v[6:7]
	v_cvt_u32_f64_e32 v8, v[2:3]
	s_mov_b64 s[8:9], 0
	global_store_dwordx2 v[4:5], v[8:9], off
.LBB222_1049:
	s_andn2_b64 vcc, exec, s[8:9]
	s_cbranch_vccnz .LBB222_1051
; %bb.1050:
	v_cvt_i32_f64_e32 v2, v[0:1]
	global_store_dword v[4:5], v2, off
.LBB222_1051:
	s_mov_b64 s[8:9], 0
.LBB222_1052:
	s_andn2_b64 vcc, exec, s[8:9]
	s_cbranch_vccnz .LBB222_1054
; %bb.1053:
	v_cvt_i32_f64_e32 v2, v[0:1]
	global_store_short v[4:5], v2, off
.LBB222_1054:
	s_mov_b64 s[8:9], 0
.LBB222_1055:
	s_andn2_b64 vcc, exec, s[8:9]
	s_cbranch_vccnz .LBB222_1060
; %bb.1056:
	v_mov_b32_e32 v2, 0
	v_cmp_gt_i16_sdwa s[10:11], v41, v2 src0_sel:BYTE_0 src1_sel:DWORD
	s_mov_b64 s[8:9], -1
	s_and_b64 vcc, exec, s[10:11]
	s_cbranch_vccz .LBB222_1058
; %bb.1057:
	v_cvt_i32_f64_e32 v2, v[0:1]
	s_mov_b64 s[8:9], 0
	global_store_byte v[4:5], v2, off
.LBB222_1058:
	s_andn2_b64 vcc, exec, s[8:9]
	s_cbranch_vccnz .LBB222_1060
; %bb.1059:
	v_trunc_f64_e32 v[0:1], v[0:1]
	s_movk_i32 s8, 0xffe0
	v_ldexp_f64 v[2:3], v[0:1], s8
	v_floor_f64_e32 v[2:3], v[2:3]
	v_fmac_f64_e32 v[0:1], 0xc1f00000, v[2:3]
	v_cvt_u32_f64_e32 v0, v[0:1]
	global_store_byte v[4:5], v0, off
.LBB222_1060:
	s_mov_b64 s[8:9], -1
.LBB222_1061:
	s_andn2_b64 vcc, exec, s[8:9]
	s_cbranch_vccnz .LBB222_1063
; %bb.1062:
	v_add_u32_e32 v45, 0x80, v45
	s_mov_b64 s[8:9], -1
	s_branch .LBB222_1064
.LBB222_1063:
	s_mov_b64 s[8:9], 0
                                        ; implicit-def: $vgpr45
.LBB222_1064:
	v_readlane_b32 s10, v87, 26
	v_readlane_b32 s12, v87, 19
	v_readlane_b32 s14, v87, 17
	v_readlane_b32 s16, v87, 57
	v_readlane_b32 s18, v87, 59
	v_readlane_b32 s11, v87, 27
	v_readlane_b32 s13, v87, 20
	v_readlane_b32 s15, v87, 18
	v_readlane_b32 s17, v87, 58
	v_readlane_b32 s19, v87, 60
.LBB222_1065:
	s_andn2_b64 s[10:11], s[10:11], exec
	s_and_b64 s[6:7], s[6:7], exec
	s_or_b64 s[96:97], s[10:11], s[6:7]
	s_andn2_b64 s[6:7], s[12:13], exec
	s_and_b64 s[10:11], s[18:19], exec
	s_or_b64 s[6:7], s[6:7], s[10:11]
	v_writelane_b32 v87, s6, 49
	v_writelane_b32 v87, s7, 50
	s_andn2_b64 s[6:7], s[14:15], exec
	s_and_b64 s[10:11], s[16:17], exec
	s_or_b64 s[6:7], s[6:7], s[10:11]
	v_writelane_b32 v87, s6, 47
	v_writelane_b32 v87, s7, 48
	v_readlane_b32 s6, v87, 15
	v_readlane_b32 s10, v87, 55
	;; [unrolled: 1-line block ×4, first 2 shown]
	s_andn2_b64 s[6:7], s[6:7], exec
	s_and_b64 s[10:11], s[10:11], exec
	s_or_b64 s[6:7], s[6:7], s[10:11]
	v_writelane_b32 v87, s6, 45
	v_writelane_b32 v87, s7, 46
	s_orn2_b64 s[6:7], s[8:9], exec
.LBB222_1066:
	v_readlane_b32 s8, v87, 51
	v_readlane_b32 s9, v87, 52
	s_or_b64 exec, exec, s[8:9]
	s_mov_b64 s[12:13], 0
	s_mov_b64 s[10:11], 0
	;; [unrolled: 1-line block ×3, first 2 shown]
                                        ; implicit-def: $vgpr1
                                        ; implicit-def: $vgpr2_vgpr3
                                        ; implicit-def: $vgpr42
                                        ; implicit-def: $vgpr0
                                        ; implicit-def: $vgpr4
                                        ; implicit-def: $vgpr6_vgpr7
	s_mov_b64 s[14:15], exec
	v_writelane_b32 v87, s14, 53
	s_and_b64 s[6:7], s[14:15], s[6:7]
	v_writelane_b32 v87, s15, 54
	s_mov_b64 exec, s[6:7]
	s_cbranch_execz .LBB222_1695
; %bb.1067:
	v_readlane_b32 s6, v87, 14
	v_cmp_gt_i32_e32 vcc, s6, v45
	v_readlane_b32 s6, v87, 45
	v_readlane_b32 s20, v87, 47
	;; [unrolled: 1-line block ×3, first 2 shown]
	s_mov_b64 s[14:15], -1
	v_readlane_b32 s7, v87, 46
	v_readlane_b32 s21, v87, 48
	v_readlane_b32 s23, v87, 50
	s_mov_b64 s[24:25], s[96:97]
	s_mov_b64 s[8:9], exec
	v_writelane_b32 v87, s8, 62
	v_writelane_b32 v87, s9, 63
	s_and_b64 s[8:9], s[8:9], vcc
	s_mov_b64 exec, s[8:9]
	s_cbranch_execz .LBB222_1603
; %bb.1068:
	s_andn2_b64 vcc, exec, s[44:45]
	s_cbranch_vccnz .LBB222_1075
; %bb.1069:
	v_readlane_b32 s6, v87, 21
	v_readlane_b32 s7, v87, 22
	s_andn2_b64 vcc, exec, s[6:7]
	s_waitcnt vmcnt(0)
	v_mov_b32_e32 v0, 0
	v_mov_b32_e32 v42, 0
	;; [unrolled: 1-line block ×4, first 2 shown]
	s_cbranch_vccnz .LBB222_1074
; %bb.1070:
	v_readlane_b32 s23, v87, 23
	s_add_i32 s6, s23, 1
	s_and_b32 s22, s6, 30
	s_add_u32 s6, s56, 0xa4
	s_addc_u32 s7, s57, 0
	v_mov_b32_e32 v2, 0
	s_mov_b64 s[20:21], s[56:57]
	v_mov_b32_e32 v1, v45
	v_mov_b32_e32 v4, 0
	;; [unrolled: 1-line block ×4, first 2 shown]
.LBB222_1071:                           ; =>This Inner Loop Header: Depth=1
	s_load_dwordx4 s[16:19], s[20:21], 0x4
	s_load_dwordx2 s[26:27], s[20:21], 0x14
	s_mov_b64 s[24:25], s[6:7]
	s_load_dwordx8 s[8:15], s[24:25], 0x20
	s_add_u32 s6, s24, 32
	s_waitcnt lgkmcnt(0)
	v_mul_hi_u32 v3, s17, v1
	v_add_u32_e32 v3, v1, v3
	v_lshrrev_b32_e32 v3, s18, v3
	v_mul_lo_u32 v5, v3, s16
	v_mul_hi_u32 v6, s26, v3
	v_sub_u32_e32 v1, v1, v5
	v_add_u32_e32 v5, v3, v6
	v_mul_lo_u32 v6, v1, s8
	v_mul_lo_u32 v7, v1, s9
	;; [unrolled: 1-line block ×4, first 2 shown]
	v_lshrrev_b32_e32 v1, s27, v5
	s_addc_u32 s7, s25, 0
	v_mul_lo_u32 v5, v1, s19
	s_add_u32 s20, s20, 24
	v_sub_u32_e32 v3, v3, v5
	s_addc_u32 s21, s21, 0
	s_add_i32 s22, s22, -2
	v_mul_lo_u32 v5, v3, s12
	v_mul_lo_u32 v10, v3, s13
	;; [unrolled: 1-line block ×4, first 2 shown]
	s_cmp_eq_u32 s22, 0
	v_add3_u32 v0, v7, v0, v10
	v_add3_u32 v42, v6, v42, v5
	;; [unrolled: 1-line block ×4, first 2 shown]
	s_cbranch_scc0 .LBB222_1071
; %bb.1072:
	s_bitcmp1_b32 s23, 0
	s_cselect_b64 s[8:9], -1, 0
	s_and_b64 vcc, exec, s[8:9]
	s_cbranch_vccnz .LBB222_1074
; %bb.1073:
	s_load_dwordx2 s[12:13], s[20:21], 0x4
	s_load_dword s14, s[20:21], 0xc
	s_load_dwordx4 s[8:11], s[6:7], 0x20
	s_waitcnt lgkmcnt(0)
	v_mul_hi_u32 v3, s13, v1
	v_add_u32_e32 v3, v1, v3
	v_lshrrev_b32_e32 v3, s14, v3
	v_mul_lo_u32 v3, v3, s12
	v_sub_u32_e32 v5, v1, v3
	v_mad_u64_u32 v[42:43], s[6:7], v5, s8, v[42:43]
	v_mad_u64_u32 v[0:1], s[6:7], v5, s9, v[0:1]
	;; [unrolled: 1-line block ×4, first 2 shown]
.LBB222_1074:
	s_mov_b64 s[6:7], 0
	s_branch .LBB222_1076
.LBB222_1075:
	s_mov_b64 s[6:7], -1
                                        ; implicit-def: $vgpr0
                                        ; implicit-def: $vgpr42
                                        ; implicit-def: $vgpr4
                                        ; implicit-def: $vgpr2
.LBB222_1076:
	s_andn2_b64 vcc, exec, s[6:7]
	s_cbranch_vccnz .LBB222_1079
; %bb.1077:
	v_readlane_b32 s16, v87, 0
	v_readlane_b32 s17, v87, 1
	s_waitcnt vmcnt(0)
	v_mul_hi_u32 v0, s17, v45
	v_readlane_b32 s18, v87, 2
	v_add_u32_e32 v0, v45, v0
	v_lshrrev_b32_e32 v1, s18, v0
	v_mul_lo_u32 v0, v1, s16
	v_readlane_b32 s8, v87, 6
	v_readlane_b32 s6, v87, 24
	v_sub_u32_e32 v2, v45, v0
	v_readlane_b32 s9, v87, 7
	v_readlane_b32 s10, v87, 8
	;; [unrolled: 1-line block ×9, first 2 shown]
	v_mul_lo_u32 v0, v2, s9
	v_mul_lo_u32 v42, v2, s8
	;; [unrolled: 1-line block ×3, first 2 shown]
	s_andn2_b64 vcc, exec, s[6:7]
	v_mul_lo_u32 v2, v2, s10
	s_cbranch_vccnz .LBB222_1079
; %bb.1078:
	v_readlane_b32 s6, v87, 4
	v_mul_hi_u32 v3, s6, v1
	v_readlane_b32 s7, v87, 5
	v_add_u32_e32 v3, v1, v3
	v_lshrrev_b32_e32 v3, s7, v3
	v_mul_lo_u32 v3, v3, s19
	v_sub_u32_e32 v5, v1, v3
	v_mad_u64_u32 v[42:43], s[6:7], v5, s12, v[42:43]
	v_mad_u64_u32 v[0:1], s[6:7], v5, s13, v[0:1]
	;; [unrolled: 1-line block ×4, first 2 shown]
.LBB222_1079:
	s_waitcnt vmcnt(0)
	v_mov_b32_e32 v1, s91
	v_add_co_u32_e32 v6, vcc, s90, v0
	v_mov_b32_e32 v0, 11
	v_addc_co_u32_e32 v7, vcc, 0, v1, vcc
	v_cmp_lt_i16_sdwa s[6:7], v46, v0 src0_sel:BYTE_0 src1_sel:DWORD
	s_and_b64 vcc, exec, s[6:7]
	s_cbranch_vccnz .LBB222_1086
; %bb.1080:
	v_mov_b32_e32 v0, 25
	v_cmp_gt_i16_sdwa s[6:7], v46, v0 src0_sel:BYTE_0 src1_sel:DWORD
	s_and_b64 vcc, exec, s[6:7]
	s_cbranch_vccz .LBB222_1087
; %bb.1081:
	v_mov_b32_e32 v0, 28
	v_cmp_gt_i16_sdwa s[6:7], v46, v0 src0_sel:BYTE_0 src1_sel:DWORD
	s_and_b64 vcc, exec, s[6:7]
	s_cbranch_vccz .LBB222_1088
	;; [unrolled: 5-line block ×4, first 2 shown]
; %bb.1084:
	v_mov_b32_e32 v0, 46
	v_cmp_eq_u16_sdwa s[6:7], v46, v0 src0_sel:BYTE_0 src1_sel:DWORD
	s_mov_b64 s[8:9], 0
	s_and_b64 vcc, exec, s[6:7]
	s_cbranch_vccz .LBB222_1091
; %bb.1085:
	global_load_dword v0, v[6:7], off
	s_mov_b64 s[10:11], 0
	v_writelane_b32 v86, s10, 0
	s_mov_b64 s[6:7], -1
	v_writelane_b32 v86, s11, 1
	s_waitcnt vmcnt(0)
	v_lshlrev_b32_e32 v0, 16, v0
	v_cvt_f64_f32_e32 v[0:1], v0
	s_branch .LBB222_1092
.LBB222_1086:
	v_readlane_b32 s10, v87, 45
	v_readlane_b32 s11, v87, 46
	v_writelane_b32 v86, s10, 0
	s_mov_b64 s[8:9], -1
	s_mov_b64 s[6:7], 0
                                        ; implicit-def: $vgpr0_vgpr1
	v_writelane_b32 v86, s11, 1
	s_branch .LBB222_1157
.LBB222_1087:
	v_readlane_b32 s10, v87, 45
	v_readlane_b32 s11, v87, 46
	s_mov_b64 s[8:9], -1
	s_mov_b64 s[6:7], 0
	v_writelane_b32 v86, s10, 0
                                        ; implicit-def: $vgpr0_vgpr1
	v_writelane_b32 v86, s11, 1
	s_branch .LBB222_1121
.LBB222_1088:
	v_readlane_b32 s10, v87, 45
	v_readlane_b32 s11, v87, 46
	s_mov_b64 s[8:9], -1
	s_mov_b64 s[6:7], 0
	v_writelane_b32 v86, s10, 0
                                        ; implicit-def: $vgpr0_vgpr1
	v_writelane_b32 v86, s11, 1
	s_branch .LBB222_1102
.LBB222_1089:
	v_readlane_b32 s10, v87, 45
	v_readlane_b32 s11, v87, 46
	s_mov_b64 s[8:9], -1
	s_mov_b64 s[6:7], 0
	v_writelane_b32 v86, s10, 0
                                        ; implicit-def: $vgpr0_vgpr1
	v_writelane_b32 v86, s11, 1
	s_branch .LBB222_1097
.LBB222_1090:
	v_readlane_b32 s10, v87, 45
	v_readlane_b32 s11, v87, 46
	s_mov_b64 s[8:9], -1
	s_mov_b64 s[6:7], 0
	v_writelane_b32 v86, s10, 0
	v_writelane_b32 v86, s11, 1
                                        ; implicit-def: $vgpr0_vgpr1
	s_branch .LBB222_1092
.LBB222_1091:
	s_mov_b64 s[6:7], -1
	v_writelane_b32 v86, s6, 0
	v_writelane_b32 v86, s7, 1
                                        ; implicit-def: $vgpr0_vgpr1
	s_mov_b64 s[6:7], 0
.LBB222_1092:
	s_and_b64 vcc, exec, s[8:9]
	s_cbranch_vccz .LBB222_1096
; %bb.1093:
	v_mov_b32_e32 v0, 44
	v_cmp_eq_u16_sdwa s[8:9], v46, v0 src0_sel:BYTE_0 src1_sel:DWORD
	s_and_b64 vcc, exec, s[8:9]
	s_cbranch_vccz .LBB222_1095
; %bb.1094:
	global_load_ubyte v3, v[6:7], off
	s_movk_i32 s8, 0xff
	v_bfrev_b32_e32 v5, 4
	v_mov_b32_e32 v8, 0x7ff80000
	v_bfrev_b32_e32 v9, 28
	s_mov_b64 s[6:7], -1
	s_waitcnt vmcnt(0)
	v_lshlrev_b32_e32 v0, 23, v3
	v_cvt_f64_f32_e32 v[0:1], v0
	v_cmp_ne_u32_e32 vcc, s8, v3
	v_cndmask_b32_e32 v0, v5, v0, vcc
	v_cndmask_b32_e32 v1, v8, v1, vcc
	v_cmp_ne_u32_e32 vcc, 0, v3
	s_mov_b64 s[8:9], 0
	v_cndmask_b32_e32 v1, v9, v1, vcc
	v_cndmask_b32_e32 v0, 0, v0, vcc
	v_writelane_b32 v86, s8, 0
	v_writelane_b32 v86, s9, 1
	s_branch .LBB222_1096
.LBB222_1095:
	s_mov_b64 s[8:9], -1
	v_writelane_b32 v86, s8, 0
	v_writelane_b32 v86, s9, 1
                                        ; implicit-def: $vgpr0_vgpr1
.LBB222_1096:
	s_mov_b64 s[8:9], 0
.LBB222_1097:
	s_and_b64 vcc, exec, s[8:9]
	s_cbranch_vccz .LBB222_1101
; %bb.1098:
	v_mov_b32_e32 v0, 29
	v_cmp_eq_u16_sdwa s[8:9], v46, v0 src0_sel:BYTE_0 src1_sel:DWORD
	s_and_b64 vcc, exec, s[8:9]
	s_cbranch_vccz .LBB222_1100
; %bb.1099:
	global_load_dwordx2 v[0:1], v[6:7], off
	s_mov_b64 s[8:9], 0
	v_writelane_b32 v86, s8, 0
	s_mov_b64 s[6:7], -1
	v_writelane_b32 v86, s9, 1
	s_mov_b64 s[8:9], 0
	s_waitcnt vmcnt(0)
	v_cvt_f64_u32_e32 v[8:9], v1
	v_cvt_f64_u32_e32 v[0:1], v0
	v_ldexp_f64 v[8:9], v[8:9], 32
	v_add_f64 v[0:1], v[8:9], v[0:1]
	s_branch .LBB222_1102
.LBB222_1100:
	s_mov_b64 s[8:9], -1
	v_writelane_b32 v86, s8, 0
	v_writelane_b32 v86, s9, 1
                                        ; implicit-def: $vgpr0_vgpr1
.LBB222_1101:
	s_mov_b64 s[8:9], 0
.LBB222_1102:
	s_and_b64 vcc, exec, s[8:9]
	s_cbranch_vccz .LBB222_1120
; %bb.1103:
	v_mov_b32_e32 v0, 27
	v_cmp_lt_i16_sdwa s[6:7], v46, v0 src0_sel:BYTE_0 src1_sel:DWORD
	s_and_b64 vcc, exec, s[6:7]
	s_cbranch_vccnz .LBB222_1106
; %bb.1104:
	v_cmp_gt_i16_sdwa s[6:7], v46, v0 src0_sel:BYTE_0 src1_sel:DWORD
	s_and_b64 vcc, exec, s[6:7]
	s_cbranch_vccz .LBB222_1107
; %bb.1105:
	global_load_dword v0, v[6:7], off
	s_mov_b64 s[6:7], 0
	s_waitcnt vmcnt(0)
	v_cvt_f64_u32_e32 v[0:1], v0
	s_branch .LBB222_1108
.LBB222_1106:
	s_mov_b64 s[6:7], -1
                                        ; implicit-def: $vgpr0_vgpr1
	s_branch .LBB222_1111
.LBB222_1107:
	s_mov_b64 s[6:7], -1
                                        ; implicit-def: $vgpr0_vgpr1
.LBB222_1108:
	s_andn2_b64 vcc, exec, s[6:7]
	s_cbranch_vccnz .LBB222_1110
; %bb.1109:
	global_load_ushort v0, v[6:7], off
	s_waitcnt vmcnt(0)
	v_cvt_f64_u32_e32 v[0:1], v0
.LBB222_1110:
	s_mov_b64 s[6:7], 0
.LBB222_1111:
	s_andn2_b64 vcc, exec, s[6:7]
	s_cbranch_vccnz .LBB222_1119
; %bb.1112:
	global_load_ubyte v3, v[6:7], off
	s_movk_i32 s6, 0x7f
                                        ; implicit-def: $sgpr8_sgpr9
	s_waitcnt vmcnt(0)
	v_cmp_lt_i16_e32 vcc, s6, v3
	s_mov_b64 s[6:7], 0
	s_and_saveexec_b64 s[10:11], vcc
	s_xor_b64 s[10:11], exec, s[10:11]
	s_cbranch_execz .LBB222_1133
; %bb.1113:
	s_movk_i32 s6, 0x80
	v_cmp_eq_u16_e32 vcc, s6, v3
	s_mov_b64 s[12:13], -1
                                        ; implicit-def: $sgpr8_sgpr9
	s_and_saveexec_b64 s[6:7], vcc
; %bb.1114:
	s_mov_b32 s9, 0x7ff80000
	s_brev_b32 s8, 4
	s_xor_b64 s[12:13], exec, -1
; %bb.1115:
	s_or_b64 exec, exec, s[6:7]
	s_and_b64 s[6:7], s[12:13], exec
	s_or_saveexec_b64 s[10:11], s[10:11]
	v_pk_mov_b32 v[0:1], s[8:9], s[8:9] op_sel:[0,1]
	s_xor_b64 exec, exec, s[10:11]
	s_cbranch_execnz .LBB222_1134
.LBB222_1116:
	s_or_b64 exec, exec, s[10:11]
	s_and_saveexec_b64 s[8:9], s[6:7]
	s_cbranch_execz .LBB222_1118
.LBB222_1117:
	v_and_b32_e32 v1, 0xffff, v3
	v_lshlrev_b32_e32 v0, 24, v3
	v_and_b32_e32 v3, 7, v1
	v_ffbh_u32_e32 v8, v3
	v_min_u32_e32 v8, 32, v8
	v_subrev_u32_e32 v9, 28, v8
	v_bfe_u32 v5, v1, 3, 4
	v_lshlrev_b32_e32 v1, v9, v1
	v_sub_u32_e32 v8, 29, v8
	v_and_b32_e32 v1, 7, v1
	v_cmp_eq_u32_e32 vcc, 0, v5
	v_cndmask_b32_e32 v5, v5, v8, vcc
	v_cndmask_b32_e32 v1, v3, v1, vcc
	v_mov_b32_e32 v3, 0x3b800000
	v_lshlrev_b32_e32 v1, 20, v1
	v_and_b32_e32 v0, 0x80000000, v0
	v_lshl_add_u32 v3, v5, 23, v3
	v_or3_b32 v0, v0, v3, v1
	v_cvt_f64_f32_e32 v[0:1], v0
.LBB222_1118:
	s_or_b64 exec, exec, s[8:9]
.LBB222_1119:
	s_mov_b64 s[6:7], -1
.LBB222_1120:
	s_mov_b64 s[8:9], 0
.LBB222_1121:
	s_and_b64 vcc, exec, s[8:9]
	s_cbranch_vccz .LBB222_1156
; %bb.1122:
	v_mov_b32_e32 v0, 22
	v_cmp_gt_i16_sdwa s[8:9], v46, v0 src0_sel:BYTE_0 src1_sel:DWORD
	s_and_b64 vcc, exec, s[8:9]
	s_cbranch_vccz .LBB222_1132
; %bb.1123:
	v_mov_b32_e32 v0, 24
	v_cmp_lt_i16_sdwa s[6:7], v46, v0 src0_sel:BYTE_0 src1_sel:DWORD
	s_and_b64 vcc, exec, s[6:7]
	s_cbranch_vccnz .LBB222_1135
; %bb.1124:
	v_cmp_gt_i16_sdwa s[6:7], v46, v0 src0_sel:BYTE_0 src1_sel:DWORD
	s_and_b64 vcc, exec, s[6:7]
	s_cbranch_vccz .LBB222_1136
; %bb.1125:
	global_load_ubyte v3, v[6:7], off
	s_movk_i32 s6, 0x7f
                                        ; implicit-def: $sgpr8_sgpr9
	s_waitcnt vmcnt(0)
	v_cmp_lt_i16_e32 vcc, s6, v3
	s_mov_b64 s[6:7], 0
	s_and_saveexec_b64 s[10:11], vcc
	s_xor_b64 s[10:11], exec, s[10:11]
	s_cbranch_execz .LBB222_1148
; %bb.1126:
	s_movk_i32 s6, 0x80
	v_cmp_eq_u16_e32 vcc, s6, v3
	s_mov_b64 s[12:13], -1
                                        ; implicit-def: $sgpr8_sgpr9
	s_and_saveexec_b64 s[6:7], vcc
; %bb.1127:
	s_mov_b32 s9, 0x7ff80000
	s_brev_b32 s8, 4
	s_xor_b64 s[12:13], exec, -1
; %bb.1128:
	s_or_b64 exec, exec, s[6:7]
	s_and_b64 s[6:7], s[12:13], exec
	s_or_saveexec_b64 s[10:11], s[10:11]
	v_pk_mov_b32 v[0:1], s[8:9], s[8:9] op_sel:[0,1]
	s_xor_b64 exec, exec, s[10:11]
	s_cbranch_execnz .LBB222_1149
.LBB222_1129:
	s_or_b64 exec, exec, s[10:11]
	s_and_saveexec_b64 s[8:9], s[6:7]
	s_cbranch_execz .LBB222_1131
.LBB222_1130:
	v_and_b32_e32 v1, 0xffff, v3
	v_lshlrev_b32_e32 v0, 24, v3
	v_and_b32_e32 v3, 3, v1
	v_ffbh_u32_e32 v8, v3
	v_min_u32_e32 v8, 32, v8
	v_subrev_u32_e32 v9, 29, v8
	v_bfe_u32 v5, v1, 2, 5
	v_lshlrev_b32_e32 v1, v9, v1
	v_sub_u32_e32 v8, 30, v8
	v_and_b32_e32 v1, 3, v1
	v_cmp_eq_u32_e32 vcc, 0, v5
	v_cndmask_b32_e32 v5, v5, v8, vcc
	v_cndmask_b32_e32 v1, v3, v1, vcc
	v_mov_b32_e32 v3, 0x37800000
	v_lshlrev_b32_e32 v1, 21, v1
	v_and_b32_e32 v0, 0x80000000, v0
	v_lshl_add_u32 v3, v5, 23, v3
	v_or3_b32 v0, v0, v3, v1
	v_cvt_f64_f32_e32 v[0:1], v0
.LBB222_1131:
	s_or_b64 exec, exec, s[8:9]
	s_mov_b64 s[6:7], 0
	s_branch .LBB222_1137
.LBB222_1132:
	s_mov_b64 s[8:9], -1
                                        ; implicit-def: $vgpr0_vgpr1
	s_branch .LBB222_1143
.LBB222_1133:
	s_or_saveexec_b64 s[10:11], s[10:11]
	v_pk_mov_b32 v[0:1], s[8:9], s[8:9] op_sel:[0,1]
	s_xor_b64 exec, exec, s[10:11]
	s_cbranch_execz .LBB222_1116
.LBB222_1134:
	v_cmp_ne_u16_e32 vcc, 0, v3
	s_andn2_b64 s[6:7], s[6:7], exec
	s_and_b64 s[8:9], vcc, exec
	v_pk_mov_b32 v[0:1], 0, 0
	s_or_b64 s[6:7], s[6:7], s[8:9]
	s_or_b64 exec, exec, s[10:11]
	s_and_saveexec_b64 s[8:9], s[6:7]
	s_cbranch_execnz .LBB222_1117
	s_branch .LBB222_1118
.LBB222_1135:
	s_mov_b64 s[6:7], -1
                                        ; implicit-def: $vgpr0_vgpr1
	s_branch .LBB222_1140
.LBB222_1136:
	s_mov_b64 s[6:7], -1
                                        ; implicit-def: $vgpr0_vgpr1
.LBB222_1137:
	s_and_b64 vcc, exec, s[6:7]
	s_cbranch_vccz .LBB222_1139
; %bb.1138:
	global_load_ubyte v0, v[6:7], off
	s_mov_b32 s6, 0x7f800000
	s_waitcnt vmcnt(0)
	v_lshlrev_b32_e32 v0, 24, v0
	v_and_b32_e32 v1, 0x7f000000, v0
	v_ffbh_u32_e32 v3, v1
	v_min_u32_e32 v3, 32, v3
	v_sub_u32_e64 v3, v3, 4 clamp
	v_lshlrev_b32_e32 v8, v3, v1
	v_lshlrev_b32_e32 v3, 23, v3
	v_lshrrev_b32_e32 v8, 4, v8
	v_add_u32_e32 v5, 0x1000000, v1
	v_sub_u32_e32 v3, v8, v3
	v_ashrrev_i32_e32 v5, 8, v5
	v_add_u32_e32 v3, 0x3c000000, v3
	v_and_or_b32 v3, v5, s6, v3
	v_cmp_ne_u32_e32 vcc, 0, v1
	v_cndmask_b32_e32 v1, 0, v3, vcc
	s_brev_b32 s6, 1
	v_and_or_b32 v0, v0, s6, v1
	v_cvt_f64_f32_e32 v[0:1], v0
.LBB222_1139:
	s_mov_b64 s[6:7], 0
.LBB222_1140:
	s_andn2_b64 vcc, exec, s[6:7]
	s_cbranch_vccnz .LBB222_1142
; %bb.1141:
	global_load_ubyte v0, v[6:7], off
	s_movk_i32 s6, 0x7f00
	s_brev_b32 s7, 16
	s_waitcnt vmcnt(0)
	v_lshlrev_b16_e32 v1, 8, v0
	v_lshlrev_b32_e32 v0, 25, v0
	v_lshrrev_b32_e32 v3, 4, v0
	v_and_or_b32 v5, v1, s6, 0.5
	v_or_b32_e32 v3, 0x70000000, v3
	v_add_f32_e32 v5, -0.5, v5
	v_mul_f32_e32 v3, 0x7800000, v3
	v_cmp_gt_u32_e32 vcc, s7, v0
	v_bfe_i32 v1, v1, 0, 16
	v_cndmask_b32_e32 v0, v3, v5, vcc
	s_brev_b32 s6, 1
	v_and_or_b32 v0, v1, s6, v0
	v_cvt_f64_f32_e32 v[0:1], v0
.LBB222_1142:
	s_mov_b64 s[8:9], 0
	s_mov_b64 s[6:7], -1
.LBB222_1143:
	s_andn2_b64 vcc, exec, s[8:9]
	s_cbranch_vccnz .LBB222_1156
; %bb.1144:
	v_mov_b32_e32 v0, 14
	v_cmp_gt_i16_sdwa s[8:9], v46, v0 src0_sel:BYTE_0 src1_sel:DWORD
	s_and_b64 vcc, exec, s[8:9]
	s_cbranch_vccz .LBB222_1147
; %bb.1145:
	v_mov_b32_e32 v0, 15
	v_cmp_eq_u16_sdwa s[8:9], v46, v0 src0_sel:BYTE_0 src1_sel:DWORD
	s_and_b64 vcc, exec, s[8:9]
	s_cbranch_vccz .LBB222_1150
; %bb.1146:
	global_load_ushort v0, v[6:7], off
	s_mov_b64 s[8:9], 0
	v_writelane_b32 v86, s8, 0
	s_mov_b64 s[6:7], -1
	v_writelane_b32 v86, s9, 1
	s_waitcnt vmcnt(0)
	v_lshlrev_b32_e32 v0, 16, v0
	v_cvt_f64_f32_e32 v[0:1], v0
	s_branch .LBB222_1151
.LBB222_1147:
	s_mov_b64 s[8:9], -1
                                        ; implicit-def: $vgpr0_vgpr1
	s_branch .LBB222_1152
.LBB222_1148:
	s_or_saveexec_b64 s[10:11], s[10:11]
	v_pk_mov_b32 v[0:1], s[8:9], s[8:9] op_sel:[0,1]
	s_xor_b64 exec, exec, s[10:11]
	s_cbranch_execz .LBB222_1129
.LBB222_1149:
	v_cmp_ne_u16_e32 vcc, 0, v3
	s_andn2_b64 s[6:7], s[6:7], exec
	s_and_b64 s[8:9], vcc, exec
	v_pk_mov_b32 v[0:1], 0, 0
	s_or_b64 s[6:7], s[6:7], s[8:9]
	s_or_b64 exec, exec, s[10:11]
	s_and_saveexec_b64 s[8:9], s[6:7]
	s_cbranch_execnz .LBB222_1130
	s_branch .LBB222_1131
.LBB222_1150:
	s_mov_b64 s[8:9], -1
	v_writelane_b32 v86, s8, 0
	v_writelane_b32 v86, s9, 1
                                        ; implicit-def: $vgpr0_vgpr1
.LBB222_1151:
	s_mov_b64 s[8:9], 0
.LBB222_1152:
	s_and_b64 vcc, exec, s[8:9]
	s_cbranch_vccz .LBB222_1156
; %bb.1153:
	v_mov_b32_e32 v0, 11
	v_cmp_eq_u16_sdwa s[8:9], v46, v0 src0_sel:BYTE_0 src1_sel:DWORD
	s_and_b64 vcc, exec, s[8:9]
	s_cbranch_vccz .LBB222_1155
; %bb.1154:
	global_load_ubyte v1, v[6:7], off
	v_mov_b32_e32 v3, 0x3ff00000
	s_mov_b64 s[8:9], 0
	v_mov_b32_e32 v0, 0
	s_mov_b64 s[6:7], -1
	v_writelane_b32 v86, s8, 0
	v_writelane_b32 v86, s9, 1
	s_waitcnt vmcnt(0)
	v_cmp_ne_u16_e32 vcc, 0, v1
	v_cndmask_b32_e32 v1, 0, v3, vcc
	s_branch .LBB222_1156
.LBB222_1155:
	s_mov_b64 s[8:9], -1
	v_writelane_b32 v86, s8, 0
	v_writelane_b32 v86, s9, 1
                                        ; implicit-def: $vgpr0_vgpr1
.LBB222_1156:
	s_mov_b64 s[8:9], 0
.LBB222_1157:
	s_and_b64 vcc, exec, s[8:9]
	s_cbranch_vccz .LBB222_1206
; %bb.1158:
	v_mov_b32_e32 v0, 5
	v_cmp_lt_i16_sdwa s[6:7], v46, v0 src0_sel:BYTE_0 src1_sel:DWORD
	s_and_b64 vcc, exec, s[6:7]
	s_cbranch_vccnz .LBB222_1163
; %bb.1159:
	v_mov_b32_e32 v0, 8
	v_cmp_lt_i16_sdwa s[6:7], v46, v0 src0_sel:BYTE_0 src1_sel:DWORD
	s_and_b64 vcc, exec, s[6:7]
	s_cbranch_vccnz .LBB222_1164
	;; [unrolled: 5-line block ×3, first 2 shown]
; %bb.1161:
	v_cmp_gt_i16_sdwa s[6:7], v46, v0 src0_sel:BYTE_0 src1_sel:DWORD
	s_and_b64 vcc, exec, s[6:7]
	s_cbranch_vccz .LBB222_1166
; %bb.1162:
	global_load_dwordx2 v[0:1], v[6:7], off
	s_mov_b64 s[6:7], 0
	s_branch .LBB222_1167
.LBB222_1163:
	s_mov_b64 s[6:7], -1
                                        ; implicit-def: $vgpr0_vgpr1
	s_branch .LBB222_1185
.LBB222_1164:
	s_mov_b64 s[6:7], -1
                                        ; implicit-def: $vgpr0_vgpr1
	s_branch .LBB222_1173
.LBB222_1165:
	s_mov_b64 s[6:7], -1
                                        ; implicit-def: $vgpr0_vgpr1
	s_branch .LBB222_1170
.LBB222_1166:
	s_mov_b64 s[6:7], -1
                                        ; implicit-def: $vgpr0_vgpr1
.LBB222_1167:
	s_andn2_b64 vcc, exec, s[6:7]
	s_cbranch_vccnz .LBB222_1169
; %bb.1168:
	global_load_dword v0, v[6:7], off
	s_waitcnt vmcnt(0)
	v_cvt_f64_f32_e32 v[0:1], v0
.LBB222_1169:
	s_mov_b64 s[6:7], 0
.LBB222_1170:
	s_andn2_b64 vcc, exec, s[6:7]
	s_cbranch_vccnz .LBB222_1172
; %bb.1171:
	global_load_dword v0, v[6:7], off
	s_waitcnt vmcnt(0)
	v_cvt_f32_f16_e32 v0, v0
	v_cvt_f64_f32_e32 v[0:1], v0
.LBB222_1172:
	s_mov_b64 s[6:7], 0
.LBB222_1173:
	s_andn2_b64 vcc, exec, s[6:7]
	s_cbranch_vccnz .LBB222_1184
; %bb.1174:
	s_waitcnt vmcnt(0)
	v_mov_b32_e32 v0, 6
	v_cmp_lt_i16_sdwa s[6:7], v46, v0 src0_sel:BYTE_0 src1_sel:DWORD
	s_and_b64 vcc, exec, s[6:7]
	s_cbranch_vccnz .LBB222_1177
; %bb.1175:
	v_cmp_gt_i16_sdwa s[6:7], v46, v0 src0_sel:BYTE_0 src1_sel:DWORD
	s_and_b64 vcc, exec, s[6:7]
	s_cbranch_vccz .LBB222_1178
; %bb.1176:
	global_load_dwordx2 v[0:1], v[6:7], off
	s_mov_b64 s[6:7], 0
	s_branch .LBB222_1179
.LBB222_1177:
	s_mov_b64 s[6:7], -1
                                        ; implicit-def: $vgpr0_vgpr1
	s_branch .LBB222_1182
.LBB222_1178:
	s_mov_b64 s[6:7], -1
                                        ; implicit-def: $vgpr0_vgpr1
.LBB222_1179:
	s_andn2_b64 vcc, exec, s[6:7]
	s_cbranch_vccnz .LBB222_1181
; %bb.1180:
	global_load_dword v0, v[6:7], off
	s_waitcnt vmcnt(0)
	v_cvt_f64_f32_e32 v[0:1], v0
.LBB222_1181:
	s_mov_b64 s[6:7], 0
.LBB222_1182:
	s_andn2_b64 vcc, exec, s[6:7]
	s_cbranch_vccnz .LBB222_1184
; %bb.1183:
	global_load_ushort v0, v[6:7], off
	s_waitcnt vmcnt(0)
	v_cvt_f32_f16_e32 v0, v0
	v_cvt_f64_f32_e32 v[0:1], v0
.LBB222_1184:
	s_mov_b64 s[6:7], 0
.LBB222_1185:
	s_andn2_b64 vcc, exec, s[6:7]
	s_cbranch_vccnz .LBB222_1205
; %bb.1186:
	s_waitcnt vmcnt(0)
	v_mov_b32_e32 v0, 2
	v_cmp_lt_i16_sdwa s[6:7], v46, v0 src0_sel:BYTE_0 src1_sel:DWORD
	s_and_b64 vcc, exec, s[6:7]
	s_cbranch_vccnz .LBB222_1190
; %bb.1187:
	v_mov_b32_e32 v0, 3
	v_cmp_lt_i16_sdwa s[6:7], v46, v0 src0_sel:BYTE_0 src1_sel:DWORD
	s_and_b64 vcc, exec, s[6:7]
	s_cbranch_vccnz .LBB222_1191
; %bb.1188:
	v_cmp_gt_i16_sdwa s[6:7], v46, v0 src0_sel:BYTE_0 src1_sel:DWORD
	s_and_b64 vcc, exec, s[6:7]
	s_cbranch_vccz .LBB222_1192
; %bb.1189:
	global_load_dwordx2 v[0:1], v[6:7], off
	s_mov_b64 s[6:7], 0
	s_waitcnt vmcnt(0)
	v_cvt_f64_i32_e32 v[8:9], v1
	v_cvt_f64_u32_e32 v[0:1], v0
	v_ldexp_f64 v[8:9], v[8:9], 32
	v_add_f64 v[0:1], v[8:9], v[0:1]
	s_branch .LBB222_1193
.LBB222_1190:
	s_mov_b64 s[6:7], -1
                                        ; implicit-def: $vgpr0_vgpr1
	s_branch .LBB222_1199
.LBB222_1191:
	s_mov_b64 s[6:7], -1
                                        ; implicit-def: $vgpr0_vgpr1
	s_branch .LBB222_1196
.LBB222_1192:
	s_mov_b64 s[6:7], -1
                                        ; implicit-def: $vgpr0_vgpr1
.LBB222_1193:
	s_andn2_b64 vcc, exec, s[6:7]
	s_cbranch_vccnz .LBB222_1195
; %bb.1194:
	global_load_dword v0, v[6:7], off
	s_waitcnt vmcnt(0)
	v_cvt_f64_i32_e32 v[0:1], v0
.LBB222_1195:
	s_mov_b64 s[6:7], 0
.LBB222_1196:
	s_andn2_b64 vcc, exec, s[6:7]
	s_cbranch_vccnz .LBB222_1198
; %bb.1197:
	global_load_sshort v0, v[6:7], off
	s_waitcnt vmcnt(0)
	v_cvt_f64_i32_e32 v[0:1], v0
.LBB222_1198:
	s_mov_b64 s[6:7], 0
.LBB222_1199:
	s_andn2_b64 vcc, exec, s[6:7]
	s_cbranch_vccnz .LBB222_1205
; %bb.1200:
	v_mov_b32_e32 v0, 0
	v_cmp_gt_i16_sdwa s[6:7], v46, v0 src0_sel:BYTE_0 src1_sel:DWORD
	s_and_b64 vcc, exec, s[6:7]
	s_cbranch_vccz .LBB222_1202
; %bb.1201:
	global_load_sbyte v0, v[6:7], off
	s_mov_b64 s[6:7], 0
	s_waitcnt vmcnt(0)
	v_cvt_f64_i32_e32 v[0:1], v0
	s_branch .LBB222_1203
.LBB222_1202:
	s_mov_b64 s[6:7], -1
                                        ; implicit-def: $vgpr0_vgpr1
.LBB222_1203:
	s_andn2_b64 vcc, exec, s[6:7]
	s_cbranch_vccnz .LBB222_1205
; %bb.1204:
	global_load_ubyte v0, v[6:7], off
	s_waitcnt vmcnt(0)
	v_cvt_f64_u32_e32 v[0:1], v0
.LBB222_1205:
	s_mov_b64 s[6:7], -1
.LBB222_1206:
	s_andn2_b64 vcc, exec, s[6:7]
	s_cbranch_vccnz .LBB222_1214
; %bb.1207:
	v_mov_b32_e32 v3, s93
	v_add_co_u32_e32 v6, vcc, s92, v2
	s_movk_i32 s6, 0xff
	v_addc_co_u32_e32 v7, vcc, 0, v3, vcc
	v_and_b32_sdwa v5, v41, s6 dst_sel:DWORD dst_unused:UNUSED_PAD src0_sel:WORD_1 src1_sel:DWORD
	v_cmp_gt_i16_e32 vcc, 11, v5
	s_cbranch_vccnz .LBB222_1215
; %bb.1208:
	v_cmp_lt_i16_e32 vcc, 25, v5
	s_cbranch_vccz .LBB222_1216
; %bb.1209:
	v_cmp_lt_i16_e32 vcc, 28, v5
	s_cbranch_vccz .LBB222_1217
	;; [unrolled: 3-line block ×4, first 2 shown]
; %bb.1212:
	v_cmp_eq_u16_e32 vcc, 46, v5
	s_mov_b64 s[8:9], 0
	s_cbranch_vccz .LBB222_1222
; %bb.1213:
	global_load_dword v2, v[6:7], off
	s_mov_b64 s[10:11], 0
	v_writelane_b32 v86, s10, 2
	s_mov_b64 s[6:7], -1
	v_writelane_b32 v86, s11, 3
	s_waitcnt vmcnt(0)
	v_lshlrev_b32_e32 v2, 16, v2
	v_cvt_f64_f32_e32 v[2:3], v2
	s_branch .LBB222_1223
.LBB222_1214:
	v_readlane_b32 s14, v87, 49
	v_readlane_b32 s12, v87, 47
	;; [unrolled: 1-line block ×4, first 2 shown]
	s_mov_b64 s[8:9], 0
	s_mov_b64 s[10:11], s[96:97]
	s_mov_b64 s[6:7], s[96:97]
	s_mov_b64 s[18:19], s[14:15]
	s_mov_b64 s[16:17], s[12:13]
                                        ; implicit-def: $vgpr45
	s_branch .LBB222_1602
.LBB222_1215:
	v_readlane_b32 s10, v87, 47
	v_readlane_b32 s11, v87, 48
	v_writelane_b32 v86, s10, 2
	s_mov_b64 s[8:9], -1
	s_mov_b64 s[6:7], 0
                                        ; implicit-def: $vgpr2_vgpr3
	v_writelane_b32 v86, s11, 3
	s_branch .LBB222_1291
.LBB222_1216:
	v_readlane_b32 s10, v87, 47
	v_readlane_b32 s11, v87, 48
	s_mov_b64 s[8:9], -1
	s_mov_b64 s[6:7], 0
	v_writelane_b32 v86, s10, 2
                                        ; implicit-def: $vgpr2_vgpr3
	v_writelane_b32 v86, s11, 3
	s_branch .LBB222_1254
.LBB222_1217:
	v_readlane_b32 s10, v87, 47
	v_readlane_b32 s11, v87, 48
	s_mov_b64 s[8:9], -1
	s_mov_b64 s[6:7], 0
	v_writelane_b32 v86, s10, 2
                                        ; implicit-def: $vgpr2_vgpr3
	v_writelane_b32 v86, s11, 3
	s_branch .LBB222_1235
.LBB222_1218:
	v_readlane_b32 s10, v87, 47
	v_readlane_b32 s11, v87, 48
	s_mov_b64 s[8:9], -1
	s_mov_b64 s[6:7], 0
	v_writelane_b32 v86, s10, 2
                                        ; implicit-def: $vgpr2_vgpr3
	v_writelane_b32 v86, s11, 3
	s_branch .LBB222_1229
.LBB222_1219:
	v_readlane_b32 s10, v87, 47
	v_readlane_b32 s11, v87, 48
	s_mov_b64 s[8:9], -1
	s_mov_b64 s[6:7], 0
	v_writelane_b32 v86, s10, 2
	v_writelane_b32 v86, s11, 3
                                        ; implicit-def: $vgpr2_vgpr3
	s_branch .LBB222_1223
.LBB222_1220:
	s_or_saveexec_b64 s[12:13], s[12:13]
                                        ; implicit-def: $sgpr14
	s_xor_b64 exec, exec, s[12:13]
	s_cbranch_execz .LBB222_974
.LBB222_1221:
	s_mov_b32 s14, 0x46000000
	v_add_f32_e64 v3, |v2|, s14
	v_and_b32_e32 v3, 0xff, v3
	v_cmp_ne_u32_e32 vcc, 0, v3
	s_andn2_b64 s[10:11], s[10:11], exec
	s_and_b64 s[16:17], vcc, exec
	s_mov_b32 s14, 0
	s_or_b64 s[10:11], s[10:11], s[16:17]
	s_or_b64 exec, exec, s[12:13]
	v_mov_b32_e32 v6, s14
	s_and_saveexec_b64 s[12:13], s[10:11]
	s_cbranch_execnz .LBB222_975
	s_branch .LBB222_976
.LBB222_1222:
	s_mov_b64 s[6:7], -1
	v_writelane_b32 v86, s6, 2
	v_writelane_b32 v86, s7, 3
                                        ; implicit-def: $vgpr2_vgpr3
	s_mov_b64 s[6:7], 0
.LBB222_1223:
	s_and_b64 vcc, exec, s[8:9]
	s_cbranch_vccz .LBB222_1228
; %bb.1224:
	v_cmp_eq_u16_e32 vcc, 44, v5
	s_cbranch_vccz .LBB222_1226
; %bb.1225:
	global_load_ubyte v8, v[6:7], off
	s_movk_i32 s8, 0xff
	v_bfrev_b32_e32 v9, 4
	v_mov_b32_e32 v10, 0x7ff80000
	v_bfrev_b32_e32 v11, 28
	s_mov_b64 s[6:7], -1
	s_waitcnt vmcnt(0)
	v_lshlrev_b32_e32 v2, 23, v8
	v_cvt_f64_f32_e32 v[2:3], v2
	v_cmp_ne_u32_e32 vcc, s8, v8
	v_cndmask_b32_e32 v2, v9, v2, vcc
	v_cndmask_b32_e32 v3, v10, v3, vcc
	v_cmp_ne_u32_e32 vcc, 0, v8
	v_cndmask_b32_e32 v3, v11, v3, vcc
	v_cndmask_b32_e32 v2, 0, v2, vcc
	s_mov_b64 s[8:9], 0
	s_branch .LBB222_1227
.LBB222_1226:
	s_mov_b64 s[8:9], -1
                                        ; implicit-def: $vgpr2_vgpr3
.LBB222_1227:
	v_writelane_b32 v86, s8, 2
	v_writelane_b32 v86, s9, 3
.LBB222_1228:
	s_mov_b64 s[8:9], 0
.LBB222_1229:
	s_and_b64 vcc, exec, s[8:9]
	s_cbranch_vccz .LBB222_1234
; %bb.1230:
	v_cmp_eq_u16_e32 vcc, 29, v5
	s_cbranch_vccz .LBB222_1232
; %bb.1231:
	global_load_dwordx2 v[2:3], v[6:7], off
	s_mov_b64 s[6:7], -1
	s_mov_b64 s[8:9], 0
	s_waitcnt vmcnt(0)
	v_cvt_f64_u32_e32 v[8:9], v3
	v_cvt_f64_u32_e32 v[2:3], v2
	v_ldexp_f64 v[8:9], v[8:9], 32
	v_add_f64 v[2:3], v[8:9], v[2:3]
	s_branch .LBB222_1233
.LBB222_1232:
	s_mov_b64 s[8:9], -1
                                        ; implicit-def: $vgpr2_vgpr3
.LBB222_1233:
	v_writelane_b32 v86, s8, 2
	v_writelane_b32 v86, s9, 3
.LBB222_1234:
	s_mov_b64 s[8:9], 0
.LBB222_1235:
	s_and_b64 vcc, exec, s[8:9]
	s_cbranch_vccz .LBB222_1253
; %bb.1236:
	v_cmp_gt_i16_e32 vcc, 27, v5
	s_cbranch_vccnz .LBB222_1239
; %bb.1237:
	v_cmp_lt_i16_e32 vcc, 27, v5
	s_cbranch_vccz .LBB222_1240
; %bb.1238:
	global_load_dword v2, v[6:7], off
	s_mov_b64 s[6:7], 0
	s_waitcnt vmcnt(0)
	v_cvt_f64_u32_e32 v[2:3], v2
	s_branch .LBB222_1241
.LBB222_1239:
	s_mov_b64 s[6:7], -1
                                        ; implicit-def: $vgpr2_vgpr3
	s_branch .LBB222_1244
.LBB222_1240:
	s_mov_b64 s[6:7], -1
                                        ; implicit-def: $vgpr2_vgpr3
.LBB222_1241:
	s_andn2_b64 vcc, exec, s[6:7]
	s_cbranch_vccnz .LBB222_1243
; %bb.1242:
	global_load_ushort v2, v[6:7], off
	s_waitcnt vmcnt(0)
	v_cvt_f64_u32_e32 v[2:3], v2
.LBB222_1243:
	s_mov_b64 s[6:7], 0
.LBB222_1244:
	s_andn2_b64 vcc, exec, s[6:7]
	s_cbranch_vccnz .LBB222_1252
; %bb.1245:
	global_load_ubyte v8, v[6:7], off
	s_movk_i32 s6, 0x7f
                                        ; implicit-def: $sgpr8_sgpr9
	s_waitcnt vmcnt(0)
	v_cmp_lt_i16_e32 vcc, s6, v8
	s_mov_b64 s[6:7], 0
	s_and_saveexec_b64 s[10:11], vcc
	s_xor_b64 s[10:11], exec, s[10:11]
	s_cbranch_execz .LBB222_1266
; %bb.1246:
	s_movk_i32 s6, 0x80
	v_cmp_eq_u16_e32 vcc, s6, v8
	s_mov_b64 s[12:13], -1
                                        ; implicit-def: $sgpr8_sgpr9
	s_and_saveexec_b64 s[6:7], vcc
; %bb.1247:
	s_mov_b32 s9, 0x7ff80000
	s_brev_b32 s8, 4
	s_xor_b64 s[12:13], exec, -1
; %bb.1248:
	s_or_b64 exec, exec, s[6:7]
	s_and_b64 s[6:7], s[12:13], exec
	s_or_saveexec_b64 s[10:11], s[10:11]
	v_pk_mov_b32 v[2:3], s[8:9], s[8:9] op_sel:[0,1]
	s_xor_b64 exec, exec, s[10:11]
	s_cbranch_execnz .LBB222_1267
.LBB222_1249:
	s_or_b64 exec, exec, s[10:11]
	s_and_saveexec_b64 s[8:9], s[6:7]
	s_cbranch_execz .LBB222_1251
.LBB222_1250:
	v_and_b32_e32 v3, 0xffff, v8
	v_lshlrev_b32_e32 v2, 24, v8
	v_and_b32_e32 v8, 7, v3
	v_ffbh_u32_e32 v10, v8
	v_min_u32_e32 v10, 32, v10
	v_subrev_u32_e32 v11, 28, v10
	v_bfe_u32 v9, v3, 3, 4
	v_lshlrev_b32_e32 v3, v11, v3
	v_sub_u32_e32 v10, 29, v10
	v_and_b32_e32 v3, 7, v3
	v_cmp_eq_u32_e32 vcc, 0, v9
	v_cndmask_b32_e32 v9, v9, v10, vcc
	v_cndmask_b32_e32 v3, v8, v3, vcc
	v_mov_b32_e32 v8, 0x3b800000
	v_lshlrev_b32_e32 v3, 20, v3
	v_and_b32_e32 v2, 0x80000000, v2
	v_lshl_add_u32 v8, v9, 23, v8
	v_or3_b32 v2, v2, v8, v3
	v_cvt_f64_f32_e32 v[2:3], v2
.LBB222_1251:
	s_or_b64 exec, exec, s[8:9]
.LBB222_1252:
	s_mov_b64 s[6:7], -1
.LBB222_1253:
	s_mov_b64 s[8:9], 0
.LBB222_1254:
	s_and_b64 vcc, exec, s[8:9]
	s_cbranch_vccz .LBB222_1290
; %bb.1255:
	v_cmp_lt_i16_e32 vcc, 22, v5
	s_cbranch_vccz .LBB222_1265
; %bb.1256:
	v_cmp_gt_i16_e32 vcc, 24, v5
	s_cbranch_vccnz .LBB222_1268
; %bb.1257:
	v_cmp_lt_i16_e32 vcc, 24, v5
	s_cbranch_vccz .LBB222_1269
; %bb.1258:
	global_load_ubyte v8, v[6:7], off
	s_movk_i32 s6, 0x7f
                                        ; implicit-def: $sgpr8_sgpr9
	s_waitcnt vmcnt(0)
	v_cmp_lt_i16_e32 vcc, s6, v8
	s_mov_b64 s[6:7], 0
	s_and_saveexec_b64 s[10:11], vcc
	s_xor_b64 s[10:11], exec, s[10:11]
	s_cbranch_execz .LBB222_1281
; %bb.1259:
	s_movk_i32 s6, 0x80
	v_cmp_eq_u16_e32 vcc, s6, v8
	s_mov_b64 s[12:13], -1
                                        ; implicit-def: $sgpr8_sgpr9
	s_and_saveexec_b64 s[6:7], vcc
; %bb.1260:
	s_mov_b32 s9, 0x7ff80000
	s_brev_b32 s8, 4
	s_xor_b64 s[12:13], exec, -1
; %bb.1261:
	s_or_b64 exec, exec, s[6:7]
	s_and_b64 s[6:7], s[12:13], exec
	s_or_saveexec_b64 s[10:11], s[10:11]
	v_pk_mov_b32 v[2:3], s[8:9], s[8:9] op_sel:[0,1]
	s_xor_b64 exec, exec, s[10:11]
	s_cbranch_execnz .LBB222_1282
.LBB222_1262:
	s_or_b64 exec, exec, s[10:11]
	s_and_saveexec_b64 s[8:9], s[6:7]
	s_cbranch_execz .LBB222_1264
.LBB222_1263:
	v_and_b32_e32 v3, 0xffff, v8
	v_lshlrev_b32_e32 v2, 24, v8
	v_and_b32_e32 v8, 3, v3
	v_ffbh_u32_e32 v10, v8
	v_min_u32_e32 v10, 32, v10
	v_subrev_u32_e32 v11, 29, v10
	v_bfe_u32 v9, v3, 2, 5
	v_lshlrev_b32_e32 v3, v11, v3
	v_sub_u32_e32 v10, 30, v10
	v_and_b32_e32 v3, 3, v3
	v_cmp_eq_u32_e32 vcc, 0, v9
	v_cndmask_b32_e32 v9, v9, v10, vcc
	v_cndmask_b32_e32 v3, v8, v3, vcc
	v_mov_b32_e32 v8, 0x37800000
	v_lshlrev_b32_e32 v3, 21, v3
	v_and_b32_e32 v2, 0x80000000, v2
	v_lshl_add_u32 v8, v9, 23, v8
	v_or3_b32 v2, v2, v8, v3
	v_cvt_f64_f32_e32 v[2:3], v2
.LBB222_1264:
	s_or_b64 exec, exec, s[8:9]
	s_mov_b64 s[6:7], 0
	s_branch .LBB222_1270
.LBB222_1265:
	s_mov_b64 s[8:9], -1
                                        ; implicit-def: $vgpr2_vgpr3
	s_branch .LBB222_1276
.LBB222_1266:
	s_or_saveexec_b64 s[10:11], s[10:11]
	v_pk_mov_b32 v[2:3], s[8:9], s[8:9] op_sel:[0,1]
	s_xor_b64 exec, exec, s[10:11]
	s_cbranch_execz .LBB222_1249
.LBB222_1267:
	v_cmp_ne_u16_e32 vcc, 0, v8
	s_andn2_b64 s[6:7], s[6:7], exec
	s_and_b64 s[8:9], vcc, exec
	v_pk_mov_b32 v[2:3], 0, 0
	s_or_b64 s[6:7], s[6:7], s[8:9]
	s_or_b64 exec, exec, s[10:11]
	s_and_saveexec_b64 s[8:9], s[6:7]
	s_cbranch_execnz .LBB222_1250
	s_branch .LBB222_1251
.LBB222_1268:
	s_mov_b64 s[6:7], -1
                                        ; implicit-def: $vgpr2_vgpr3
	s_branch .LBB222_1273
.LBB222_1269:
	s_mov_b64 s[6:7], -1
                                        ; implicit-def: $vgpr2_vgpr3
.LBB222_1270:
	s_and_b64 vcc, exec, s[6:7]
	s_cbranch_vccz .LBB222_1272
; %bb.1271:
	global_load_ubyte v2, v[6:7], off
	s_mov_b32 s6, 0x7f800000
	s_waitcnt vmcnt(0)
	v_lshlrev_b32_e32 v2, 24, v2
	v_and_b32_e32 v3, 0x7f000000, v2
	v_ffbh_u32_e32 v8, v3
	v_min_u32_e32 v8, 32, v8
	v_sub_u32_e64 v8, v8, 4 clamp
	v_lshlrev_b32_e32 v10, v8, v3
	v_lshlrev_b32_e32 v8, 23, v8
	v_lshrrev_b32_e32 v10, 4, v10
	v_add_u32_e32 v9, 0x1000000, v3
	v_sub_u32_e32 v8, v10, v8
	v_ashrrev_i32_e32 v9, 8, v9
	v_add_u32_e32 v8, 0x3c000000, v8
	v_and_or_b32 v8, v9, s6, v8
	v_cmp_ne_u32_e32 vcc, 0, v3
	v_cndmask_b32_e32 v3, 0, v8, vcc
	s_brev_b32 s6, 1
	v_and_or_b32 v2, v2, s6, v3
	v_cvt_f64_f32_e32 v[2:3], v2
.LBB222_1272:
	s_mov_b64 s[6:7], 0
.LBB222_1273:
	s_andn2_b64 vcc, exec, s[6:7]
	s_cbranch_vccnz .LBB222_1275
; %bb.1274:
	global_load_ubyte v2, v[6:7], off
	s_movk_i32 s6, 0x7f00
	s_brev_b32 s7, 16
	s_waitcnt vmcnt(0)
	v_lshlrev_b16_e32 v3, 8, v2
	v_lshlrev_b32_e32 v2, 25, v2
	v_lshrrev_b32_e32 v8, 4, v2
	v_and_or_b32 v9, v3, s6, 0.5
	v_or_b32_e32 v8, 0x70000000, v8
	v_add_f32_e32 v9, -0.5, v9
	v_mul_f32_e32 v8, 0x7800000, v8
	v_cmp_gt_u32_e32 vcc, s7, v2
	v_bfe_i32 v3, v3, 0, 16
	v_cndmask_b32_e32 v2, v8, v9, vcc
	s_brev_b32 s6, 1
	v_and_or_b32 v2, v3, s6, v2
	v_cvt_f64_f32_e32 v[2:3], v2
.LBB222_1275:
	s_mov_b64 s[8:9], 0
	s_mov_b64 s[6:7], -1
.LBB222_1276:
	s_andn2_b64 vcc, exec, s[8:9]
	s_cbranch_vccnz .LBB222_1288
; %bb.1277:
	v_cmp_lt_i16_e32 vcc, 14, v5
	s_cbranch_vccz .LBB222_1280
; %bb.1278:
	v_cmp_eq_u16_e32 vcc, 15, v5
	s_cbranch_vccz .LBB222_1283
; %bb.1279:
	global_load_ushort v2, v[6:7], off
	s_mov_b64 s[8:9], 0
	v_writelane_b32 v86, s8, 2
	s_mov_b64 s[6:7], -1
	v_writelane_b32 v86, s9, 3
	s_waitcnt vmcnt(0)
	v_lshlrev_b32_e32 v2, 16, v2
	v_cvt_f64_f32_e32 v[2:3], v2
	s_branch .LBB222_1284
.LBB222_1280:
	s_mov_b64 s[8:9], -1
                                        ; implicit-def: $vgpr2_vgpr3
	s_branch .LBB222_1285
.LBB222_1281:
	s_or_saveexec_b64 s[10:11], s[10:11]
	v_pk_mov_b32 v[2:3], s[8:9], s[8:9] op_sel:[0,1]
	s_xor_b64 exec, exec, s[10:11]
	s_cbranch_execz .LBB222_1262
.LBB222_1282:
	v_cmp_ne_u16_e32 vcc, 0, v8
	s_andn2_b64 s[6:7], s[6:7], exec
	s_and_b64 s[8:9], vcc, exec
	v_pk_mov_b32 v[2:3], 0, 0
	s_or_b64 s[6:7], s[6:7], s[8:9]
	s_or_b64 exec, exec, s[10:11]
	s_and_saveexec_b64 s[8:9], s[6:7]
	s_cbranch_execnz .LBB222_1263
	s_branch .LBB222_1264
.LBB222_1283:
	s_mov_b64 s[8:9], -1
	v_writelane_b32 v86, s8, 2
	v_writelane_b32 v86, s9, 3
                                        ; implicit-def: $vgpr2_vgpr3
.LBB222_1284:
	s_mov_b64 s[8:9], 0
.LBB222_1285:
	s_and_b64 vcc, exec, s[8:9]
	s_cbranch_vccz .LBB222_1288
; %bb.1286:
	v_cmp_eq_u16_e32 vcc, 11, v5
	s_cbranch_vccz .LBB222_1300
; %bb.1287:
	global_load_ubyte v3, v[6:7], off
	v_mov_b32_e32 v8, 0x3ff00000
	v_mov_b32_e32 v2, 0
	s_mov_b64 s[6:7], -1
	s_mov_b64 s[8:9], 0
	s_waitcnt vmcnt(0)
	v_cmp_ne_u16_e32 vcc, 0, v3
	v_cndmask_b32_e32 v3, 0, v8, vcc
	s_branch .LBB222_1289
.LBB222_1288:
	v_readlane_b32 s8, v86, 2
	v_readlane_b32 s9, v86, 3
.LBB222_1289:
	v_writelane_b32 v86, s8, 2
	v_writelane_b32 v86, s9, 3
.LBB222_1290:
	s_mov_b64 s[8:9], 0
.LBB222_1291:
	s_and_b64 vcc, exec, s[8:9]
	s_cbranch_vccz .LBB222_1341
; %bb.1292:
	v_cmp_gt_i16_e32 vcc, 5, v5
	s_cbranch_vccnz .LBB222_1297
; %bb.1293:
	v_cmp_gt_i16_e32 vcc, 8, v5
	s_cbranch_vccnz .LBB222_1298
	;; [unrolled: 3-line block ×3, first 2 shown]
; %bb.1295:
	v_cmp_lt_i16_e32 vcc, 9, v5
	s_cbranch_vccz .LBB222_1301
; %bb.1296:
	global_load_dwordx2 v[2:3], v[6:7], off
	s_mov_b64 s[6:7], 0
	s_branch .LBB222_1302
.LBB222_1297:
	s_mov_b64 s[6:7], -1
                                        ; implicit-def: $vgpr2_vgpr3
	s_branch .LBB222_1320
.LBB222_1298:
	s_mov_b64 s[6:7], -1
                                        ; implicit-def: $vgpr2_vgpr3
	s_branch .LBB222_1308
.LBB222_1299:
	s_mov_b64 s[6:7], -1
                                        ; implicit-def: $vgpr2_vgpr3
	s_branch .LBB222_1305
.LBB222_1300:
	s_mov_b64 s[8:9], -1
                                        ; implicit-def: $vgpr2_vgpr3
	s_branch .LBB222_1289
.LBB222_1301:
	s_mov_b64 s[6:7], -1
                                        ; implicit-def: $vgpr2_vgpr3
.LBB222_1302:
	s_andn2_b64 vcc, exec, s[6:7]
	s_cbranch_vccnz .LBB222_1304
; %bb.1303:
	global_load_dword v2, v[6:7], off
	s_waitcnt vmcnt(0)
	v_cvt_f64_f32_e32 v[2:3], v2
.LBB222_1304:
	s_mov_b64 s[6:7], 0
.LBB222_1305:
	s_andn2_b64 vcc, exec, s[6:7]
	s_cbranch_vccnz .LBB222_1307
; %bb.1306:
	global_load_dword v2, v[6:7], off
	s_waitcnt vmcnt(0)
	v_cvt_f32_f16_e32 v2, v2
	v_cvt_f64_f32_e32 v[2:3], v2
.LBB222_1307:
	s_mov_b64 s[6:7], 0
.LBB222_1308:
	s_andn2_b64 vcc, exec, s[6:7]
	s_cbranch_vccnz .LBB222_1319
; %bb.1309:
	v_cmp_gt_i16_e32 vcc, 6, v5
	s_cbranch_vccnz .LBB222_1312
; %bb.1310:
	v_cmp_lt_i16_e32 vcc, 6, v5
	s_cbranch_vccz .LBB222_1313
; %bb.1311:
	global_load_dwordx2 v[2:3], v[6:7], off
	s_mov_b64 s[6:7], 0
	s_branch .LBB222_1314
.LBB222_1312:
	s_mov_b64 s[6:7], -1
                                        ; implicit-def: $vgpr2_vgpr3
	s_branch .LBB222_1317
.LBB222_1313:
	s_mov_b64 s[6:7], -1
                                        ; implicit-def: $vgpr2_vgpr3
.LBB222_1314:
	s_andn2_b64 vcc, exec, s[6:7]
	s_cbranch_vccnz .LBB222_1316
; %bb.1315:
	global_load_dword v2, v[6:7], off
	s_waitcnt vmcnt(0)
	v_cvt_f64_f32_e32 v[2:3], v2
.LBB222_1316:
	s_mov_b64 s[6:7], 0
.LBB222_1317:
	s_andn2_b64 vcc, exec, s[6:7]
	s_cbranch_vccnz .LBB222_1319
; %bb.1318:
	global_load_ushort v2, v[6:7], off
	s_waitcnt vmcnt(0)
	v_cvt_f32_f16_e32 v2, v2
	v_cvt_f64_f32_e32 v[2:3], v2
.LBB222_1319:
	s_mov_b64 s[6:7], 0
.LBB222_1320:
	s_andn2_b64 vcc, exec, s[6:7]
	s_cbranch_vccnz .LBB222_1340
; %bb.1321:
	v_cmp_gt_i16_e32 vcc, 2, v5
	s_cbranch_vccnz .LBB222_1325
; %bb.1322:
	v_cmp_gt_i16_e32 vcc, 3, v5
	s_cbranch_vccnz .LBB222_1326
; %bb.1323:
	v_cmp_lt_i16_e32 vcc, 3, v5
	s_cbranch_vccz .LBB222_1327
; %bb.1324:
	global_load_dwordx2 v[2:3], v[6:7], off
	s_mov_b64 s[6:7], 0
	s_waitcnt vmcnt(0)
	v_cvt_f64_i32_e32 v[8:9], v3
	v_cvt_f64_u32_e32 v[2:3], v2
	v_ldexp_f64 v[8:9], v[8:9], 32
	v_add_f64 v[2:3], v[8:9], v[2:3]
	s_branch .LBB222_1328
.LBB222_1325:
	s_mov_b64 s[6:7], -1
                                        ; implicit-def: $vgpr2_vgpr3
	s_branch .LBB222_1334
.LBB222_1326:
	s_mov_b64 s[6:7], -1
                                        ; implicit-def: $vgpr2_vgpr3
	s_branch .LBB222_1331
.LBB222_1327:
	s_mov_b64 s[6:7], -1
                                        ; implicit-def: $vgpr2_vgpr3
.LBB222_1328:
	s_andn2_b64 vcc, exec, s[6:7]
	s_cbranch_vccnz .LBB222_1330
; %bb.1329:
	global_load_dword v2, v[6:7], off
	s_waitcnt vmcnt(0)
	v_cvt_f64_i32_e32 v[2:3], v2
.LBB222_1330:
	s_mov_b64 s[6:7], 0
.LBB222_1331:
	s_andn2_b64 vcc, exec, s[6:7]
	s_cbranch_vccnz .LBB222_1333
; %bb.1332:
	global_load_sshort v2, v[6:7], off
	s_waitcnt vmcnt(0)
	v_cvt_f64_i32_e32 v[2:3], v2
.LBB222_1333:
	s_mov_b64 s[6:7], 0
.LBB222_1334:
	s_andn2_b64 vcc, exec, s[6:7]
	s_cbranch_vccnz .LBB222_1340
; %bb.1335:
	v_cmp_lt_i16_e32 vcc, 0, v5
	s_cbranch_vccz .LBB222_1337
; %bb.1336:
	global_load_sbyte v2, v[6:7], off
	s_mov_b64 s[6:7], 0
	s_waitcnt vmcnt(0)
	v_cvt_f64_i32_e32 v[2:3], v2
	s_branch .LBB222_1338
.LBB222_1337:
	s_mov_b64 s[6:7], -1
                                        ; implicit-def: $vgpr2_vgpr3
.LBB222_1338:
	s_andn2_b64 vcc, exec, s[6:7]
	s_cbranch_vccnz .LBB222_1340
; %bb.1339:
	global_load_ubyte v2, v[6:7], off
	s_waitcnt vmcnt(0)
	v_cvt_f64_u32_e32 v[2:3], v2
.LBB222_1340:
	s_mov_b64 s[6:7], -1
.LBB222_1341:
	s_andn2_b64 vcc, exec, s[6:7]
	s_cbranch_vccnz .LBB222_1349
; %bb.1342:
	v_mov_b32_e32 v5, s95
	v_add_co_u32_e32 v6, vcc, s94, v4
	v_addc_co_u32_e32 v7, vcc, 0, v5, vcc
	v_cmp_gt_i16_e32 vcc, 11, v44
	s_cbranch_vccnz .LBB222_1350
; %bb.1343:
	v_cmp_lt_i16_e32 vcc, 25, v44
	s_cbranch_vccz .LBB222_1351
; %bb.1344:
	v_cmp_lt_i16_e32 vcc, 28, v44
	s_cbranch_vccz .LBB222_1352
	;; [unrolled: 3-line block ×4, first 2 shown]
; %bb.1347:
	v_cmp_eq_u16_e32 vcc, 46, v44
	s_mov_b64 s[8:9], 0
	s_cbranch_vccz .LBB222_1357
; %bb.1348:
	global_load_dword v4, v[6:7], off
	s_mov_b64 s[10:11], 0
	v_writelane_b32 v86, s10, 4
	s_mov_b64 s[6:7], -1
	v_writelane_b32 v86, s11, 5
	s_waitcnt vmcnt(0)
	v_lshlrev_b32_e32 v4, 16, v4
	v_cvt_f64_f32_e32 v[4:5], v4
	s_branch .LBB222_1358
.LBB222_1349:
	v_readlane_b32 s10, v87, 49
	v_readlane_b32 s11, v87, 50
	s_mov_b64 s[8:9], 0
	s_mov_b64 s[6:7], s[96:97]
	v_writelane_b32 v86, s10, 4
                                        ; implicit-def: $vgpr45
	v_writelane_b32 v86, s11, 5
	s_branch .LBB222_1601
.LBB222_1350:
	v_readlane_b32 s10, v87, 49
	v_readlane_b32 s11, v87, 50
	v_writelane_b32 v86, s10, 4
	s_mov_b64 s[8:9], -1
	s_mov_b64 s[6:7], 0
                                        ; implicit-def: $vgpr4_vgpr5
	v_writelane_b32 v86, s11, 5
	s_branch .LBB222_1426
.LBB222_1351:
	v_readlane_b32 s10, v87, 49
	v_readlane_b32 s11, v87, 50
	s_mov_b64 s[8:9], -1
	s_mov_b64 s[6:7], 0
	v_writelane_b32 v86, s10, 4
                                        ; implicit-def: $vgpr4_vgpr5
	v_writelane_b32 v86, s11, 5
	s_branch .LBB222_1389
.LBB222_1352:
	v_readlane_b32 s10, v87, 49
	v_readlane_b32 s11, v87, 50
	s_mov_b64 s[8:9], -1
	s_mov_b64 s[6:7], 0
	v_writelane_b32 v86, s10, 4
                                        ; implicit-def: $vgpr4_vgpr5
	v_writelane_b32 v86, s11, 5
	s_branch .LBB222_1370
.LBB222_1353:
	v_readlane_b32 s10, v87, 49
	v_readlane_b32 s11, v87, 50
	s_mov_b64 s[8:9], -1
	s_mov_b64 s[6:7], 0
	v_writelane_b32 v86, s10, 4
                                        ; implicit-def: $vgpr4_vgpr5
	v_writelane_b32 v86, s11, 5
	s_branch .LBB222_1364
.LBB222_1354:
	v_readlane_b32 s10, v87, 49
	v_readlane_b32 s11, v87, 50
	s_mov_b64 s[8:9], -1
	s_mov_b64 s[6:7], 0
	v_writelane_b32 v86, s10, 4
	v_writelane_b32 v86, s11, 5
                                        ; implicit-def: $vgpr4_vgpr5
	s_branch .LBB222_1358
.LBB222_1355:
	s_or_saveexec_b64 s[12:13], s[12:13]
                                        ; implicit-def: $sgpr14
	s_xor_b64 exec, exec, s[12:13]
	s_cbranch_execz .LBB222_987
.LBB222_1356:
	s_mov_b32 s14, 0x42800000
	v_add_f32_e64 v3, |v2|, s14
	v_and_b32_e32 v3, 0xff, v3
	v_cmp_ne_u32_e32 vcc, 0, v3
	s_andn2_b64 s[10:11], s[10:11], exec
	s_and_b64 s[16:17], vcc, exec
	s_mov_b32 s14, 0
	s_or_b64 s[10:11], s[10:11], s[16:17]
	s_or_b64 exec, exec, s[12:13]
	v_mov_b32_e32 v6, s14
	s_and_saveexec_b64 s[12:13], s[10:11]
	s_cbranch_execnz .LBB222_988
	s_branch .LBB222_989
.LBB222_1357:
	s_mov_b64 s[6:7], -1
	v_writelane_b32 v86, s6, 4
	v_writelane_b32 v86, s7, 5
                                        ; implicit-def: $vgpr4_vgpr5
	s_mov_b64 s[6:7], 0
.LBB222_1358:
	s_and_b64 vcc, exec, s[8:9]
	s_cbranch_vccz .LBB222_1363
; %bb.1359:
	v_cmp_eq_u16_e32 vcc, 44, v44
	s_cbranch_vccz .LBB222_1361
; %bb.1360:
	global_load_ubyte v8, v[6:7], off
	s_movk_i32 s8, 0xff
	v_bfrev_b32_e32 v9, 4
	v_mov_b32_e32 v10, 0x7ff80000
	v_bfrev_b32_e32 v11, 28
	s_mov_b64 s[6:7], -1
	s_waitcnt vmcnt(0)
	v_lshlrev_b32_e32 v4, 23, v8
	v_cvt_f64_f32_e32 v[4:5], v4
	v_cmp_ne_u32_e32 vcc, s8, v8
	v_cndmask_b32_e32 v4, v9, v4, vcc
	v_cndmask_b32_e32 v5, v10, v5, vcc
	v_cmp_ne_u32_e32 vcc, 0, v8
	v_cndmask_b32_e32 v5, v11, v5, vcc
	v_cndmask_b32_e32 v4, 0, v4, vcc
	s_mov_b64 s[8:9], 0
	s_branch .LBB222_1362
.LBB222_1361:
	s_mov_b64 s[8:9], -1
                                        ; implicit-def: $vgpr4_vgpr5
.LBB222_1362:
	v_writelane_b32 v86, s8, 4
	v_writelane_b32 v86, s9, 5
.LBB222_1363:
	s_mov_b64 s[8:9], 0
.LBB222_1364:
	s_and_b64 vcc, exec, s[8:9]
	s_cbranch_vccz .LBB222_1369
; %bb.1365:
	v_cmp_eq_u16_e32 vcc, 29, v44
	s_cbranch_vccz .LBB222_1367
; %bb.1366:
	global_load_dwordx2 v[4:5], v[6:7], off
	s_mov_b64 s[6:7], -1
	s_mov_b64 s[8:9], 0
	s_waitcnt vmcnt(0)
	v_cvt_f64_u32_e32 v[8:9], v5
	v_cvt_f64_u32_e32 v[4:5], v4
	v_ldexp_f64 v[8:9], v[8:9], 32
	v_add_f64 v[4:5], v[8:9], v[4:5]
	s_branch .LBB222_1368
.LBB222_1367:
	s_mov_b64 s[8:9], -1
                                        ; implicit-def: $vgpr4_vgpr5
.LBB222_1368:
	v_writelane_b32 v86, s8, 4
	v_writelane_b32 v86, s9, 5
.LBB222_1369:
	s_mov_b64 s[8:9], 0
.LBB222_1370:
	s_and_b64 vcc, exec, s[8:9]
	s_cbranch_vccz .LBB222_1388
; %bb.1371:
	v_cmp_gt_i16_e32 vcc, 27, v44
	s_cbranch_vccnz .LBB222_1374
; %bb.1372:
	v_cmp_lt_i16_e32 vcc, 27, v44
	s_cbranch_vccz .LBB222_1375
; %bb.1373:
	global_load_dword v4, v[6:7], off
	s_mov_b64 s[6:7], 0
	s_waitcnt vmcnt(0)
	v_cvt_f64_u32_e32 v[4:5], v4
	s_branch .LBB222_1376
.LBB222_1374:
	s_mov_b64 s[6:7], -1
                                        ; implicit-def: $vgpr4_vgpr5
	s_branch .LBB222_1379
.LBB222_1375:
	s_mov_b64 s[6:7], -1
                                        ; implicit-def: $vgpr4_vgpr5
.LBB222_1376:
	s_andn2_b64 vcc, exec, s[6:7]
	s_cbranch_vccnz .LBB222_1378
; %bb.1377:
	global_load_ushort v4, v[6:7], off
	s_waitcnt vmcnt(0)
	v_cvt_f64_u32_e32 v[4:5], v4
.LBB222_1378:
	s_mov_b64 s[6:7], 0
.LBB222_1379:
	s_andn2_b64 vcc, exec, s[6:7]
	s_cbranch_vccnz .LBB222_1387
; %bb.1380:
	global_load_ubyte v8, v[6:7], off
	s_movk_i32 s6, 0x7f
                                        ; implicit-def: $sgpr8_sgpr9
	s_waitcnt vmcnt(0)
	v_cmp_lt_i16_e32 vcc, s6, v8
	s_mov_b64 s[6:7], 0
	s_and_saveexec_b64 s[10:11], vcc
	s_xor_b64 s[10:11], exec, s[10:11]
	s_cbranch_execz .LBB222_1401
; %bb.1381:
	s_movk_i32 s6, 0x80
	v_cmp_eq_u16_e32 vcc, s6, v8
	s_mov_b64 s[12:13], -1
                                        ; implicit-def: $sgpr8_sgpr9
	s_and_saveexec_b64 s[6:7], vcc
; %bb.1382:
	s_mov_b32 s9, 0x7ff80000
	s_brev_b32 s8, 4
	s_xor_b64 s[12:13], exec, -1
; %bb.1383:
	s_or_b64 exec, exec, s[6:7]
	s_and_b64 s[6:7], s[12:13], exec
	s_or_saveexec_b64 s[10:11], s[10:11]
	v_pk_mov_b32 v[4:5], s[8:9], s[8:9] op_sel:[0,1]
	s_xor_b64 exec, exec, s[10:11]
	s_cbranch_execnz .LBB222_1402
.LBB222_1384:
	s_or_b64 exec, exec, s[10:11]
	s_and_saveexec_b64 s[8:9], s[6:7]
	s_cbranch_execz .LBB222_1386
.LBB222_1385:
	v_and_b32_e32 v5, 0xffff, v8
	v_lshlrev_b32_e32 v4, 24, v8
	v_and_b32_e32 v8, 7, v5
	v_ffbh_u32_e32 v10, v8
	v_min_u32_e32 v10, 32, v10
	v_subrev_u32_e32 v11, 28, v10
	v_bfe_u32 v9, v5, 3, 4
	v_lshlrev_b32_e32 v5, v11, v5
	v_sub_u32_e32 v10, 29, v10
	v_and_b32_e32 v5, 7, v5
	v_cmp_eq_u32_e32 vcc, 0, v9
	v_cndmask_b32_e32 v9, v9, v10, vcc
	v_cndmask_b32_e32 v5, v8, v5, vcc
	v_mov_b32_e32 v8, 0x3b800000
	v_lshlrev_b32_e32 v5, 20, v5
	v_and_b32_e32 v4, 0x80000000, v4
	v_lshl_add_u32 v8, v9, 23, v8
	v_or3_b32 v4, v4, v8, v5
	v_cvt_f64_f32_e32 v[4:5], v4
.LBB222_1386:
	s_or_b64 exec, exec, s[8:9]
.LBB222_1387:
	s_mov_b64 s[6:7], -1
.LBB222_1388:
	s_mov_b64 s[8:9], 0
.LBB222_1389:
	s_and_b64 vcc, exec, s[8:9]
	s_cbranch_vccz .LBB222_1425
; %bb.1390:
	v_cmp_lt_i16_e32 vcc, 22, v44
	s_cbranch_vccz .LBB222_1400
; %bb.1391:
	v_cmp_gt_i16_e32 vcc, 24, v44
	s_cbranch_vccnz .LBB222_1403
; %bb.1392:
	v_cmp_lt_i16_e32 vcc, 24, v44
	s_cbranch_vccz .LBB222_1404
; %bb.1393:
	global_load_ubyte v8, v[6:7], off
	s_movk_i32 s6, 0x7f
                                        ; implicit-def: $sgpr8_sgpr9
	s_waitcnt vmcnt(0)
	v_cmp_lt_i16_e32 vcc, s6, v8
	s_mov_b64 s[6:7], 0
	s_and_saveexec_b64 s[10:11], vcc
	s_xor_b64 s[10:11], exec, s[10:11]
	s_cbranch_execz .LBB222_1416
; %bb.1394:
	s_movk_i32 s6, 0x80
	v_cmp_eq_u16_e32 vcc, s6, v8
	s_mov_b64 s[12:13], -1
                                        ; implicit-def: $sgpr8_sgpr9
	s_and_saveexec_b64 s[6:7], vcc
; %bb.1395:
	s_mov_b32 s9, 0x7ff80000
	s_brev_b32 s8, 4
	s_xor_b64 s[12:13], exec, -1
; %bb.1396:
	s_or_b64 exec, exec, s[6:7]
	s_and_b64 s[6:7], s[12:13], exec
	s_or_saveexec_b64 s[10:11], s[10:11]
	v_pk_mov_b32 v[4:5], s[8:9], s[8:9] op_sel:[0,1]
	s_xor_b64 exec, exec, s[10:11]
	s_cbranch_execnz .LBB222_1417
.LBB222_1397:
	s_or_b64 exec, exec, s[10:11]
	s_and_saveexec_b64 s[8:9], s[6:7]
	s_cbranch_execz .LBB222_1399
.LBB222_1398:
	v_and_b32_e32 v5, 0xffff, v8
	v_lshlrev_b32_e32 v4, 24, v8
	v_and_b32_e32 v8, 3, v5
	v_ffbh_u32_e32 v10, v8
	v_min_u32_e32 v10, 32, v10
	v_subrev_u32_e32 v11, 29, v10
	v_bfe_u32 v9, v5, 2, 5
	v_lshlrev_b32_e32 v5, v11, v5
	v_sub_u32_e32 v10, 30, v10
	v_and_b32_e32 v5, 3, v5
	v_cmp_eq_u32_e32 vcc, 0, v9
	v_cndmask_b32_e32 v9, v9, v10, vcc
	v_cndmask_b32_e32 v5, v8, v5, vcc
	v_mov_b32_e32 v8, 0x37800000
	v_lshlrev_b32_e32 v5, 21, v5
	v_and_b32_e32 v4, 0x80000000, v4
	v_lshl_add_u32 v8, v9, 23, v8
	v_or3_b32 v4, v4, v8, v5
	v_cvt_f64_f32_e32 v[4:5], v4
.LBB222_1399:
	s_or_b64 exec, exec, s[8:9]
	s_mov_b64 s[6:7], 0
	s_branch .LBB222_1405
.LBB222_1400:
	s_mov_b64 s[8:9], -1
                                        ; implicit-def: $vgpr4_vgpr5
	s_branch .LBB222_1411
.LBB222_1401:
	s_or_saveexec_b64 s[10:11], s[10:11]
	v_pk_mov_b32 v[4:5], s[8:9], s[8:9] op_sel:[0,1]
	s_xor_b64 exec, exec, s[10:11]
	s_cbranch_execz .LBB222_1384
.LBB222_1402:
	v_cmp_ne_u16_e32 vcc, 0, v8
	s_andn2_b64 s[6:7], s[6:7], exec
	s_and_b64 s[8:9], vcc, exec
	v_pk_mov_b32 v[4:5], 0, 0
	s_or_b64 s[6:7], s[6:7], s[8:9]
	s_or_b64 exec, exec, s[10:11]
	s_and_saveexec_b64 s[8:9], s[6:7]
	s_cbranch_execnz .LBB222_1385
	s_branch .LBB222_1386
.LBB222_1403:
	s_mov_b64 s[6:7], -1
                                        ; implicit-def: $vgpr4_vgpr5
	s_branch .LBB222_1408
.LBB222_1404:
	s_mov_b64 s[6:7], -1
                                        ; implicit-def: $vgpr4_vgpr5
.LBB222_1405:
	s_and_b64 vcc, exec, s[6:7]
	s_cbranch_vccz .LBB222_1407
; %bb.1406:
	global_load_ubyte v4, v[6:7], off
	s_mov_b32 s6, 0x7f800000
	s_waitcnt vmcnt(0)
	v_lshlrev_b32_e32 v4, 24, v4
	v_and_b32_e32 v5, 0x7f000000, v4
	v_ffbh_u32_e32 v8, v5
	v_min_u32_e32 v8, 32, v8
	v_sub_u32_e64 v8, v8, 4 clamp
	v_lshlrev_b32_e32 v10, v8, v5
	v_lshlrev_b32_e32 v8, 23, v8
	v_lshrrev_b32_e32 v10, 4, v10
	v_add_u32_e32 v9, 0x1000000, v5
	v_sub_u32_e32 v8, v10, v8
	v_ashrrev_i32_e32 v9, 8, v9
	v_add_u32_e32 v8, 0x3c000000, v8
	v_and_or_b32 v8, v9, s6, v8
	v_cmp_ne_u32_e32 vcc, 0, v5
	v_cndmask_b32_e32 v5, 0, v8, vcc
	s_brev_b32 s6, 1
	v_and_or_b32 v4, v4, s6, v5
	v_cvt_f64_f32_e32 v[4:5], v4
.LBB222_1407:
	s_mov_b64 s[6:7], 0
.LBB222_1408:
	s_andn2_b64 vcc, exec, s[6:7]
	s_cbranch_vccnz .LBB222_1410
; %bb.1409:
	global_load_ubyte v4, v[6:7], off
	s_movk_i32 s6, 0x7f00
	s_brev_b32 s7, 16
	s_waitcnt vmcnt(0)
	v_lshlrev_b16_e32 v5, 8, v4
	v_lshlrev_b32_e32 v4, 25, v4
	v_lshrrev_b32_e32 v8, 4, v4
	v_and_or_b32 v9, v5, s6, 0.5
	v_or_b32_e32 v8, 0x70000000, v8
	v_add_f32_e32 v9, -0.5, v9
	v_mul_f32_e32 v8, 0x7800000, v8
	v_cmp_gt_u32_e32 vcc, s7, v4
	v_bfe_i32 v5, v5, 0, 16
	v_cndmask_b32_e32 v4, v8, v9, vcc
	s_brev_b32 s6, 1
	v_and_or_b32 v4, v5, s6, v4
	v_cvt_f64_f32_e32 v[4:5], v4
.LBB222_1410:
	s_mov_b64 s[8:9], 0
	s_mov_b64 s[6:7], -1
.LBB222_1411:
	s_andn2_b64 vcc, exec, s[8:9]
	s_cbranch_vccnz .LBB222_1423
; %bb.1412:
	v_cmp_lt_i16_e32 vcc, 14, v44
	s_cbranch_vccz .LBB222_1415
; %bb.1413:
	v_cmp_eq_u16_e32 vcc, 15, v44
	s_cbranch_vccz .LBB222_1418
; %bb.1414:
	global_load_ushort v4, v[6:7], off
	s_mov_b64 s[8:9], 0
	v_writelane_b32 v86, s8, 4
	s_mov_b64 s[6:7], -1
	v_writelane_b32 v86, s9, 5
	s_waitcnt vmcnt(0)
	v_lshlrev_b32_e32 v4, 16, v4
	v_cvt_f64_f32_e32 v[4:5], v4
	s_branch .LBB222_1419
.LBB222_1415:
	s_mov_b64 s[8:9], -1
                                        ; implicit-def: $vgpr4_vgpr5
	s_branch .LBB222_1420
.LBB222_1416:
	s_or_saveexec_b64 s[10:11], s[10:11]
	v_pk_mov_b32 v[4:5], s[8:9], s[8:9] op_sel:[0,1]
	s_xor_b64 exec, exec, s[10:11]
	s_cbranch_execz .LBB222_1397
.LBB222_1417:
	v_cmp_ne_u16_e32 vcc, 0, v8
	s_andn2_b64 s[6:7], s[6:7], exec
	s_and_b64 s[8:9], vcc, exec
	v_pk_mov_b32 v[4:5], 0, 0
	s_or_b64 s[6:7], s[6:7], s[8:9]
	s_or_b64 exec, exec, s[10:11]
	s_and_saveexec_b64 s[8:9], s[6:7]
	s_cbranch_execnz .LBB222_1398
	s_branch .LBB222_1399
.LBB222_1418:
	s_mov_b64 s[8:9], -1
	v_writelane_b32 v86, s8, 4
	v_writelane_b32 v86, s9, 5
                                        ; implicit-def: $vgpr4_vgpr5
.LBB222_1419:
	s_mov_b64 s[8:9], 0
.LBB222_1420:
	s_and_b64 vcc, exec, s[8:9]
	s_cbranch_vccz .LBB222_1423
; %bb.1421:
	v_cmp_eq_u16_e32 vcc, 11, v44
	s_cbranch_vccz .LBB222_1435
; %bb.1422:
	global_load_ubyte v5, v[6:7], off
	v_mov_b32_e32 v8, 0x3ff00000
	v_mov_b32_e32 v4, 0
	s_mov_b64 s[6:7], -1
	s_mov_b64 s[8:9], 0
	s_waitcnt vmcnt(0)
	v_cmp_ne_u16_e32 vcc, 0, v5
	v_cndmask_b32_e32 v5, 0, v8, vcc
	s_branch .LBB222_1424
.LBB222_1423:
	v_readlane_b32 s8, v86, 4
	v_readlane_b32 s9, v86, 5
.LBB222_1424:
	v_writelane_b32 v86, s8, 4
	v_writelane_b32 v86, s9, 5
.LBB222_1425:
	s_mov_b64 s[8:9], 0
.LBB222_1426:
	s_and_b64 vcc, exec, s[8:9]
	s_cbranch_vccz .LBB222_1476
; %bb.1427:
	v_cmp_gt_i16_e32 vcc, 5, v44
	s_cbranch_vccnz .LBB222_1432
; %bb.1428:
	v_cmp_gt_i16_e32 vcc, 8, v44
	s_cbranch_vccnz .LBB222_1433
	;; [unrolled: 3-line block ×3, first 2 shown]
; %bb.1430:
	v_cmp_lt_i16_e32 vcc, 9, v44
	s_cbranch_vccz .LBB222_1436
; %bb.1431:
	global_load_dwordx2 v[4:5], v[6:7], off
	s_mov_b64 s[6:7], 0
	s_branch .LBB222_1437
.LBB222_1432:
	s_mov_b64 s[6:7], -1
                                        ; implicit-def: $vgpr4_vgpr5
	s_branch .LBB222_1455
.LBB222_1433:
	s_mov_b64 s[6:7], -1
                                        ; implicit-def: $vgpr4_vgpr5
	s_branch .LBB222_1443
.LBB222_1434:
	s_mov_b64 s[6:7], -1
                                        ; implicit-def: $vgpr4_vgpr5
	s_branch .LBB222_1440
.LBB222_1435:
	s_mov_b64 s[8:9], -1
                                        ; implicit-def: $vgpr4_vgpr5
	s_branch .LBB222_1424
.LBB222_1436:
	s_mov_b64 s[6:7], -1
                                        ; implicit-def: $vgpr4_vgpr5
.LBB222_1437:
	s_andn2_b64 vcc, exec, s[6:7]
	s_cbranch_vccnz .LBB222_1439
; %bb.1438:
	global_load_dword v4, v[6:7], off
	s_waitcnt vmcnt(0)
	v_cvt_f64_f32_e32 v[4:5], v4
.LBB222_1439:
	s_mov_b64 s[6:7], 0
.LBB222_1440:
	s_andn2_b64 vcc, exec, s[6:7]
	s_cbranch_vccnz .LBB222_1442
; %bb.1441:
	global_load_dword v4, v[6:7], off
	s_waitcnt vmcnt(0)
	v_cvt_f32_f16_e32 v4, v4
	v_cvt_f64_f32_e32 v[4:5], v4
.LBB222_1442:
	s_mov_b64 s[6:7], 0
.LBB222_1443:
	s_andn2_b64 vcc, exec, s[6:7]
	s_cbranch_vccnz .LBB222_1454
; %bb.1444:
	v_cmp_gt_i16_e32 vcc, 6, v44
	s_cbranch_vccnz .LBB222_1447
; %bb.1445:
	v_cmp_lt_i16_e32 vcc, 6, v44
	s_cbranch_vccz .LBB222_1448
; %bb.1446:
	global_load_dwordx2 v[4:5], v[6:7], off
	s_mov_b64 s[6:7], 0
	s_branch .LBB222_1449
.LBB222_1447:
	s_mov_b64 s[6:7], -1
                                        ; implicit-def: $vgpr4_vgpr5
	s_branch .LBB222_1452
.LBB222_1448:
	s_mov_b64 s[6:7], -1
                                        ; implicit-def: $vgpr4_vgpr5
.LBB222_1449:
	s_andn2_b64 vcc, exec, s[6:7]
	s_cbranch_vccnz .LBB222_1451
; %bb.1450:
	global_load_dword v4, v[6:7], off
	s_waitcnt vmcnt(0)
	v_cvt_f64_f32_e32 v[4:5], v4
.LBB222_1451:
	s_mov_b64 s[6:7], 0
.LBB222_1452:
	s_andn2_b64 vcc, exec, s[6:7]
	s_cbranch_vccnz .LBB222_1454
; %bb.1453:
	global_load_ushort v4, v[6:7], off
	s_waitcnt vmcnt(0)
	v_cvt_f32_f16_e32 v4, v4
	v_cvt_f64_f32_e32 v[4:5], v4
.LBB222_1454:
	s_mov_b64 s[6:7], 0
.LBB222_1455:
	s_andn2_b64 vcc, exec, s[6:7]
	s_cbranch_vccnz .LBB222_1475
; %bb.1456:
	v_cmp_gt_i16_e32 vcc, 2, v44
	s_cbranch_vccnz .LBB222_1460
; %bb.1457:
	v_cmp_gt_i16_e32 vcc, 3, v44
	s_cbranch_vccnz .LBB222_1461
; %bb.1458:
	v_cmp_lt_i16_e32 vcc, 3, v44
	s_cbranch_vccz .LBB222_1462
; %bb.1459:
	global_load_dwordx2 v[4:5], v[6:7], off
	s_mov_b64 s[6:7], 0
	s_waitcnt vmcnt(0)
	v_cvt_f64_i32_e32 v[8:9], v5
	v_cvt_f64_u32_e32 v[4:5], v4
	v_ldexp_f64 v[8:9], v[8:9], 32
	v_add_f64 v[4:5], v[8:9], v[4:5]
	s_branch .LBB222_1463
.LBB222_1460:
	s_mov_b64 s[6:7], -1
                                        ; implicit-def: $vgpr4_vgpr5
	s_branch .LBB222_1469
.LBB222_1461:
	s_mov_b64 s[6:7], -1
                                        ; implicit-def: $vgpr4_vgpr5
	s_branch .LBB222_1466
.LBB222_1462:
	s_mov_b64 s[6:7], -1
                                        ; implicit-def: $vgpr4_vgpr5
.LBB222_1463:
	s_andn2_b64 vcc, exec, s[6:7]
	s_cbranch_vccnz .LBB222_1465
; %bb.1464:
	global_load_dword v4, v[6:7], off
	s_waitcnt vmcnt(0)
	v_cvt_f64_i32_e32 v[4:5], v4
.LBB222_1465:
	s_mov_b64 s[6:7], 0
.LBB222_1466:
	s_andn2_b64 vcc, exec, s[6:7]
	s_cbranch_vccnz .LBB222_1468
; %bb.1467:
	global_load_sshort v4, v[6:7], off
	s_waitcnt vmcnt(0)
	v_cvt_f64_i32_e32 v[4:5], v4
.LBB222_1468:
	s_mov_b64 s[6:7], 0
.LBB222_1469:
	s_andn2_b64 vcc, exec, s[6:7]
	s_cbranch_vccnz .LBB222_1475
; %bb.1470:
	v_cmp_lt_i16_e32 vcc, 0, v44
	s_cbranch_vccz .LBB222_1472
; %bb.1471:
	global_load_sbyte v4, v[6:7], off
	s_mov_b64 s[6:7], 0
	s_waitcnt vmcnt(0)
	v_cvt_f64_i32_e32 v[4:5], v4
	s_branch .LBB222_1473
.LBB222_1472:
	s_mov_b64 s[6:7], -1
                                        ; implicit-def: $vgpr4_vgpr5
.LBB222_1473:
	s_andn2_b64 vcc, exec, s[6:7]
	s_cbranch_vccnz .LBB222_1475
; %bb.1474:
	global_load_ubyte v4, v[6:7], off
	s_waitcnt vmcnt(0)
	v_cvt_f64_u32_e32 v[4:5], v4
.LBB222_1475:
	s_mov_b64 s[6:7], -1
.LBB222_1476:
	s_andn2_b64 vcc, exec, s[6:7]
	s_cbranch_vccnz .LBB222_1484
; %bb.1477:
	v_writelane_b32 v87, s56, 38
	v_writelane_b32 v87, s57, 39
	;; [unrolled: 1-line block ×8, first 2 shown]
	s_mov_b32 s33, s37
	v_writelane_b32 v87, s5, 44
	s_getpc_b64 s[4:5]
	s_add_u32 s4, s4, _ZZZZN2at6native28launch_dirichlet_grad_kernelERNS_18TensorIteratorBaseEENKUlvE_clEvENKUlvE_clEvENKUldddE_clEddd@rel32@lo+4
	s_addc_u32 s5, s5, _ZZZZN2at6native28launch_dirichlet_grad_kernelERNS_18TensorIteratorBaseEENKUlvE_clEvENKUlvE_clEvENKUldddE_clEddd@rel32@hi+12
	s_swappc_b64 s[30:31], s[4:5]
	v_mov_b32_e32 v2, s89
	v_add_co_u32_e32 v4, vcc, s88, v42
	v_addc_co_u32_e32 v5, vcc, 0, v2, vcc
	v_mov_b32_e32 v2, 11
	v_cmp_lt_i16_sdwa s[4:5], v41, v2 src0_sel:BYTE_0 src1_sel:DWORD
	s_and_b64 vcc, exec, s[4:5]
	s_cbranch_vccnz .LBB222_1485
; %bb.1478:
	v_mov_b32_e32 v2, 25
	v_cmp_gt_i16_sdwa s[4:5], v41, v2 src0_sel:BYTE_0 src1_sel:DWORD
	s_and_b64 vcc, exec, s[4:5]
	s_cbranch_vccz .LBB222_1486
; %bb.1479:
	v_mov_b32_e32 v2, 28
	v_cmp_gt_i16_sdwa s[4:5], v41, v2 src0_sel:BYTE_0 src1_sel:DWORD
	s_and_b64 vcc, exec, s[4:5]
	v_readlane_b32 s4, v87, 43
	v_readlane_b32 s44, v87, 40
	;; [unrolled: 1-line block ×3, first 2 shown]
	s_mov_b32 s37, s33
	s_mov_b64 s[42:43], 0
	v_readlane_b32 s45, v87, 41
	s_cbranch_vccz .LBB222_1487
; %bb.1480:
	v_mov_b32_e32 v2, 43
	v_cmp_gt_i16_sdwa s[6:7], v41, v2 src0_sel:BYTE_0 src1_sel:DWORD
	v_readlane_b32 s46, v86, 6
	s_and_b64 vcc, exec, s[6:7]
	v_readlane_b32 s33, v87, 61
	v_readlane_b32 s47, v86, 7
	s_cbranch_vccz .LBB222_1488
; %bb.1481:
	v_mov_b32_e32 v2, 45
	v_cmp_gt_i16_sdwa s[6:7], v41, v2 src0_sel:BYTE_0 src1_sel:DWORD
	v_readlane_b32 s56, v87, 38
	s_and_b64 vcc, exec, s[6:7]
	v_readlane_b32 s57, v87, 39
	s_cbranch_vccz .LBB222_1489
; %bb.1482:
	v_mov_b32_e32 v2, 46
	v_cmp_eq_u16_sdwa s[8:9], v41, v2 src0_sel:BYTE_0 src1_sel:DWORD
	s_mov_b64 s[10:11], 0
	s_mov_b64 s[6:7], -1
	s_and_b64 vcc, exec, s[8:9]
	s_mov_b64 s[8:9], 0
	s_cbranch_vccz .LBB222_1490
; %bb.1483:
	v_cvt_f32_f64_e32 v2, v[0:1]
	v_bfe_u32 v3, v2, 16, 1
	s_movk_i32 s6, 0x7fff
	v_add3_u32 v3, v2, v3, s6
	v_lshrrev_b32_e32 v3, 16, v3
	v_mov_b32_e32 v6, 0x7fc0
	v_cmp_o_f32_e32 vcc, v2, v2
	v_cndmask_b32_e32 v2, v6, v3, vcc
	global_store_dword v[4:5], v2, off
	s_mov_b64 s[8:9], -1
	s_mov_b64 s[6:7], 0
	s_branch .LBB222_1490
.LBB222_1484:
	s_mov_b64 s[8:9], 0
                                        ; implicit-def: $vgpr45
	s_mov_b64 s[6:7], s[96:97]
	s_branch .LBB222_1601
.LBB222_1485:
	v_readlane_b32 s4, v87, 43
	v_readlane_b32 s44, v87, 40
	;; [unrolled: 1-line block ×4, first 2 shown]
	s_mov_b64 s[10:11], -1
	s_mov_b64 s[8:9], 0
	s_mov_b64 s[6:7], s[96:97]
	v_readlane_b32 s5, v87, 44
	s_mov_b32 s37, s33
	v_readlane_b32 s33, v87, 61
	s_mov_b64 s[42:43], 0
	v_readlane_b32 s45, v87, 41
	v_readlane_b32 s47, v86, 7
	;; [unrolled: 1-line block ×3, first 2 shown]
	s_branch .LBB222_1559
.LBB222_1486:
	v_readlane_b32 s4, v87, 43
	v_readlane_b32 s44, v87, 40
	;; [unrolled: 1-line block ×4, first 2 shown]
	s_mov_b64 s[10:11], -1
	s_mov_b64 s[8:9], 0
	s_mov_b64 s[6:7], s[96:97]
	v_readlane_b32 s5, v87, 44
	s_mov_b32 s37, s33
	v_readlane_b32 s33, v87, 61
	s_mov_b64 s[42:43], 0
	v_readlane_b32 s45, v87, 41
	v_readlane_b32 s47, v86, 7
	;; [unrolled: 1-line block ×3, first 2 shown]
	s_branch .LBB222_1517
.LBB222_1487:
	v_readlane_b32 s46, v86, 6
	v_readlane_b32 s56, v87, 38
	s_mov_b64 s[10:11], -1
	s_mov_b64 s[8:9], 0
	s_mov_b64 s[6:7], s[96:97]
	v_readlane_b32 s33, v87, 61
	v_readlane_b32 s47, v86, 7
	;; [unrolled: 1-line block ×3, first 2 shown]
	s_branch .LBB222_1500
.LBB222_1488:
	v_readlane_b32 s56, v87, 38
	s_mov_b64 s[10:11], -1
	s_mov_b64 s[8:9], 0
	s_mov_b64 s[6:7], s[96:97]
	v_readlane_b32 s57, v87, 39
	s_branch .LBB222_1496
.LBB222_1489:
	s_mov_b64 s[10:11], -1
	s_mov_b64 s[8:9], 0
	s_mov_b64 s[6:7], s[96:97]
.LBB222_1490:
	s_and_b64 vcc, exec, s[10:11]
	s_cbranch_vccz .LBB222_1495
; %bb.1491:
	v_mov_b32_e32 v2, 44
	v_cmp_eq_u16_sdwa s[10:11], v41, v2 src0_sel:BYTE_0 src1_sel:DWORD
	s_mov_b64 s[6:7], -1
	s_and_b64 vcc, exec, s[10:11]
	s_cbranch_vccz .LBB222_1495
; %bb.1492:
	v_cvt_f32_f64_e32 v2, v[0:1]
	v_bfe_u32 v3, v2, 23, 8
	s_movk_i32 s6, 0xff
	v_cmp_ne_u32_e32 vcc, s6, v3
	v_mov_b32_e32 v6, 0xff
	s_and_saveexec_b64 s[8:9], vcc
; %bb.1493:
	s_mov_b32 s6, 0x3fffff
	v_lshrrev_b32_e32 v6, 23, v2
	v_and_b32_e32 v7, 0x400000, v2
	v_and_or_b32 v2, v2, s6, v3
	v_cmp_ne_u32_e32 vcc, 0, v7
	v_cmp_ne_u32_e64 s[6:7], 0, v2
	s_and_b64 s[6:7], vcc, s[6:7]
	v_cndmask_b32_e64 v2, 0, 1, s[6:7]
	v_add_u32_e32 v6, v6, v2
; %bb.1494:
	s_or_b64 exec, exec, s[8:9]
	s_mov_b64 s[8:9], -1
	s_mov_b64 s[6:7], 0
	global_store_byte v[4:5], v6, off
.LBB222_1495:
	s_mov_b64 s[10:11], 0
.LBB222_1496:
	s_and_b64 vcc, exec, s[10:11]
	s_cbranch_vccz .LBB222_1499
; %bb.1497:
	v_mov_b32_e32 v2, 29
	v_cmp_eq_u16_sdwa s[10:11], v41, v2 src0_sel:BYTE_0 src1_sel:DWORD
	s_mov_b64 s[6:7], -1
	s_and_b64 vcc, exec, s[10:11]
	s_cbranch_vccz .LBB222_1499
; %bb.1498:
	v_trunc_f64_e32 v[2:3], v[0:1]
	s_movk_i32 s6, 0xffe0
	v_ldexp_f64 v[6:7], v[2:3], s6
	v_floor_f64_e32 v[6:7], v[6:7]
	v_fmac_f64_e32 v[2:3], 0xc1f00000, v[6:7]
	v_cvt_u32_f64_e32 v9, v[6:7]
	v_cvt_u32_f64_e32 v8, v[2:3]
	global_store_dwordx2 v[4:5], v[8:9], off
	s_mov_b64 s[8:9], -1
	s_mov_b64 s[6:7], 0
.LBB222_1499:
	s_mov_b64 s[10:11], 0
.LBB222_1500:
	s_and_b64 vcc, exec, s[10:11]
	s_cbranch_vccz .LBB222_1516
; %bb.1501:
	v_mov_b32_e32 v2, 27
	v_cmp_lt_i16_sdwa s[10:11], v41, v2 src0_sel:BYTE_0 src1_sel:DWORD
	s_mov_b64 s[8:9], -1
	s_and_b64 vcc, exec, s[10:11]
	s_cbranch_vccnz .LBB222_1507
; %bb.1502:
	v_cmp_gt_i16_sdwa s[10:11], v41, v2 src0_sel:BYTE_0 src1_sel:DWORD
	s_and_b64 vcc, exec, s[10:11]
	s_cbranch_vccz .LBB222_1504
; %bb.1503:
	v_cvt_u32_f64_e32 v2, v[0:1]
	s_mov_b64 s[8:9], 0
	global_store_dword v[4:5], v2, off
.LBB222_1504:
	s_andn2_b64 vcc, exec, s[8:9]
	s_cbranch_vccnz .LBB222_1506
; %bb.1505:
	v_cvt_u32_f64_e32 v2, v[0:1]
	global_store_short v[4:5], v2, off
.LBB222_1506:
	s_mov_b64 s[8:9], 0
.LBB222_1507:
	s_andn2_b64 vcc, exec, s[8:9]
	s_cbranch_vccnz .LBB222_1515
; %bb.1508:
	v_cvt_f32_f64_e32 v2, v[0:1]
	v_and_b32_e32 v3, 0x7fffffff, v2
	s_mov_b32 s8, 0x43800000
	v_cmp_gt_u32_e32 vcc, s8, v3
	v_mov_b32_e32 v6, 0x80
	s_and_saveexec_b64 s[8:9], vcc
	s_cbranch_execz .LBB222_1514
; %bb.1509:
	s_mov_b32 s10, 0x3bffffff
	v_cmp_lt_u32_e32 vcc, s10, v3
	s_mov_b64 s[10:11], 0
                                        ; implicit-def: $vgpr3
	s_and_saveexec_b64 s[12:13], vcc
	s_xor_b64 s[12:13], exec, s[12:13]
	s_cbranch_execz .LBB222_2819
; %bb.1510:
	v_bfe_u32 v3, v2, 20, 1
	s_mov_b32 s14, 0x487ffff
	v_add3_u32 v3, v2, v3, s14
	s_mov_b64 s[10:11], exec
	v_lshrrev_b32_e32 v3, 20, v3
	s_or_saveexec_b64 s[12:13], s[12:13]
                                        ; implicit-def: $sgpr14
	s_xor_b64 exec, exec, s[12:13]
	s_cbranch_execnz .LBB222_2820
.LBB222_1511:
	s_or_b64 exec, exec, s[12:13]
	v_mov_b32_e32 v6, s14
	s_and_saveexec_b64 s[12:13], s[10:11]
.LBB222_1512:
	v_lshrrev_b32_e32 v2, 24, v2
	s_movk_i32 s10, 0x80
	v_and_or_b32 v6, v2, s10, v3
.LBB222_1513:
	s_or_b64 exec, exec, s[12:13]
.LBB222_1514:
	s_or_b64 exec, exec, s[8:9]
	global_store_byte v[4:5], v6, off
.LBB222_1515:
	s_mov_b64 s[8:9], -1
.LBB222_1516:
	s_mov_b64 s[10:11], 0
.LBB222_1517:
	s_and_b64 vcc, exec, s[10:11]
	s_cbranch_vccz .LBB222_1558
; %bb.1518:
	v_mov_b32_e32 v2, 22
	v_cmp_gt_i16_sdwa s[12:13], v41, v2 src0_sel:BYTE_0 src1_sel:DWORD
	s_mov_b64 s[10:11], -1
	s_and_b64 vcc, exec, s[12:13]
	s_cbranch_vccz .LBB222_1550
; %bb.1519:
	v_mov_b32_e32 v2, 24
	v_cmp_lt_i16_sdwa s[10:11], v41, v2 src0_sel:BYTE_0 src1_sel:DWORD
	s_mov_b64 s[8:9], -1
	s_and_b64 vcc, exec, s[10:11]
	s_cbranch_vccnz .LBB222_1539
; %bb.1520:
	v_cmp_gt_i16_sdwa s[10:11], v41, v2 src0_sel:BYTE_0 src1_sel:DWORD
	s_and_b64 vcc, exec, s[10:11]
	s_cbranch_vccz .LBB222_1528
; %bb.1521:
	v_cvt_f32_f64_e32 v2, v[0:1]
	v_and_b32_e32 v3, 0x7fffffff, v2
	s_mov_b32 s8, 0x47800000
	v_cmp_gt_u32_e32 vcc, s8, v3
	v_mov_b32_e32 v6, 0x80
	s_and_saveexec_b64 s[8:9], vcc
	s_cbranch_execz .LBB222_1527
; %bb.1522:
	s_mov_b32 s10, 0x37ffffff
	v_cmp_lt_u32_e32 vcc, s10, v3
	s_mov_b64 s[10:11], 0
                                        ; implicit-def: $vgpr3
	s_and_saveexec_b64 s[12:13], vcc
	s_xor_b64 s[12:13], exec, s[12:13]
	s_cbranch_execz .LBB222_2951
; %bb.1523:
	v_bfe_u32 v3, v2, 21, 1
	s_mov_b32 s14, 0x88fffff
	v_add3_u32 v3, v2, v3, s14
	s_mov_b64 s[10:11], exec
	v_lshrrev_b32_e32 v3, 21, v3
	s_or_saveexec_b64 s[12:13], s[12:13]
                                        ; implicit-def: $sgpr14
	s_xor_b64 exec, exec, s[12:13]
	s_cbranch_execnz .LBB222_2952
.LBB222_1524:
	s_or_b64 exec, exec, s[12:13]
	v_mov_b32_e32 v6, s14
	s_and_saveexec_b64 s[12:13], s[10:11]
.LBB222_1525:
	v_lshrrev_b32_e32 v2, 24, v2
	s_movk_i32 s10, 0x80
	v_and_or_b32 v6, v2, s10, v3
.LBB222_1526:
	s_or_b64 exec, exec, s[12:13]
.LBB222_1527:
	s_or_b64 exec, exec, s[8:9]
	s_mov_b64 s[8:9], 0
	global_store_byte v[4:5], v6, off
.LBB222_1528:
	s_and_b64 vcc, exec, s[8:9]
	s_cbranch_vccz .LBB222_1538
; %bb.1529:
	v_cvt_f32_f64_e32 v2, v[0:1]
	v_and_b32_e32 v6, 0x7fffffff, v2
	s_mov_b32 s8, 0x43f00000
	v_cmp_gt_u32_e32 vcc, s8, v6
                                        ; implicit-def: $vgpr3
	s_and_saveexec_b64 s[8:9], vcc
	s_xor_b64 s[8:9], exec, s[8:9]
	s_cbranch_execz .LBB222_1535
; %bb.1530:
	s_mov_b32 s10, 0x3c7fffff
	v_cmp_lt_u32_e32 vcc, s10, v6
                                        ; implicit-def: $vgpr3
	s_and_saveexec_b64 s[10:11], vcc
	s_xor_b64 s[10:11], exec, s[10:11]
; %bb.1531:
	v_bfe_u32 v3, v2, 20, 1
	s_mov_b32 s12, 0x407ffff
	v_add3_u32 v3, v2, v3, s12
	v_lshrrev_b32_e32 v6, 20, v3
	v_and_b32_e32 v3, 0xff00000, v3
	s_mov_b32 s12, 0x7f00000
	v_mov_b32_e32 v7, 0x7e
	v_cmp_ne_u32_e32 vcc, s12, v3
	v_cndmask_b32_e32 v3, v7, v6, vcc
; %bb.1532:
	s_andn2_saveexec_b64 s[10:11], s[10:11]
; %bb.1533:
	s_mov_b32 s12, 0x46800000
	v_add_f32_e64 v3, |v2|, s12
; %bb.1534:
	s_or_b64 exec, exec, s[10:11]
                                        ; implicit-def: $vgpr6
.LBB222_1535:
	s_andn2_saveexec_b64 s[8:9], s[8:9]
; %bb.1536:
	s_mov_b32 s10, 0x7f800000
	v_mov_b32_e32 v3, 0x7e
	v_mov_b32_e32 v7, 0x7f
	v_cmp_lt_u32_e32 vcc, s10, v6
	v_cndmask_b32_e32 v3, v3, v7, vcc
; %bb.1537:
	s_or_b64 exec, exec, s[8:9]
	v_lshrrev_b32_e32 v2, 24, v2
	s_movk_i32 s8, 0x80
	v_and_or_b32 v2, v2, s8, v3
	global_store_byte v[4:5], v2, off
.LBB222_1538:
	s_mov_b64 s[8:9], 0
.LBB222_1539:
	s_andn2_b64 vcc, exec, s[8:9]
	s_cbranch_vccnz .LBB222_1549
; %bb.1540:
	v_cvt_f32_f64_e32 v2, v[0:1]
	v_and_b32_e32 v6, 0x7fffffff, v2
	s_mov_b32 s8, 0x47800000
	v_cmp_gt_u32_e32 vcc, s8, v6
                                        ; implicit-def: $vgpr3
	s_and_saveexec_b64 s[8:9], vcc
	s_xor_b64 s[8:9], exec, s[8:9]
	s_cbranch_execz .LBB222_1546
; %bb.1541:
	s_mov_b32 s10, 0x387fffff
	v_cmp_lt_u32_e32 vcc, s10, v6
                                        ; implicit-def: $vgpr3
	s_and_saveexec_b64 s[10:11], vcc
	s_xor_b64 s[10:11], exec, s[10:11]
; %bb.1542:
	v_bfe_u32 v3, v2, 21, 1
	s_mov_b32 s12, 0x80fffff
	v_add3_u32 v3, v2, v3, s12
	v_lshrrev_b32_e32 v3, 21, v3
; %bb.1543:
	s_andn2_saveexec_b64 s[10:11], s[10:11]
; %bb.1544:
	s_mov_b32 s12, 0x43000000
	v_add_f32_e64 v3, |v2|, s12
; %bb.1545:
	s_or_b64 exec, exec, s[10:11]
                                        ; implicit-def: $vgpr6
.LBB222_1546:
	s_andn2_saveexec_b64 s[8:9], s[8:9]
; %bb.1547:
	s_mov_b32 s10, 0x7f800000
	v_mov_b32_e32 v3, 0x7c
	v_mov_b32_e32 v7, 0x7f
	v_cmp_lt_u32_e32 vcc, s10, v6
	v_cndmask_b32_e32 v3, v3, v7, vcc
; %bb.1548:
	s_or_b64 exec, exec, s[8:9]
	v_lshrrev_b32_e32 v2, 24, v2
	s_movk_i32 s8, 0x80
	v_and_or_b32 v2, v2, s8, v3
	global_store_byte v[4:5], v2, off
.LBB222_1549:
	s_mov_b64 s[10:11], 0
	s_mov_b64 s[8:9], -1
.LBB222_1550:
	s_andn2_b64 vcc, exec, s[10:11]
	s_cbranch_vccnz .LBB222_1558
; %bb.1551:
	v_mov_b32_e32 v2, 14
	v_cmp_gt_i16_sdwa s[12:13], v41, v2 src0_sel:BYTE_0 src1_sel:DWORD
	s_mov_b64 s[10:11], -1
	s_and_b64 vcc, exec, s[12:13]
	s_cbranch_vccz .LBB222_1555
; %bb.1552:
	v_mov_b32_e32 v2, 15
	v_cmp_eq_u16_sdwa s[10:11], v41, v2 src0_sel:BYTE_0 src1_sel:DWORD
	s_mov_b64 s[6:7], -1
	s_and_b64 vcc, exec, s[10:11]
	s_cbranch_vccz .LBB222_1554
; %bb.1553:
	v_cvt_f32_f64_e32 v2, v[0:1]
	v_bfe_u32 v3, v2, 16, 1
	s_movk_i32 s6, 0x7fff
	v_add3_u32 v3, v2, v3, s6
	v_lshrrev_b32_e32 v3, 16, v3
	v_mov_b32_e32 v6, 0x7fc0
	v_cmp_o_f32_e32 vcc, v2, v2
	v_cndmask_b32_e32 v2, v6, v3, vcc
	global_store_short v[4:5], v2, off
	s_mov_b64 s[8:9], -1
	s_mov_b64 s[6:7], 0
.LBB222_1554:
	s_mov_b64 s[10:11], 0
.LBB222_1555:
	s_and_b64 vcc, exec, s[10:11]
	s_cbranch_vccz .LBB222_1558
; %bb.1556:
	v_mov_b32_e32 v2, 11
	v_cmp_eq_u16_sdwa s[10:11], v41, v2 src0_sel:BYTE_0 src1_sel:DWORD
	s_mov_b64 s[6:7], -1
	s_and_b64 vcc, exec, s[10:11]
	s_cbranch_vccz .LBB222_1558
; %bb.1557:
	v_cmp_neq_f64_e32 vcc, 0, v[0:1]
	s_mov_b64 s[6:7], 0
	v_cndmask_b32_e64 v2, 0, 1, vcc
	s_mov_b64 s[8:9], -1
	global_store_byte v[4:5], v2, off
.LBB222_1558:
	s_mov_b64 s[10:11], 0
.LBB222_1559:
	s_and_b64 vcc, exec, s[10:11]
	s_cbranch_vccz .LBB222_1598
; %bb.1560:
	v_mov_b32_e32 v2, 5
	v_cmp_lt_i16_sdwa s[10:11], v41, v2 src0_sel:BYTE_0 src1_sel:DWORD
	s_mov_b64 s[8:9], -1
	s_and_b64 vcc, exec, s[10:11]
	s_cbranch_vccnz .LBB222_1581
; %bb.1561:
	v_mov_b32_e32 v2, 8
	v_cmp_lt_i16_sdwa s[10:11], v41, v2 src0_sel:BYTE_0 src1_sel:DWORD
	s_and_b64 vcc, exec, s[10:11]
	s_cbranch_vccnz .LBB222_1571
; %bb.1562:
	v_mov_b32_e32 v2, 9
	v_cmp_lt_i16_sdwa s[10:11], v41, v2 src0_sel:BYTE_0 src1_sel:DWORD
	s_and_b64 vcc, exec, s[10:11]
	s_cbranch_vccnz .LBB222_1568
; %bb.1563:
	v_cmp_gt_i16_sdwa s[10:11], v41, v2 src0_sel:BYTE_0 src1_sel:DWORD
	s_and_b64 vcc, exec, s[10:11]
	s_cbranch_vccz .LBB222_1565
; %bb.1564:
	v_mov_b32_e32 v2, 0
	v_mov_b32_e32 v3, v2
	s_mov_b64 s[8:9], 0
	global_store_dwordx4 v[4:5], v[0:3], off
.LBB222_1565:
	s_andn2_b64 vcc, exec, s[8:9]
	s_cbranch_vccnz .LBB222_1567
; %bb.1566:
	v_cvt_f32_f64_e32 v2, v[0:1]
	v_mov_b32_e32 v3, 0
	global_store_dwordx2 v[4:5], v[2:3], off
.LBB222_1567:
	s_mov_b64 s[8:9], 0
.LBB222_1568:
	s_andn2_b64 vcc, exec, s[8:9]
	s_cbranch_vccnz .LBB222_1570
; %bb.1569:
	v_cvt_f32_f64_e32 v2, v[0:1]
	v_cvt_f16_f32_e32 v2, v2
	global_store_dword v[4:5], v2, off
.LBB222_1570:
	s_mov_b64 s[8:9], 0
.LBB222_1571:
	s_andn2_b64 vcc, exec, s[8:9]
	s_cbranch_vccnz .LBB222_1580
; %bb.1572:
	v_mov_b32_e32 v2, 6
	v_cmp_lt_i16_sdwa s[10:11], v41, v2 src0_sel:BYTE_0 src1_sel:DWORD
	s_mov_b64 s[8:9], -1
	s_and_b64 vcc, exec, s[10:11]
	s_cbranch_vccnz .LBB222_1578
; %bb.1573:
	v_cmp_gt_i16_sdwa s[10:11], v41, v2 src0_sel:BYTE_0 src1_sel:DWORD
	s_and_b64 vcc, exec, s[10:11]
	s_cbranch_vccz .LBB222_1575
; %bb.1574:
	s_mov_b64 s[8:9], 0
	global_store_dwordx2 v[4:5], v[0:1], off
.LBB222_1575:
	s_andn2_b64 vcc, exec, s[8:9]
	s_cbranch_vccnz .LBB222_1577
; %bb.1576:
	v_cvt_f32_f64_e32 v2, v[0:1]
	global_store_dword v[4:5], v2, off
.LBB222_1577:
	s_mov_b64 s[8:9], 0
.LBB222_1578:
	s_andn2_b64 vcc, exec, s[8:9]
	s_cbranch_vccnz .LBB222_1580
; %bb.1579:
	v_cvt_f32_f64_e32 v2, v[0:1]
	v_cvt_f16_f32_e32 v2, v2
	global_store_short v[4:5], v2, off
.LBB222_1580:
	s_mov_b64 s[8:9], 0
.LBB222_1581:
	s_andn2_b64 vcc, exec, s[8:9]
	s_cbranch_vccnz .LBB222_1597
; %bb.1582:
	v_mov_b32_e32 v2, 2
	v_cmp_lt_i16_sdwa s[10:11], v41, v2 src0_sel:BYTE_0 src1_sel:DWORD
	s_mov_b64 s[8:9], -1
	s_and_b64 vcc, exec, s[10:11]
	s_cbranch_vccnz .LBB222_1592
; %bb.1583:
	v_mov_b32_e32 v2, 3
	v_cmp_lt_i16_sdwa s[10:11], v41, v2 src0_sel:BYTE_0 src1_sel:DWORD
	s_and_b64 vcc, exec, s[10:11]
	s_cbranch_vccnz .LBB222_1589
; %bb.1584:
	v_cmp_gt_i16_sdwa s[10:11], v41, v2 src0_sel:BYTE_0 src1_sel:DWORD
	s_and_b64 vcc, exec, s[10:11]
	s_cbranch_vccz .LBB222_1586
; %bb.1585:
	v_trunc_f64_e32 v[2:3], v[0:1]
	s_movk_i32 s8, 0xffe0
	v_ldexp_f64 v[6:7], v[2:3], s8
	v_floor_f64_e32 v[6:7], v[6:7]
	v_fmac_f64_e32 v[2:3], 0xc1f00000, v[6:7]
	v_cvt_i32_f64_e32 v9, v[6:7]
	v_cvt_u32_f64_e32 v8, v[2:3]
	s_mov_b64 s[8:9], 0
	global_store_dwordx2 v[4:5], v[8:9], off
.LBB222_1586:
	s_andn2_b64 vcc, exec, s[8:9]
	s_cbranch_vccnz .LBB222_1588
; %bb.1587:
	v_cvt_i32_f64_e32 v2, v[0:1]
	global_store_dword v[4:5], v2, off
.LBB222_1588:
	s_mov_b64 s[8:9], 0
.LBB222_1589:
	s_andn2_b64 vcc, exec, s[8:9]
	s_cbranch_vccnz .LBB222_1591
; %bb.1590:
	v_cvt_i32_f64_e32 v2, v[0:1]
	global_store_short v[4:5], v2, off
.LBB222_1591:
	s_mov_b64 s[8:9], 0
.LBB222_1592:
	s_andn2_b64 vcc, exec, s[8:9]
	s_cbranch_vccnz .LBB222_1597
; %bb.1593:
	v_mov_b32_e32 v2, 0
	v_cmp_gt_i16_sdwa s[10:11], v41, v2 src0_sel:BYTE_0 src1_sel:DWORD
	s_mov_b64 s[8:9], -1
	s_and_b64 vcc, exec, s[10:11]
	s_cbranch_vccz .LBB222_1595
; %bb.1594:
	v_cvt_i32_f64_e32 v2, v[0:1]
	s_mov_b64 s[8:9], 0
	global_store_byte v[4:5], v2, off
.LBB222_1595:
	s_andn2_b64 vcc, exec, s[8:9]
	s_cbranch_vccnz .LBB222_1597
; %bb.1596:
	v_trunc_f64_e32 v[0:1], v[0:1]
	s_movk_i32 s8, 0xffe0
	v_ldexp_f64 v[2:3], v[0:1], s8
	v_floor_f64_e32 v[2:3], v[2:3]
	v_fmac_f64_e32 v[0:1], 0xc1f00000, v[2:3]
	v_cvt_u32_f64_e32 v0, v[0:1]
	global_store_byte v[4:5], v0, off
.LBB222_1597:
	s_mov_b64 s[8:9], -1
.LBB222_1598:
	s_andn2_b64 vcc, exec, s[8:9]
	s_cbranch_vccnz .LBB222_1600
; %bb.1599:
	v_add_u32_e32 v45, 0x80, v45
	s_mov_b64 s[8:9], -1
	s_branch .LBB222_1601
.LBB222_1600:
	s_mov_b64 s[8:9], 0
                                        ; implicit-def: $vgpr45
.LBB222_1601:
	v_readlane_b32 s12, v87, 47
	v_readlane_b32 s14, v87, 49
	;; [unrolled: 1-line block ×6, first 2 shown]
	s_mov_b64 s[10:11], s[96:97]
	v_readlane_b32 s17, v86, 3
	v_readlane_b32 s19, v86, 5
.LBB222_1602:
	s_andn2_b64 s[10:11], s[10:11], exec
	s_and_b64 s[6:7], s[6:7], exec
	s_or_b64 s[24:25], s[10:11], s[6:7]
	s_andn2_b64 s[6:7], s[14:15], exec
	s_and_b64 s[10:11], s[18:19], exec
	s_or_b64 s[22:23], s[6:7], s[10:11]
	;; [unrolled: 3-line block ×3, first 2 shown]
	v_readlane_b32 s6, v87, 45
	v_readlane_b32 s10, v86, 0
	;; [unrolled: 1-line block ×4, first 2 shown]
	s_andn2_b64 s[6:7], s[6:7], exec
	s_and_b64 s[10:11], s[10:11], exec
	s_or_b64 s[6:7], s[6:7], s[10:11]
	s_orn2_b64 s[14:15], s[8:9], exec
.LBB222_1603:
	v_readlane_b32 s8, v87, 62
	v_readlane_b32 s9, v87, 63
	s_or_b64 exec, exec, s[8:9]
	s_mov_b64 s[12:13], 0
	s_mov_b64 s[10:11], 0
	;; [unrolled: 1-line block ×3, first 2 shown]
                                        ; implicit-def: $vgpr1
                                        ; implicit-def: $vgpr2_vgpr3
                                        ; implicit-def: $vgpr42
                                        ; implicit-def: $vgpr0
                                        ; implicit-def: $vgpr4
                                        ; implicit-def: $vgpr6_vgpr7
	s_and_saveexec_b64 s[26:27], s[14:15]
	s_cbranch_execz .LBB222_1694
; %bb.1604:
	v_readlane_b32 s8, v87, 14
	v_cmp_gt_i32_e32 vcc, s8, v45
	s_mov_b64 s[14:15], s[6:7]
	s_mov_b64 s[16:17], 0
	;; [unrolled: 1-line block ×3, first 2 shown]
                                        ; implicit-def: $vgpr1
                                        ; implicit-def: $vgpr2_vgpr3
                                        ; implicit-def: $vgpr42
                                        ; implicit-def: $vgpr0
                                        ; implicit-def: $vgpr4
                                        ; implicit-def: $vgpr6_vgpr7
	s_and_saveexec_b64 s[28:29], vcc
	s_cbranch_execz .LBB222_1693
; %bb.1605:
	s_andn2_b64 vcc, exec, s[44:45]
	s_cbranch_vccnz .LBB222_1612
; %bb.1606:
	v_readlane_b32 s8, v87, 21
	v_readlane_b32 s9, v87, 22
	s_andn2_b64 vcc, exec, s[8:9]
	s_waitcnt vmcnt(0)
	v_mov_b32_e32 v2, 0
	v_mov_b32_e32 v42, 0
	;; [unrolled: 1-line block ×4, first 2 shown]
	s_cbranch_vccnz .LBB222_1611
; %bb.1607:
	v_readlane_b32 s58, v87, 23
	s_add_i32 s8, s58, 1
	s_and_b32 s36, s8, 30
	s_add_u32 s30, s56, 0xa4
	s_addc_u32 s31, s57, 0
	v_mov_b32_e32 v4, 0
	s_mov_b64 s[34:35], s[56:57]
	v_mov_b32_e32 v1, v45
	v_mov_b32_e32 v0, 0
	;; [unrolled: 1-line block ×4, first 2 shown]
.LBB222_1608:                           ; =>This Inner Loop Header: Depth=1
	s_load_dwordx4 s[16:19], s[34:35], 0x4
	s_load_dwordx2 s[40:41], s[34:35], 0x14
	s_mov_b64 s[38:39], s[30:31]
	s_load_dwordx8 s[8:15], s[38:39], 0x20
	s_add_u32 s30, s38, 32
	s_waitcnt lgkmcnt(0)
	v_mul_hi_u32 v3, s17, v1
	v_add_u32_e32 v3, v1, v3
	v_lshrrev_b32_e32 v3, s18, v3
	v_mul_lo_u32 v5, v3, s16
	v_mul_hi_u32 v6, s40, v3
	v_sub_u32_e32 v1, v1, v5
	v_add_u32_e32 v5, v3, v6
	v_mul_lo_u32 v6, v1, s8
	v_mul_lo_u32 v7, v1, s9
	;; [unrolled: 1-line block ×4, first 2 shown]
	v_lshrrev_b32_e32 v1, s41, v5
	s_addc_u32 s31, s39, 0
	v_mul_lo_u32 v5, v1, s19
	s_add_u32 s34, s34, 24
	v_sub_u32_e32 v3, v3, v5
	s_addc_u32 s35, s35, 0
	s_add_i32 s36, s36, -2
	v_mul_lo_u32 v5, v3, s12
	v_mul_lo_u32 v10, v3, s13
	;; [unrolled: 1-line block ×4, first 2 shown]
	s_cmp_eq_u32 s36, 0
	v_add3_u32 v2, v7, v2, v10
	v_add3_u32 v42, v6, v42, v5
	;; [unrolled: 1-line block ×4, first 2 shown]
	s_cbranch_scc0 .LBB222_1608
; %bb.1609:
	s_bitcmp1_b32 s58, 0
	s_cselect_b64 s[8:9], -1, 0
	s_and_b64 vcc, exec, s[8:9]
	s_cbranch_vccnz .LBB222_1611
; %bb.1610:
	s_load_dwordx2 s[12:13], s[34:35], 0x4
	s_load_dword s14, s[34:35], 0xc
	s_load_dwordx4 s[8:11], s[30:31], 0x20
	s_waitcnt lgkmcnt(0)
	v_mul_hi_u32 v3, s13, v1
	v_add_u32_e32 v3, v1, v3
	v_lshrrev_b32_e32 v3, s14, v3
	v_mul_lo_u32 v3, v3, s12
	v_sub_u32_e32 v1, v1, v3
	v_mad_u64_u32 v[42:43], s[12:13], v1, s8, v[42:43]
	v_mad_u64_u32 v[2:3], s[8:9], v1, s9, v[2:3]
	;; [unrolled: 1-line block ×4, first 2 shown]
.LBB222_1611:
	s_mov_b64 s[8:9], 0
	s_branch .LBB222_1613
.LBB222_1612:
	s_mov_b64 s[8:9], -1
                                        ; implicit-def: $vgpr2
                                        ; implicit-def: $vgpr42
                                        ; implicit-def: $vgpr0
                                        ; implicit-def: $vgpr4
.LBB222_1613:
	s_andn2_b64 vcc, exec, s[8:9]
	s_cbranch_vccnz .LBB222_1616
; %bb.1614:
	v_readlane_b32 s16, v87, 0
	v_readlane_b32 s17, v87, 1
	s_waitcnt vmcnt(0)
	v_mul_hi_u32 v0, s17, v45
	v_readlane_b32 s18, v87, 2
	v_add_u32_e32 v0, v45, v0
	v_lshrrev_b32_e32 v1, s18, v0
	v_mul_lo_u32 v0, v1, s16
	v_readlane_b32 s8, v87, 6
	v_sub_u32_e32 v3, v45, v0
	v_readlane_b32 s9, v87, 7
	v_mul_lo_u32 v2, v3, s9
	v_mul_lo_u32 v42, v3, s8
	v_readlane_b32 s8, v87, 24
	v_readlane_b32 s10, v87, 8
	;; [unrolled: 1-line block ×9, first 2 shown]
	v_mul_lo_u32 v0, v3, s11
	s_andn2_b64 vcc, exec, s[8:9]
	v_mul_lo_u32 v4, v3, s10
	s_cbranch_vccnz .LBB222_1616
; %bb.1615:
	v_readlane_b32 s8, v87, 4
	v_mul_hi_u32 v3, s8, v1
	v_readlane_b32 s9, v87, 5
	v_add_u32_e32 v3, v1, v3
	v_lshrrev_b32_e32 v3, s9, v3
	v_mul_lo_u32 v3, v3, s19
	v_sub_u32_e32 v1, v1, v3
	v_mad_u64_u32 v[42:43], s[8:9], v1, s12, v[42:43]
	v_mad_u64_u32 v[2:3], s[8:9], v1, s13, v[2:3]
	;; [unrolled: 1-line block ×4, first 2 shown]
.LBB222_1616:
	s_waitcnt vmcnt(0)
	v_mov_b32_e32 v1, s91
	v_add_co_u32_e32 v2, vcc, s90, v2
	v_addc_co_u32_e32 v3, vcc, 0, v1, vcc
	v_and_b32_e32 v1, 0xff, v46
	v_cmp_gt_i16_e32 vcc, 11, v1
	s_cbranch_vccnz .LBB222_1623
; %bb.1617:
	v_cmp_lt_i16_e32 vcc, 25, v1
	s_mov_b64 s[10:11], 0
	s_cbranch_vccz .LBB222_1624
; %bb.1618:
	v_cmp_lt_i16_e32 vcc, 28, v1
	s_cbranch_vccz .LBB222_1625
; %bb.1619:
	v_cmp_lt_i16_e32 vcc, 43, v1
	;; [unrolled: 3-line block ×3, first 2 shown]
	s_cbranch_vccz .LBB222_1627
; %bb.1621:
	v_cmp_eq_u16_e32 vcc, 46, v1
	s_mov_b64 s[14:15], 0
	s_cbranch_vccz .LBB222_1628
; %bb.1622:
	global_load_dword v5, v[2:3], off
	s_mov_b64 s[8:9], 0
	s_mov_b64 s[12:13], -1
	s_waitcnt vmcnt(0)
	v_lshlrev_b32_e32 v5, 16, v5
	v_cvt_f64_f32_e32 v[6:7], v5
	s_branch .LBB222_1629
.LBB222_1623:
	s_mov_b64 s[14:15], -1
	s_mov_b64 s[12:13], 0
	s_mov_b64 s[10:11], 0
	;; [unrolled: 1-line block ×3, first 2 shown]
                                        ; implicit-def: $vgpr6_vgpr7
	s_branch .LBB222_1692
.LBB222_1624:
	s_mov_b64 s[14:15], -1
	s_mov_b64 s[12:13], 0
	s_mov_b64 s[8:9], s[6:7]
                                        ; implicit-def: $vgpr6_vgpr7
	s_branch .LBB222_1658
.LBB222_1625:
	s_mov_b64 s[14:15], -1
	s_mov_b64 s[12:13], 0
	s_mov_b64 s[8:9], s[6:7]
                                        ; implicit-def: $vgpr6_vgpr7
	s_branch .LBB222_1639
.LBB222_1626:
	s_mov_b64 s[14:15], -1
	s_mov_b64 s[12:13], 0
	s_mov_b64 s[8:9], s[6:7]
                                        ; implicit-def: $vgpr6_vgpr7
	s_branch .LBB222_1634
.LBB222_1627:
	s_mov_b64 s[14:15], -1
	s_mov_b64 s[12:13], 0
	s_mov_b64 s[8:9], s[6:7]
                                        ; implicit-def: $vgpr6_vgpr7
	s_branch .LBB222_1629
.LBB222_1628:
	s_mov_b64 s[8:9], -1
                                        ; implicit-def: $vgpr6_vgpr7
	s_mov_b64 s[12:13], 0
.LBB222_1629:
	s_and_b64 vcc, exec, s[14:15]
	s_cbranch_vccz .LBB222_1633
; %bb.1630:
	v_cmp_eq_u16_e32 vcc, 44, v1
	s_cbranch_vccz .LBB222_1632
; %bb.1631:
	global_load_ubyte v5, v[2:3], off
	s_movk_i32 s12, 0xff
	v_bfrev_b32_e32 v8, 4
	v_mov_b32_e32 v9, 0x7ff80000
	v_bfrev_b32_e32 v10, 28
	s_mov_b64 s[8:9], 0
	s_waitcnt vmcnt(0)
	v_lshlrev_b32_e32 v6, 23, v5
	v_cvt_f64_f32_e32 v[6:7], v6
	v_cmp_ne_u32_e32 vcc, s12, v5
	v_cndmask_b32_e32 v6, v8, v6, vcc
	v_cndmask_b32_e32 v7, v9, v7, vcc
	v_cmp_ne_u32_e32 vcc, 0, v5
	v_cndmask_b32_e32 v7, v10, v7, vcc
	v_cndmask_b32_e32 v6, 0, v6, vcc
	s_mov_b64 s[12:13], -1
	s_branch .LBB222_1633
.LBB222_1632:
	s_mov_b64 s[8:9], -1
                                        ; implicit-def: $vgpr6_vgpr7
.LBB222_1633:
	s_mov_b64 s[14:15], 0
.LBB222_1634:
	s_and_b64 vcc, exec, s[14:15]
	s_cbranch_vccz .LBB222_1638
; %bb.1635:
	v_cmp_eq_u16_e32 vcc, 29, v1
	s_cbranch_vccz .LBB222_1637
; %bb.1636:
	global_load_dwordx2 v[6:7], v[2:3], off
	s_mov_b64 s[8:9], 0
	s_mov_b64 s[12:13], -1
	s_mov_b64 s[14:15], 0
	s_waitcnt vmcnt(0)
	v_cvt_f64_u32_e32 v[8:9], v7
	v_cvt_f64_u32_e32 v[6:7], v6
	v_ldexp_f64 v[8:9], v[8:9], 32
	v_add_f64 v[6:7], v[8:9], v[6:7]
	s_branch .LBB222_1639
.LBB222_1637:
	s_mov_b64 s[8:9], -1
                                        ; implicit-def: $vgpr6_vgpr7
.LBB222_1638:
	s_mov_b64 s[14:15], 0
.LBB222_1639:
	s_and_b64 vcc, exec, s[14:15]
	s_cbranch_vccz .LBB222_1657
; %bb.1640:
	v_cmp_gt_i16_e32 vcc, 27, v1
	s_cbranch_vccnz .LBB222_1643
; %bb.1641:
	v_cmp_lt_i16_e32 vcc, 27, v1
	s_cbranch_vccz .LBB222_1644
; %bb.1642:
	global_load_dword v5, v[2:3], off
	s_mov_b64 s[12:13], 0
	s_waitcnt vmcnt(0)
	v_cvt_f64_u32_e32 v[6:7], v5
	s_branch .LBB222_1645
.LBB222_1643:
	s_mov_b64 s[12:13], -1
                                        ; implicit-def: $vgpr6_vgpr7
	s_branch .LBB222_1648
.LBB222_1644:
	s_mov_b64 s[12:13], -1
                                        ; implicit-def: $vgpr6_vgpr7
.LBB222_1645:
	s_andn2_b64 vcc, exec, s[12:13]
	s_cbranch_vccnz .LBB222_1647
; %bb.1646:
	global_load_ushort v5, v[2:3], off
	s_waitcnt vmcnt(0)
	v_cvt_f64_u32_e32 v[6:7], v5
.LBB222_1647:
	s_mov_b64 s[12:13], 0
.LBB222_1648:
	s_andn2_b64 vcc, exec, s[12:13]
	s_cbranch_vccnz .LBB222_1656
; %bb.1649:
	global_load_ubyte v5, v[2:3], off
	s_movk_i32 s12, 0x7f
                                        ; implicit-def: $sgpr14_sgpr15
	s_waitcnt vmcnt(0)
	v_cmp_lt_i16_e32 vcc, s12, v5
	s_mov_b64 s[12:13], 0
	s_and_saveexec_b64 s[16:17], vcc
	s_xor_b64 s[16:17], exec, s[16:17]
	s_cbranch_execz .LBB222_1670
; %bb.1650:
	s_movk_i32 s12, 0x80
	v_cmp_eq_u16_e32 vcc, s12, v5
	s_mov_b64 s[18:19], -1
                                        ; implicit-def: $sgpr14_sgpr15
	s_and_saveexec_b64 s[12:13], vcc
; %bb.1651:
	s_mov_b32 s15, 0x7ff80000
	s_brev_b32 s14, 4
	s_xor_b64 s[18:19], exec, -1
; %bb.1652:
	s_or_b64 exec, exec, s[12:13]
	s_and_b64 s[12:13], s[18:19], exec
	s_or_saveexec_b64 s[16:17], s[16:17]
	v_pk_mov_b32 v[6:7], s[14:15], s[14:15] op_sel:[0,1]
	s_xor_b64 exec, exec, s[16:17]
	s_cbranch_execnz .LBB222_1671
.LBB222_1653:
	s_or_b64 exec, exec, s[16:17]
	s_and_saveexec_b64 s[14:15], s[12:13]
	s_cbranch_execz .LBB222_1655
.LBB222_1654:
	v_lshlrev_b32_e32 v6, 24, v5
	v_and_b32_e32 v5, 0xffff, v5
	v_and_b32_e32 v7, 7, v5
	v_ffbh_u32_e32 v9, v7
	v_min_u32_e32 v9, 32, v9
	v_subrev_u32_e32 v10, 28, v9
	v_bfe_u32 v8, v5, 3, 4
	v_lshlrev_b32_e32 v5, v10, v5
	v_sub_u32_e32 v9, 29, v9
	v_and_b32_e32 v5, 7, v5
	v_cmp_eq_u32_e32 vcc, 0, v8
	v_cndmask_b32_e32 v8, v8, v9, vcc
	v_cndmask_b32_e32 v5, v7, v5, vcc
	v_mov_b32_e32 v7, 0x3b800000
	v_lshlrev_b32_e32 v5, 20, v5
	v_and_b32_e32 v6, 0x80000000, v6
	v_lshl_add_u32 v7, v8, 23, v7
	v_or3_b32 v5, v6, v7, v5
	v_cvt_f64_f32_e32 v[6:7], v5
.LBB222_1655:
	s_or_b64 exec, exec, s[14:15]
.LBB222_1656:
	s_mov_b64 s[12:13], -1
.LBB222_1657:
	s_mov_b64 s[14:15], 0
.LBB222_1658:
	s_and_b64 vcc, exec, s[14:15]
	s_cbranch_vccz .LBB222_1691
; %bb.1659:
	v_cmp_lt_i16_e32 vcc, 22, v1
	s_cbranch_vccz .LBB222_1669
; %bb.1660:
	v_cmp_gt_i16_e32 vcc, 24, v1
	s_cbranch_vccnz .LBB222_1672
; %bb.1661:
	v_cmp_lt_i16_e32 vcc, 24, v1
	s_cbranch_vccz .LBB222_1673
; %bb.1662:
	global_load_ubyte v5, v[2:3], off
	s_movk_i32 s10, 0x7f
                                        ; implicit-def: $sgpr12_sgpr13
	s_waitcnt vmcnt(0)
	v_cmp_lt_i16_e32 vcc, s10, v5
	s_mov_b64 s[10:11], 0
	s_and_saveexec_b64 s[14:15], vcc
	s_xor_b64 s[14:15], exec, s[14:15]
	s_cbranch_execz .LBB222_1685
; %bb.1663:
	s_movk_i32 s10, 0x80
	v_cmp_eq_u16_e32 vcc, s10, v5
	s_mov_b64 s[16:17], -1
                                        ; implicit-def: $sgpr12_sgpr13
	s_and_saveexec_b64 s[10:11], vcc
; %bb.1664:
	s_mov_b32 s13, 0x7ff80000
	s_brev_b32 s12, 4
	s_xor_b64 s[16:17], exec, -1
; %bb.1665:
	s_or_b64 exec, exec, s[10:11]
	s_and_b64 s[10:11], s[16:17], exec
	s_or_saveexec_b64 s[14:15], s[14:15]
	v_pk_mov_b32 v[6:7], s[12:13], s[12:13] op_sel:[0,1]
	s_xor_b64 exec, exec, s[14:15]
	s_cbranch_execnz .LBB222_1686
.LBB222_1666:
	s_or_b64 exec, exec, s[14:15]
	s_and_saveexec_b64 s[12:13], s[10:11]
	s_cbranch_execz .LBB222_1668
.LBB222_1667:
	v_lshlrev_b32_e32 v6, 24, v5
	v_and_b32_e32 v5, 0xffff, v5
	v_and_b32_e32 v7, 3, v5
	v_ffbh_u32_e32 v9, v7
	v_min_u32_e32 v9, 32, v9
	v_subrev_u32_e32 v10, 29, v9
	v_bfe_u32 v8, v5, 2, 5
	v_lshlrev_b32_e32 v5, v10, v5
	v_sub_u32_e32 v9, 30, v9
	v_and_b32_e32 v5, 3, v5
	v_cmp_eq_u32_e32 vcc, 0, v8
	v_cndmask_b32_e32 v8, v8, v9, vcc
	v_cndmask_b32_e32 v5, v7, v5, vcc
	v_mov_b32_e32 v7, 0x37800000
	v_lshlrev_b32_e32 v5, 21, v5
	v_and_b32_e32 v6, 0x80000000, v6
	v_lshl_add_u32 v7, v8, 23, v7
	v_or3_b32 v5, v6, v7, v5
	v_cvt_f64_f32_e32 v[6:7], v5
.LBB222_1668:
	s_or_b64 exec, exec, s[12:13]
	s_mov_b64 s[10:11], 0
	s_branch .LBB222_1674
.LBB222_1669:
	s_mov_b64 s[10:11], -1
                                        ; implicit-def: $vgpr6_vgpr7
	s_branch .LBB222_1680
.LBB222_1670:
	s_or_saveexec_b64 s[16:17], s[16:17]
	v_pk_mov_b32 v[6:7], s[14:15], s[14:15] op_sel:[0,1]
	s_xor_b64 exec, exec, s[16:17]
	s_cbranch_execz .LBB222_1653
.LBB222_1671:
	v_cmp_ne_u16_e32 vcc, 0, v5
	s_andn2_b64 s[12:13], s[12:13], exec
	s_and_b64 s[14:15], vcc, exec
	v_pk_mov_b32 v[6:7], 0, 0
	s_or_b64 s[12:13], s[12:13], s[14:15]
	s_or_b64 exec, exec, s[16:17]
	s_and_saveexec_b64 s[14:15], s[12:13]
	s_cbranch_execnz .LBB222_1654
	s_branch .LBB222_1655
.LBB222_1672:
	s_mov_b64 s[10:11], -1
                                        ; implicit-def: $vgpr6_vgpr7
	s_branch .LBB222_1677
.LBB222_1673:
	s_mov_b64 s[10:11], -1
                                        ; implicit-def: $vgpr6_vgpr7
.LBB222_1674:
	s_and_b64 vcc, exec, s[10:11]
	s_cbranch_vccz .LBB222_1676
; %bb.1675:
	global_load_ubyte v5, v[2:3], off
	s_mov_b32 s10, 0x7f800000
	s_waitcnt vmcnt(0)
	v_lshlrev_b32_e32 v5, 24, v5
	v_and_b32_e32 v6, 0x7f000000, v5
	v_ffbh_u32_e32 v7, v6
	v_min_u32_e32 v7, 32, v7
	v_sub_u32_e64 v7, v7, 4 clamp
	v_lshlrev_b32_e32 v9, v7, v6
	v_lshlrev_b32_e32 v7, 23, v7
	v_lshrrev_b32_e32 v9, 4, v9
	v_add_u32_e32 v8, 0x1000000, v6
	v_sub_u32_e32 v7, v9, v7
	v_ashrrev_i32_e32 v8, 8, v8
	v_add_u32_e32 v7, 0x3c000000, v7
	v_and_or_b32 v7, v8, s10, v7
	v_cmp_ne_u32_e32 vcc, 0, v6
	v_cndmask_b32_e32 v6, 0, v7, vcc
	s_brev_b32 s10, 1
	v_and_or_b32 v5, v5, s10, v6
	v_cvt_f64_f32_e32 v[6:7], v5
.LBB222_1676:
	s_mov_b64 s[10:11], 0
.LBB222_1677:
	s_andn2_b64 vcc, exec, s[10:11]
	s_cbranch_vccnz .LBB222_1679
; %bb.1678:
	global_load_ubyte v5, v[2:3], off
	s_movk_i32 s10, 0x7f00
	s_brev_b32 s11, 16
	s_waitcnt vmcnt(0)
	v_lshlrev_b16_e32 v6, 8, v5
	v_lshlrev_b32_e32 v5, 25, v5
	v_lshrrev_b32_e32 v7, 4, v5
	v_and_or_b32 v8, v6, s10, 0.5
	v_or_b32_e32 v7, 0x70000000, v7
	v_add_f32_e32 v8, -0.5, v8
	v_mul_f32_e32 v7, 0x7800000, v7
	v_cmp_gt_u32_e32 vcc, s11, v5
	v_bfe_i32 v6, v6, 0, 16
	v_cndmask_b32_e32 v5, v7, v8, vcc
	s_brev_b32 s10, 1
	v_and_or_b32 v5, v6, s10, v5
	v_cvt_f64_f32_e32 v[6:7], v5
.LBB222_1679:
	s_mov_b64 s[10:11], 0
	s_mov_b64 s[12:13], -1
.LBB222_1680:
	s_andn2_b64 vcc, exec, s[10:11]
	s_mov_b64 s[10:11], 0
	s_cbranch_vccnz .LBB222_1691
; %bb.1681:
	v_cmp_lt_i16_e32 vcc, 14, v1
	s_cbranch_vccz .LBB222_1684
; %bb.1682:
	v_cmp_eq_u16_e32 vcc, 15, v1
	s_cbranch_vccz .LBB222_1687
; %bb.1683:
	global_load_ushort v5, v[2:3], off
	s_mov_b64 s[8:9], 0
	s_mov_b64 s[12:13], -1
	s_waitcnt vmcnt(0)
	v_lshlrev_b32_e32 v5, 16, v5
	v_cvt_f64_f32_e32 v[6:7], v5
	s_branch .LBB222_1688
.LBB222_1684:
	s_mov_b64 s[14:15], -1
                                        ; implicit-def: $vgpr6_vgpr7
	s_branch .LBB222_1689
.LBB222_1685:
	s_or_saveexec_b64 s[14:15], s[14:15]
	v_pk_mov_b32 v[6:7], s[12:13], s[12:13] op_sel:[0,1]
	s_xor_b64 exec, exec, s[14:15]
	s_cbranch_execz .LBB222_1666
.LBB222_1686:
	v_cmp_ne_u16_e32 vcc, 0, v5
	s_andn2_b64 s[10:11], s[10:11], exec
	s_and_b64 s[12:13], vcc, exec
	v_pk_mov_b32 v[6:7], 0, 0
	s_or_b64 s[10:11], s[10:11], s[12:13]
	s_or_b64 exec, exec, s[14:15]
	s_and_saveexec_b64 s[12:13], s[10:11]
	s_cbranch_execnz .LBB222_1667
	s_branch .LBB222_1668
.LBB222_1687:
	s_mov_b64 s[8:9], -1
                                        ; implicit-def: $vgpr6_vgpr7
.LBB222_1688:
	s_mov_b64 s[14:15], 0
.LBB222_1689:
	s_and_b64 vcc, exec, s[14:15]
	s_cbranch_vccz .LBB222_1691
; %bb.1690:
	v_cmp_ne_u16_e32 vcc, 11, v1
	s_andn2_b64 s[8:9], s[8:9], exec
	s_and_b64 s[14:15], vcc, exec
	s_mov_b64 s[10:11], -1
	s_or_b64 s[8:9], s[8:9], s[14:15]
                                        ; implicit-def: $vgpr6_vgpr7
.LBB222_1691:
	s_mov_b64 s[14:15], 0
.LBB222_1692:
	s_and_b64 s[18:19], s[12:13], exec
	s_and_b64 s[12:13], s[10:11], exec
	s_andn2_b64 s[10:11], s[6:7], exec
	s_and_b64 s[8:9], s[8:9], exec
	s_and_b64 s[16:17], s[14:15], exec
	s_or_b64 s[14:15], s[10:11], s[8:9]
.LBB222_1693:
	s_or_b64 exec, exec, s[28:29]
	s_andn2_b64 s[6:7], s[6:7], exec
	s_and_b64 s[14:15], s[14:15], exec
	s_and_b64 s[8:9], s[18:19], exec
	;; [unrolled: 1-line block ×4, first 2 shown]
	s_or_b64 s[6:7], s[6:7], s[14:15]
.LBB222_1694:
	s_or_b64 exec, exec, s[26:27]
	s_andn2_b64 s[14:15], s[96:97], exec
	s_and_b64 s[16:17], s[24:25], exec
	s_or_b64 s[96:97], s[14:15], s[16:17]
	v_readlane_b32 s14, v87, 49
	v_readlane_b32 s15, v87, 50
	s_andn2_b64 s[14:15], s[14:15], exec
	s_and_b64 s[16:17], s[22:23], exec
	s_or_b64 s[14:15], s[14:15], s[16:17]
	v_writelane_b32 v87, s14, 49
	v_writelane_b32 v87, s15, 50
	v_readlane_b32 s14, v87, 47
	v_readlane_b32 s15, v87, 48
	s_andn2_b64 s[14:15], s[14:15], exec
	s_and_b64 s[16:17], s[20:21], exec
	s_or_b64 s[14:15], s[14:15], s[16:17]
	v_writelane_b32 v87, s14, 47
	v_writelane_b32 v87, s15, 48
	v_readlane_b32 s14, v87, 45
	v_readlane_b32 s15, v87, 46
	s_andn2_b64 s[14:15], s[14:15], exec
	s_and_b64 s[6:7], s[6:7], exec
	s_or_b64 s[6:7], s[14:15], s[6:7]
	s_and_b64 s[8:9], s[8:9], exec
	s_and_b64 s[10:11], s[10:11], exec
	s_and_b64 s[12:13], s[12:13], exec
	v_writelane_b32 v87, s6, 45
	v_writelane_b32 v87, s7, 46
.LBB222_1695:
	v_readlane_b32 s6, v87, 53
	v_readlane_b32 s7, v87, 54
	s_or_b64 exec, exec, s[6:7]
	v_readlane_b32 s6, v87, 26
	v_readlane_b32 s7, v87, 27
	s_andn2_b64 s[6:7], s[6:7], exec
	s_and_b64 s[14:15], s[96:97], exec
	s_or_b64 s[6:7], s[6:7], s[14:15]
	v_writelane_b32 v87, s6, 26
	v_writelane_b32 v87, s7, 27
	v_readlane_b32 s6, v87, 19
	v_readlane_b32 s14, v87, 49
	v_readlane_b32 s7, v87, 20
	v_readlane_b32 s15, v87, 50
	s_andn2_b64 s[6:7], s[6:7], exec
	s_and_b64 s[14:15], s[14:15], exec
	s_or_b64 s[6:7], s[6:7], s[14:15]
	v_writelane_b32 v87, s6, 19
	v_writelane_b32 v87, s7, 20
	v_readlane_b32 s6, v87, 17
	v_readlane_b32 s14, v87, 47
	;; [unrolled: 1-line block ×4, first 2 shown]
	s_andn2_b64 s[6:7], s[6:7], exec
	s_and_b64 s[14:15], s[14:15], exec
	s_or_b64 s[6:7], s[6:7], s[14:15]
	v_writelane_b32 v87, s6, 17
	v_writelane_b32 v87, s7, 18
	s_and_b64 s[14:15], s[12:13], exec
	v_readlane_b32 s6, v87, 15
	v_readlane_b32 s12, v87, 45
	;; [unrolled: 1-line block ×4, first 2 shown]
	s_andn2_b64 s[6:7], s[6:7], exec
	s_and_b64 s[12:13], s[12:13], exec
	s_or_b64 s[6:7], s[6:7], s[12:13]
	v_writelane_b32 v87, s6, 15
	s_and_b64 s[8:9], s[8:9], exec
	s_and_b64 s[10:11], s[10:11], exec
	v_writelane_b32 v87, s7, 16
.LBB222_1696:
	v_readlane_b32 s6, v87, 30
	v_readlane_b32 s7, v87, 31
	s_or_b64 exec, exec, s[6:7]
	s_mov_b64 s[22:23], 0
	s_mov_b64 s[6:7], exec
	v_readlane_b32 s12, v87, 15
	v_readlane_b32 s13, v87, 16
	s_and_b64 s[12:13], s[6:7], s[12:13]
	s_mov_b64 exec, s[12:13]
	s_cbranch_execnz .LBB222_1699
; %bb.1697:
	s_or_b64 exec, exec, s[6:7]
	s_and_saveexec_b64 s[6:7], s[14:15]
	s_xor_b64 s[6:7], exec, s[6:7]
	s_cbranch_execz .LBB222_1700
.LBB222_1698:
	s_waitcnt vmcnt(0)
	global_load_ubyte v5, v[2:3], off
	v_mov_b32_e32 v7, 0x3ff00000
	v_mov_b32_e32 v6, 0
	s_or_b64 s[8:9], s[8:9], exec
	s_waitcnt vmcnt(0)
	v_cmp_ne_u16_e32 vcc, 0, v5
	v_cndmask_b32_e32 v7, 0, v7, vcc
	s_or_b64 exec, exec, s[6:7]
	s_and_saveexec_b64 s[6:7], s[10:11]
	s_cbranch_execz .LBB222_1746
	s_branch .LBB222_1701
.LBB222_1699:
	s_mov_b64 s[22:23], exec
	s_andn2_b64 s[14:15], s[14:15], exec
	s_trap 2
                                        ; implicit-def: $vgpr6_vgpr7
	s_or_b64 exec, exec, s[6:7]
	s_and_saveexec_b64 s[6:7], s[14:15]
	s_xor_b64 s[6:7], exec, s[6:7]
	s_cbranch_execnz .LBB222_1698
.LBB222_1700:
	s_or_b64 exec, exec, s[6:7]
	s_and_saveexec_b64 s[6:7], s[10:11]
	s_cbranch_execz .LBB222_1746
.LBB222_1701:
	s_waitcnt vmcnt(0)
	v_cmp_gt_i16_e32 vcc, 5, v1
	s_cbranch_vccnz .LBB222_1706
; %bb.1702:
	v_cmp_gt_i16_e32 vcc, 8, v1
	s_cbranch_vccnz .LBB222_1707
; %bb.1703:
	;; [unrolled: 3-line block ×3, first 2 shown]
	v_cmp_lt_i16_e32 vcc, 9, v1
	s_cbranch_vccz .LBB222_1709
; %bb.1705:
	global_load_dwordx2 v[6:7], v[2:3], off
	s_mov_b64 s[10:11], 0
	s_branch .LBB222_1710
.LBB222_1706:
                                        ; implicit-def: $vgpr6_vgpr7
	s_branch .LBB222_1727
.LBB222_1707:
                                        ; implicit-def: $vgpr6_vgpr7
	s_branch .LBB222_1716
.LBB222_1708:
	s_mov_b64 s[10:11], -1
                                        ; implicit-def: $vgpr6_vgpr7
	s_branch .LBB222_1713
.LBB222_1709:
	s_mov_b64 s[10:11], -1
                                        ; implicit-def: $vgpr6_vgpr7
.LBB222_1710:
	s_andn2_b64 vcc, exec, s[10:11]
	s_cbranch_vccnz .LBB222_1712
; %bb.1711:
	global_load_dword v5, v[2:3], off
	s_waitcnt vmcnt(0)
	v_cvt_f64_f32_e32 v[6:7], v5
.LBB222_1712:
	s_mov_b64 s[10:11], 0
.LBB222_1713:
	s_andn2_b64 vcc, exec, s[10:11]
	s_cbranch_vccnz .LBB222_1715
; %bb.1714:
	global_load_dword v5, v[2:3], off
	s_waitcnt vmcnt(0)
	v_cvt_f32_f16_e32 v5, v5
	v_cvt_f64_f32_e32 v[6:7], v5
.LBB222_1715:
	s_cbranch_execnz .LBB222_1726
.LBB222_1716:
	v_cmp_gt_i16_e32 vcc, 6, v1
	s_cbranch_vccnz .LBB222_1719
; %bb.1717:
	v_cmp_lt_i16_e32 vcc, 6, v1
	s_cbranch_vccz .LBB222_1720
; %bb.1718:
	global_load_dwordx2 v[6:7], v[2:3], off
	s_mov_b64 s[10:11], 0
	s_branch .LBB222_1721
.LBB222_1719:
	s_mov_b64 s[10:11], -1
                                        ; implicit-def: $vgpr6_vgpr7
	s_branch .LBB222_1724
.LBB222_1720:
	s_mov_b64 s[10:11], -1
                                        ; implicit-def: $vgpr6_vgpr7
.LBB222_1721:
	s_andn2_b64 vcc, exec, s[10:11]
	s_cbranch_vccnz .LBB222_1723
; %bb.1722:
	global_load_dword v5, v[2:3], off
	s_waitcnt vmcnt(0)
	v_cvt_f64_f32_e32 v[6:7], v5
.LBB222_1723:
	s_mov_b64 s[10:11], 0
.LBB222_1724:
	s_andn2_b64 vcc, exec, s[10:11]
	s_cbranch_vccnz .LBB222_1726
; %bb.1725:
	global_load_ushort v5, v[2:3], off
	s_waitcnt vmcnt(0)
	v_cvt_f32_f16_e32 v5, v5
	v_cvt_f64_f32_e32 v[6:7], v5
.LBB222_1726:
	s_cbranch_execnz .LBB222_1745
.LBB222_1727:
	v_cmp_gt_i16_e32 vcc, 2, v1
	s_cbranch_vccnz .LBB222_1731
; %bb.1728:
	v_cmp_gt_i16_e32 vcc, 3, v1
	s_cbranch_vccnz .LBB222_1732
; %bb.1729:
	v_cmp_lt_i16_e32 vcc, 3, v1
	s_cbranch_vccz .LBB222_1733
; %bb.1730:
	global_load_dwordx2 v[6:7], v[2:3], off
	s_mov_b64 s[10:11], 0
	s_waitcnt vmcnt(0)
	v_cvt_f64_i32_e32 v[8:9], v7
	v_cvt_f64_u32_e32 v[6:7], v6
	v_ldexp_f64 v[8:9], v[8:9], 32
	v_add_f64 v[6:7], v[8:9], v[6:7]
	s_branch .LBB222_1734
.LBB222_1731:
                                        ; implicit-def: $vgpr6_vgpr7
	s_branch .LBB222_1740
.LBB222_1732:
	s_mov_b64 s[10:11], -1
                                        ; implicit-def: $vgpr6_vgpr7
	s_branch .LBB222_1737
.LBB222_1733:
	s_mov_b64 s[10:11], -1
                                        ; implicit-def: $vgpr6_vgpr7
.LBB222_1734:
	s_andn2_b64 vcc, exec, s[10:11]
	s_cbranch_vccnz .LBB222_1736
; %bb.1735:
	global_load_dword v5, v[2:3], off
	s_waitcnt vmcnt(0)
	v_cvt_f64_i32_e32 v[6:7], v5
.LBB222_1736:
	s_mov_b64 s[10:11], 0
.LBB222_1737:
	s_andn2_b64 vcc, exec, s[10:11]
	s_cbranch_vccnz .LBB222_1739
; %bb.1738:
	global_load_sshort v5, v[2:3], off
	s_waitcnt vmcnt(0)
	v_cvt_f64_i32_e32 v[6:7], v5
.LBB222_1739:
	s_cbranch_execnz .LBB222_1745
.LBB222_1740:
	v_cmp_lt_i16_e32 vcc, 0, v1
	s_cbranch_vccz .LBB222_1742
; %bb.1741:
	global_load_sbyte v1, v[2:3], off
	s_mov_b64 s[10:11], 0
	s_waitcnt vmcnt(0)
	v_cvt_f64_i32_e32 v[6:7], v1
	s_branch .LBB222_1743
.LBB222_1742:
	s_mov_b64 s[10:11], -1
                                        ; implicit-def: $vgpr6_vgpr7
.LBB222_1743:
	s_andn2_b64 vcc, exec, s[10:11]
	s_cbranch_vccnz .LBB222_1745
; %bb.1744:
	global_load_ubyte v1, v[2:3], off
	s_waitcnt vmcnt(0)
	v_cvt_f64_u32_e32 v[6:7], v1
.LBB222_1745:
	s_or_b64 s[8:9], s[8:9], exec
.LBB222_1746:
	s_or_b64 exec, exec, s[6:7]
	s_mov_b64 s[10:11], 0
	s_mov_b64 s[14:15], 0
	s_mov_b64 s[12:13], 0
                                        ; implicit-def: $vgpr1
                                        ; implicit-def: $vgpr8_vgpr9
                                        ; implicit-def: $vgpr2_vgpr3
	s_and_saveexec_b64 s[6:7], s[8:9]
	s_cbranch_execz .LBB222_1824
; %bb.1747:
	s_waitcnt vmcnt(0)
	v_mov_b32_e32 v1, s93
	v_add_co_u32_e32 v8, vcc, s92, v4
	s_movk_i32 s8, 0xff
	v_addc_co_u32_e32 v9, vcc, 0, v1, vcc
	v_and_b32_sdwa v1, v41, s8 dst_sel:DWORD dst_unused:UNUSED_PAD src0_sel:WORD_1 src1_sel:DWORD
	v_cmp_gt_i16_e32 vcc, 11, v1
	s_cbranch_vccnz .LBB222_1754
; %bb.1748:
	v_cmp_lt_i16_e32 vcc, 25, v1
	s_cbranch_vccz .LBB222_1755
; %bb.1749:
	v_cmp_lt_i16_e32 vcc, 28, v1
	s_cbranch_vccz .LBB222_1756
	;; [unrolled: 3-line block ×4, first 2 shown]
; %bb.1752:
	v_cmp_eq_u16_e32 vcc, 46, v1
	s_cbranch_vccz .LBB222_1759
; %bb.1753:
	global_load_dword v2, v[8:9], off
	s_mov_b64 s[8:9], 0
	s_mov_b64 s[12:13], -1
	s_waitcnt vmcnt(0)
	v_lshlrev_b32_e32 v2, 16, v2
	v_cvt_f64_f32_e32 v[2:3], v2
	s_branch .LBB222_1761
.LBB222_1754:
	v_readlane_b32 s16, v87, 17
	v_readlane_b32 s17, v87, 18
	s_mov_b64 s[14:15], -1
                                        ; implicit-def: $vgpr2_vgpr3
	s_mov_b64 s[8:9], s[16:17]
	s_branch .LBB222_1823
.LBB222_1755:
	v_readlane_b32 s8, v87, 17
	v_readlane_b32 s9, v87, 18
                                        ; implicit-def: $vgpr2_vgpr3
	s_cbranch_execnz .LBB222_1790
	s_branch .LBB222_1822
.LBB222_1756:
	v_readlane_b32 s8, v87, 17
	s_mov_b64 s[14:15], -1
	v_readlane_b32 s9, v87, 18
                                        ; implicit-def: $vgpr2_vgpr3
	s_branch .LBB222_1771
.LBB222_1757:
	v_readlane_b32 s8, v87, 17
	s_mov_b64 s[14:15], -1
	v_readlane_b32 s9, v87, 18
                                        ; implicit-def: $vgpr2_vgpr3
	s_branch .LBB222_1766
.LBB222_1758:
	v_readlane_b32 s8, v87, 17
	s_mov_b64 s[14:15], -1
	v_readlane_b32 s9, v87, 18
	s_branch .LBB222_1760
.LBB222_1759:
	s_mov_b64 s[8:9], -1
.LBB222_1760:
                                        ; implicit-def: $vgpr2_vgpr3
.LBB222_1761:
	s_and_b64 vcc, exec, s[14:15]
	s_cbranch_vccz .LBB222_1765
; %bb.1762:
	v_cmp_eq_u16_e32 vcc, 44, v1
	s_cbranch_vccz .LBB222_1764
; %bb.1763:
	global_load_ubyte v4, v[8:9], off
	s_movk_i32 s12, 0xff
	v_bfrev_b32_e32 v5, 4
	v_mov_b32_e32 v10, 0x7ff80000
	v_bfrev_b32_e32 v11, 28
	s_mov_b64 s[8:9], 0
	s_waitcnt vmcnt(0)
	v_lshlrev_b32_e32 v2, 23, v4
	v_cvt_f64_f32_e32 v[2:3], v2
	v_cmp_ne_u32_e32 vcc, s12, v4
	v_cndmask_b32_e32 v2, v5, v2, vcc
	v_cndmask_b32_e32 v3, v10, v3, vcc
	v_cmp_ne_u32_e32 vcc, 0, v4
	v_cndmask_b32_e32 v3, v11, v3, vcc
	v_cndmask_b32_e32 v2, 0, v2, vcc
	s_mov_b64 s[12:13], -1
	s_branch .LBB222_1765
.LBB222_1764:
	s_mov_b64 s[8:9], -1
                                        ; implicit-def: $vgpr2_vgpr3
.LBB222_1765:
	s_mov_b64 s[14:15], 0
.LBB222_1766:
	s_and_b64 vcc, exec, s[14:15]
	s_cbranch_vccz .LBB222_1770
; %bb.1767:
	v_cmp_eq_u16_e32 vcc, 29, v1
	s_cbranch_vccz .LBB222_1769
; %bb.1768:
	global_load_dwordx2 v[2:3], v[8:9], off
	s_mov_b64 s[8:9], 0
	s_mov_b64 s[12:13], -1
	s_mov_b64 s[14:15], 0
	s_waitcnt vmcnt(0)
	v_cvt_f64_u32_e32 v[4:5], v3
	v_cvt_f64_u32_e32 v[2:3], v2
	v_ldexp_f64 v[4:5], v[4:5], 32
	v_add_f64 v[2:3], v[4:5], v[2:3]
	s_branch .LBB222_1771
.LBB222_1769:
	s_mov_b64 s[8:9], -1
                                        ; implicit-def: $vgpr2_vgpr3
.LBB222_1770:
	s_mov_b64 s[14:15], 0
.LBB222_1771:
	s_and_b64 vcc, exec, s[14:15]
	s_cbranch_vccz .LBB222_1789
; %bb.1772:
	v_cmp_gt_i16_e32 vcc, 27, v1
	s_cbranch_vccnz .LBB222_1775
; %bb.1773:
	v_cmp_lt_i16_e32 vcc, 27, v1
	s_cbranch_vccz .LBB222_1776
; %bb.1774:
	global_load_dword v2, v[8:9], off
	s_mov_b64 s[12:13], 0
	s_waitcnt vmcnt(0)
	v_cvt_f64_u32_e32 v[2:3], v2
	s_branch .LBB222_1777
.LBB222_1775:
	s_mov_b64 s[12:13], -1
                                        ; implicit-def: $vgpr2_vgpr3
	s_branch .LBB222_1780
.LBB222_1776:
	s_mov_b64 s[12:13], -1
                                        ; implicit-def: $vgpr2_vgpr3
.LBB222_1777:
	s_andn2_b64 vcc, exec, s[12:13]
	s_cbranch_vccnz .LBB222_1779
; %bb.1778:
	global_load_ushort v2, v[8:9], off
	s_waitcnt vmcnt(0)
	v_cvt_f64_u32_e32 v[2:3], v2
.LBB222_1779:
	s_mov_b64 s[12:13], 0
.LBB222_1780:
	s_andn2_b64 vcc, exec, s[12:13]
	s_cbranch_vccnz .LBB222_1788
; %bb.1781:
	global_load_ubyte v4, v[8:9], off
	s_movk_i32 s12, 0x7f
                                        ; implicit-def: $sgpr14_sgpr15
	s_waitcnt vmcnt(0)
	v_cmp_lt_i16_e32 vcc, s12, v4
	s_mov_b64 s[12:13], 0
	s_and_saveexec_b64 s[16:17], vcc
	s_xor_b64 s[16:17], exec, s[16:17]
	s_cbranch_execz .LBB222_1801
; %bb.1782:
	s_movk_i32 s12, 0x80
	v_cmp_eq_u16_e32 vcc, s12, v4
	s_mov_b64 s[18:19], -1
                                        ; implicit-def: $sgpr14_sgpr15
	s_and_saveexec_b64 s[12:13], vcc
; %bb.1783:
	s_mov_b32 s15, 0x7ff80000
	s_brev_b32 s14, 4
	s_xor_b64 s[18:19], exec, -1
; %bb.1784:
	s_or_b64 exec, exec, s[12:13]
	s_and_b64 s[12:13], s[18:19], exec
	s_or_saveexec_b64 s[16:17], s[16:17]
	v_pk_mov_b32 v[2:3], s[14:15], s[14:15] op_sel:[0,1]
	s_xor_b64 exec, exec, s[16:17]
	s_cbranch_execnz .LBB222_1802
.LBB222_1785:
	s_or_b64 exec, exec, s[16:17]
	s_and_saveexec_b64 s[14:15], s[12:13]
	s_cbranch_execz .LBB222_1787
.LBB222_1786:
	v_and_b32_e32 v3, 0xffff, v4
	v_lshlrev_b32_e32 v2, 24, v4
	v_and_b32_e32 v4, 7, v3
	v_ffbh_u32_e32 v10, v4
	v_min_u32_e32 v10, 32, v10
	v_subrev_u32_e32 v11, 28, v10
	v_bfe_u32 v5, v3, 3, 4
	v_lshlrev_b32_e32 v3, v11, v3
	v_sub_u32_e32 v10, 29, v10
	v_and_b32_e32 v3, 7, v3
	v_cmp_eq_u32_e32 vcc, 0, v5
	v_cndmask_b32_e32 v5, v5, v10, vcc
	v_cndmask_b32_e32 v3, v4, v3, vcc
	v_mov_b32_e32 v4, 0x3b800000
	v_lshlrev_b32_e32 v3, 20, v3
	v_and_b32_e32 v2, 0x80000000, v2
	v_lshl_add_u32 v4, v5, 23, v4
	v_or3_b32 v2, v2, v4, v3
	v_cvt_f64_f32_e32 v[2:3], v2
.LBB222_1787:
	s_or_b64 exec, exec, s[14:15]
.LBB222_1788:
	s_mov_b64 s[12:13], -1
.LBB222_1789:
	s_branch .LBB222_1822
.LBB222_1790:
	v_cmp_lt_i16_e32 vcc, 22, v1
	s_cbranch_vccz .LBB222_1800
; %bb.1791:
	v_cmp_gt_i16_e32 vcc, 24, v1
	s_cbranch_vccnz .LBB222_1803
; %bb.1792:
	v_cmp_lt_i16_e32 vcc, 24, v1
	s_cbranch_vccz .LBB222_1804
; %bb.1793:
	global_load_ubyte v4, v[8:9], off
	s_movk_i32 s10, 0x7f
                                        ; implicit-def: $sgpr12_sgpr13
	s_waitcnt vmcnt(0)
	v_cmp_lt_i16_e32 vcc, s10, v4
	s_mov_b64 s[10:11], 0
	s_and_saveexec_b64 s[14:15], vcc
	s_xor_b64 s[14:15], exec, s[14:15]
	s_cbranch_execz .LBB222_1816
; %bb.1794:
	s_movk_i32 s10, 0x80
	v_cmp_eq_u16_e32 vcc, s10, v4
	s_mov_b64 s[16:17], -1
                                        ; implicit-def: $sgpr12_sgpr13
	s_and_saveexec_b64 s[10:11], vcc
; %bb.1795:
	s_mov_b32 s13, 0x7ff80000
	s_brev_b32 s12, 4
	s_xor_b64 s[16:17], exec, -1
; %bb.1796:
	s_or_b64 exec, exec, s[10:11]
	s_and_b64 s[10:11], s[16:17], exec
	s_or_saveexec_b64 s[14:15], s[14:15]
	v_pk_mov_b32 v[2:3], s[12:13], s[12:13] op_sel:[0,1]
	s_xor_b64 exec, exec, s[14:15]
	s_cbranch_execnz .LBB222_1817
.LBB222_1797:
	s_or_b64 exec, exec, s[14:15]
	s_and_saveexec_b64 s[12:13], s[10:11]
	s_cbranch_execz .LBB222_1799
.LBB222_1798:
	v_and_b32_e32 v3, 0xffff, v4
	v_lshlrev_b32_e32 v2, 24, v4
	v_and_b32_e32 v4, 3, v3
	v_ffbh_u32_e32 v10, v4
	v_min_u32_e32 v10, 32, v10
	v_subrev_u32_e32 v11, 29, v10
	v_bfe_u32 v5, v3, 2, 5
	v_lshlrev_b32_e32 v3, v11, v3
	v_sub_u32_e32 v10, 30, v10
	v_and_b32_e32 v3, 3, v3
	v_cmp_eq_u32_e32 vcc, 0, v5
	v_cndmask_b32_e32 v5, v5, v10, vcc
	v_cndmask_b32_e32 v3, v4, v3, vcc
	v_mov_b32_e32 v4, 0x37800000
	v_lshlrev_b32_e32 v3, 21, v3
	v_and_b32_e32 v2, 0x80000000, v2
	v_lshl_add_u32 v4, v5, 23, v4
	v_or3_b32 v2, v2, v4, v3
	v_cvt_f64_f32_e32 v[2:3], v2
.LBB222_1799:
	s_or_b64 exec, exec, s[12:13]
	s_mov_b64 s[10:11], 0
	s_branch .LBB222_1805
.LBB222_1800:
	s_mov_b64 s[10:11], -1
                                        ; implicit-def: $vgpr2_vgpr3
	s_branch .LBB222_1811
.LBB222_1801:
	s_or_saveexec_b64 s[16:17], s[16:17]
	v_pk_mov_b32 v[2:3], s[14:15], s[14:15] op_sel:[0,1]
	s_xor_b64 exec, exec, s[16:17]
	s_cbranch_execz .LBB222_1785
.LBB222_1802:
	v_cmp_ne_u16_e32 vcc, 0, v4
	s_andn2_b64 s[12:13], s[12:13], exec
	s_and_b64 s[14:15], vcc, exec
	v_pk_mov_b32 v[2:3], 0, 0
	s_or_b64 s[12:13], s[12:13], s[14:15]
	s_or_b64 exec, exec, s[16:17]
	s_and_saveexec_b64 s[14:15], s[12:13]
	s_cbranch_execnz .LBB222_1786
	s_branch .LBB222_1787
.LBB222_1803:
	s_mov_b64 s[10:11], -1
                                        ; implicit-def: $vgpr2_vgpr3
	s_branch .LBB222_1808
.LBB222_1804:
	s_mov_b64 s[10:11], -1
                                        ; implicit-def: $vgpr2_vgpr3
.LBB222_1805:
	s_and_b64 vcc, exec, s[10:11]
	s_cbranch_vccz .LBB222_1807
; %bb.1806:
	global_load_ubyte v2, v[8:9], off
	s_mov_b32 s10, 0x7f800000
	s_waitcnt vmcnt(0)
	v_lshlrev_b32_e32 v2, 24, v2
	v_and_b32_e32 v3, 0x7f000000, v2
	v_ffbh_u32_e32 v4, v3
	v_min_u32_e32 v4, 32, v4
	v_sub_u32_e64 v4, v4, 4 clamp
	v_lshlrev_b32_e32 v10, v4, v3
	v_lshlrev_b32_e32 v4, 23, v4
	v_lshrrev_b32_e32 v10, 4, v10
	v_add_u32_e32 v5, 0x1000000, v3
	v_sub_u32_e32 v4, v10, v4
	v_ashrrev_i32_e32 v5, 8, v5
	v_add_u32_e32 v4, 0x3c000000, v4
	v_and_or_b32 v4, v5, s10, v4
	v_cmp_ne_u32_e32 vcc, 0, v3
	v_cndmask_b32_e32 v3, 0, v4, vcc
	s_brev_b32 s10, 1
	v_and_or_b32 v2, v2, s10, v3
	v_cvt_f64_f32_e32 v[2:3], v2
.LBB222_1807:
	s_mov_b64 s[10:11], 0
.LBB222_1808:
	s_andn2_b64 vcc, exec, s[10:11]
	s_cbranch_vccnz .LBB222_1810
; %bb.1809:
	global_load_ubyte v2, v[8:9], off
	s_movk_i32 s10, 0x7f00
	s_brev_b32 s11, 16
	s_waitcnt vmcnt(0)
	v_lshlrev_b16_e32 v3, 8, v2
	v_lshlrev_b32_e32 v2, 25, v2
	v_lshrrev_b32_e32 v4, 4, v2
	v_and_or_b32 v5, v3, s10, 0.5
	v_or_b32_e32 v4, 0x70000000, v4
	v_add_f32_e32 v5, -0.5, v5
	v_mul_f32_e32 v4, 0x7800000, v4
	v_cmp_gt_u32_e32 vcc, s11, v2
	v_bfe_i32 v3, v3, 0, 16
	v_cndmask_b32_e32 v2, v4, v5, vcc
	s_brev_b32 s10, 1
	v_and_or_b32 v2, v3, s10, v2
	v_cvt_f64_f32_e32 v[2:3], v2
.LBB222_1810:
	s_mov_b64 s[10:11], 0
	s_mov_b64 s[12:13], -1
.LBB222_1811:
	s_andn2_b64 vcc, exec, s[10:11]
	s_mov_b64 s[10:11], 0
	s_cbranch_vccnz .LBB222_1822
; %bb.1812:
	v_cmp_lt_i16_e32 vcc, 14, v1
	s_cbranch_vccz .LBB222_1815
; %bb.1813:
	v_cmp_eq_u16_e32 vcc, 15, v1
	s_cbranch_vccz .LBB222_1818
; %bb.1814:
	global_load_ushort v2, v[8:9], off
	s_mov_b64 s[8:9], 0
	s_mov_b64 s[12:13], -1
	s_waitcnt vmcnt(0)
	v_lshlrev_b32_e32 v2, 16, v2
	v_cvt_f64_f32_e32 v[2:3], v2
	s_branch .LBB222_1819
.LBB222_1815:
	s_mov_b64 s[14:15], -1
                                        ; implicit-def: $vgpr2_vgpr3
	s_branch .LBB222_1820
.LBB222_1816:
	s_or_saveexec_b64 s[14:15], s[14:15]
	v_pk_mov_b32 v[2:3], s[12:13], s[12:13] op_sel:[0,1]
	s_xor_b64 exec, exec, s[14:15]
	s_cbranch_execz .LBB222_1797
.LBB222_1817:
	v_cmp_ne_u16_e32 vcc, 0, v4
	s_andn2_b64 s[10:11], s[10:11], exec
	s_and_b64 s[12:13], vcc, exec
	v_pk_mov_b32 v[2:3], 0, 0
	s_or_b64 s[10:11], s[10:11], s[12:13]
	s_or_b64 exec, exec, s[14:15]
	s_and_saveexec_b64 s[12:13], s[10:11]
	s_cbranch_execnz .LBB222_1798
	s_branch .LBB222_1799
.LBB222_1818:
	s_mov_b64 s[8:9], -1
                                        ; implicit-def: $vgpr2_vgpr3
.LBB222_1819:
	s_mov_b64 s[14:15], 0
.LBB222_1820:
	s_and_b64 vcc, exec, s[14:15]
	s_cbranch_vccz .LBB222_1822
; %bb.1821:
	v_cmp_ne_u16_e32 vcc, 11, v1
	s_andn2_b64 s[8:9], s[8:9], exec
	s_and_b64 s[14:15], vcc, exec
	s_mov_b64 s[10:11], -1
	s_or_b64 s[8:9], s[8:9], s[14:15]
                                        ; implicit-def: $vgpr2_vgpr3
.LBB222_1822:
	v_readlane_b32 s16, v87, 17
	s_mov_b64 s[14:15], 0
	v_readlane_b32 s17, v87, 18
.LBB222_1823:
	s_andn2_b64 s[16:17], s[16:17], exec
	s_and_b64 s[8:9], s[8:9], exec
	s_or_b64 s[8:9], s[16:17], s[8:9]
	v_writelane_b32 v87, s8, 17
	s_and_b64 s[12:13], s[12:13], exec
	s_and_b64 s[14:15], s[14:15], exec
	;; [unrolled: 1-line block ×3, first 2 shown]
	v_writelane_b32 v87, s9, 18
.LBB222_1824:
	s_or_b64 exec, exec, s[6:7]
	s_mov_b64 s[6:7], exec
	v_readlane_b32 s8, v87, 17
	v_readlane_b32 s9, v87, 18
	s_and_b64 s[8:9], s[6:7], s[8:9]
	s_mov_b64 exec, s[8:9]
	s_cbranch_execnz .LBB222_1827
; %bb.1825:
	s_or_b64 exec, exec, s[6:7]
	s_and_saveexec_b64 s[6:7], s[10:11]
	s_xor_b64 s[6:7], exec, s[6:7]
	s_cbranch_execz .LBB222_1828
.LBB222_1826:
	global_load_ubyte v3, v[8:9], off
	s_waitcnt vmcnt(1)
	v_mov_b32_e32 v4, 0x3ff00000
	v_mov_b32_e32 v2, 0
	s_or_b64 s[12:13], s[12:13], exec
	s_waitcnt vmcnt(0)
	v_cmp_ne_u16_e32 vcc, 0, v3
	v_cndmask_b32_e32 v3, 0, v4, vcc
	s_or_b64 exec, exec, s[6:7]
	s_and_saveexec_b64 s[6:7], s[14:15]
	s_cbranch_execz .LBB222_1874
	s_branch .LBB222_1829
.LBB222_1827:
	s_or_b64 s[22:23], s[22:23], exec
	s_andn2_b64 s[10:11], s[10:11], exec
	s_trap 2
                                        ; implicit-def: $vgpr2_vgpr3
	s_or_b64 exec, exec, s[6:7]
	s_and_saveexec_b64 s[6:7], s[10:11]
	s_xor_b64 s[6:7], exec, s[6:7]
	s_cbranch_execnz .LBB222_1826
.LBB222_1828:
	s_or_b64 exec, exec, s[6:7]
	s_and_saveexec_b64 s[6:7], s[14:15]
	s_cbranch_execz .LBB222_1874
.LBB222_1829:
	s_waitcnt vmcnt(0)
	v_cmp_gt_i16_e32 vcc, 5, v1
	s_cbranch_vccnz .LBB222_1834
; %bb.1830:
	v_cmp_gt_i16_e32 vcc, 8, v1
	s_cbranch_vccnz .LBB222_1835
; %bb.1831:
	;; [unrolled: 3-line block ×3, first 2 shown]
	v_cmp_lt_i16_e32 vcc, 9, v1
	s_cbranch_vccz .LBB222_1837
; %bb.1833:
	global_load_dwordx2 v[2:3], v[8:9], off
	s_mov_b64 s[8:9], 0
	s_branch .LBB222_1838
.LBB222_1834:
                                        ; implicit-def: $vgpr2_vgpr3
	s_branch .LBB222_1855
.LBB222_1835:
                                        ; implicit-def: $vgpr2_vgpr3
	s_branch .LBB222_1844
.LBB222_1836:
	s_mov_b64 s[8:9], -1
                                        ; implicit-def: $vgpr2_vgpr3
	s_branch .LBB222_1841
.LBB222_1837:
	s_mov_b64 s[8:9], -1
                                        ; implicit-def: $vgpr2_vgpr3
.LBB222_1838:
	s_andn2_b64 vcc, exec, s[8:9]
	s_cbranch_vccnz .LBB222_1840
; %bb.1839:
	global_load_dword v2, v[8:9], off
	s_waitcnt vmcnt(0)
	v_cvt_f64_f32_e32 v[2:3], v2
.LBB222_1840:
	s_mov_b64 s[8:9], 0
.LBB222_1841:
	s_andn2_b64 vcc, exec, s[8:9]
	s_cbranch_vccnz .LBB222_1843
; %bb.1842:
	global_load_dword v2, v[8:9], off
	s_waitcnt vmcnt(0)
	v_cvt_f32_f16_e32 v2, v2
	v_cvt_f64_f32_e32 v[2:3], v2
.LBB222_1843:
	s_cbranch_execnz .LBB222_1854
.LBB222_1844:
	v_cmp_gt_i16_e32 vcc, 6, v1
	s_cbranch_vccnz .LBB222_1847
; %bb.1845:
	v_cmp_lt_i16_e32 vcc, 6, v1
	s_cbranch_vccz .LBB222_1848
; %bb.1846:
	global_load_dwordx2 v[2:3], v[8:9], off
	s_mov_b64 s[8:9], 0
	s_branch .LBB222_1849
.LBB222_1847:
	s_mov_b64 s[8:9], -1
                                        ; implicit-def: $vgpr2_vgpr3
	s_branch .LBB222_1852
.LBB222_1848:
	s_mov_b64 s[8:9], -1
                                        ; implicit-def: $vgpr2_vgpr3
.LBB222_1849:
	s_andn2_b64 vcc, exec, s[8:9]
	s_cbranch_vccnz .LBB222_1851
; %bb.1850:
	global_load_dword v2, v[8:9], off
	s_waitcnt vmcnt(0)
	v_cvt_f64_f32_e32 v[2:3], v2
.LBB222_1851:
	s_mov_b64 s[8:9], 0
.LBB222_1852:
	s_andn2_b64 vcc, exec, s[8:9]
	s_cbranch_vccnz .LBB222_1854
; %bb.1853:
	global_load_ushort v2, v[8:9], off
	s_waitcnt vmcnt(0)
	v_cvt_f32_f16_e32 v2, v2
	v_cvt_f64_f32_e32 v[2:3], v2
.LBB222_1854:
	s_cbranch_execnz .LBB222_1873
.LBB222_1855:
	v_cmp_gt_i16_e32 vcc, 2, v1
	s_cbranch_vccnz .LBB222_1859
; %bb.1856:
	v_cmp_gt_i16_e32 vcc, 3, v1
	s_cbranch_vccnz .LBB222_1860
; %bb.1857:
	v_cmp_lt_i16_e32 vcc, 3, v1
	s_cbranch_vccz .LBB222_1861
; %bb.1858:
	global_load_dwordx2 v[2:3], v[8:9], off
	s_mov_b64 s[8:9], 0
	s_waitcnt vmcnt(0)
	v_cvt_f64_i32_e32 v[4:5], v3
	v_cvt_f64_u32_e32 v[2:3], v2
	v_ldexp_f64 v[4:5], v[4:5], 32
	v_add_f64 v[2:3], v[4:5], v[2:3]
	s_branch .LBB222_1862
.LBB222_1859:
                                        ; implicit-def: $vgpr2_vgpr3
	s_branch .LBB222_1868
.LBB222_1860:
	s_mov_b64 s[8:9], -1
                                        ; implicit-def: $vgpr2_vgpr3
	s_branch .LBB222_1865
.LBB222_1861:
	s_mov_b64 s[8:9], -1
                                        ; implicit-def: $vgpr2_vgpr3
.LBB222_1862:
	s_andn2_b64 vcc, exec, s[8:9]
	s_cbranch_vccnz .LBB222_1864
; %bb.1863:
	global_load_dword v2, v[8:9], off
	s_waitcnt vmcnt(0)
	v_cvt_f64_i32_e32 v[2:3], v2
.LBB222_1864:
	s_mov_b64 s[8:9], 0
.LBB222_1865:
	s_andn2_b64 vcc, exec, s[8:9]
	s_cbranch_vccnz .LBB222_1867
; %bb.1866:
	global_load_sshort v2, v[8:9], off
	s_waitcnt vmcnt(0)
	v_cvt_f64_i32_e32 v[2:3], v2
.LBB222_1867:
	s_cbranch_execnz .LBB222_1873
.LBB222_1868:
	v_cmp_lt_i16_e32 vcc, 0, v1
	s_cbranch_vccz .LBB222_1870
; %bb.1869:
	global_load_sbyte v1, v[8:9], off
	s_mov_b64 s[8:9], 0
	s_waitcnt vmcnt(0)
	v_cvt_f64_i32_e32 v[2:3], v1
	s_branch .LBB222_1871
.LBB222_1870:
	s_mov_b64 s[8:9], -1
                                        ; implicit-def: $vgpr2_vgpr3
.LBB222_1871:
	s_andn2_b64 vcc, exec, s[8:9]
	s_cbranch_vccnz .LBB222_1873
; %bb.1872:
	global_load_ubyte v1, v[8:9], off
	s_waitcnt vmcnt(0)
	v_cvt_f64_u32_e32 v[2:3], v1
.LBB222_1873:
	s_or_b64 s[12:13], s[12:13], exec
.LBB222_1874:
	s_or_b64 exec, exec, s[6:7]
	s_mov_b64 s[10:11], 0
	s_mov_b64 s[16:17], 0
	;; [unrolled: 1-line block ×3, first 2 shown]
                                        ; implicit-def: $vgpr8_vgpr9
                                        ; implicit-def: $vgpr4_vgpr5
	s_and_saveexec_b64 s[6:7], s[12:13]
	s_cbranch_execz .LBB222_1951
; %bb.1875:
	s_waitcnt vmcnt(0)
	v_mov_b32_e32 v1, s95
	v_add_co_u32_e32 v8, vcc, s94, v0
	v_addc_co_u32_e32 v9, vcc, 0, v1, vcc
	v_cmp_gt_i16_e32 vcc, 11, v44
	s_cbranch_vccnz .LBB222_1882
; %bb.1876:
	v_cmp_lt_i16_e32 vcc, 25, v44
	s_cbranch_vccz .LBB222_1883
; %bb.1877:
	v_cmp_lt_i16_e32 vcc, 28, v44
	s_cbranch_vccz .LBB222_1884
	;; [unrolled: 3-line block ×4, first 2 shown]
; %bb.1880:
	v_cmp_eq_u16_e32 vcc, 46, v44
	s_cbranch_vccz .LBB222_1887
; %bb.1881:
	global_load_dword v0, v[8:9], off
	s_mov_b64 s[8:9], 0
	s_mov_b64 s[12:13], -1
	s_waitcnt vmcnt(0)
	v_lshlrev_b32_e32 v0, 16, v0
	v_cvt_f64_f32_e32 v[4:5], v0
	s_branch .LBB222_1888
.LBB222_1882:
	v_readlane_b32 s18, v87, 19
	v_readlane_b32 s19, v87, 20
	s_mov_b64 s[16:17], -1
	s_mov_b64 s[12:13], 0
                                        ; implicit-def: $vgpr4_vgpr5
	s_mov_b64 s[8:9], s[18:19]
	s_branch .LBB222_1950
.LBB222_1883:
	v_readlane_b32 s8, v87, 19
	s_mov_b64 s[12:13], 0
	v_readlane_b32 s9, v87, 20
                                        ; implicit-def: $vgpr4_vgpr5
	s_cbranch_execnz .LBB222_1917
	s_branch .LBB222_1949
.LBB222_1884:
	v_readlane_b32 s8, v87, 19
	s_mov_b64 s[14:15], -1
	s_mov_b64 s[12:13], 0
	v_readlane_b32 s9, v87, 20
                                        ; implicit-def: $vgpr4_vgpr5
	s_branch .LBB222_1898
.LBB222_1885:
	v_readlane_b32 s8, v87, 19
	s_mov_b64 s[14:15], -1
	s_mov_b64 s[12:13], 0
	v_readlane_b32 s9, v87, 20
                                        ; implicit-def: $vgpr4_vgpr5
	s_branch .LBB222_1893
.LBB222_1886:
	v_readlane_b32 s8, v87, 19
	s_mov_b64 s[14:15], -1
	s_mov_b64 s[12:13], 0
	v_readlane_b32 s9, v87, 20
                                        ; implicit-def: $vgpr4_vgpr5
	s_branch .LBB222_1888
.LBB222_1887:
	s_mov_b64 s[8:9], -1
                                        ; implicit-def: $vgpr4_vgpr5
	s_mov_b64 s[12:13], 0
.LBB222_1888:
	s_and_b64 vcc, exec, s[14:15]
	s_cbranch_vccz .LBB222_1892
; %bb.1889:
	v_cmp_eq_u16_e32 vcc, 44, v44
	s_cbranch_vccz .LBB222_1891
; %bb.1890:
	global_load_ubyte v4, v[8:9], off
	s_movk_i32 s12, 0xff
	v_bfrev_b32_e32 v5, 4
	v_mov_b32_e32 v10, 0x7ff80000
	v_bfrev_b32_e32 v11, 28
	s_mov_b64 s[8:9], 0
	s_waitcnt vmcnt(0)
	v_lshlrev_b32_e32 v0, 23, v4
	v_cvt_f64_f32_e32 v[0:1], v0
	v_cmp_ne_u32_e32 vcc, s12, v4
	v_cndmask_b32_e32 v0, v5, v0, vcc
	v_cndmask_b32_e32 v1, v10, v1, vcc
	v_cmp_ne_u32_e32 vcc, 0, v4
	v_cndmask_b32_e32 v5, v11, v1, vcc
	v_cndmask_b32_e32 v4, 0, v0, vcc
	s_mov_b64 s[12:13], -1
	s_branch .LBB222_1892
.LBB222_1891:
	s_mov_b64 s[8:9], -1
                                        ; implicit-def: $vgpr4_vgpr5
.LBB222_1892:
	s_mov_b64 s[14:15], 0
.LBB222_1893:
	s_and_b64 vcc, exec, s[14:15]
	s_cbranch_vccz .LBB222_1897
; %bb.1894:
	v_cmp_eq_u16_e32 vcc, 29, v44
	s_cbranch_vccz .LBB222_1896
; %bb.1895:
	global_load_dwordx2 v[0:1], v[8:9], off
	s_mov_b64 s[8:9], 0
	s_mov_b64 s[12:13], -1
	s_mov_b64 s[14:15], 0
	s_waitcnt vmcnt(0)
	v_cvt_f64_u32_e32 v[4:5], v1
	v_cvt_f64_u32_e32 v[0:1], v0
	v_ldexp_f64 v[4:5], v[4:5], 32
	v_add_f64 v[4:5], v[4:5], v[0:1]
	s_branch .LBB222_1898
.LBB222_1896:
	s_mov_b64 s[8:9], -1
                                        ; implicit-def: $vgpr4_vgpr5
.LBB222_1897:
	s_mov_b64 s[14:15], 0
.LBB222_1898:
	s_and_b64 vcc, exec, s[14:15]
	s_cbranch_vccz .LBB222_1916
; %bb.1899:
	v_cmp_gt_i16_e32 vcc, 27, v44
	s_cbranch_vccnz .LBB222_1902
; %bb.1900:
	v_cmp_lt_i16_e32 vcc, 27, v44
	s_cbranch_vccz .LBB222_1903
; %bb.1901:
	global_load_dword v0, v[8:9], off
	s_mov_b64 s[12:13], 0
	s_waitcnt vmcnt(0)
	v_cvt_f64_u32_e32 v[4:5], v0
	s_branch .LBB222_1904
.LBB222_1902:
	s_mov_b64 s[12:13], -1
                                        ; implicit-def: $vgpr4_vgpr5
	s_branch .LBB222_1907
.LBB222_1903:
	s_mov_b64 s[12:13], -1
                                        ; implicit-def: $vgpr4_vgpr5
.LBB222_1904:
	s_andn2_b64 vcc, exec, s[12:13]
	s_cbranch_vccnz .LBB222_1906
; %bb.1905:
	global_load_ushort v0, v[8:9], off
	s_waitcnt vmcnt(0)
	v_cvt_f64_u32_e32 v[4:5], v0
.LBB222_1906:
	s_mov_b64 s[12:13], 0
.LBB222_1907:
	s_andn2_b64 vcc, exec, s[12:13]
	s_cbranch_vccnz .LBB222_1915
; %bb.1908:
	global_load_ubyte v0, v[8:9], off
	s_movk_i32 s12, 0x7f
                                        ; implicit-def: $sgpr14_sgpr15
	s_waitcnt vmcnt(0)
	v_cmp_lt_i16_e32 vcc, s12, v0
	s_mov_b64 s[12:13], 0
	s_and_saveexec_b64 s[16:17], vcc
	s_xor_b64 s[16:17], exec, s[16:17]
	s_cbranch_execz .LBB222_1928
; %bb.1909:
	s_movk_i32 s12, 0x80
	v_cmp_eq_u16_e32 vcc, s12, v0
	s_mov_b64 s[18:19], -1
                                        ; implicit-def: $sgpr14_sgpr15
	s_and_saveexec_b64 s[12:13], vcc
; %bb.1910:
	s_mov_b32 s15, 0x7ff80000
	s_brev_b32 s14, 4
	s_xor_b64 s[18:19], exec, -1
; %bb.1911:
	s_or_b64 exec, exec, s[12:13]
	s_and_b64 s[12:13], s[18:19], exec
	s_or_saveexec_b64 s[16:17], s[16:17]
	v_pk_mov_b32 v[4:5], s[14:15], s[14:15] op_sel:[0,1]
	s_xor_b64 exec, exec, s[16:17]
	s_cbranch_execnz .LBB222_1929
.LBB222_1912:
	s_or_b64 exec, exec, s[16:17]
	s_and_saveexec_b64 s[14:15], s[12:13]
	s_cbranch_execz .LBB222_1914
.LBB222_1913:
	v_lshlrev_b32_e32 v1, 24, v0
	v_and_b32_e32 v0, 0xffff, v0
	v_and_b32_e32 v4, 7, v0
	v_ffbh_u32_e32 v10, v4
	v_min_u32_e32 v10, 32, v10
	v_subrev_u32_e32 v11, 28, v10
	v_bfe_u32 v5, v0, 3, 4
	v_lshlrev_b32_e32 v0, v11, v0
	v_sub_u32_e32 v10, 29, v10
	v_and_b32_e32 v0, 7, v0
	v_cmp_eq_u32_e32 vcc, 0, v5
	v_cndmask_b32_e32 v5, v5, v10, vcc
	v_cndmask_b32_e32 v0, v4, v0, vcc
	v_mov_b32_e32 v4, 0x3b800000
	v_lshlrev_b32_e32 v0, 20, v0
	v_and_b32_e32 v1, 0x80000000, v1
	v_lshl_add_u32 v4, v5, 23, v4
	v_or3_b32 v0, v1, v4, v0
	v_cvt_f64_f32_e32 v[4:5], v0
.LBB222_1914:
	s_or_b64 exec, exec, s[14:15]
.LBB222_1915:
	s_mov_b64 s[12:13], -1
.LBB222_1916:
	s_branch .LBB222_1949
.LBB222_1917:
	v_cmp_lt_i16_e32 vcc, 22, v44
	s_cbranch_vccz .LBB222_1927
; %bb.1918:
	v_cmp_gt_i16_e32 vcc, 24, v44
	s_cbranch_vccnz .LBB222_1930
; %bb.1919:
	v_cmp_lt_i16_e32 vcc, 24, v44
	s_cbranch_vccz .LBB222_1931
; %bb.1920:
	global_load_ubyte v0, v[8:9], off
	s_movk_i32 s10, 0x7f
                                        ; implicit-def: $sgpr12_sgpr13
	s_waitcnt vmcnt(0)
	v_cmp_lt_i16_e32 vcc, s10, v0
	s_mov_b64 s[10:11], 0
	s_and_saveexec_b64 s[14:15], vcc
	s_xor_b64 s[14:15], exec, s[14:15]
	s_cbranch_execz .LBB222_1943
; %bb.1921:
	s_movk_i32 s10, 0x80
	v_cmp_eq_u16_e32 vcc, s10, v0
	s_mov_b64 s[16:17], -1
                                        ; implicit-def: $sgpr12_sgpr13
	s_and_saveexec_b64 s[10:11], vcc
; %bb.1922:
	s_mov_b32 s13, 0x7ff80000
	s_brev_b32 s12, 4
	s_xor_b64 s[16:17], exec, -1
; %bb.1923:
	s_or_b64 exec, exec, s[10:11]
	s_and_b64 s[10:11], s[16:17], exec
	s_or_saveexec_b64 s[14:15], s[14:15]
	v_pk_mov_b32 v[4:5], s[12:13], s[12:13] op_sel:[0,1]
	s_xor_b64 exec, exec, s[14:15]
	s_cbranch_execnz .LBB222_1944
.LBB222_1924:
	s_or_b64 exec, exec, s[14:15]
	s_and_saveexec_b64 s[12:13], s[10:11]
	s_cbranch_execz .LBB222_1926
.LBB222_1925:
	v_lshlrev_b32_e32 v1, 24, v0
	v_and_b32_e32 v0, 0xffff, v0
	v_and_b32_e32 v4, 3, v0
	v_ffbh_u32_e32 v10, v4
	v_min_u32_e32 v10, 32, v10
	v_subrev_u32_e32 v11, 29, v10
	v_bfe_u32 v5, v0, 2, 5
	v_lshlrev_b32_e32 v0, v11, v0
	v_sub_u32_e32 v10, 30, v10
	v_and_b32_e32 v0, 3, v0
	v_cmp_eq_u32_e32 vcc, 0, v5
	v_cndmask_b32_e32 v5, v5, v10, vcc
	v_cndmask_b32_e32 v0, v4, v0, vcc
	v_mov_b32_e32 v4, 0x37800000
	v_lshlrev_b32_e32 v0, 21, v0
	v_and_b32_e32 v1, 0x80000000, v1
	v_lshl_add_u32 v4, v5, 23, v4
	v_or3_b32 v0, v1, v4, v0
	v_cvt_f64_f32_e32 v[4:5], v0
.LBB222_1926:
	s_or_b64 exec, exec, s[12:13]
	s_mov_b64 s[10:11], 0
	s_branch .LBB222_1932
.LBB222_1927:
	s_mov_b64 s[10:11], -1
                                        ; implicit-def: $vgpr4_vgpr5
	s_branch .LBB222_1938
.LBB222_1928:
	s_or_saveexec_b64 s[16:17], s[16:17]
	v_pk_mov_b32 v[4:5], s[14:15], s[14:15] op_sel:[0,1]
	s_xor_b64 exec, exec, s[16:17]
	s_cbranch_execz .LBB222_1912
.LBB222_1929:
	v_cmp_ne_u16_e32 vcc, 0, v0
	s_andn2_b64 s[12:13], s[12:13], exec
	s_and_b64 s[14:15], vcc, exec
	v_pk_mov_b32 v[4:5], 0, 0
	s_or_b64 s[12:13], s[12:13], s[14:15]
	s_or_b64 exec, exec, s[16:17]
	s_and_saveexec_b64 s[14:15], s[12:13]
	s_cbranch_execnz .LBB222_1913
	s_branch .LBB222_1914
.LBB222_1930:
	s_mov_b64 s[10:11], -1
                                        ; implicit-def: $vgpr4_vgpr5
	s_branch .LBB222_1935
.LBB222_1931:
	s_mov_b64 s[10:11], -1
                                        ; implicit-def: $vgpr4_vgpr5
.LBB222_1932:
	s_and_b64 vcc, exec, s[10:11]
	s_cbranch_vccz .LBB222_1934
; %bb.1933:
	global_load_ubyte v0, v[8:9], off
	s_mov_b32 s10, 0x7f800000
	s_waitcnt vmcnt(0)
	v_lshlrev_b32_e32 v0, 24, v0
	v_and_b32_e32 v1, 0x7f000000, v0
	v_ffbh_u32_e32 v4, v1
	v_min_u32_e32 v4, 32, v4
	v_sub_u32_e64 v4, v4, 4 clamp
	v_lshlrev_b32_e32 v10, v4, v1
	v_lshlrev_b32_e32 v4, 23, v4
	v_lshrrev_b32_e32 v10, 4, v10
	v_add_u32_e32 v5, 0x1000000, v1
	v_sub_u32_e32 v4, v10, v4
	v_ashrrev_i32_e32 v5, 8, v5
	v_add_u32_e32 v4, 0x3c000000, v4
	v_and_or_b32 v4, v5, s10, v4
	v_cmp_ne_u32_e32 vcc, 0, v1
	v_cndmask_b32_e32 v1, 0, v4, vcc
	s_brev_b32 s10, 1
	v_and_or_b32 v0, v0, s10, v1
	v_cvt_f64_f32_e32 v[4:5], v0
.LBB222_1934:
	s_mov_b64 s[10:11], 0
.LBB222_1935:
	s_andn2_b64 vcc, exec, s[10:11]
	s_cbranch_vccnz .LBB222_1937
; %bb.1936:
	global_load_ubyte v0, v[8:9], off
	s_movk_i32 s10, 0x7f00
	s_brev_b32 s11, 16
	s_waitcnt vmcnt(0)
	v_lshlrev_b16_e32 v1, 8, v0
	v_lshlrev_b32_e32 v0, 25, v0
	v_lshrrev_b32_e32 v4, 4, v0
	v_and_or_b32 v5, v1, s10, 0.5
	v_or_b32_e32 v4, 0x70000000, v4
	v_add_f32_e32 v5, -0.5, v5
	v_mul_f32_e32 v4, 0x7800000, v4
	v_cmp_gt_u32_e32 vcc, s11, v0
	v_bfe_i32 v1, v1, 0, 16
	v_cndmask_b32_e32 v0, v4, v5, vcc
	s_brev_b32 s10, 1
	v_and_or_b32 v0, v1, s10, v0
	v_cvt_f64_f32_e32 v[4:5], v0
.LBB222_1937:
	s_mov_b64 s[10:11], 0
	s_mov_b64 s[12:13], -1
.LBB222_1938:
	s_andn2_b64 vcc, exec, s[10:11]
	s_mov_b64 s[10:11], 0
	s_cbranch_vccnz .LBB222_1949
; %bb.1939:
	v_cmp_lt_i16_e32 vcc, 14, v44
	s_cbranch_vccz .LBB222_1942
; %bb.1940:
	v_cmp_eq_u16_e32 vcc, 15, v44
	s_cbranch_vccz .LBB222_1945
; %bb.1941:
	global_load_ushort v0, v[8:9], off
	s_mov_b64 s[8:9], 0
	s_mov_b64 s[12:13], -1
	s_waitcnt vmcnt(0)
	v_lshlrev_b32_e32 v0, 16, v0
	v_cvt_f64_f32_e32 v[4:5], v0
	s_branch .LBB222_1946
.LBB222_1942:
	s_mov_b64 s[14:15], -1
                                        ; implicit-def: $vgpr4_vgpr5
	s_branch .LBB222_1947
.LBB222_1943:
	s_or_saveexec_b64 s[14:15], s[14:15]
	v_pk_mov_b32 v[4:5], s[12:13], s[12:13] op_sel:[0,1]
	s_xor_b64 exec, exec, s[14:15]
	s_cbranch_execz .LBB222_1924
.LBB222_1944:
	v_cmp_ne_u16_e32 vcc, 0, v0
	s_andn2_b64 s[10:11], s[10:11], exec
	s_and_b64 s[12:13], vcc, exec
	v_pk_mov_b32 v[4:5], 0, 0
	s_or_b64 s[10:11], s[10:11], s[12:13]
	s_or_b64 exec, exec, s[14:15]
	s_and_saveexec_b64 s[12:13], s[10:11]
	s_cbranch_execnz .LBB222_1925
	s_branch .LBB222_1926
.LBB222_1945:
	s_mov_b64 s[8:9], -1
                                        ; implicit-def: $vgpr4_vgpr5
.LBB222_1946:
	s_mov_b64 s[14:15], 0
.LBB222_1947:
	s_and_b64 vcc, exec, s[14:15]
	s_cbranch_vccz .LBB222_1949
; %bb.1948:
	v_cmp_ne_u16_e32 vcc, 11, v44
	s_andn2_b64 s[8:9], s[8:9], exec
	s_and_b64 s[14:15], vcc, exec
	s_mov_b64 s[10:11], -1
	s_or_b64 s[8:9], s[8:9], s[14:15]
                                        ; implicit-def: $vgpr4_vgpr5
.LBB222_1949:
	v_readlane_b32 s18, v87, 19
	s_mov_b64 s[16:17], 0
	v_readlane_b32 s19, v87, 20
.LBB222_1950:
	s_and_b64 s[14:15], s[12:13], exec
	s_andn2_b64 s[12:13], s[18:19], exec
	s_and_b64 s[8:9], s[8:9], exec
	s_or_b64 s[8:9], s[12:13], s[8:9]
	v_writelane_b32 v87, s8, 19
	s_and_b64 s[16:17], s[16:17], exec
	s_and_b64 s[10:11], s[10:11], exec
	v_writelane_b32 v87, s9, 20
.LBB222_1951:
	s_or_b64 exec, exec, s[6:7]
	s_mov_b64 s[6:7], exec
	v_readlane_b32 s8, v87, 19
	v_readlane_b32 s9, v87, 20
	s_and_b64 s[8:9], s[6:7], s[8:9]
	s_mov_b64 exec, s[8:9]
	s_cbranch_execnz .LBB222_1954
; %bb.1952:
	s_or_b64 exec, exec, s[6:7]
	s_and_saveexec_b64 s[6:7], s[10:11]
	s_xor_b64 s[6:7], exec, s[6:7]
	s_cbranch_execz .LBB222_1955
.LBB222_1953:
	global_load_ubyte v0, v[8:9], off
	s_waitcnt vmcnt(1)
	v_mov_b32_e32 v1, 0x3ff00000
	v_mov_b32_e32 v4, 0
	s_or_b64 s[14:15], s[14:15], exec
	s_waitcnt vmcnt(0)
	v_cmp_ne_u16_e32 vcc, 0, v0
	v_cndmask_b32_e32 v5, 0, v1, vcc
	s_or_b64 exec, exec, s[6:7]
	s_and_saveexec_b64 s[6:7], s[16:17]
	s_cbranch_execz .LBB222_2001
	s_branch .LBB222_1956
.LBB222_1954:
	s_or_b64 s[22:23], s[22:23], exec
	s_andn2_b64 s[10:11], s[10:11], exec
	s_trap 2
                                        ; implicit-def: $vgpr4_vgpr5
	s_or_b64 exec, exec, s[6:7]
	s_and_saveexec_b64 s[6:7], s[10:11]
	s_xor_b64 s[6:7], exec, s[6:7]
	s_cbranch_execnz .LBB222_1953
.LBB222_1955:
	s_or_b64 exec, exec, s[6:7]
	s_and_saveexec_b64 s[6:7], s[16:17]
	s_cbranch_execz .LBB222_2001
.LBB222_1956:
	v_cmp_gt_i16_e32 vcc, 5, v44
	s_cbranch_vccnz .LBB222_1961
; %bb.1957:
	v_cmp_gt_i16_e32 vcc, 8, v44
	s_cbranch_vccnz .LBB222_1962
; %bb.1958:
	;; [unrolled: 3-line block ×3, first 2 shown]
	v_cmp_lt_i16_e32 vcc, 9, v44
	s_cbranch_vccz .LBB222_1964
; %bb.1960:
	global_load_dwordx2 v[4:5], v[8:9], off
	s_mov_b64 s[8:9], 0
	s_branch .LBB222_1965
.LBB222_1961:
                                        ; implicit-def: $vgpr4_vgpr5
	s_branch .LBB222_1982
.LBB222_1962:
                                        ; implicit-def: $vgpr4_vgpr5
	s_branch .LBB222_1971
.LBB222_1963:
	s_mov_b64 s[8:9], -1
                                        ; implicit-def: $vgpr4_vgpr5
	s_branch .LBB222_1968
.LBB222_1964:
	s_mov_b64 s[8:9], -1
                                        ; implicit-def: $vgpr4_vgpr5
.LBB222_1965:
	s_andn2_b64 vcc, exec, s[8:9]
	s_cbranch_vccnz .LBB222_1967
; %bb.1966:
	global_load_dword v0, v[8:9], off
	s_waitcnt vmcnt(0)
	v_cvt_f64_f32_e32 v[4:5], v0
.LBB222_1967:
	s_mov_b64 s[8:9], 0
.LBB222_1968:
	s_andn2_b64 vcc, exec, s[8:9]
	s_cbranch_vccnz .LBB222_1970
; %bb.1969:
	global_load_dword v0, v[8:9], off
	s_waitcnt vmcnt(0)
	v_cvt_f32_f16_e32 v0, v0
	v_cvt_f64_f32_e32 v[4:5], v0
.LBB222_1970:
	s_cbranch_execnz .LBB222_1981
.LBB222_1971:
	v_cmp_gt_i16_e32 vcc, 6, v44
	s_cbranch_vccnz .LBB222_1974
; %bb.1972:
	v_cmp_lt_i16_e32 vcc, 6, v44
	s_cbranch_vccz .LBB222_1975
; %bb.1973:
	global_load_dwordx2 v[4:5], v[8:9], off
	s_mov_b64 s[8:9], 0
	s_branch .LBB222_1976
.LBB222_1974:
	s_mov_b64 s[8:9], -1
                                        ; implicit-def: $vgpr4_vgpr5
	s_branch .LBB222_1979
.LBB222_1975:
	s_mov_b64 s[8:9], -1
                                        ; implicit-def: $vgpr4_vgpr5
.LBB222_1976:
	s_andn2_b64 vcc, exec, s[8:9]
	s_cbranch_vccnz .LBB222_1978
; %bb.1977:
	global_load_dword v0, v[8:9], off
	s_waitcnt vmcnt(0)
	v_cvt_f64_f32_e32 v[4:5], v0
.LBB222_1978:
	s_mov_b64 s[8:9], 0
.LBB222_1979:
	s_andn2_b64 vcc, exec, s[8:9]
	s_cbranch_vccnz .LBB222_1981
; %bb.1980:
	global_load_ushort v0, v[8:9], off
	s_waitcnt vmcnt(0)
	v_cvt_f32_f16_e32 v0, v0
	v_cvt_f64_f32_e32 v[4:5], v0
.LBB222_1981:
	s_cbranch_execnz .LBB222_2000
.LBB222_1982:
	v_cmp_gt_i16_e32 vcc, 2, v44
	s_cbranch_vccnz .LBB222_1986
; %bb.1983:
	v_cmp_gt_i16_e32 vcc, 3, v44
	s_cbranch_vccnz .LBB222_1987
; %bb.1984:
	v_cmp_lt_i16_e32 vcc, 3, v44
	s_cbranch_vccz .LBB222_1988
; %bb.1985:
	global_load_dwordx2 v[0:1], v[8:9], off
	s_mov_b64 s[8:9], 0
	s_waitcnt vmcnt(0)
	v_cvt_f64_i32_e32 v[4:5], v1
	v_cvt_f64_u32_e32 v[0:1], v0
	v_ldexp_f64 v[4:5], v[4:5], 32
	v_add_f64 v[4:5], v[4:5], v[0:1]
	s_branch .LBB222_1989
.LBB222_1986:
                                        ; implicit-def: $vgpr4_vgpr5
	s_branch .LBB222_1995
.LBB222_1987:
	s_mov_b64 s[8:9], -1
                                        ; implicit-def: $vgpr4_vgpr5
	s_branch .LBB222_1992
.LBB222_1988:
	s_mov_b64 s[8:9], -1
                                        ; implicit-def: $vgpr4_vgpr5
.LBB222_1989:
	s_andn2_b64 vcc, exec, s[8:9]
	s_cbranch_vccnz .LBB222_1991
; %bb.1990:
	global_load_dword v0, v[8:9], off
	s_waitcnt vmcnt(0)
	v_cvt_f64_i32_e32 v[4:5], v0
.LBB222_1991:
	s_mov_b64 s[8:9], 0
.LBB222_1992:
	s_andn2_b64 vcc, exec, s[8:9]
	s_cbranch_vccnz .LBB222_1994
; %bb.1993:
	global_load_sshort v0, v[8:9], off
	s_waitcnt vmcnt(0)
	v_cvt_f64_i32_e32 v[4:5], v0
.LBB222_1994:
	s_cbranch_execnz .LBB222_2000
.LBB222_1995:
	v_cmp_lt_i16_e32 vcc, 0, v44
	s_cbranch_vccz .LBB222_1997
; %bb.1996:
	global_load_sbyte v0, v[8:9], off
	s_mov_b64 s[8:9], 0
	s_waitcnt vmcnt(0)
	v_cvt_f64_i32_e32 v[4:5], v0
	s_branch .LBB222_1998
.LBB222_1997:
	s_mov_b64 s[8:9], -1
                                        ; implicit-def: $vgpr4_vgpr5
.LBB222_1998:
	s_andn2_b64 vcc, exec, s[8:9]
	s_cbranch_vccnz .LBB222_2000
; %bb.1999:
	global_load_ubyte v0, v[8:9], off
	s_waitcnt vmcnt(0)
	v_cvt_f64_u32_e32 v[4:5], v0
.LBB222_2000:
	s_or_b64 s[14:15], s[14:15], exec
.LBB222_2001:
	s_or_b64 exec, exec, s[6:7]
	s_mov_b64 s[10:11], 0
	s_mov_b64 s[8:9], 0
                                        ; implicit-def: $vgpr10
                                        ; implicit-def: $vgpr8_vgpr9
                                        ; implicit-def: $vgpr0_vgpr1
	s_and_saveexec_b64 s[16:17], s[14:15]
	s_cbranch_execz .LBB222_2080
; %bb.2002:
	v_writelane_b32 v86, s16, 8
	v_writelane_b32 v86, s17, 9
	;; [unrolled: 1-line block ×5, first 2 shown]
	s_waitcnt vmcnt(0)
	v_mov_b32_e32 v0, v6
	v_mov_b32_e32 v1, v7
	v_writelane_b32 v86, s47, 7
	s_mov_b64 s[90:91], s[56:57]
	s_mov_b64 s[92:93], s[44:45]
	s_mov_b32 s96, s33
	s_mov_b32 s33, s37
	s_mov_b64 s[94:95], s[4:5]
	s_getpc_b64 s[4:5]
	s_add_u32 s4, s4, _ZZZZN2at6native28launch_dirichlet_grad_kernelERNS_18TensorIteratorBaseEENKUlvE_clEvENKUlvE_clEvENKUldddE_clEddd@rel32@lo+4
	s_addc_u32 s5, s5, _ZZZZN2at6native28launch_dirichlet_grad_kernelERNS_18TensorIteratorBaseEENKUlvE_clEvENKUlvE_clEvENKUldddE_clEddd@rel32@hi+12
	s_swappc_b64 s[30:31], s[4:5]
	v_mov_b32_e32 v2, s89
	v_add_co_u32_e32 v8, vcc, s88, v42
	v_addc_co_u32_e32 v9, vcc, 0, v2, vcc
	v_and_b32_e32 v10, 0xff, v41
	v_cmp_gt_i16_e32 vcc, 11, v10
	s_cbranch_vccnz .LBB222_2076
; %bb.2003:
	v_cmp_lt_i16_e32 vcc, 25, v10
	v_readlane_b32 s6, v87, 26
	v_readlane_b32 s46, v86, 6
	;; [unrolled: 1-line block ×3, first 2 shown]
	s_mov_b64 s[10:11], -1
	s_and_b64 vcc, exec, vcc
	v_readlane_b32 s7, v87, 27
	s_mov_b64 s[4:5], s[94:95]
	s_mov_b32 s37, s33
	s_mov_b32 s33, s96
	s_mov_b64 s[42:43], 0
	s_mov_b64 s[44:45], s[92:93]
	v_readlane_b32 s47, v86, 7
	s_mov_b64 s[56:57], s[90:91]
	v_readlane_b32 s23, v86, 11
	s_cbranch_vccz .LBB222_2036
; %bb.2004:
	v_cmp_lt_i16_e32 vcc, 28, v10
	v_readlane_b32 s6, v87, 26
	s_mov_b64 s[8:9], -1
	v_readlane_b32 s7, v87, 27
	s_cbranch_vccz .LBB222_2020
; %bb.2005:
	v_cmp_lt_i16_e32 vcc, 43, v10
	v_readlane_b32 s6, v87, 26
	v_readlane_b32 s7, v87, 27
	s_cbranch_vccz .LBB222_2016
; %bb.2006:
	v_cmp_lt_i16_e32 vcc, 45, v10
	v_readlane_b32 s6, v87, 26
	v_readlane_b32 s7, v87, 27
	s_cbranch_vccz .LBB222_2010
; %bb.2007:
	v_cmp_eq_u16_e32 vcc, 46, v10
	s_mov_b64 s[6:7], -1
	s_cbranch_vccz .LBB222_2009
; %bb.2008:
	v_cvt_f32_f64_e32 v2, v[0:1]
	v_bfe_u32 v3, v2, 16, 1
	s_movk_i32 s6, 0x7fff
	v_add3_u32 v3, v2, v3, s6
	v_lshrrev_b32_e32 v3, 16, v3
	v_mov_b32_e32 v4, 0x7fc0
	v_cmp_o_f32_e32 vcc, v2, v2
	v_cndmask_b32_e32 v2, v4, v3, vcc
	global_store_dword v[8:9], v2, off
	s_mov_b64 s[6:7], 0
.LBB222_2009:
	s_mov_b64 s[8:9], 0
.LBB222_2010:
	s_and_b64 vcc, exec, s[8:9]
	s_cbranch_vccz .LBB222_2015
; %bb.2011:
	v_cmp_eq_u16_e32 vcc, 44, v10
	s_mov_b64 s[6:7], -1
	s_cbranch_vccz .LBB222_2015
; %bb.2012:
	v_cvt_f32_f64_e32 v2, v[0:1]
	v_bfe_u32 v3, v2, 23, 8
	s_movk_i32 s6, 0xff
	v_cmp_ne_u32_e32 vcc, s6, v3
	v_mov_b32_e32 v4, 0xff
	s_and_saveexec_b64 s[8:9], vcc
; %bb.2013:
	s_mov_b32 s6, 0x3fffff
	v_lshrrev_b32_e32 v4, 23, v2
	v_and_b32_e32 v5, 0x400000, v2
	v_and_or_b32 v2, v2, s6, v3
	v_cmp_ne_u32_e32 vcc, 0, v5
	v_cmp_ne_u32_e64 s[6:7], 0, v2
	s_and_b64 s[6:7], vcc, s[6:7]
	v_cndmask_b32_e64 v2, 0, 1, s[6:7]
	v_add_u32_e32 v4, v4, v2
; %bb.2014:
	s_or_b64 exec, exec, s[8:9]
	s_mov_b64 s[6:7], 0
	global_store_byte v[8:9], v4, off
.LBB222_2015:
	s_mov_b64 s[8:9], 0
.LBB222_2016:
	s_and_b64 vcc, exec, s[8:9]
	s_cbranch_vccz .LBB222_2019
; %bb.2017:
	v_cmp_eq_u16_e32 vcc, 29, v10
	s_mov_b64 s[6:7], -1
	s_cbranch_vccz .LBB222_2019
; %bb.2018:
	v_trunc_f64_e32 v[2:3], v[0:1]
	s_movk_i32 s6, 0xffe0
	v_ldexp_f64 v[4:5], v[2:3], s6
	v_floor_f64_e32 v[4:5], v[4:5]
	v_fmac_f64_e32 v[2:3], 0xc1f00000, v[4:5]
	v_cvt_u32_f64_e32 v7, v[4:5]
	v_cvt_u32_f64_e32 v6, v[2:3]
	global_store_dwordx2 v[8:9], v[6:7], off
	s_mov_b64 s[6:7], 0
.LBB222_2019:
	s_mov_b64 s[8:9], 0
.LBB222_2020:
	s_and_b64 vcc, exec, s[8:9]
	s_cbranch_vccz .LBB222_2035
; %bb.2021:
	v_cmp_gt_i16_e32 vcc, 27, v10
	s_mov_b64 s[8:9], -1
	s_cbranch_vccnz .LBB222_2027
; %bb.2022:
	v_cmp_lt_i16_e32 vcc, 27, v10
	s_cbranch_vccz .LBB222_2024
; %bb.2023:
	v_cvt_u32_f64_e32 v2, v[0:1]
	s_mov_b64 s[8:9], 0
	global_store_dword v[8:9], v2, off
.LBB222_2024:
	s_andn2_b64 vcc, exec, s[8:9]
	s_cbranch_vccnz .LBB222_2026
; %bb.2025:
	v_cvt_u32_f64_e32 v2, v[0:1]
	global_store_short v[8:9], v2, off
.LBB222_2026:
	s_mov_b64 s[8:9], 0
.LBB222_2027:
	s_andn2_b64 vcc, exec, s[8:9]
	s_cbranch_vccnz .LBB222_2035
; %bb.2028:
	v_cvt_f32_f64_e32 v2, v[0:1]
	v_and_b32_e32 v3, 0x7fffffff, v2
	s_mov_b32 s8, 0x43800000
	v_cmp_gt_u32_e32 vcc, s8, v3
	v_mov_b32_e32 v4, 0x80
	s_and_saveexec_b64 s[8:9], vcc
	s_cbranch_execz .LBB222_2034
; %bb.2029:
	s_mov_b32 s10, 0x3bffffff
	v_cmp_lt_u32_e32 vcc, s10, v3
	s_mov_b64 s[10:11], 0
                                        ; implicit-def: $vgpr3
	s_and_saveexec_b64 s[12:13], vcc
	s_xor_b64 s[12:13], exec, s[12:13]
	s_cbranch_execz .LBB222_2177
; %bb.2030:
	v_bfe_u32 v3, v2, 20, 1
	s_mov_b32 s14, 0x487ffff
	v_add3_u32 v3, v2, v3, s14
	s_mov_b64 s[10:11], exec
	v_lshrrev_b32_e32 v3, 20, v3
	s_or_saveexec_b64 s[12:13], s[12:13]
                                        ; implicit-def: $sgpr14
	s_xor_b64 exec, exec, s[12:13]
	s_cbranch_execnz .LBB222_2178
.LBB222_2031:
	s_or_b64 exec, exec, s[12:13]
	v_mov_b32_e32 v4, s14
	s_and_saveexec_b64 s[12:13], s[10:11]
.LBB222_2032:
	v_lshrrev_b32_e32 v2, 24, v2
	s_movk_i32 s10, 0x80
	v_and_or_b32 v4, v2, s10, v3
.LBB222_2033:
	s_or_b64 exec, exec, s[12:13]
.LBB222_2034:
	s_or_b64 exec, exec, s[8:9]
	global_store_byte v[8:9], v4, off
.LBB222_2035:
	s_mov_b64 s[10:11], 0
.LBB222_2036:
	s_mov_b64 s[8:9], 0
	s_and_b64 vcc, exec, s[10:11]
	s_cbranch_vccz .LBB222_2077
; %bb.2037:
	v_cmp_lt_i16_e32 vcc, 22, v10
	s_mov_b64 s[10:11], -1
	s_cbranch_vccz .LBB222_2069
; %bb.2038:
	v_cmp_gt_i16_e32 vcc, 24, v10
	s_cbranch_vccnz .LBB222_2058
; %bb.2039:
	v_cmp_lt_i16_e32 vcc, 24, v10
	s_cbranch_vccz .LBB222_2047
; %bb.2040:
	v_cvt_f32_f64_e32 v2, v[0:1]
	v_and_b32_e32 v3, 0x7fffffff, v2
	s_mov_b32 s10, 0x47800000
	v_cmp_gt_u32_e32 vcc, s10, v3
	v_mov_b32_e32 v4, 0x80
	s_and_saveexec_b64 s[10:11], vcc
	s_cbranch_execz .LBB222_2046
; %bb.2041:
	s_mov_b32 s12, 0x37ffffff
	v_cmp_lt_u32_e32 vcc, s12, v3
	s_mov_b64 s[12:13], 0
                                        ; implicit-def: $vgpr3
	s_and_saveexec_b64 s[14:15], vcc
	s_xor_b64 s[14:15], exec, s[14:15]
	s_cbranch_execz .LBB222_2302
; %bb.2042:
	v_bfe_u32 v3, v2, 21, 1
	s_mov_b32 s16, 0x88fffff
	v_add3_u32 v3, v2, v3, s16
	s_mov_b64 s[12:13], exec
	v_lshrrev_b32_e32 v3, 21, v3
	s_or_saveexec_b64 s[14:15], s[14:15]
                                        ; implicit-def: $sgpr16
	s_xor_b64 exec, exec, s[14:15]
	s_cbranch_execnz .LBB222_2303
.LBB222_2043:
	s_or_b64 exec, exec, s[14:15]
	v_mov_b32_e32 v4, s16
	s_and_saveexec_b64 s[14:15], s[12:13]
.LBB222_2044:
	v_lshrrev_b32_e32 v2, 24, v2
	s_movk_i32 s12, 0x80
	v_and_or_b32 v4, v2, s12, v3
.LBB222_2045:
	s_or_b64 exec, exec, s[14:15]
.LBB222_2046:
	s_or_b64 exec, exec, s[10:11]
	s_mov_b64 s[10:11], 0
	global_store_byte v[8:9], v4, off
.LBB222_2047:
	s_and_b64 vcc, exec, s[10:11]
	s_cbranch_vccz .LBB222_2057
; %bb.2048:
	v_cvt_f32_f64_e32 v2, v[0:1]
	v_and_b32_e32 v4, 0x7fffffff, v2
	s_mov_b32 s10, 0x43f00000
	v_cmp_gt_u32_e32 vcc, s10, v4
                                        ; implicit-def: $vgpr3
	s_and_saveexec_b64 s[10:11], vcc
	s_xor_b64 s[10:11], exec, s[10:11]
	s_cbranch_execz .LBB222_2054
; %bb.2049:
	s_mov_b32 s12, 0x3c7fffff
	v_cmp_lt_u32_e32 vcc, s12, v4
                                        ; implicit-def: $vgpr3
	s_and_saveexec_b64 s[12:13], vcc
	s_xor_b64 s[12:13], exec, s[12:13]
; %bb.2050:
	v_bfe_u32 v3, v2, 20, 1
	s_mov_b32 s14, 0x407ffff
	v_add3_u32 v3, v2, v3, s14
	v_lshrrev_b32_e32 v4, 20, v3
	v_and_b32_e32 v3, 0xff00000, v3
	s_mov_b32 s14, 0x7f00000
	v_mov_b32_e32 v5, 0x7e
	v_cmp_ne_u32_e32 vcc, s14, v3
	v_cndmask_b32_e32 v3, v5, v4, vcc
; %bb.2051:
	s_andn2_saveexec_b64 s[12:13], s[12:13]
; %bb.2052:
	s_mov_b32 s14, 0x46800000
	v_add_f32_e64 v3, |v2|, s14
; %bb.2053:
	s_or_b64 exec, exec, s[12:13]
                                        ; implicit-def: $vgpr4
.LBB222_2054:
	s_andn2_saveexec_b64 s[10:11], s[10:11]
; %bb.2055:
	s_mov_b32 s12, 0x7f800000
	v_mov_b32_e32 v3, 0x7e
	v_mov_b32_e32 v5, 0x7f
	v_cmp_lt_u32_e32 vcc, s12, v4
	v_cndmask_b32_e32 v3, v3, v5, vcc
; %bb.2056:
	s_or_b64 exec, exec, s[10:11]
	v_lshrrev_b32_e32 v2, 24, v2
	s_movk_i32 s10, 0x80
	v_and_or_b32 v2, v2, s10, v3
	global_store_byte v[8:9], v2, off
.LBB222_2057:
	s_mov_b64 s[10:11], 0
.LBB222_2058:
	s_andn2_b64 vcc, exec, s[10:11]
	s_cbranch_vccnz .LBB222_2068
; %bb.2059:
	v_cvt_f32_f64_e32 v2, v[0:1]
	v_and_b32_e32 v4, 0x7fffffff, v2
	s_mov_b32 s10, 0x47800000
	v_cmp_gt_u32_e32 vcc, s10, v4
                                        ; implicit-def: $vgpr3
	s_and_saveexec_b64 s[10:11], vcc
	s_xor_b64 s[10:11], exec, s[10:11]
	s_cbranch_execz .LBB222_2065
; %bb.2060:
	s_mov_b32 s12, 0x387fffff
	v_cmp_lt_u32_e32 vcc, s12, v4
                                        ; implicit-def: $vgpr3
	s_and_saveexec_b64 s[12:13], vcc
	s_xor_b64 s[12:13], exec, s[12:13]
; %bb.2061:
	v_bfe_u32 v3, v2, 21, 1
	s_mov_b32 s14, 0x80fffff
	v_add3_u32 v3, v2, v3, s14
	v_lshrrev_b32_e32 v3, 21, v3
; %bb.2062:
	s_andn2_saveexec_b64 s[12:13], s[12:13]
; %bb.2063:
	s_mov_b32 s14, 0x43000000
	v_add_f32_e64 v3, |v2|, s14
; %bb.2064:
	s_or_b64 exec, exec, s[12:13]
                                        ; implicit-def: $vgpr4
.LBB222_2065:
	s_andn2_saveexec_b64 s[10:11], s[10:11]
; %bb.2066:
	s_mov_b32 s12, 0x7f800000
	v_mov_b32_e32 v3, 0x7c
	v_mov_b32_e32 v5, 0x7f
	v_cmp_lt_u32_e32 vcc, s12, v4
	v_cndmask_b32_e32 v3, v3, v5, vcc
; %bb.2067:
	s_or_b64 exec, exec, s[10:11]
	v_lshrrev_b32_e32 v2, 24, v2
	s_movk_i32 s10, 0x80
	v_and_or_b32 v2, v2, s10, v3
	global_store_byte v[8:9], v2, off
.LBB222_2068:
	s_mov_b64 s[10:11], 0
.LBB222_2069:
	s_andn2_b64 vcc, exec, s[10:11]
	s_mov_b64 s[10:11], 0
	s_cbranch_vccnz .LBB222_2078
; %bb.2070:
	v_cmp_lt_i16_e32 vcc, 14, v10
	s_mov_b64 s[12:13], -1
	s_cbranch_vccz .LBB222_2074
; %bb.2071:
	v_cmp_eq_u16_e32 vcc, 15, v10
	s_mov_b64 s[6:7], -1
	s_cbranch_vccz .LBB222_2073
; %bb.2072:
	v_cvt_f32_f64_e32 v2, v[0:1]
	v_bfe_u32 v3, v2, 16, 1
	s_movk_i32 s6, 0x7fff
	v_add3_u32 v3, v2, v3, s6
	v_lshrrev_b32_e32 v3, 16, v3
	v_mov_b32_e32 v4, 0x7fc0
	v_cmp_o_f32_e32 vcc, v2, v2
	v_cndmask_b32_e32 v2, v4, v3, vcc
	global_store_short v[8:9], v2, off
	s_mov_b64 s[6:7], 0
.LBB222_2073:
	s_mov_b64 s[12:13], 0
.LBB222_2074:
	s_and_b64 vcc, exec, s[12:13]
	s_cbranch_vccz .LBB222_2078
; %bb.2075:
	v_cmp_ne_u16_e32 vcc, 11, v10
	s_andn2_b64 s[6:7], s[6:7], exec
	s_and_b64 s[12:13], vcc, exec
	s_mov_b64 s[10:11], -1
	s_or_b64 s[6:7], s[6:7], s[12:13]
	s_branch .LBB222_2078
.LBB222_2076:
	v_readlane_b32 s12, v87, 26
	v_readlane_b32 s13, v87, 27
	;; [unrolled: 1-line block ×5, first 2 shown]
	s_mov_b64 s[10:11], 0
	s_mov_b64 s[8:9], -1
	s_mov_b64 s[6:7], s[12:13]
	s_mov_b64 s[4:5], s[94:95]
	s_mov_b32 s37, s33
	s_mov_b32 s33, s96
	s_mov_b64 s[42:43], 0
	s_mov_b64 s[44:45], s[92:93]
	v_readlane_b32 s47, v86, 7
	s_mov_b64 s[56:57], s[90:91]
	v_readlane_b32 s23, v86, 11
	v_readlane_b32 s17, v86, 9
	s_branch .LBB222_2079
.LBB222_2077:
	s_mov_b64 s[10:11], 0
.LBB222_2078:
	v_readlane_b32 s16, v86, 8
	v_readlane_b32 s12, v87, 26
	;; [unrolled: 1-line block ×4, first 2 shown]
.LBB222_2079:
	s_andn2_b64 s[12:13], s[12:13], exec
	s_and_b64 s[6:7], s[6:7], exec
	s_or_b64 s[6:7], s[12:13], s[6:7]
	v_writelane_b32 v87, s6, 26
	s_and_b64 s[8:9], s[8:9], exec
	s_and_b64 s[10:11], s[10:11], exec
	v_writelane_b32 v87, s7, 27
.LBB222_2080:
	s_or_b64 exec, exec, s[16:17]
	s_mov_b64 s[6:7], exec
	v_readlane_b32 s12, v87, 26
	v_readlane_b32 s13, v87, 27
	s_and_b64 s[12:13], s[6:7], s[12:13]
	s_mov_b64 exec, s[12:13]
	s_cbranch_execnz .LBB222_2083
; %bb.2081:
	s_or_b64 exec, exec, s[6:7]
	s_and_saveexec_b64 s[6:7], s[10:11]
	s_xor_b64 s[6:7], exec, s[6:7]
	s_cbranch_execz .LBB222_2084
.LBB222_2082:
	s_waitcnt vmcnt(0)
	v_cmp_neq_f64_e32 vcc, 0, v[0:1]
	v_cndmask_b32_e64 v2, 0, 1, vcc
	global_store_byte v[8:9], v2, off
	s_or_b64 exec, exec, s[6:7]
	s_and_saveexec_b64 s[6:7], s[8:9]
	s_xor_b64 s[6:7], exec, s[6:7]
	s_cbranch_execz .LBB222_2122
	s_branch .LBB222_2085
.LBB222_2083:
	s_or_b64 s[22:23], s[22:23], exec
	s_andn2_b64 s[10:11], s[10:11], exec
	s_trap 2
	s_or_b64 exec, exec, s[6:7]
	s_and_saveexec_b64 s[6:7], s[10:11]
	s_xor_b64 s[6:7], exec, s[6:7]
	s_cbranch_execnz .LBB222_2082
.LBB222_2084:
	s_or_b64 exec, exec, s[6:7]
	s_and_saveexec_b64 s[6:7], s[8:9]
	s_xor_b64 s[6:7], exec, s[6:7]
	s_cbranch_execz .LBB222_2122
.LBB222_2085:
	v_cmp_gt_i16_e32 vcc, 5, v10
	s_mov_b64 s[8:9], -1
	s_cbranch_vccnz .LBB222_2106
; %bb.2086:
	v_cmp_gt_i16_e32 vcc, 8, v10
	s_cbranch_vccnz .LBB222_2096
; %bb.2087:
	v_cmp_gt_i16_e32 vcc, 9, v10
	s_cbranch_vccnz .LBB222_2093
; %bb.2088:
	v_cmp_lt_i16_e32 vcc, 9, v10
	s_cbranch_vccz .LBB222_2090
; %bb.2089:
	s_waitcnt vmcnt(0)
	v_mov_b32_e32 v2, 0
	v_mov_b32_e32 v3, v2
	s_mov_b64 s[8:9], 0
	global_store_dwordx4 v[8:9], v[0:3], off
.LBB222_2090:
	s_andn2_b64 vcc, exec, s[8:9]
	s_cbranch_vccnz .LBB222_2092
; %bb.2091:
	s_waitcnt vmcnt(0)
	v_cvt_f32_f64_e32 v2, v[0:1]
	v_mov_b32_e32 v3, 0
	global_store_dwordx2 v[8:9], v[2:3], off
.LBB222_2092:
	s_mov_b64 s[8:9], 0
.LBB222_2093:
	s_andn2_b64 vcc, exec, s[8:9]
	s_cbranch_vccnz .LBB222_2095
; %bb.2094:
	s_waitcnt vmcnt(0)
	v_cvt_f32_f64_e32 v2, v[0:1]
	v_cvt_f16_f32_e32 v2, v2
	global_store_dword v[8:9], v2, off
.LBB222_2095:
	s_mov_b64 s[8:9], 0
.LBB222_2096:
	s_andn2_b64 vcc, exec, s[8:9]
	s_cbranch_vccnz .LBB222_2105
; %bb.2097:
	v_cmp_gt_i16_e32 vcc, 6, v10
	s_mov_b64 s[8:9], -1
	s_cbranch_vccnz .LBB222_2103
; %bb.2098:
	v_cmp_lt_i16_e32 vcc, 6, v10
	s_cbranch_vccz .LBB222_2100
; %bb.2099:
	s_mov_b64 s[8:9], 0
	s_waitcnt vmcnt(0)
	global_store_dwordx2 v[8:9], v[0:1], off
.LBB222_2100:
	s_andn2_b64 vcc, exec, s[8:9]
	s_cbranch_vccnz .LBB222_2102
; %bb.2101:
	s_waitcnt vmcnt(0)
	v_cvt_f32_f64_e32 v2, v[0:1]
	global_store_dword v[8:9], v2, off
.LBB222_2102:
	s_mov_b64 s[8:9], 0
.LBB222_2103:
	s_andn2_b64 vcc, exec, s[8:9]
	s_cbranch_vccnz .LBB222_2105
; %bb.2104:
	s_waitcnt vmcnt(0)
	v_cvt_f32_f64_e32 v2, v[0:1]
	v_cvt_f16_f32_e32 v2, v2
	global_store_short v[8:9], v2, off
.LBB222_2105:
	s_mov_b64 s[8:9], 0
.LBB222_2106:
	s_andn2_b64 vcc, exec, s[8:9]
	s_cbranch_vccnz .LBB222_2122
; %bb.2107:
	v_cmp_gt_i16_e32 vcc, 2, v10
	s_mov_b64 s[8:9], -1
	s_cbranch_vccnz .LBB222_2117
; %bb.2108:
	v_cmp_gt_i16_e32 vcc, 3, v10
	s_cbranch_vccnz .LBB222_2114
; %bb.2109:
	v_cmp_lt_i16_e32 vcc, 3, v10
	s_cbranch_vccz .LBB222_2111
; %bb.2110:
	s_waitcnt vmcnt(0)
	v_trunc_f64_e32 v[2:3], v[0:1]
	s_movk_i32 s8, 0xffe0
	v_ldexp_f64 v[4:5], v[2:3], s8
	v_floor_f64_e32 v[4:5], v[4:5]
	v_fmac_f64_e32 v[2:3], 0xc1f00000, v[4:5]
	v_cvt_i32_f64_e32 v7, v[4:5]
	v_cvt_u32_f64_e32 v6, v[2:3]
	s_mov_b64 s[8:9], 0
	global_store_dwordx2 v[8:9], v[6:7], off
.LBB222_2111:
	s_andn2_b64 vcc, exec, s[8:9]
	s_cbranch_vccnz .LBB222_2113
; %bb.2112:
	s_waitcnt vmcnt(0)
	v_cvt_i32_f64_e32 v2, v[0:1]
	global_store_dword v[8:9], v2, off
.LBB222_2113:
	s_mov_b64 s[8:9], 0
.LBB222_2114:
	s_andn2_b64 vcc, exec, s[8:9]
	s_cbranch_vccnz .LBB222_2116
; %bb.2115:
	s_waitcnt vmcnt(0)
	v_cvt_i32_f64_e32 v2, v[0:1]
	global_store_short v[8:9], v2, off
.LBB222_2116:
	s_mov_b64 s[8:9], 0
.LBB222_2117:
	s_andn2_b64 vcc, exec, s[8:9]
	s_cbranch_vccnz .LBB222_2122
; %bb.2118:
	v_cmp_lt_i16_e32 vcc, 0, v10
	s_mov_b64 s[8:9], -1
	s_cbranch_vccz .LBB222_2120
; %bb.2119:
	s_waitcnt vmcnt(0)
	v_cvt_i32_f64_e32 v2, v[0:1]
	s_mov_b64 s[8:9], 0
	global_store_byte v[8:9], v2, off
.LBB222_2120:
	s_andn2_b64 vcc, exec, s[8:9]
	s_cbranch_vccnz .LBB222_2122
; %bb.2121:
	s_waitcnt vmcnt(0)
	v_trunc_f64_e32 v[0:1], v[0:1]
	s_movk_i32 s8, 0xffe0
	v_ldexp_f64 v[2:3], v[0:1], s8
	v_floor_f64_e32 v[2:3], v[2:3]
	v_fmac_f64_e32 v[0:1], 0xc1f00000, v[2:3]
	v_cvt_u32_f64_e32 v0, v[0:1]
	global_store_byte v[8:9], v0, off
.LBB222_2122:
	s_or_b64 exec, exec, s[6:7]
	s_and_b64 s[94:95], s[22:23], exec
                                        ; implicit-def: $vgpr24
                                        ; implicit-def: $vgpr45
.LBB222_2123:
	s_or_saveexec_b64 s[92:93], s[46:47]
	s_mov_b64 s[8:9], 0
                                        ; implicit-def: $vgpr4_vgpr5
                                        ; implicit-def: $vgpr6
                                        ; implicit-def: $vgpr0_vgpr1
	s_xor_b64 exec, exec, s[92:93]
	s_cbranch_execz .LBB222_4175
; %bb.2124:
	s_waitcnt vmcnt(0)
	v_cndmask_b32_e64 v0, 0, 1, s[44:45]
	v_cmp_ne_u32_e64 s[6:7], 1, v0
	s_andn2_b64 vcc, exec, s[44:45]
	s_cbranch_vccnz .LBB222_2130
; %bb.2125:
	s_cmp_lg_u32 s37, 0
	v_mov_b32_e32 v0, 0
	v_mov_b32_e32 v84, 0
	;; [unrolled: 1-line block ×4, first 2 shown]
	s_cbranch_scc0 .LBB222_2131
; %bb.2126:
	s_min_u32 s24, s33, 15
	s_add_i32 s8, s24, 1
	s_and_b32 s25, s8, 30
	s_add_u32 s22, s56, 0xa4
	s_addc_u32 s23, s57, 0
	v_mov_b32_e32 v2, 0
	s_mov_b64 s[20:21], s[56:57]
	v_mov_b32_e32 v1, v45
	v_mov_b32_e32 v4, 0
	;; [unrolled: 1-line block ×4, first 2 shown]
.LBB222_2127:                           ; =>This Inner Loop Header: Depth=1
	s_load_dwordx4 s[16:19], s[20:21], 0x4
	s_load_dwordx2 s[28:29], s[20:21], 0x14
	s_mov_b64 s[26:27], s[22:23]
	s_load_dwordx8 s[8:15], s[26:27], 0x20
	s_add_u32 s22, s26, 32
	s_waitcnt lgkmcnt(0)
	v_mul_hi_u32 v3, s17, v1
	v_add_u32_e32 v3, v1, v3
	v_lshrrev_b32_e32 v3, s18, v3
	v_mul_lo_u32 v5, v3, s16
	v_mul_hi_u32 v6, s28, v3
	v_sub_u32_e32 v1, v1, v5
	v_add_u32_e32 v5, v3, v6
	v_mul_lo_u32 v6, v1, s8
	v_mul_lo_u32 v7, v1, s9
	;; [unrolled: 1-line block ×4, first 2 shown]
	v_lshrrev_b32_e32 v1, s29, v5
	s_addc_u32 s23, s27, 0
	v_mul_lo_u32 v5, v1, s19
	s_add_u32 s20, s20, 24
	v_sub_u32_e32 v3, v3, v5
	s_addc_u32 s21, s21, 0
	s_add_i32 s25, s25, -2
	v_mul_lo_u32 v5, v3, s12
	v_mul_lo_u32 v10, v3, s13
	;; [unrolled: 1-line block ×4, first 2 shown]
	s_cmp_lg_u32 s25, 0
	v_add3_u32 v0, v7, v0, v10
	v_add3_u32 v84, v6, v84, v5
	;; [unrolled: 1-line block ×4, first 2 shown]
	s_cbranch_scc1 .LBB222_2127
; %bb.2128:
	s_bitcmp1_b32 s24, 0
	s_cselect_b64 s[8:9], -1, 0
	s_and_b64 vcc, exec, s[8:9]
	s_cbranch_vccnz .LBB222_2131
; %bb.2129:
	s_load_dwordx2 s[12:13], s[20:21], 0x4
	s_load_dword s14, s[20:21], 0xc
	s_load_dwordx4 s[8:11], s[22:23], 0x20
	s_waitcnt lgkmcnt(0)
	v_mul_hi_u32 v3, s13, v1
	v_add_u32_e32 v3, v1, v3
	v_lshrrev_b32_e32 v3, s14, v3
	v_mul_lo_u32 v3, v3, s12
	v_sub_u32_e32 v5, v1, v3
	v_mad_u64_u32 v[84:85], s[12:13], v5, s8, v[84:85]
	v_mad_u64_u32 v[0:1], s[8:9], v5, s9, v[0:1]
	;; [unrolled: 1-line block ×4, first 2 shown]
	s_cbranch_execz .LBB222_2132
	s_branch .LBB222_2134
.LBB222_2130:
                                        ; implicit-def: $vgpr0
                                        ; implicit-def: $vgpr84
                                        ; implicit-def: $vgpr4
                                        ; implicit-def: $vgpr2
	s_branch .LBB222_2132
.LBB222_2131:
	s_cbranch_execnz .LBB222_2134
.LBB222_2132:
	s_load_dwordx4 s[8:11], s[56:57], 0x4
	s_load_dwordx4 s[12:15], s[56:57], 0xc4
	s_cmp_lt_u32 s37, 2
	s_waitcnt lgkmcnt(0)
	v_mul_hi_u32 v0, s9, v45
	v_add_u32_e32 v0, v45, v0
	v_lshrrev_b32_e32 v1, s10, v0
	v_mul_lo_u32 v0, v1, s8
	v_sub_u32_e32 v2, v45, v0
	v_mul_lo_u32 v0, v2, s13
	v_mul_lo_u32 v84, v2, s12
	;; [unrolled: 1-line block ×4, first 2 shown]
	s_cbranch_scc1 .LBB222_2134
; %bb.2133:
	s_load_dwordx4 s[8:11], s[56:57], 0x10
	s_load_dwordx4 s[12:15], s[56:57], 0xd4
	s_waitcnt lgkmcnt(0)
	v_mul_hi_u32 v3, s9, v1
	v_add_u32_e32 v3, v1, v3
	v_lshrrev_b32_e32 v3, s10, v3
	v_mul_lo_u32 v3, v3, s8
	v_sub_u32_e32 v5, v1, v3
	v_mad_u64_u32 v[84:85], s[8:9], v5, s12, v[84:85]
	v_mad_u64_u32 v[0:1], s[8:9], v5, s13, v[0:1]
	;; [unrolled: 1-line block ×4, first 2 shown]
.LBB222_2134:
	s_and_b64 vcc, exec, s[6:7]
	v_add_u32_e32 v1, 0x80, v45
	s_cbranch_vccnz .LBB222_2140
; %bb.2135:
	s_cmp_lg_u32 s37, 0
	v_mov_b32_e32 v22, 0
	v_mov_b32_e32 v82, 0
	v_mov_b32_e32 v18, 0
	v_mov_b32_e32 v20, 0
	s_cbranch_scc0 .LBB222_2141
; %bb.2136:
	s_min_u32 s24, s33, 15
	s_add_i32 s8, s24, 1
	s_and_b32 s25, s8, 30
	s_add_u32 s22, s56, 0xa4
	s_addc_u32 s23, s57, 0
	v_mov_b32_e32 v20, 0
	s_mov_b64 s[20:21], s[56:57]
	v_mov_b32_e32 v3, v1
	v_mov_b32_e32 v18, 0
	;; [unrolled: 1-line block ×4, first 2 shown]
.LBB222_2137:                           ; =>This Inner Loop Header: Depth=1
	s_load_dwordx4 s[16:19], s[20:21], 0x4
	s_load_dwordx2 s[28:29], s[20:21], 0x14
	s_mov_b64 s[26:27], s[22:23]
	s_load_dwordx8 s[8:15], s[26:27], 0x20
	s_add_u32 s22, s26, 32
	s_waitcnt lgkmcnt(0)
	v_mul_hi_u32 v5, s17, v3
	v_add_u32_e32 v5, v3, v5
	v_lshrrev_b32_e32 v5, s18, v5
	v_mul_lo_u32 v6, v5, s16
	v_mul_hi_u32 v7, s28, v5
	v_sub_u32_e32 v3, v3, v6
	v_add_u32_e32 v6, v5, v7
	v_mul_lo_u32 v7, v3, s8
	v_mul_lo_u32 v8, v3, s9
	v_mul_lo_u32 v9, v3, s10
	v_mul_lo_u32 v10, v3, s11
	v_lshrrev_b32_e32 v3, s29, v6
	s_addc_u32 s23, s27, 0
	v_mul_lo_u32 v6, v3, s19
	s_add_u32 s20, s20, 24
	v_sub_u32_e32 v5, v5, v6
	s_addc_u32 s21, s21, 0
	s_add_i32 s25, s25, -2
	v_mul_lo_u32 v6, v5, s12
	v_mul_lo_u32 v11, v5, s13
	;; [unrolled: 1-line block ×4, first 2 shown]
	s_cmp_lg_u32 s25, 0
	v_add3_u32 v22, v8, v22, v11
	v_add3_u32 v82, v7, v82, v6
	;; [unrolled: 1-line block ×4, first 2 shown]
	s_cbranch_scc1 .LBB222_2137
; %bb.2138:
	s_bitcmp1_b32 s24, 0
	s_cselect_b64 s[8:9], -1, 0
	s_and_b64 vcc, exec, s[8:9]
	s_cbranch_vccnz .LBB222_2141
; %bb.2139:
	s_load_dwordx2 s[12:13], s[20:21], 0x4
	s_load_dword s14, s[20:21], 0xc
	s_load_dwordx4 s[8:11], s[22:23], 0x20
	s_waitcnt lgkmcnt(0)
	v_mul_hi_u32 v5, s13, v3
	v_add_u32_e32 v5, v3, v5
	v_lshrrev_b32_e32 v5, s14, v5
	v_mul_lo_u32 v5, v5, s12
	v_sub_u32_e32 v3, v3, v5
	v_mad_u64_u32 v[82:83], s[12:13], v3, s8, v[82:83]
	v_mad_u64_u32 v[22:23], s[8:9], v3, s9, v[22:23]
	;; [unrolled: 1-line block ×4, first 2 shown]
	s_cbranch_execz .LBB222_2142
	s_branch .LBB222_2144
.LBB222_2140:
                                        ; implicit-def: $vgpr22
                                        ; implicit-def: $vgpr82
                                        ; implicit-def: $vgpr18
                                        ; implicit-def: $vgpr20
	s_branch .LBB222_2142
.LBB222_2141:
	s_cbranch_execnz .LBB222_2144
.LBB222_2142:
	s_load_dwordx4 s[8:11], s[56:57], 0x4
	s_load_dwordx4 s[12:15], s[56:57], 0xc4
	s_cmp_lt_u32 s37, 2
	s_waitcnt lgkmcnt(0)
	v_mul_hi_u32 v3, s9, v1
	v_add_u32_e32 v3, v1, v3
	v_lshrrev_b32_e32 v3, s10, v3
	v_mul_lo_u32 v5, v3, s8
	v_sub_u32_e32 v1, v1, v5
	v_mul_lo_u32 v22, v1, s13
	v_mul_lo_u32 v82, v1, s12
	;; [unrolled: 1-line block ×4, first 2 shown]
	s_cbranch_scc1 .LBB222_2144
; %bb.2143:
	s_load_dwordx4 s[8:11], s[56:57], 0x10
	s_load_dwordx4 s[12:15], s[56:57], 0xd4
	s_waitcnt lgkmcnt(0)
	v_mul_hi_u32 v1, s9, v3
	v_add_u32_e32 v1, v3, v1
	v_lshrrev_b32_e32 v1, s10, v1
	v_mul_lo_u32 v1, v1, s8
	v_sub_u32_e32 v1, v3, v1
	v_mad_u64_u32 v[82:83], s[8:9], v1, s12, v[82:83]
	v_mad_u64_u32 v[22:23], s[8:9], v1, s13, v[22:23]
	;; [unrolled: 1-line block ×4, first 2 shown]
.LBB222_2144:
	s_and_b64 vcc, exec, s[6:7]
	v_add_u32_e32 v1, 0x100, v45
	s_cbranch_vccnz .LBB222_2150
; %bb.2145:
	s_cmp_lg_u32 s37, 0
	v_mov_b32_e32 v16, 0
	v_mov_b32_e32 v78, 0
	;; [unrolled: 1-line block ×4, first 2 shown]
	s_cbranch_scc0 .LBB222_2151
; %bb.2146:
	s_min_u32 s24, s33, 15
	s_add_i32 s8, s24, 1
	s_and_b32 s25, s8, 30
	s_add_u32 s22, s56, 0xa4
	s_addc_u32 s23, s57, 0
	v_mov_b32_e32 v14, 0
	s_mov_b64 s[20:21], s[56:57]
	v_mov_b32_e32 v3, v1
	v_mov_b32_e32 v12, 0
	;; [unrolled: 1-line block ×4, first 2 shown]
.LBB222_2147:                           ; =>This Inner Loop Header: Depth=1
	s_load_dwordx4 s[16:19], s[20:21], 0x4
	s_load_dwordx2 s[28:29], s[20:21], 0x14
	s_mov_b64 s[26:27], s[22:23]
	s_load_dwordx8 s[8:15], s[26:27], 0x20
	s_add_u32 s22, s26, 32
	s_waitcnt lgkmcnt(0)
	v_mul_hi_u32 v5, s17, v3
	v_add_u32_e32 v5, v3, v5
	v_lshrrev_b32_e32 v5, s18, v5
	v_mul_lo_u32 v6, v5, s16
	v_mul_hi_u32 v7, s28, v5
	v_sub_u32_e32 v3, v3, v6
	v_add_u32_e32 v6, v5, v7
	v_mul_lo_u32 v7, v3, s8
	v_mul_lo_u32 v8, v3, s9
	;; [unrolled: 1-line block ×4, first 2 shown]
	v_lshrrev_b32_e32 v3, s29, v6
	s_addc_u32 s23, s27, 0
	v_mul_lo_u32 v6, v3, s19
	s_add_u32 s20, s20, 24
	v_sub_u32_e32 v5, v5, v6
	s_addc_u32 s21, s21, 0
	s_add_i32 s25, s25, -2
	v_mul_lo_u32 v6, v5, s12
	v_mul_lo_u32 v11, v5, s13
	;; [unrolled: 1-line block ×4, first 2 shown]
	s_cmp_lg_u32 s25, 0
	v_add3_u32 v16, v8, v16, v11
	v_add3_u32 v78, v7, v78, v6
	;; [unrolled: 1-line block ×4, first 2 shown]
	s_cbranch_scc1 .LBB222_2147
; %bb.2148:
	s_bitcmp1_b32 s24, 0
	s_cselect_b64 s[8:9], -1, 0
	s_and_b64 vcc, exec, s[8:9]
	s_cbranch_vccnz .LBB222_2151
; %bb.2149:
	s_load_dwordx2 s[12:13], s[20:21], 0x4
	s_load_dword s14, s[20:21], 0xc
	s_load_dwordx4 s[8:11], s[22:23], 0x20
	s_waitcnt lgkmcnt(0)
	v_mul_hi_u32 v5, s13, v3
	v_add_u32_e32 v5, v3, v5
	v_lshrrev_b32_e32 v5, s14, v5
	v_mul_lo_u32 v5, v5, s12
	v_sub_u32_e32 v3, v3, v5
	v_mad_u64_u32 v[78:79], s[12:13], v3, s8, v[78:79]
	v_mad_u64_u32 v[16:17], s[8:9], v3, s9, v[16:17]
	;; [unrolled: 1-line block ×4, first 2 shown]
	s_cbranch_execz .LBB222_2152
	s_branch .LBB222_2154
.LBB222_2150:
                                        ; implicit-def: $vgpr16
                                        ; implicit-def: $vgpr78
                                        ; implicit-def: $vgpr12
                                        ; implicit-def: $vgpr14
	s_branch .LBB222_2152
.LBB222_2151:
	s_cbranch_execnz .LBB222_2154
.LBB222_2152:
	s_load_dwordx4 s[8:11], s[56:57], 0x4
	s_load_dwordx4 s[12:15], s[56:57], 0xc4
	s_cmp_lt_u32 s37, 2
	s_waitcnt lgkmcnt(0)
	v_mul_hi_u32 v3, s9, v1
	v_add_u32_e32 v3, v1, v3
	v_lshrrev_b32_e32 v3, s10, v3
	v_mul_lo_u32 v5, v3, s8
	v_sub_u32_e32 v1, v1, v5
	v_mul_lo_u32 v16, v1, s13
	v_mul_lo_u32 v78, v1, s12
	;; [unrolled: 1-line block ×4, first 2 shown]
	s_cbranch_scc1 .LBB222_2154
; %bb.2153:
	s_load_dwordx4 s[8:11], s[56:57], 0x10
	s_load_dwordx4 s[12:15], s[56:57], 0xd4
	s_waitcnt lgkmcnt(0)
	v_mul_hi_u32 v1, s9, v3
	v_add_u32_e32 v1, v3, v1
	v_lshrrev_b32_e32 v1, s10, v1
	v_mul_lo_u32 v1, v1, s8
	v_sub_u32_e32 v1, v3, v1
	v_mad_u64_u32 v[78:79], s[8:9], v1, s12, v[78:79]
	v_mad_u64_u32 v[16:17], s[8:9], v1, s13, v[16:17]
	;; [unrolled: 1-line block ×4, first 2 shown]
.LBB222_2154:
	s_and_b64 vcc, exec, s[6:7]
	s_cbranch_vccnz .LBB222_2160
; %bb.2155:
	s_cmp_lg_u32 s37, 0
	v_mov_b32_e32 v10, 0
	v_mov_b32_e32 v76, 0
	;; [unrolled: 1-line block ×4, first 2 shown]
	s_cbranch_scc0 .LBB222_2161
; %bb.2156:
	s_min_u32 s22, s33, 15
	s_add_i32 s6, s22, 1
	s_and_b32 s23, s6, 30
	s_add_u32 s20, s56, 0xa4
	s_addc_u32 s21, s57, 0
	v_mov_b32_e32 v8, 0
	s_mov_b64 s[6:7], s[56:57]
	v_mov_b32_e32 v1, v24
	v_mov_b32_e32 v6, 0
	;; [unrolled: 1-line block ×4, first 2 shown]
.LBB222_2157:                           ; =>This Inner Loop Header: Depth=1
	s_load_dwordx4 s[16:19], s[6:7], 0x4
	s_load_dwordx2 s[26:27], s[6:7], 0x14
	s_mov_b64 s[24:25], s[20:21]
	s_load_dwordx8 s[8:15], s[24:25], 0x20
	s_add_u32 s20, s24, 32
	s_waitcnt lgkmcnt(0)
	v_mul_hi_u32 v3, s17, v1
	v_add_u32_e32 v3, v1, v3
	v_lshrrev_b32_e32 v3, s18, v3
	v_mul_lo_u32 v5, v3, s16
	v_mul_hi_u32 v7, s26, v3
	v_sub_u32_e32 v1, v1, v5
	v_add_u32_e32 v5, v3, v7
	v_mul_lo_u32 v7, v1, s8
	v_mul_lo_u32 v9, v1, s9
	;; [unrolled: 1-line block ×4, first 2 shown]
	v_lshrrev_b32_e32 v1, s27, v5
	s_addc_u32 s21, s25, 0
	v_mul_lo_u32 v5, v1, s19
	s_add_u32 s6, s6, 24
	v_sub_u32_e32 v3, v3, v5
	s_addc_u32 s7, s7, 0
	s_add_i32 s23, s23, -2
	v_mul_lo_u32 v5, v3, s12
	v_mul_lo_u32 v15, v3, s13
	;; [unrolled: 1-line block ×4, first 2 shown]
	s_cmp_lg_u32 s23, 0
	v_add3_u32 v10, v9, v10, v15
	v_add3_u32 v76, v7, v76, v5
	;; [unrolled: 1-line block ×4, first 2 shown]
	s_cbranch_scc1 .LBB222_2157
; %bb.2158:
	s_bitcmp1_b32 s22, 0
	s_cselect_b64 s[8:9], -1, 0
	s_and_b64 vcc, exec, s[8:9]
	s_cbranch_vccnz .LBB222_2161
; %bb.2159:
	s_load_dwordx2 s[12:13], s[6:7], 0x4
	s_load_dword s14, s[6:7], 0xc
	s_load_dwordx4 s[8:11], s[20:21], 0x20
	s_waitcnt lgkmcnt(0)
	v_mul_hi_u32 v3, s13, v1
	v_add_u32_e32 v3, v1, v3
	v_lshrrev_b32_e32 v3, s14, v3
	v_mul_lo_u32 v3, v3, s12
	v_sub_u32_e32 v1, v1, v3
	v_mad_u64_u32 v[76:77], s[6:7], v1, s8, v[76:77]
	v_mad_u64_u32 v[10:11], s[6:7], v1, s9, v[10:11]
	;; [unrolled: 1-line block ×4, first 2 shown]
	s_cbranch_execz .LBB222_2162
	s_branch .LBB222_2164
.LBB222_2160:
                                        ; implicit-def: $vgpr10
                                        ; implicit-def: $vgpr76
                                        ; implicit-def: $vgpr6
                                        ; implicit-def: $vgpr8
	s_branch .LBB222_2162
.LBB222_2161:
	s_cbranch_execnz .LBB222_2164
.LBB222_2162:
	s_load_dwordx4 s[8:11], s[56:57], 0x4
	s_load_dwordx4 s[12:15], s[56:57], 0xc4
	s_cmp_lt_u32 s37, 2
	s_waitcnt lgkmcnt(0)
	v_mul_hi_u32 v1, s9, v24
	v_add_u32_e32 v1, v24, v1
	v_lshrrev_b32_e32 v1, s10, v1
	v_mul_lo_u32 v3, v1, s8
	v_sub_u32_e32 v3, v24, v3
	v_mul_lo_u32 v10, v3, s13
	v_mul_lo_u32 v76, v3, s12
	;; [unrolled: 1-line block ×4, first 2 shown]
	s_cbranch_scc1 .LBB222_2164
; %bb.2163:
	s_load_dwordx4 s[8:11], s[56:57], 0x10
	s_load_dwordx4 s[12:15], s[56:57], 0xd4
	s_waitcnt lgkmcnt(0)
	v_mul_hi_u32 v3, s9, v1
	v_add_u32_e32 v3, v1, v3
	v_lshrrev_b32_e32 v3, s10, v3
	v_mul_lo_u32 v3, v3, s8
	v_sub_u32_e32 v1, v1, v3
	v_mad_u64_u32 v[76:77], s[6:7], v1, s12, v[76:77]
	v_mad_u64_u32 v[10:11], s[6:7], v1, s13, v[10:11]
	;; [unrolled: 1-line block ×4, first 2 shown]
.LBB222_2164:
	s_load_dword s24, s[4:5], 0x1f0
	s_load_dwordx4 s[36:39], s[56:57], 0x1c8
	s_waitcnt lgkmcnt(0)
	s_lshr_b32 s25, s24, 16
	v_mov_b32_e32 v1, s39
	v_add_co_u32_e32 v24, vcc, s38, v0
	v_mov_b32_e32 v0, 11
	v_addc_co_u32_e32 v25, vcc, 0, v1, vcc
	v_cmp_lt_i16_sdwa s[4:5], s25, v0 src0_sel:BYTE_0 src1_sel:DWORD
	s_and_b64 vcc, exec, s[4:5]
	s_cbranch_vccnz .LBB222_2171
; %bb.2165:
	v_mov_b32_e32 v0, 25
	v_cmp_gt_i16_sdwa s[4:5], s25, v0 src0_sel:BYTE_0 src1_sel:DWORD
	s_mov_b64 s[6:7], 0
	s_and_b64 vcc, exec, s[4:5]
	s_cbranch_vccz .LBB222_2173
; %bb.2166:
	v_mov_b32_e32 v0, 28
	v_cmp_gt_i16_sdwa s[4:5], s25, v0 src0_sel:BYTE_0 src1_sel:DWORD
	s_and_b64 vcc, exec, s[4:5]
	s_cbranch_vccz .LBB222_2174
; %bb.2167:
	v_mov_b32_e32 v0, 43
	v_cmp_gt_i16_sdwa s[4:5], s25, v0 src0_sel:BYTE_0 src1_sel:DWORD
	;; [unrolled: 5-line block ×3, first 2 shown]
	s_and_b64 vcc, exec, s[4:5]
	s_cbranch_vccz .LBB222_2176
; %bb.2169:
	v_mov_b32_e32 v0, 46
	v_cmp_eq_u16_sdwa s[4:5], s25, v0 src0_sel:BYTE_0 src1_sel:DWORD
	s_mov_b64 s[10:11], 0
	s_and_b64 vcc, exec, s[4:5]
	s_cbranch_vccz .LBB222_2179
; %bb.2170:
	global_load_dword v0, v[24:25], off
	s_mov_b64 s[4:5], 0
	s_mov_b64 s[8:9], -1
	s_waitcnt vmcnt(0)
	v_lshlrev_b32_e32 v0, 16, v0
	v_cvt_f64_f32_e32 v[0:1], v0
	s_branch .LBB222_2180
.LBB222_2171:
	s_mov_b64 s[8:9], 0
                                        ; implicit-def: $vgpr0_vgpr1
	s_mov_b64 s[90:91], s[94:95]
	s_cbranch_execnz .LBB222_2243
.LBB222_2172:
	s_andn2_b64 vcc, exec, s[8:9]
	s_cbranch_vccz .LBB222_2288
	s_branch .LBB222_4173
.LBB222_2173:
	s_mov_b64 s[8:9], 0
	s_mov_b64 s[4:5], 0
                                        ; implicit-def: $vgpr0_vgpr1
	s_cbranch_execnz .LBB222_2208
	s_branch .LBB222_2239
.LBB222_2174:
	s_mov_b64 s[10:11], -1
	s_mov_b64 s[8:9], 0
	s_mov_b64 s[4:5], 0
                                        ; implicit-def: $vgpr0_vgpr1
	s_branch .LBB222_2189
.LBB222_2175:
	s_mov_b64 s[8:9], 0
	s_mov_b64 s[4:5], 0
                                        ; implicit-def: $vgpr0_vgpr1
	s_cbranch_execnz .LBB222_2185
	s_branch .LBB222_2188
.LBB222_2176:
	s_mov_b64 s[10:11], -1
	s_mov_b64 s[8:9], 0
	s_mov_b64 s[4:5], 0
                                        ; implicit-def: $vgpr0_vgpr1
	s_branch .LBB222_2180
.LBB222_2177:
	s_or_saveexec_b64 s[12:13], s[12:13]
                                        ; implicit-def: $sgpr14
	s_xor_b64 exec, exec, s[12:13]
	s_cbranch_execz .LBB222_2031
.LBB222_2178:
	s_mov_b32 s14, 0x46000000
	v_add_f32_e64 v3, |v2|, s14
	v_and_b32_e32 v3, 0xff, v3
	v_cmp_ne_u32_e32 vcc, 0, v3
	s_andn2_b64 s[10:11], s[10:11], exec
	s_and_b64 s[16:17], vcc, exec
	s_mov_b32 s14, 0
	s_or_b64 s[10:11], s[10:11], s[16:17]
	s_or_b64 exec, exec, s[12:13]
	v_mov_b32_e32 v4, s14
	s_and_saveexec_b64 s[12:13], s[10:11]
	s_cbranch_execnz .LBB222_2032
	s_branch .LBB222_2033
.LBB222_2179:
	s_mov_b64 s[4:5], -1
                                        ; implicit-def: $vgpr0_vgpr1
	s_mov_b64 s[8:9], 0
.LBB222_2180:
	s_and_b64 vcc, exec, s[10:11]
	s_cbranch_vccz .LBB222_2183
; %bb.2181:
	v_mov_b32_e32 v0, 44
	v_cmp_eq_u16_sdwa s[4:5], s25, v0 src0_sel:BYTE_0 src1_sel:DWORD
	s_and_b64 vcc, exec, s[4:5]
	s_cbranch_vccz .LBB222_2184
; %bb.2182:
	global_load_ubyte v3, v[24:25], off
	s_movk_i32 s8, 0xff
	v_bfrev_b32_e32 v5, 4
	v_mov_b32_e32 v7, 0x7ff80000
	v_bfrev_b32_e32 v9, 28
	s_mov_b64 s[4:5], 0
	s_waitcnt vmcnt(0)
	v_lshlrev_b32_e32 v0, 23, v3
	v_cvt_f64_f32_e32 v[0:1], v0
	v_cmp_ne_u32_e32 vcc, s8, v3
	v_cndmask_b32_e32 v0, v5, v0, vcc
	v_cndmask_b32_e32 v1, v7, v1, vcc
	v_cmp_ne_u32_e32 vcc, 0, v3
	v_cndmask_b32_e32 v1, v9, v1, vcc
	v_cndmask_b32_e32 v0, 0, v0, vcc
	s_mov_b64 s[8:9], -1
.LBB222_2183:
	s_branch .LBB222_2188
.LBB222_2184:
	s_mov_b64 s[4:5], -1
                                        ; implicit-def: $vgpr0_vgpr1
	s_branch .LBB222_2188
.LBB222_2185:
	v_mov_b32_e32 v0, 29
	v_cmp_eq_u16_sdwa s[4:5], s25, v0 src0_sel:BYTE_0 src1_sel:DWORD
	s_and_b64 vcc, exec, s[4:5]
	s_cbranch_vccz .LBB222_2187
; %bb.2186:
	global_load_dwordx2 v[0:1], v[24:25], off
	s_mov_b64 s[4:5], 0
	s_mov_b64 s[8:9], -1
	s_mov_b64 s[10:11], 0
	s_waitcnt vmcnt(0)
	v_cvt_f64_u32_e32 v[26:27], v1
	v_cvt_f64_u32_e32 v[0:1], v0
	v_ldexp_f64 v[26:27], v[26:27], 32
	v_add_f64 v[0:1], v[26:27], v[0:1]
	s_branch .LBB222_2189
.LBB222_2187:
	s_mov_b64 s[4:5], -1
                                        ; implicit-def: $vgpr0_vgpr1
.LBB222_2188:
	s_mov_b64 s[10:11], 0
.LBB222_2189:
	s_and_b64 vcc, exec, s[10:11]
	s_cbranch_vccz .LBB222_2207
; %bb.2190:
	v_mov_b32_e32 v0, 27
	v_cmp_lt_i16_sdwa s[8:9], s25, v0 src0_sel:BYTE_0 src1_sel:DWORD
	s_and_b64 vcc, exec, s[8:9]
	s_cbranch_vccnz .LBB222_2193
; %bb.2191:
	v_cmp_gt_i16_sdwa s[8:9], s25, v0 src0_sel:BYTE_0 src1_sel:DWORD
	s_and_b64 vcc, exec, s[8:9]
	s_cbranch_vccz .LBB222_2194
; %bb.2192:
	global_load_dword v0, v[24:25], off
	s_mov_b64 s[8:9], 0
	s_waitcnt vmcnt(0)
	v_cvt_f64_u32_e32 v[0:1], v0
	s_branch .LBB222_2195
.LBB222_2193:
	s_mov_b64 s[8:9], -1
                                        ; implicit-def: $vgpr0_vgpr1
	s_branch .LBB222_2198
.LBB222_2194:
	s_mov_b64 s[8:9], -1
                                        ; implicit-def: $vgpr0_vgpr1
.LBB222_2195:
	s_andn2_b64 vcc, exec, s[8:9]
	s_cbranch_vccnz .LBB222_2197
; %bb.2196:
	global_load_ushort v0, v[24:25], off
	s_waitcnt vmcnt(0)
	v_cvt_f64_u32_e32 v[0:1], v0
.LBB222_2197:
	s_mov_b64 s[8:9], 0
.LBB222_2198:
	s_andn2_b64 vcc, exec, s[8:9]
	s_cbranch_vccnz .LBB222_2206
; %bb.2199:
	global_load_ubyte v3, v[24:25], off
	s_movk_i32 s8, 0x7f
                                        ; implicit-def: $sgpr10_sgpr11
	s_waitcnt vmcnt(0)
	v_cmp_lt_i16_e32 vcc, s8, v3
	s_mov_b64 s[8:9], 0
	s_and_saveexec_b64 s[12:13], vcc
	s_xor_b64 s[12:13], exec, s[12:13]
	s_cbranch_execz .LBB222_2219
; %bb.2200:
	s_movk_i32 s8, 0x80
	v_cmp_eq_u16_e32 vcc, s8, v3
	s_mov_b64 s[14:15], -1
                                        ; implicit-def: $sgpr10_sgpr11
	s_and_saveexec_b64 s[8:9], vcc
; %bb.2201:
	s_mov_b32 s11, 0x7ff80000
	s_brev_b32 s10, 4
	s_xor_b64 s[14:15], exec, -1
; %bb.2202:
	s_or_b64 exec, exec, s[8:9]
	s_and_b64 s[8:9], s[14:15], exec
	s_or_saveexec_b64 s[12:13], s[12:13]
	v_pk_mov_b32 v[0:1], s[10:11], s[10:11] op_sel:[0,1]
	s_xor_b64 exec, exec, s[12:13]
	s_cbranch_execnz .LBB222_2220
.LBB222_2203:
	s_or_b64 exec, exec, s[12:13]
	s_and_saveexec_b64 s[10:11], s[8:9]
	s_cbranch_execz .LBB222_2205
.LBB222_2204:
	v_and_b32_e32 v1, 0xffff, v3
	v_lshlrev_b32_e32 v0, 24, v3
	v_and_b32_e32 v3, 7, v1
	v_ffbh_u32_e32 v7, v3
	v_min_u32_e32 v7, 32, v7
	v_subrev_u32_e32 v9, 28, v7
	v_bfe_u32 v5, v1, 3, 4
	v_lshlrev_b32_e32 v1, v9, v1
	v_sub_u32_e32 v7, 29, v7
	v_and_b32_e32 v1, 7, v1
	v_cmp_eq_u32_e32 vcc, 0, v5
	v_cndmask_b32_e32 v5, v5, v7, vcc
	v_cndmask_b32_e32 v1, v3, v1, vcc
	v_mov_b32_e32 v3, 0x3b800000
	v_lshlrev_b32_e32 v1, 20, v1
	v_and_b32_e32 v0, 0x80000000, v0
	v_lshl_add_u32 v3, v5, 23, v3
	v_or3_b32 v0, v0, v3, v1
	v_cvt_f64_f32_e32 v[0:1], v0
.LBB222_2205:
	s_or_b64 exec, exec, s[10:11]
.LBB222_2206:
	s_mov_b64 s[8:9], -1
.LBB222_2207:
	s_branch .LBB222_2239
.LBB222_2208:
	v_mov_b32_e32 v0, 22
	v_cmp_gt_i16_sdwa s[6:7], s25, v0 src0_sel:BYTE_0 src1_sel:DWORD
	s_and_b64 vcc, exec, s[6:7]
	s_cbranch_vccz .LBB222_2218
; %bb.2209:
	v_mov_b32_e32 v0, 24
	v_cmp_lt_i16_sdwa s[6:7], s25, v0 src0_sel:BYTE_0 src1_sel:DWORD
	s_and_b64 vcc, exec, s[6:7]
	s_cbranch_vccnz .LBB222_2221
; %bb.2210:
	v_cmp_gt_i16_sdwa s[6:7], s25, v0 src0_sel:BYTE_0 src1_sel:DWORD
	s_and_b64 vcc, exec, s[6:7]
	s_cbranch_vccz .LBB222_2222
; %bb.2211:
	global_load_ubyte v3, v[24:25], off
	s_movk_i32 s6, 0x7f
                                        ; implicit-def: $sgpr8_sgpr9
	s_waitcnt vmcnt(0)
	v_cmp_lt_i16_e32 vcc, s6, v3
	s_mov_b64 s[6:7], 0
	s_and_saveexec_b64 s[10:11], vcc
	s_xor_b64 s[10:11], exec, s[10:11]
	s_cbranch_execz .LBB222_2233
; %bb.2212:
	s_movk_i32 s6, 0x80
	v_cmp_eq_u16_e32 vcc, s6, v3
	s_mov_b64 s[12:13], -1
                                        ; implicit-def: $sgpr8_sgpr9
	s_and_saveexec_b64 s[6:7], vcc
; %bb.2213:
	s_mov_b32 s9, 0x7ff80000
	s_brev_b32 s8, 4
	s_xor_b64 s[12:13], exec, -1
; %bb.2214:
	s_or_b64 exec, exec, s[6:7]
	s_and_b64 s[6:7], s[12:13], exec
	s_or_saveexec_b64 s[10:11], s[10:11]
	v_pk_mov_b32 v[0:1], s[8:9], s[8:9] op_sel:[0,1]
	s_xor_b64 exec, exec, s[10:11]
	s_cbranch_execnz .LBB222_2234
.LBB222_2215:
	s_or_b64 exec, exec, s[10:11]
	s_and_saveexec_b64 s[8:9], s[6:7]
	s_cbranch_execz .LBB222_2217
.LBB222_2216:
	v_and_b32_e32 v1, 0xffff, v3
	v_lshlrev_b32_e32 v0, 24, v3
	v_and_b32_e32 v3, 3, v1
	v_ffbh_u32_e32 v7, v3
	v_min_u32_e32 v7, 32, v7
	v_subrev_u32_e32 v9, 29, v7
	v_bfe_u32 v5, v1, 2, 5
	v_lshlrev_b32_e32 v1, v9, v1
	v_sub_u32_e32 v7, 30, v7
	v_and_b32_e32 v1, 3, v1
	v_cmp_eq_u32_e32 vcc, 0, v5
	v_cndmask_b32_e32 v5, v5, v7, vcc
	v_cndmask_b32_e32 v1, v3, v1, vcc
	v_mov_b32_e32 v3, 0x37800000
	v_lshlrev_b32_e32 v1, 21, v1
	v_and_b32_e32 v0, 0x80000000, v0
	v_lshl_add_u32 v3, v5, 23, v3
	v_or3_b32 v0, v0, v3, v1
	v_cvt_f64_f32_e32 v[0:1], v0
.LBB222_2217:
	s_or_b64 exec, exec, s[8:9]
	s_mov_b64 s[6:7], 0
	s_branch .LBB222_2223
.LBB222_2218:
                                        ; implicit-def: $vgpr0_vgpr1
	s_mov_b64 s[6:7], 0
	s_branch .LBB222_2229
.LBB222_2219:
	s_or_saveexec_b64 s[12:13], s[12:13]
	v_pk_mov_b32 v[0:1], s[10:11], s[10:11] op_sel:[0,1]
	s_xor_b64 exec, exec, s[12:13]
	s_cbranch_execz .LBB222_2203
.LBB222_2220:
	v_cmp_ne_u16_e32 vcc, 0, v3
	s_andn2_b64 s[8:9], s[8:9], exec
	s_and_b64 s[10:11], vcc, exec
	v_pk_mov_b32 v[0:1], 0, 0
	s_or_b64 s[8:9], s[8:9], s[10:11]
	s_or_b64 exec, exec, s[12:13]
	s_and_saveexec_b64 s[10:11], s[8:9]
	s_cbranch_execnz .LBB222_2204
	s_branch .LBB222_2205
.LBB222_2221:
	s_mov_b64 s[6:7], -1
                                        ; implicit-def: $vgpr0_vgpr1
	s_branch .LBB222_2226
.LBB222_2222:
	s_mov_b64 s[6:7], -1
                                        ; implicit-def: $vgpr0_vgpr1
.LBB222_2223:
	s_and_b64 vcc, exec, s[6:7]
	s_cbranch_vccz .LBB222_2225
; %bb.2224:
	global_load_ubyte v0, v[24:25], off
	s_mov_b32 s6, 0x7f800000
	s_waitcnt vmcnt(0)
	v_lshlrev_b32_e32 v0, 24, v0
	v_and_b32_e32 v1, 0x7f000000, v0
	v_ffbh_u32_e32 v3, v1
	v_min_u32_e32 v3, 32, v3
	v_sub_u32_e64 v3, v3, 4 clamp
	v_lshlrev_b32_e32 v7, v3, v1
	v_lshlrev_b32_e32 v3, 23, v3
	v_lshrrev_b32_e32 v7, 4, v7
	v_add_u32_e32 v5, 0x1000000, v1
	v_sub_u32_e32 v3, v7, v3
	v_ashrrev_i32_e32 v5, 8, v5
	v_add_u32_e32 v3, 0x3c000000, v3
	v_and_or_b32 v3, v5, s6, v3
	v_cmp_ne_u32_e32 vcc, 0, v1
	v_cndmask_b32_e32 v1, 0, v3, vcc
	s_brev_b32 s6, 1
	v_and_or_b32 v0, v0, s6, v1
	v_cvt_f64_f32_e32 v[0:1], v0
.LBB222_2225:
	s_mov_b64 s[6:7], 0
.LBB222_2226:
	s_andn2_b64 vcc, exec, s[6:7]
	s_cbranch_vccnz .LBB222_2228
; %bb.2227:
	global_load_ubyte v0, v[24:25], off
	s_movk_i32 s6, 0x7f00
	s_brev_b32 s7, 16
	s_waitcnt vmcnt(0)
	v_lshlrev_b16_e32 v1, 8, v0
	v_lshlrev_b32_e32 v0, 25, v0
	v_lshrrev_b32_e32 v3, 4, v0
	v_and_or_b32 v5, v1, s6, 0.5
	v_or_b32_e32 v3, 0x70000000, v3
	v_add_f32_e32 v5, -0.5, v5
	v_mul_f32_e32 v3, 0x7800000, v3
	v_cmp_gt_u32_e32 vcc, s7, v0
	v_bfe_i32 v1, v1, 0, 16
	v_cndmask_b32_e32 v0, v3, v5, vcc
	s_brev_b32 s6, 1
	v_and_or_b32 v0, v1, s6, v0
	v_cvt_f64_f32_e32 v[0:1], v0
.LBB222_2228:
	s_mov_b64 s[8:9], -1
	s_mov_b64 s[6:7], 0
	s_cbranch_execnz .LBB222_2239
.LBB222_2229:
	v_mov_b32_e32 v0, 14
	v_cmp_gt_i16_sdwa s[6:7], s25, v0 src0_sel:BYTE_0 src1_sel:DWORD
	s_and_b64 vcc, exec, s[6:7]
	s_cbranch_vccz .LBB222_2232
; %bb.2230:
	v_mov_b32_e32 v0, 15
	v_cmp_eq_u16_sdwa s[4:5], s25, v0 src0_sel:BYTE_0 src1_sel:DWORD
	s_and_b64 vcc, exec, s[4:5]
	s_cbranch_vccz .LBB222_2235
; %bb.2231:
	global_load_ushort v0, v[24:25], off
	s_mov_b64 s[4:5], 0
	s_mov_b64 s[8:9], -1
	s_waitcnt vmcnt(0)
	v_lshlrev_b32_e32 v0, 16, v0
	v_cvt_f64_f32_e32 v[0:1], v0
	s_branch .LBB222_2236
.LBB222_2232:
	s_mov_b64 s[10:11], -1
                                        ; implicit-def: $vgpr0_vgpr1
	s_branch .LBB222_2237
.LBB222_2233:
	s_or_saveexec_b64 s[10:11], s[10:11]
	v_pk_mov_b32 v[0:1], s[8:9], s[8:9] op_sel:[0,1]
	s_xor_b64 exec, exec, s[10:11]
	s_cbranch_execz .LBB222_2215
.LBB222_2234:
	v_cmp_ne_u16_e32 vcc, 0, v3
	s_andn2_b64 s[6:7], s[6:7], exec
	s_and_b64 s[8:9], vcc, exec
	v_pk_mov_b32 v[0:1], 0, 0
	s_or_b64 s[6:7], s[6:7], s[8:9]
	s_or_b64 exec, exec, s[10:11]
	s_and_saveexec_b64 s[8:9], s[6:7]
	s_cbranch_execnz .LBB222_2216
	s_branch .LBB222_2217
.LBB222_2235:
	s_mov_b64 s[4:5], -1
                                        ; implicit-def: $vgpr0_vgpr1
.LBB222_2236:
	s_mov_b64 s[10:11], 0
.LBB222_2237:
	s_mov_b64 s[6:7], 0
	s_and_b64 vcc, exec, s[10:11]
	s_cbranch_vccz .LBB222_2239
; %bb.2238:
	v_mov_b32_e32 v0, 11
	v_cmp_ne_u16_sdwa s[4:5], s25, v0 src0_sel:BYTE_0 src1_sel:DWORD
	s_mov_b64 s[6:7], -1
                                        ; implicit-def: $vgpr0_vgpr1
.LBB222_2239:
	s_and_b64 vcc, exec, s[4:5]
	s_mov_b64 s[90:91], s[94:95]
	s_cbranch_vccnz .LBB222_2300
; %bb.2240:
	s_andn2_b64 vcc, exec, s[6:7]
	s_cbranch_vccnz .LBB222_2242
.LBB222_2241:
	global_load_ubyte v1, v[24:25], off
	v_mov_b32_e32 v3, 0x3ff00000
	v_mov_b32_e32 v0, 0
	s_mov_b64 s[8:9], -1
	s_waitcnt vmcnt(0)
	v_cmp_ne_u16_e32 vcc, 0, v1
	v_cndmask_b32_e32 v1, 0, v3, vcc
.LBB222_2242:
	s_branch .LBB222_2172
.LBB222_2243:
	v_mov_b32_e32 v0, 5
	v_cmp_lt_i16_sdwa s[4:5], s25, v0 src0_sel:BYTE_0 src1_sel:DWORD
	s_and_b64 vcc, exec, s[4:5]
	s_cbranch_vccnz .LBB222_2248
; %bb.2244:
	v_mov_b32_e32 v0, 8
	v_cmp_lt_i16_sdwa s[4:5], s25, v0 src0_sel:BYTE_0 src1_sel:DWORD
	s_and_b64 vcc, exec, s[4:5]
	s_cbranch_vccnz .LBB222_2249
; %bb.2245:
	v_mov_b32_e32 v0, 9
	v_cmp_lt_i16_sdwa s[4:5], s25, v0 src0_sel:BYTE_0 src1_sel:DWORD
	s_and_b64 vcc, exec, s[4:5]
	s_cbranch_vccnz .LBB222_2250
; %bb.2246:
	v_cmp_gt_i16_sdwa s[4:5], s25, v0 src0_sel:BYTE_0 src1_sel:DWORD
	s_and_b64 vcc, exec, s[4:5]
	s_cbranch_vccz .LBB222_2251
; %bb.2247:
	global_load_dwordx2 v[0:1], v[24:25], off
	s_mov_b64 s[4:5], 0
	s_branch .LBB222_2252
.LBB222_2248:
                                        ; implicit-def: $vgpr0_vgpr1
	s_branch .LBB222_2269
.LBB222_2249:
                                        ; implicit-def: $vgpr0_vgpr1
	s_branch .LBB222_2258
.LBB222_2250:
	s_mov_b64 s[4:5], -1
                                        ; implicit-def: $vgpr0_vgpr1
	s_branch .LBB222_2255
.LBB222_2251:
	s_mov_b64 s[4:5], -1
                                        ; implicit-def: $vgpr0_vgpr1
.LBB222_2252:
	s_andn2_b64 vcc, exec, s[4:5]
	s_cbranch_vccnz .LBB222_2254
; %bb.2253:
	global_load_dword v0, v[24:25], off
	s_waitcnt vmcnt(0)
	v_cvt_f64_f32_e32 v[0:1], v0
.LBB222_2254:
	s_mov_b64 s[4:5], 0
.LBB222_2255:
	s_andn2_b64 vcc, exec, s[4:5]
	s_cbranch_vccnz .LBB222_2257
; %bb.2256:
	global_load_dword v0, v[24:25], off
	s_waitcnt vmcnt(0)
	v_cvt_f32_f16_e32 v0, v0
	v_cvt_f64_f32_e32 v[0:1], v0
.LBB222_2257:
	s_cbranch_execnz .LBB222_2268
.LBB222_2258:
	s_waitcnt vmcnt(0)
	v_mov_b32_e32 v0, 6
	v_cmp_lt_i16_sdwa s[4:5], s25, v0 src0_sel:BYTE_0 src1_sel:DWORD
	s_and_b64 vcc, exec, s[4:5]
	s_cbranch_vccnz .LBB222_2261
; %bb.2259:
	v_cmp_gt_i16_sdwa s[4:5], s25, v0 src0_sel:BYTE_0 src1_sel:DWORD
	s_and_b64 vcc, exec, s[4:5]
	s_cbranch_vccz .LBB222_2262
; %bb.2260:
	global_load_dwordx2 v[0:1], v[24:25], off
	s_mov_b64 s[4:5], 0
	s_branch .LBB222_2263
.LBB222_2261:
	s_mov_b64 s[4:5], -1
                                        ; implicit-def: $vgpr0_vgpr1
	s_branch .LBB222_2266
.LBB222_2262:
	s_mov_b64 s[4:5], -1
                                        ; implicit-def: $vgpr0_vgpr1
.LBB222_2263:
	s_andn2_b64 vcc, exec, s[4:5]
	s_cbranch_vccnz .LBB222_2265
; %bb.2264:
	global_load_dword v0, v[24:25], off
	s_waitcnt vmcnt(0)
	v_cvt_f64_f32_e32 v[0:1], v0
.LBB222_2265:
	s_mov_b64 s[4:5], 0
.LBB222_2266:
	s_andn2_b64 vcc, exec, s[4:5]
	s_cbranch_vccnz .LBB222_2268
; %bb.2267:
	global_load_ushort v0, v[24:25], off
	s_waitcnt vmcnt(0)
	v_cvt_f32_f16_e32 v0, v0
	v_cvt_f64_f32_e32 v[0:1], v0
.LBB222_2268:
	s_cbranch_execnz .LBB222_2287
.LBB222_2269:
	s_waitcnt vmcnt(0)
	v_mov_b32_e32 v0, 2
	v_cmp_lt_i16_sdwa s[4:5], s25, v0 src0_sel:BYTE_0 src1_sel:DWORD
	s_and_b64 vcc, exec, s[4:5]
	s_cbranch_vccnz .LBB222_2273
; %bb.2270:
	v_mov_b32_e32 v0, 3
	v_cmp_lt_i16_sdwa s[4:5], s25, v0 src0_sel:BYTE_0 src1_sel:DWORD
	s_and_b64 vcc, exec, s[4:5]
	s_cbranch_vccnz .LBB222_2274
; %bb.2271:
	v_cmp_gt_i16_sdwa s[4:5], s25, v0 src0_sel:BYTE_0 src1_sel:DWORD
	s_and_b64 vcc, exec, s[4:5]
	s_cbranch_vccz .LBB222_2275
; %bb.2272:
	global_load_dwordx2 v[0:1], v[24:25], off
	s_mov_b64 s[4:5], 0
	s_waitcnt vmcnt(0)
	v_cvt_f64_i32_e32 v[26:27], v1
	v_cvt_f64_u32_e32 v[0:1], v0
	v_ldexp_f64 v[26:27], v[26:27], 32
	v_add_f64 v[0:1], v[26:27], v[0:1]
	s_branch .LBB222_2276
.LBB222_2273:
                                        ; implicit-def: $vgpr0_vgpr1
	s_branch .LBB222_2282
.LBB222_2274:
	s_mov_b64 s[4:5], -1
                                        ; implicit-def: $vgpr0_vgpr1
	s_branch .LBB222_2279
.LBB222_2275:
	s_mov_b64 s[4:5], -1
                                        ; implicit-def: $vgpr0_vgpr1
.LBB222_2276:
	s_andn2_b64 vcc, exec, s[4:5]
	s_cbranch_vccnz .LBB222_2278
; %bb.2277:
	global_load_dword v0, v[24:25], off
	s_waitcnt vmcnt(0)
	v_cvt_f64_i32_e32 v[0:1], v0
.LBB222_2278:
	s_mov_b64 s[4:5], 0
.LBB222_2279:
	s_andn2_b64 vcc, exec, s[4:5]
	s_cbranch_vccnz .LBB222_2281
; %bb.2280:
	global_load_sshort v0, v[24:25], off
	s_waitcnt vmcnt(0)
	v_cvt_f64_i32_e32 v[0:1], v0
.LBB222_2281:
	s_cbranch_execnz .LBB222_2287
.LBB222_2282:
	v_mov_b32_e32 v0, 0
	v_cmp_gt_i16_sdwa s[4:5], s25, v0 src0_sel:BYTE_0 src1_sel:DWORD
	s_and_b64 vcc, exec, s[4:5]
	s_cbranch_vccz .LBB222_2284
; %bb.2283:
	global_load_sbyte v0, v[24:25], off
	s_mov_b64 s[4:5], 0
	s_waitcnt vmcnt(0)
	v_cvt_f64_i32_e32 v[0:1], v0
	s_branch .LBB222_2285
.LBB222_2284:
	s_mov_b64 s[4:5], -1
                                        ; implicit-def: $vgpr0_vgpr1
.LBB222_2285:
	s_andn2_b64 vcc, exec, s[4:5]
	s_cbranch_vccnz .LBB222_2287
; %bb.2286:
	global_load_ubyte v0, v[24:25], off
	s_waitcnt vmcnt(0)
	v_cvt_f64_u32_e32 v[0:1], v0
.LBB222_2287:
.LBB222_2288:
	s_load_dwordx2 s[4:5], s[56:57], 0x1d8
	s_lshr_b32 s26, s24, 24
	v_cmp_lt_i16_e64 s[6:7], s26, 11
	s_waitcnt lgkmcnt(0)
	v_mov_b32_e32 v3, s5
	v_add_co_u32_e32 v24, vcc, s4, v2
	v_addc_co_u32_e32 v25, vcc, 0, v3, vcc
	s_and_b64 vcc, exec, s[6:7]
	s_cbranch_vccnz .LBB222_2295
; %bb.2289:
	v_cmp_gt_i16_e64 s[8:9], s26, 25
	s_mov_b64 s[10:11], 0
	s_and_b64 vcc, exec, s[8:9]
	s_cbranch_vccz .LBB222_2297
; %bb.2290:
	v_cmp_gt_i16_e64 s[8:9], s26, 28
	s_and_b64 vcc, exec, s[8:9]
	s_cbranch_vccz .LBB222_2298
; %bb.2291:
	v_cmp_gt_i16_e64 s[8:9], s26, 43
	s_and_b64 vcc, exec, s[8:9]
	s_cbranch_vccz .LBB222_2299
; %bb.2292:
	v_cmp_gt_i16_e64 s[8:9], s26, 45
	s_and_b64 vcc, exec, s[8:9]
	s_cbranch_vccz .LBB222_2301
; %bb.2293:
	v_cmp_eq_u16_e64 s[8:9], s26, 46
	s_mov_b64 s[14:15], 0
	s_and_b64 vcc, exec, s[8:9]
	s_cbranch_vccz .LBB222_2304
; %bb.2294:
	global_load_dword v2, v[24:25], off
	s_mov_b64 s[8:9], 0
	s_mov_b64 s[12:13], -1
	s_waitcnt vmcnt(0)
	v_lshlrev_b32_e32 v2, 16, v2
	v_cvt_f64_f32_e32 v[2:3], v2
	s_branch .LBB222_2305
.LBB222_2295:
	s_mov_b64 s[12:13], 0
                                        ; implicit-def: $vgpr2_vgpr3
	s_cbranch_execnz .LBB222_2370
.LBB222_2296:
	s_andn2_b64 vcc, exec, s[12:13]
	s_cbranch_vccnz .LBB222_4173
	s_branch .LBB222_2417
.LBB222_2297:
	s_mov_b64 s[12:13], 0
	s_mov_b64 s[8:9], 0
                                        ; implicit-def: $vgpr2_vgpr3
	s_cbranch_execnz .LBB222_2334
	s_branch .LBB222_2366
.LBB222_2298:
	s_mov_b64 s[14:15], -1
	s_mov_b64 s[12:13], 0
	s_mov_b64 s[8:9], 0
                                        ; implicit-def: $vgpr2_vgpr3
	s_branch .LBB222_2315
.LBB222_2299:
	s_mov_b64 s[14:15], -1
	s_mov_b64 s[12:13], 0
	s_mov_b64 s[8:9], 0
                                        ; implicit-def: $vgpr2_vgpr3
	s_branch .LBB222_2310
.LBB222_2300:
	s_or_b64 s[90:91], s[94:95], exec
	s_trap 2
                                        ; implicit-def: $vgpr0_vgpr1
	s_cbranch_execz .LBB222_2241
	s_branch .LBB222_2242
.LBB222_2301:
	s_mov_b64 s[14:15], -1
	s_mov_b64 s[12:13], 0
	s_mov_b64 s[8:9], 0
                                        ; implicit-def: $vgpr2_vgpr3
	s_branch .LBB222_2305
.LBB222_2302:
	s_or_saveexec_b64 s[14:15], s[14:15]
                                        ; implicit-def: $sgpr16
	s_xor_b64 exec, exec, s[14:15]
	s_cbranch_execz .LBB222_2043
.LBB222_2303:
	s_mov_b32 s16, 0x42800000
	v_add_f32_e64 v3, |v2|, s16
	v_and_b32_e32 v3, 0xff, v3
	v_cmp_ne_u32_e32 vcc, 0, v3
	s_andn2_b64 s[12:13], s[12:13], exec
	s_and_b64 s[18:19], vcc, exec
	s_mov_b32 s16, 0
	s_or_b64 s[12:13], s[12:13], s[18:19]
	s_or_b64 exec, exec, s[14:15]
	v_mov_b32_e32 v4, s16
	s_and_saveexec_b64 s[14:15], s[12:13]
	s_cbranch_execnz .LBB222_2044
	s_branch .LBB222_2045
.LBB222_2304:
	s_mov_b64 s[8:9], -1
                                        ; implicit-def: $vgpr2_vgpr3
	s_mov_b64 s[12:13], 0
.LBB222_2305:
	s_and_b64 vcc, exec, s[14:15]
	s_cbranch_vccz .LBB222_2309
; %bb.2306:
	v_cmp_eq_u16_e64 s[8:9], s26, 44
	s_and_b64 vcc, exec, s[8:9]
	s_cbranch_vccz .LBB222_2308
; %bb.2307:
	global_load_ubyte v5, v[24:25], off
	s_movk_i32 s12, 0xff
	v_bfrev_b32_e32 v7, 4
	v_mov_b32_e32 v9, 0x7ff80000
	v_bfrev_b32_e32 v11, 28
	s_mov_b64 s[8:9], 0
	s_waitcnt vmcnt(0)
	v_lshlrev_b32_e32 v2, 23, v5
	v_cvt_f64_f32_e32 v[2:3], v2
	v_cmp_ne_u32_e32 vcc, s12, v5
	v_cndmask_b32_e32 v2, v7, v2, vcc
	v_cndmask_b32_e32 v3, v9, v3, vcc
	v_cmp_ne_u32_e32 vcc, 0, v5
	v_cndmask_b32_e32 v3, v11, v3, vcc
	v_cndmask_b32_e32 v2, 0, v2, vcc
	s_mov_b64 s[12:13], -1
	s_branch .LBB222_2309
.LBB222_2308:
	s_mov_b64 s[8:9], -1
                                        ; implicit-def: $vgpr2_vgpr3
.LBB222_2309:
	s_mov_b64 s[14:15], 0
.LBB222_2310:
	s_and_b64 vcc, exec, s[14:15]
	s_cbranch_vccz .LBB222_2314
; %bb.2311:
	v_cmp_eq_u16_e64 s[8:9], s26, 29
	s_and_b64 vcc, exec, s[8:9]
	s_cbranch_vccz .LBB222_2313
; %bb.2312:
	global_load_dwordx2 v[2:3], v[24:25], off
	s_mov_b64 s[8:9], 0
	s_mov_b64 s[12:13], -1
	s_mov_b64 s[14:15], 0
	s_waitcnt vmcnt(0)
	v_cvt_f64_u32_e32 v[26:27], v3
	v_cvt_f64_u32_e32 v[2:3], v2
	v_ldexp_f64 v[26:27], v[26:27], 32
	v_add_f64 v[2:3], v[26:27], v[2:3]
	s_branch .LBB222_2315
.LBB222_2313:
	s_mov_b64 s[8:9], -1
                                        ; implicit-def: $vgpr2_vgpr3
.LBB222_2314:
	s_mov_b64 s[14:15], 0
.LBB222_2315:
	s_and_b64 vcc, exec, s[14:15]
	s_cbranch_vccz .LBB222_2333
; %bb.2316:
	v_cmp_lt_i16_e64 s[12:13], s26, 27
	s_and_b64 vcc, exec, s[12:13]
	s_cbranch_vccnz .LBB222_2319
; %bb.2317:
	v_cmp_gt_i16_e64 s[12:13], s26, 27
	s_and_b64 vcc, exec, s[12:13]
	s_cbranch_vccz .LBB222_2320
; %bb.2318:
	global_load_dword v2, v[24:25], off
	s_mov_b64 s[12:13], 0
	s_waitcnt vmcnt(0)
	v_cvt_f64_u32_e32 v[2:3], v2
	s_branch .LBB222_2321
.LBB222_2319:
	s_mov_b64 s[12:13], -1
                                        ; implicit-def: $vgpr2_vgpr3
	s_branch .LBB222_2324
.LBB222_2320:
	s_mov_b64 s[12:13], -1
                                        ; implicit-def: $vgpr2_vgpr3
.LBB222_2321:
	s_andn2_b64 vcc, exec, s[12:13]
	s_cbranch_vccnz .LBB222_2323
; %bb.2322:
	global_load_ushort v2, v[24:25], off
	s_waitcnt vmcnt(0)
	v_cvt_f64_u32_e32 v[2:3], v2
.LBB222_2323:
	s_mov_b64 s[12:13], 0
.LBB222_2324:
	s_andn2_b64 vcc, exec, s[12:13]
	s_cbranch_vccnz .LBB222_2332
; %bb.2325:
	global_load_ubyte v5, v[24:25], off
	s_movk_i32 s12, 0x7f
                                        ; implicit-def: $sgpr14_sgpr15
	s_waitcnt vmcnt(0)
	v_cmp_lt_i16_e32 vcc, s12, v5
	s_mov_b64 s[12:13], 0
	s_and_saveexec_b64 s[16:17], vcc
	s_xor_b64 s[16:17], exec, s[16:17]
	s_cbranch_execz .LBB222_2345
; %bb.2326:
	s_movk_i32 s12, 0x80
	v_cmp_eq_u16_e32 vcc, s12, v5
	s_mov_b64 s[18:19], -1
                                        ; implicit-def: $sgpr14_sgpr15
	s_and_saveexec_b64 s[12:13], vcc
; %bb.2327:
	s_mov_b32 s15, 0x7ff80000
	s_brev_b32 s14, 4
	s_xor_b64 s[18:19], exec, -1
; %bb.2328:
	s_or_b64 exec, exec, s[12:13]
	s_and_b64 s[12:13], s[18:19], exec
	s_or_saveexec_b64 s[16:17], s[16:17]
	v_pk_mov_b32 v[2:3], s[14:15], s[14:15] op_sel:[0,1]
	s_xor_b64 exec, exec, s[16:17]
	s_cbranch_execnz .LBB222_2346
.LBB222_2329:
	s_or_b64 exec, exec, s[16:17]
	s_and_saveexec_b64 s[14:15], s[12:13]
	s_cbranch_execz .LBB222_2331
.LBB222_2330:
	v_and_b32_e32 v3, 0xffff, v5
	v_lshlrev_b32_e32 v2, 24, v5
	v_and_b32_e32 v5, 7, v3
	v_ffbh_u32_e32 v9, v5
	v_min_u32_e32 v9, 32, v9
	v_subrev_u32_e32 v11, 28, v9
	v_bfe_u32 v7, v3, 3, 4
	v_lshlrev_b32_e32 v3, v11, v3
	v_sub_u32_e32 v9, 29, v9
	v_and_b32_e32 v3, 7, v3
	v_cmp_eq_u32_e32 vcc, 0, v7
	v_cndmask_b32_e32 v7, v7, v9, vcc
	v_cndmask_b32_e32 v3, v5, v3, vcc
	v_mov_b32_e32 v5, 0x3b800000
	v_lshlrev_b32_e32 v3, 20, v3
	v_and_b32_e32 v2, 0x80000000, v2
	v_lshl_add_u32 v5, v7, 23, v5
	v_or3_b32 v2, v2, v5, v3
	v_cvt_f64_f32_e32 v[2:3], v2
.LBB222_2331:
	s_or_b64 exec, exec, s[14:15]
.LBB222_2332:
	s_mov_b64 s[12:13], -1
.LBB222_2333:
	s_branch .LBB222_2366
.LBB222_2334:
	v_cmp_gt_i16_e64 s[10:11], s26, 22
	s_and_b64 vcc, exec, s[10:11]
	s_cbranch_vccz .LBB222_2344
; %bb.2335:
	v_cmp_lt_i16_e64 s[10:11], s26, 24
	s_and_b64 vcc, exec, s[10:11]
	s_cbranch_vccnz .LBB222_2347
; %bb.2336:
	v_cmp_gt_i16_e64 s[10:11], s26, 24
	s_and_b64 vcc, exec, s[10:11]
	s_cbranch_vccz .LBB222_2348
; %bb.2337:
	global_load_ubyte v5, v[24:25], off
	s_movk_i32 s10, 0x7f
                                        ; implicit-def: $sgpr12_sgpr13
	s_waitcnt vmcnt(0)
	v_cmp_lt_i16_e32 vcc, s10, v5
	s_mov_b64 s[10:11], 0
	s_and_saveexec_b64 s[14:15], vcc
	s_xor_b64 s[14:15], exec, s[14:15]
	s_cbranch_execz .LBB222_2360
; %bb.2338:
	s_movk_i32 s10, 0x80
	v_cmp_eq_u16_e32 vcc, s10, v5
	s_mov_b64 s[16:17], -1
                                        ; implicit-def: $sgpr12_sgpr13
	s_and_saveexec_b64 s[10:11], vcc
; %bb.2339:
	s_mov_b32 s13, 0x7ff80000
	s_brev_b32 s12, 4
	s_xor_b64 s[16:17], exec, -1
; %bb.2340:
	s_or_b64 exec, exec, s[10:11]
	s_and_b64 s[10:11], s[16:17], exec
	s_or_saveexec_b64 s[14:15], s[14:15]
	v_pk_mov_b32 v[2:3], s[12:13], s[12:13] op_sel:[0,1]
	s_xor_b64 exec, exec, s[14:15]
	s_cbranch_execnz .LBB222_2361
.LBB222_2341:
	s_or_b64 exec, exec, s[14:15]
	s_and_saveexec_b64 s[12:13], s[10:11]
	s_cbranch_execz .LBB222_2343
.LBB222_2342:
	v_and_b32_e32 v3, 0xffff, v5
	v_lshlrev_b32_e32 v2, 24, v5
	v_and_b32_e32 v5, 3, v3
	v_ffbh_u32_e32 v9, v5
	v_min_u32_e32 v9, 32, v9
	v_subrev_u32_e32 v11, 29, v9
	v_bfe_u32 v7, v3, 2, 5
	v_lshlrev_b32_e32 v3, v11, v3
	v_sub_u32_e32 v9, 30, v9
	v_and_b32_e32 v3, 3, v3
	v_cmp_eq_u32_e32 vcc, 0, v7
	v_cndmask_b32_e32 v7, v7, v9, vcc
	v_cndmask_b32_e32 v3, v5, v3, vcc
	v_mov_b32_e32 v5, 0x37800000
	v_lshlrev_b32_e32 v3, 21, v3
	v_and_b32_e32 v2, 0x80000000, v2
	v_lshl_add_u32 v5, v7, 23, v5
	v_or3_b32 v2, v2, v5, v3
	v_cvt_f64_f32_e32 v[2:3], v2
.LBB222_2343:
	s_or_b64 exec, exec, s[12:13]
	s_mov_b64 s[10:11], 0
	s_branch .LBB222_2349
.LBB222_2344:
	s_mov_b64 s[10:11], -1
                                        ; implicit-def: $vgpr2_vgpr3
	s_branch .LBB222_2355
.LBB222_2345:
	s_or_saveexec_b64 s[16:17], s[16:17]
	v_pk_mov_b32 v[2:3], s[14:15], s[14:15] op_sel:[0,1]
	s_xor_b64 exec, exec, s[16:17]
	s_cbranch_execz .LBB222_2329
.LBB222_2346:
	v_cmp_ne_u16_e32 vcc, 0, v5
	s_andn2_b64 s[12:13], s[12:13], exec
	s_and_b64 s[14:15], vcc, exec
	v_pk_mov_b32 v[2:3], 0, 0
	s_or_b64 s[12:13], s[12:13], s[14:15]
	s_or_b64 exec, exec, s[16:17]
	s_and_saveexec_b64 s[14:15], s[12:13]
	s_cbranch_execnz .LBB222_2330
	s_branch .LBB222_2331
.LBB222_2347:
	s_mov_b64 s[10:11], -1
                                        ; implicit-def: $vgpr2_vgpr3
	s_branch .LBB222_2352
.LBB222_2348:
	s_mov_b64 s[10:11], -1
                                        ; implicit-def: $vgpr2_vgpr3
.LBB222_2349:
	s_and_b64 vcc, exec, s[10:11]
	s_cbranch_vccz .LBB222_2351
; %bb.2350:
	global_load_ubyte v2, v[24:25], off
	s_mov_b32 s10, 0x7f800000
	s_waitcnt vmcnt(0)
	v_lshlrev_b32_e32 v2, 24, v2
	v_and_b32_e32 v3, 0x7f000000, v2
	v_ffbh_u32_e32 v5, v3
	v_min_u32_e32 v5, 32, v5
	v_sub_u32_e64 v5, v5, 4 clamp
	v_lshlrev_b32_e32 v9, v5, v3
	v_lshlrev_b32_e32 v5, 23, v5
	v_lshrrev_b32_e32 v9, 4, v9
	v_add_u32_e32 v7, 0x1000000, v3
	v_sub_u32_e32 v5, v9, v5
	v_ashrrev_i32_e32 v7, 8, v7
	v_add_u32_e32 v5, 0x3c000000, v5
	v_and_or_b32 v5, v7, s10, v5
	v_cmp_ne_u32_e32 vcc, 0, v3
	v_cndmask_b32_e32 v3, 0, v5, vcc
	s_brev_b32 s10, 1
	v_and_or_b32 v2, v2, s10, v3
	v_cvt_f64_f32_e32 v[2:3], v2
.LBB222_2351:
	s_mov_b64 s[10:11], 0
.LBB222_2352:
	s_andn2_b64 vcc, exec, s[10:11]
	s_cbranch_vccnz .LBB222_2354
; %bb.2353:
	global_load_ubyte v2, v[24:25], off
	s_movk_i32 s10, 0x7f00
	s_brev_b32 s11, 16
	s_waitcnt vmcnt(0)
	v_lshlrev_b16_e32 v3, 8, v2
	v_lshlrev_b32_e32 v2, 25, v2
	v_lshrrev_b32_e32 v5, 4, v2
	v_and_or_b32 v7, v3, s10, 0.5
	v_or_b32_e32 v5, 0x70000000, v5
	v_add_f32_e32 v7, -0.5, v7
	v_mul_f32_e32 v5, 0x7800000, v5
	v_cmp_gt_u32_e32 vcc, s11, v2
	v_bfe_i32 v3, v3, 0, 16
	v_cndmask_b32_e32 v2, v5, v7, vcc
	s_brev_b32 s10, 1
	v_and_or_b32 v2, v3, s10, v2
	v_cvt_f64_f32_e32 v[2:3], v2
.LBB222_2354:
	s_mov_b64 s[10:11], 0
	s_mov_b64 s[12:13], -1
.LBB222_2355:
	s_andn2_b64 vcc, exec, s[10:11]
	s_mov_b64 s[10:11], 0
	s_cbranch_vccnz .LBB222_2366
; %bb.2356:
	v_cmp_gt_i16_e64 s[10:11], s26, 14
	s_and_b64 vcc, exec, s[10:11]
	s_cbranch_vccz .LBB222_2359
; %bb.2357:
	v_cmp_eq_u16_e64 s[8:9], s26, 15
	s_and_b64 vcc, exec, s[8:9]
	s_cbranch_vccz .LBB222_2362
; %bb.2358:
	global_load_ushort v2, v[24:25], off
	s_mov_b64 s[8:9], 0
	s_mov_b64 s[12:13], -1
	s_waitcnt vmcnt(0)
	v_lshlrev_b32_e32 v2, 16, v2
	v_cvt_f64_f32_e32 v[2:3], v2
	s_branch .LBB222_2363
.LBB222_2359:
	s_mov_b64 s[14:15], -1
                                        ; implicit-def: $vgpr2_vgpr3
	s_branch .LBB222_2364
.LBB222_2360:
	s_or_saveexec_b64 s[14:15], s[14:15]
	v_pk_mov_b32 v[2:3], s[12:13], s[12:13] op_sel:[0,1]
	s_xor_b64 exec, exec, s[14:15]
	s_cbranch_execz .LBB222_2341
.LBB222_2361:
	v_cmp_ne_u16_e32 vcc, 0, v5
	s_andn2_b64 s[10:11], s[10:11], exec
	s_and_b64 s[12:13], vcc, exec
	v_pk_mov_b32 v[2:3], 0, 0
	s_or_b64 s[10:11], s[10:11], s[12:13]
	s_or_b64 exec, exec, s[14:15]
	s_and_saveexec_b64 s[12:13], s[10:11]
	s_cbranch_execnz .LBB222_2342
	s_branch .LBB222_2343
.LBB222_2362:
	s_mov_b64 s[8:9], -1
                                        ; implicit-def: $vgpr2_vgpr3
.LBB222_2363:
	s_mov_b64 s[14:15], 0
.LBB222_2364:
	s_mov_b64 s[10:11], 0
	s_and_b64 vcc, exec, s[14:15]
	s_cbranch_vccz .LBB222_2366
; %bb.2365:
	v_cmp_ne_u16_e64 s[8:9], s26, 11
	s_mov_b64 s[10:11], -1
                                        ; implicit-def: $vgpr2_vgpr3
.LBB222_2366:
	s_and_b64 vcc, exec, s[8:9]
	s_cbranch_vccnz .LBB222_2429
; %bb.2367:
	s_andn2_b64 vcc, exec, s[10:11]
	s_cbranch_vccnz .LBB222_2369
.LBB222_2368:
	global_load_ubyte v3, v[24:25], off
	v_mov_b32_e32 v5, 0x3ff00000
	v_mov_b32_e32 v2, 0
	s_mov_b64 s[12:13], -1
	s_waitcnt vmcnt(0)
	v_cmp_ne_u16_e32 vcc, 0, v3
	v_cndmask_b32_e32 v3, 0, v5, vcc
.LBB222_2369:
	s_branch .LBB222_2296
.LBB222_2370:
	v_cmp_lt_i16_e64 s[8:9], s26, 5
	s_and_b64 vcc, exec, s[8:9]
	s_cbranch_vccnz .LBB222_2375
; %bb.2371:
	v_cmp_lt_i16_e64 s[8:9], s26, 8
	s_and_b64 vcc, exec, s[8:9]
	s_cbranch_vccnz .LBB222_2376
; %bb.2372:
	;; [unrolled: 4-line block ×3, first 2 shown]
	v_cmp_gt_i16_e64 s[8:9], s26, 9
	s_and_b64 vcc, exec, s[8:9]
	s_cbranch_vccz .LBB222_2378
; %bb.2374:
	global_load_dwordx2 v[2:3], v[24:25], off
	s_mov_b64 s[8:9], 0
	s_branch .LBB222_2379
.LBB222_2375:
                                        ; implicit-def: $vgpr2_vgpr3
	s_branch .LBB222_2397
.LBB222_2376:
	s_mov_b64 s[8:9], -1
                                        ; implicit-def: $vgpr2_vgpr3
	s_branch .LBB222_2385
.LBB222_2377:
	s_mov_b64 s[8:9], -1
                                        ; implicit-def: $vgpr2_vgpr3
	s_branch .LBB222_2382
.LBB222_2378:
	s_mov_b64 s[8:9], -1
                                        ; implicit-def: $vgpr2_vgpr3
.LBB222_2379:
	s_andn2_b64 vcc, exec, s[8:9]
	s_cbranch_vccnz .LBB222_2381
; %bb.2380:
	global_load_dword v2, v[24:25], off
	s_waitcnt vmcnt(0)
	v_cvt_f64_f32_e32 v[2:3], v2
.LBB222_2381:
	s_mov_b64 s[8:9], 0
.LBB222_2382:
	s_andn2_b64 vcc, exec, s[8:9]
	s_cbranch_vccnz .LBB222_2384
; %bb.2383:
	global_load_dword v2, v[24:25], off
	s_waitcnt vmcnt(0)
	v_cvt_f32_f16_e32 v2, v2
	v_cvt_f64_f32_e32 v[2:3], v2
.LBB222_2384:
	s_mov_b64 s[8:9], 0
.LBB222_2385:
	s_andn2_b64 vcc, exec, s[8:9]
	s_cbranch_vccnz .LBB222_2396
; %bb.2386:
	v_cmp_lt_i16_e64 s[8:9], s26, 6
	s_and_b64 vcc, exec, s[8:9]
	s_cbranch_vccnz .LBB222_2389
; %bb.2387:
	v_cmp_gt_i16_e64 s[8:9], s26, 6
	s_and_b64 vcc, exec, s[8:9]
	s_cbranch_vccz .LBB222_2390
; %bb.2388:
	global_load_dwordx2 v[2:3], v[24:25], off
	s_mov_b64 s[8:9], 0
	s_branch .LBB222_2391
.LBB222_2389:
	s_mov_b64 s[8:9], -1
                                        ; implicit-def: $vgpr2_vgpr3
	s_branch .LBB222_2394
.LBB222_2390:
	s_mov_b64 s[8:9], -1
                                        ; implicit-def: $vgpr2_vgpr3
.LBB222_2391:
	s_andn2_b64 vcc, exec, s[8:9]
	s_cbranch_vccnz .LBB222_2393
; %bb.2392:
	global_load_dword v2, v[24:25], off
	s_waitcnt vmcnt(0)
	v_cvt_f64_f32_e32 v[2:3], v2
.LBB222_2393:
	s_mov_b64 s[8:9], 0
.LBB222_2394:
	s_andn2_b64 vcc, exec, s[8:9]
	s_cbranch_vccnz .LBB222_2396
; %bb.2395:
	global_load_ushort v2, v[24:25], off
	s_waitcnt vmcnt(0)
	v_cvt_f32_f16_e32 v2, v2
	v_cvt_f64_f32_e32 v[2:3], v2
.LBB222_2396:
	s_cbranch_execnz .LBB222_2416
.LBB222_2397:
	v_cmp_lt_i16_e64 s[8:9], s26, 2
	s_and_b64 vcc, exec, s[8:9]
	s_cbranch_vccnz .LBB222_2401
; %bb.2398:
	v_cmp_lt_i16_e64 s[8:9], s26, 3
	s_and_b64 vcc, exec, s[8:9]
	s_cbranch_vccnz .LBB222_2402
; %bb.2399:
	v_cmp_gt_i16_e64 s[8:9], s26, 3
	s_and_b64 vcc, exec, s[8:9]
	s_cbranch_vccz .LBB222_2403
; %bb.2400:
	global_load_dwordx2 v[2:3], v[24:25], off
	s_mov_b64 s[8:9], 0
	s_waitcnt vmcnt(0)
	v_cvt_f64_i32_e32 v[26:27], v3
	v_cvt_f64_u32_e32 v[2:3], v2
	v_ldexp_f64 v[26:27], v[26:27], 32
	v_add_f64 v[2:3], v[26:27], v[2:3]
	s_branch .LBB222_2404
.LBB222_2401:
	s_mov_b64 s[8:9], -1
                                        ; implicit-def: $vgpr2_vgpr3
	s_branch .LBB222_2410
.LBB222_2402:
	s_mov_b64 s[8:9], -1
                                        ; implicit-def: $vgpr2_vgpr3
	s_branch .LBB222_2407
.LBB222_2403:
	s_mov_b64 s[8:9], -1
                                        ; implicit-def: $vgpr2_vgpr3
.LBB222_2404:
	s_andn2_b64 vcc, exec, s[8:9]
	s_cbranch_vccnz .LBB222_2406
; %bb.2405:
	global_load_dword v2, v[24:25], off
	s_waitcnt vmcnt(0)
	v_cvt_f64_i32_e32 v[2:3], v2
.LBB222_2406:
	s_mov_b64 s[8:9], 0
.LBB222_2407:
	s_andn2_b64 vcc, exec, s[8:9]
	s_cbranch_vccnz .LBB222_2409
; %bb.2408:
	global_load_sshort v2, v[24:25], off
	s_waitcnt vmcnt(0)
	v_cvt_f64_i32_e32 v[2:3], v2
.LBB222_2409:
	s_mov_b64 s[8:9], 0
.LBB222_2410:
	s_andn2_b64 vcc, exec, s[8:9]
	s_cbranch_vccnz .LBB222_2416
; %bb.2411:
	v_cmp_gt_i16_e64 s[8:9], s26, 0
	s_and_b64 vcc, exec, s[8:9]
	s_cbranch_vccz .LBB222_2413
; %bb.2412:
	global_load_sbyte v2, v[24:25], off
	s_mov_b64 s[8:9], 0
	s_waitcnt vmcnt(0)
	v_cvt_f64_i32_e32 v[2:3], v2
	s_branch .LBB222_2414
.LBB222_2413:
	s_mov_b64 s[8:9], -1
                                        ; implicit-def: $vgpr2_vgpr3
.LBB222_2414:
	s_andn2_b64 vcc, exec, s[8:9]
	s_cbranch_vccnz .LBB222_2416
; %bb.2415:
	global_load_ubyte v2, v[24:25], off
	s_waitcnt vmcnt(0)
	v_cvt_f64_u32_e32 v[2:3], v2
.LBB222_2416:
.LBB222_2417:
	s_load_dword s10, s[56:57], 0x1ec
	s_load_dwordx2 s[8:9], s[56:57], 0x1e0
	s_waitcnt lgkmcnt(0)
	s_and_b32 s27, s10, 0xff
	v_mov_b32_e32 v5, s9
	v_add_co_u32_e32 v24, vcc, s8, v4
	v_addc_co_u32_e32 v25, vcc, 0, v5, vcc
	v_cmp_lt_i16_e64 s[10:11], s27, 11
	s_and_b64 vcc, exec, s[10:11]
	s_cbranch_vccnz .LBB222_2424
; %bb.2418:
	v_cmp_gt_i16_e64 s[12:13], s27, 25
	s_mov_b64 s[14:15], 0
	s_and_b64 vcc, exec, s[12:13]
	s_cbranch_vccz .LBB222_2426
; %bb.2419:
	v_cmp_gt_i16_e64 s[12:13], s27, 28
	s_and_b64 vcc, exec, s[12:13]
	s_cbranch_vccz .LBB222_2427
; %bb.2420:
	v_cmp_gt_i16_e64 s[12:13], s27, 43
	;; [unrolled: 4-line block ×3, first 2 shown]
	s_and_b64 vcc, exec, s[12:13]
	s_cbranch_vccz .LBB222_2430
; %bb.2422:
	v_cmp_eq_u16_e64 s[12:13], s27, 46
	s_mov_b64 s[18:19], 0
	s_and_b64 vcc, exec, s[12:13]
	s_cbranch_vccz .LBB222_2431
; %bb.2423:
	global_load_dword v4, v[24:25], off
	s_mov_b64 s[12:13], 0
	s_mov_b64 s[16:17], -1
	s_waitcnt vmcnt(0)
	v_lshlrev_b32_e32 v4, 16, v4
	v_cvt_f64_f32_e32 v[4:5], v4
	s_branch .LBB222_2432
.LBB222_2424:
	s_mov_b64 s[16:17], 0
                                        ; implicit-def: $vgpr4_vgpr5
	s_cbranch_execnz .LBB222_2498
.LBB222_2425:
	s_andn2_b64 vcc, exec, s[16:17]
	s_cbranch_vccnz .LBB222_4173
	s_branch .LBB222_2546
.LBB222_2426:
	s_mov_b64 s[18:19], -1
	s_mov_b64 s[16:17], 0
	s_mov_b64 s[12:13], 0
                                        ; implicit-def: $vgpr4_vgpr5
	s_branch .LBB222_2461
.LBB222_2427:
	s_mov_b64 s[18:19], -1
	s_mov_b64 s[16:17], 0
	s_mov_b64 s[12:13], 0
                                        ; implicit-def: $vgpr4_vgpr5
	s_branch .LBB222_2442
.LBB222_2428:
	s_mov_b64 s[18:19], -1
	s_mov_b64 s[16:17], 0
	s_mov_b64 s[12:13], 0
                                        ; implicit-def: $vgpr4_vgpr5
	s_branch .LBB222_2437
.LBB222_2429:
	s_trap 2
	s_or_b64 s[90:91], s[90:91], exec
                                        ; implicit-def: $vgpr2_vgpr3
	s_cbranch_execz .LBB222_2368
	s_branch .LBB222_2369
.LBB222_2430:
	s_mov_b64 s[18:19], -1
	s_mov_b64 s[16:17], 0
	s_mov_b64 s[12:13], 0
                                        ; implicit-def: $vgpr4_vgpr5
	s_branch .LBB222_2432
.LBB222_2431:
	s_mov_b64 s[12:13], -1
                                        ; implicit-def: $vgpr4_vgpr5
	s_mov_b64 s[16:17], 0
.LBB222_2432:
	s_and_b64 vcc, exec, s[18:19]
	s_cbranch_vccz .LBB222_2436
; %bb.2433:
	v_cmp_eq_u16_e64 s[12:13], s27, 44
	s_and_b64 vcc, exec, s[12:13]
	s_cbranch_vccz .LBB222_2435
; %bb.2434:
	global_load_ubyte v7, v[24:25], off
	s_movk_i32 s16, 0xff
	v_bfrev_b32_e32 v9, 4
	v_mov_b32_e32 v11, 0x7ff80000
	v_bfrev_b32_e32 v13, 28
	s_mov_b64 s[12:13], 0
	s_waitcnt vmcnt(0)
	v_lshlrev_b32_e32 v4, 23, v7
	v_cvt_f64_f32_e32 v[4:5], v4
	v_cmp_ne_u32_e32 vcc, s16, v7
	v_cndmask_b32_e32 v4, v9, v4, vcc
	v_cndmask_b32_e32 v5, v11, v5, vcc
	v_cmp_ne_u32_e32 vcc, 0, v7
	v_cndmask_b32_e32 v5, v13, v5, vcc
	v_cndmask_b32_e32 v4, 0, v4, vcc
	s_mov_b64 s[16:17], -1
	s_branch .LBB222_2436
.LBB222_2435:
	s_mov_b64 s[12:13], -1
                                        ; implicit-def: $vgpr4_vgpr5
.LBB222_2436:
	s_mov_b64 s[18:19], 0
.LBB222_2437:
	s_and_b64 vcc, exec, s[18:19]
	s_cbranch_vccz .LBB222_2441
; %bb.2438:
	v_cmp_eq_u16_e64 s[12:13], s27, 29
	s_and_b64 vcc, exec, s[12:13]
	s_cbranch_vccz .LBB222_2440
; %bb.2439:
	global_load_dwordx2 v[4:5], v[24:25], off
	s_mov_b64 s[12:13], 0
	s_mov_b64 s[16:17], -1
	s_mov_b64 s[18:19], 0
	s_waitcnt vmcnt(0)
	v_cvt_f64_u32_e32 v[26:27], v5
	v_cvt_f64_u32_e32 v[4:5], v4
	v_ldexp_f64 v[26:27], v[26:27], 32
	v_add_f64 v[4:5], v[26:27], v[4:5]
	s_branch .LBB222_2442
.LBB222_2440:
	s_mov_b64 s[12:13], -1
                                        ; implicit-def: $vgpr4_vgpr5
.LBB222_2441:
	s_mov_b64 s[18:19], 0
.LBB222_2442:
	s_and_b64 vcc, exec, s[18:19]
	s_cbranch_vccz .LBB222_2460
; %bb.2443:
	v_cmp_lt_i16_e64 s[16:17], s27, 27
	s_and_b64 vcc, exec, s[16:17]
	s_cbranch_vccnz .LBB222_2446
; %bb.2444:
	v_cmp_gt_i16_e64 s[16:17], s27, 27
	s_and_b64 vcc, exec, s[16:17]
	s_cbranch_vccz .LBB222_2447
; %bb.2445:
	global_load_dword v4, v[24:25], off
	s_mov_b64 s[16:17], 0
	s_waitcnt vmcnt(0)
	v_cvt_f64_u32_e32 v[4:5], v4
	s_branch .LBB222_2448
.LBB222_2446:
	s_mov_b64 s[16:17], -1
                                        ; implicit-def: $vgpr4_vgpr5
	s_branch .LBB222_2451
.LBB222_2447:
	s_mov_b64 s[16:17], -1
                                        ; implicit-def: $vgpr4_vgpr5
.LBB222_2448:
	s_andn2_b64 vcc, exec, s[16:17]
	s_cbranch_vccnz .LBB222_2450
; %bb.2449:
	global_load_ushort v4, v[24:25], off
	s_waitcnt vmcnt(0)
	v_cvt_f64_u32_e32 v[4:5], v4
.LBB222_2450:
	s_mov_b64 s[16:17], 0
.LBB222_2451:
	s_andn2_b64 vcc, exec, s[16:17]
	s_cbranch_vccnz .LBB222_2459
; %bb.2452:
	global_load_ubyte v7, v[24:25], off
	s_movk_i32 s16, 0x7f
                                        ; implicit-def: $sgpr18_sgpr19
	s_waitcnt vmcnt(0)
	v_cmp_lt_i16_e32 vcc, s16, v7
	s_mov_b64 s[16:17], 0
	s_and_saveexec_b64 s[20:21], vcc
	s_xor_b64 s[20:21], exec, s[20:21]
	s_cbranch_execz .LBB222_2473
; %bb.2453:
	s_movk_i32 s16, 0x80
	v_cmp_eq_u16_e32 vcc, s16, v7
	s_mov_b64 s[22:23], -1
                                        ; implicit-def: $sgpr18_sgpr19
	s_and_saveexec_b64 s[16:17], vcc
; %bb.2454:
	s_mov_b32 s19, 0x7ff80000
	s_brev_b32 s18, 4
	s_xor_b64 s[22:23], exec, -1
; %bb.2455:
	s_or_b64 exec, exec, s[16:17]
	s_and_b64 s[16:17], s[22:23], exec
	s_or_saveexec_b64 s[20:21], s[20:21]
	v_pk_mov_b32 v[4:5], s[18:19], s[18:19] op_sel:[0,1]
	s_xor_b64 exec, exec, s[20:21]
	s_cbranch_execnz .LBB222_2474
.LBB222_2456:
	s_or_b64 exec, exec, s[20:21]
	s_and_saveexec_b64 s[18:19], s[16:17]
	s_cbranch_execz .LBB222_2458
.LBB222_2457:
	v_and_b32_e32 v5, 0xffff, v7
	v_lshlrev_b32_e32 v4, 24, v7
	v_and_b32_e32 v7, 7, v5
	v_ffbh_u32_e32 v11, v7
	v_min_u32_e32 v11, 32, v11
	v_subrev_u32_e32 v13, 28, v11
	v_bfe_u32 v9, v5, 3, 4
	v_lshlrev_b32_e32 v5, v13, v5
	v_sub_u32_e32 v11, 29, v11
	v_and_b32_e32 v5, 7, v5
	v_cmp_eq_u32_e32 vcc, 0, v9
	v_cndmask_b32_e32 v9, v9, v11, vcc
	v_cndmask_b32_e32 v5, v7, v5, vcc
	v_mov_b32_e32 v7, 0x3b800000
	v_lshlrev_b32_e32 v5, 20, v5
	v_and_b32_e32 v4, 0x80000000, v4
	v_lshl_add_u32 v7, v9, 23, v7
	v_or3_b32 v4, v4, v7, v5
	v_cvt_f64_f32_e32 v[4:5], v4
.LBB222_2458:
	s_or_b64 exec, exec, s[18:19]
.LBB222_2459:
	s_mov_b64 s[16:17], -1
.LBB222_2460:
	s_mov_b64 s[18:19], 0
.LBB222_2461:
	s_and_b64 vcc, exec, s[18:19]
	s_cbranch_vccz .LBB222_2494
; %bb.2462:
	v_cmp_gt_i16_e64 s[14:15], s27, 22
	s_and_b64 vcc, exec, s[14:15]
	s_cbranch_vccz .LBB222_2472
; %bb.2463:
	v_cmp_lt_i16_e64 s[14:15], s27, 24
	s_and_b64 vcc, exec, s[14:15]
	s_cbranch_vccnz .LBB222_2475
; %bb.2464:
	v_cmp_gt_i16_e64 s[14:15], s27, 24
	s_and_b64 vcc, exec, s[14:15]
	s_cbranch_vccz .LBB222_2476
; %bb.2465:
	global_load_ubyte v7, v[24:25], off
	s_movk_i32 s14, 0x7f
                                        ; implicit-def: $sgpr16_sgpr17
	s_waitcnt vmcnt(0)
	v_cmp_lt_i16_e32 vcc, s14, v7
	s_mov_b64 s[14:15], 0
	s_and_saveexec_b64 s[18:19], vcc
	s_xor_b64 s[18:19], exec, s[18:19]
	s_cbranch_execz .LBB222_2488
; %bb.2466:
	s_movk_i32 s14, 0x80
	v_cmp_eq_u16_e32 vcc, s14, v7
	s_mov_b64 s[20:21], -1
                                        ; implicit-def: $sgpr16_sgpr17
	s_and_saveexec_b64 s[14:15], vcc
; %bb.2467:
	s_mov_b32 s17, 0x7ff80000
	s_brev_b32 s16, 4
	s_xor_b64 s[20:21], exec, -1
; %bb.2468:
	s_or_b64 exec, exec, s[14:15]
	s_and_b64 s[14:15], s[20:21], exec
	s_or_saveexec_b64 s[18:19], s[18:19]
	v_pk_mov_b32 v[4:5], s[16:17], s[16:17] op_sel:[0,1]
	s_xor_b64 exec, exec, s[18:19]
	s_cbranch_execnz .LBB222_2489
.LBB222_2469:
	s_or_b64 exec, exec, s[18:19]
	s_and_saveexec_b64 s[16:17], s[14:15]
	s_cbranch_execz .LBB222_2471
.LBB222_2470:
	v_and_b32_e32 v5, 0xffff, v7
	v_lshlrev_b32_e32 v4, 24, v7
	v_and_b32_e32 v7, 3, v5
	v_ffbh_u32_e32 v11, v7
	v_min_u32_e32 v11, 32, v11
	v_subrev_u32_e32 v13, 29, v11
	v_bfe_u32 v9, v5, 2, 5
	v_lshlrev_b32_e32 v5, v13, v5
	v_sub_u32_e32 v11, 30, v11
	v_and_b32_e32 v5, 3, v5
	v_cmp_eq_u32_e32 vcc, 0, v9
	v_cndmask_b32_e32 v9, v9, v11, vcc
	v_cndmask_b32_e32 v5, v7, v5, vcc
	v_mov_b32_e32 v7, 0x37800000
	v_lshlrev_b32_e32 v5, 21, v5
	v_and_b32_e32 v4, 0x80000000, v4
	v_lshl_add_u32 v7, v9, 23, v7
	v_or3_b32 v4, v4, v7, v5
	v_cvt_f64_f32_e32 v[4:5], v4
.LBB222_2471:
	s_or_b64 exec, exec, s[16:17]
	s_mov_b64 s[14:15], 0
	s_branch .LBB222_2477
.LBB222_2472:
	s_mov_b64 s[14:15], -1
                                        ; implicit-def: $vgpr4_vgpr5
	s_branch .LBB222_2483
.LBB222_2473:
	s_or_saveexec_b64 s[20:21], s[20:21]
	v_pk_mov_b32 v[4:5], s[18:19], s[18:19] op_sel:[0,1]
	s_xor_b64 exec, exec, s[20:21]
	s_cbranch_execz .LBB222_2456
.LBB222_2474:
	v_cmp_ne_u16_e32 vcc, 0, v7
	s_andn2_b64 s[16:17], s[16:17], exec
	s_and_b64 s[18:19], vcc, exec
	v_pk_mov_b32 v[4:5], 0, 0
	s_or_b64 s[16:17], s[16:17], s[18:19]
	s_or_b64 exec, exec, s[20:21]
	s_and_saveexec_b64 s[18:19], s[16:17]
	s_cbranch_execnz .LBB222_2457
	s_branch .LBB222_2458
.LBB222_2475:
	s_mov_b64 s[14:15], -1
                                        ; implicit-def: $vgpr4_vgpr5
	s_branch .LBB222_2480
.LBB222_2476:
	s_mov_b64 s[14:15], -1
                                        ; implicit-def: $vgpr4_vgpr5
.LBB222_2477:
	s_and_b64 vcc, exec, s[14:15]
	s_cbranch_vccz .LBB222_2479
; %bb.2478:
	global_load_ubyte v4, v[24:25], off
	s_mov_b32 s14, 0x7f800000
	s_waitcnt vmcnt(0)
	v_lshlrev_b32_e32 v4, 24, v4
	v_and_b32_e32 v5, 0x7f000000, v4
	v_ffbh_u32_e32 v7, v5
	v_min_u32_e32 v7, 32, v7
	v_sub_u32_e64 v7, v7, 4 clamp
	v_lshlrev_b32_e32 v11, v7, v5
	v_lshlrev_b32_e32 v7, 23, v7
	v_lshrrev_b32_e32 v11, 4, v11
	v_add_u32_e32 v9, 0x1000000, v5
	v_sub_u32_e32 v7, v11, v7
	v_ashrrev_i32_e32 v9, 8, v9
	v_add_u32_e32 v7, 0x3c000000, v7
	v_and_or_b32 v7, v9, s14, v7
	v_cmp_ne_u32_e32 vcc, 0, v5
	v_cndmask_b32_e32 v5, 0, v7, vcc
	s_brev_b32 s14, 1
	v_and_or_b32 v4, v4, s14, v5
	v_cvt_f64_f32_e32 v[4:5], v4
.LBB222_2479:
	s_mov_b64 s[14:15], 0
.LBB222_2480:
	s_andn2_b64 vcc, exec, s[14:15]
	s_cbranch_vccnz .LBB222_2482
; %bb.2481:
	global_load_ubyte v4, v[24:25], off
	s_movk_i32 s14, 0x7f00
	s_brev_b32 s15, 16
	s_waitcnt vmcnt(0)
	v_lshlrev_b16_e32 v5, 8, v4
	v_lshlrev_b32_e32 v4, 25, v4
	v_lshrrev_b32_e32 v7, 4, v4
	v_and_or_b32 v9, v5, s14, 0.5
	v_or_b32_e32 v7, 0x70000000, v7
	v_add_f32_e32 v9, -0.5, v9
	v_mul_f32_e32 v7, 0x7800000, v7
	v_cmp_gt_u32_e32 vcc, s15, v4
	v_bfe_i32 v5, v5, 0, 16
	v_cndmask_b32_e32 v4, v7, v9, vcc
	s_brev_b32 s14, 1
	v_and_or_b32 v4, v5, s14, v4
	v_cvt_f64_f32_e32 v[4:5], v4
.LBB222_2482:
	s_mov_b64 s[14:15], 0
	s_mov_b64 s[16:17], -1
.LBB222_2483:
	s_andn2_b64 vcc, exec, s[14:15]
	s_mov_b64 s[14:15], 0
	s_cbranch_vccnz .LBB222_2494
; %bb.2484:
	v_cmp_gt_i16_e64 s[14:15], s27, 14
	s_and_b64 vcc, exec, s[14:15]
	s_cbranch_vccz .LBB222_2487
; %bb.2485:
	v_cmp_eq_u16_e64 s[12:13], s27, 15
	s_and_b64 vcc, exec, s[12:13]
	s_cbranch_vccz .LBB222_2490
; %bb.2486:
	global_load_ushort v4, v[24:25], off
	s_mov_b64 s[12:13], 0
	s_mov_b64 s[16:17], -1
	s_waitcnt vmcnt(0)
	v_lshlrev_b32_e32 v4, 16, v4
	v_cvt_f64_f32_e32 v[4:5], v4
	s_branch .LBB222_2491
.LBB222_2487:
	s_mov_b64 s[18:19], -1
                                        ; implicit-def: $vgpr4_vgpr5
	s_branch .LBB222_2492
.LBB222_2488:
	s_or_saveexec_b64 s[18:19], s[18:19]
	v_pk_mov_b32 v[4:5], s[16:17], s[16:17] op_sel:[0,1]
	s_xor_b64 exec, exec, s[18:19]
	s_cbranch_execz .LBB222_2469
.LBB222_2489:
	v_cmp_ne_u16_e32 vcc, 0, v7
	s_andn2_b64 s[14:15], s[14:15], exec
	s_and_b64 s[16:17], vcc, exec
	v_pk_mov_b32 v[4:5], 0, 0
	s_or_b64 s[14:15], s[14:15], s[16:17]
	s_or_b64 exec, exec, s[18:19]
	s_and_saveexec_b64 s[16:17], s[14:15]
	s_cbranch_execnz .LBB222_2470
	s_branch .LBB222_2471
.LBB222_2490:
	s_mov_b64 s[12:13], -1
                                        ; implicit-def: $vgpr4_vgpr5
.LBB222_2491:
	s_mov_b64 s[18:19], 0
.LBB222_2492:
	s_mov_b64 s[14:15], 0
	s_and_b64 vcc, exec, s[18:19]
	s_cbranch_vccz .LBB222_2494
; %bb.2493:
	v_cmp_ne_u16_e64 s[12:13], s27, 11
	s_mov_b64 s[14:15], -1
                                        ; implicit-def: $vgpr4_vgpr5
.LBB222_2494:
	s_and_b64 vcc, exec, s[12:13]
	s_cbranch_vccnz .LBB222_2557
; %bb.2495:
	s_andn2_b64 vcc, exec, s[14:15]
	s_cbranch_vccnz .LBB222_2497
.LBB222_2496:
	global_load_ubyte v5, v[24:25], off
	v_mov_b32_e32 v7, 0x3ff00000
	v_mov_b32_e32 v4, 0
	s_mov_b64 s[16:17], -1
	s_waitcnt vmcnt(0)
	v_cmp_ne_u16_e32 vcc, 0, v5
	v_cndmask_b32_e32 v5, 0, v7, vcc
.LBB222_2497:
	s_branch .LBB222_2425
.LBB222_2498:
	v_cmp_lt_i16_e64 s[12:13], s27, 5
	s_and_b64 vcc, exec, s[12:13]
	s_cbranch_vccnz .LBB222_2503
; %bb.2499:
	v_cmp_lt_i16_e64 s[12:13], s27, 8
	s_and_b64 vcc, exec, s[12:13]
	s_cbranch_vccnz .LBB222_2504
; %bb.2500:
	;; [unrolled: 4-line block ×3, first 2 shown]
	v_cmp_gt_i16_e64 s[12:13], s27, 9
	s_and_b64 vcc, exec, s[12:13]
	s_cbranch_vccz .LBB222_2506
; %bb.2502:
	global_load_dwordx2 v[4:5], v[24:25], off
	s_mov_b64 s[12:13], 0
	s_branch .LBB222_2507
.LBB222_2503:
	s_mov_b64 s[12:13], -1
                                        ; implicit-def: $vgpr4_vgpr5
	s_branch .LBB222_2525
.LBB222_2504:
	s_mov_b64 s[12:13], -1
                                        ; implicit-def: $vgpr4_vgpr5
	s_branch .LBB222_2513
.LBB222_2505:
	s_mov_b64 s[12:13], -1
                                        ; implicit-def: $vgpr4_vgpr5
	s_branch .LBB222_2510
.LBB222_2506:
	s_mov_b64 s[12:13], -1
                                        ; implicit-def: $vgpr4_vgpr5
.LBB222_2507:
	s_andn2_b64 vcc, exec, s[12:13]
	s_cbranch_vccnz .LBB222_2509
; %bb.2508:
	global_load_dword v4, v[24:25], off
	s_waitcnt vmcnt(0)
	v_cvt_f64_f32_e32 v[4:5], v4
.LBB222_2509:
	s_mov_b64 s[12:13], 0
.LBB222_2510:
	s_andn2_b64 vcc, exec, s[12:13]
	s_cbranch_vccnz .LBB222_2512
; %bb.2511:
	global_load_dword v4, v[24:25], off
	s_waitcnt vmcnt(0)
	v_cvt_f32_f16_e32 v4, v4
	v_cvt_f64_f32_e32 v[4:5], v4
.LBB222_2512:
	s_mov_b64 s[12:13], 0
.LBB222_2513:
	s_andn2_b64 vcc, exec, s[12:13]
	s_cbranch_vccnz .LBB222_2524
; %bb.2514:
	v_cmp_lt_i16_e64 s[12:13], s27, 6
	s_and_b64 vcc, exec, s[12:13]
	s_cbranch_vccnz .LBB222_2517
; %bb.2515:
	v_cmp_gt_i16_e64 s[12:13], s27, 6
	s_and_b64 vcc, exec, s[12:13]
	s_cbranch_vccz .LBB222_2518
; %bb.2516:
	global_load_dwordx2 v[4:5], v[24:25], off
	s_mov_b64 s[12:13], 0
	s_branch .LBB222_2519
.LBB222_2517:
	s_mov_b64 s[12:13], -1
                                        ; implicit-def: $vgpr4_vgpr5
	s_branch .LBB222_2522
.LBB222_2518:
	s_mov_b64 s[12:13], -1
                                        ; implicit-def: $vgpr4_vgpr5
.LBB222_2519:
	s_andn2_b64 vcc, exec, s[12:13]
	s_cbranch_vccnz .LBB222_2521
; %bb.2520:
	global_load_dword v4, v[24:25], off
	s_waitcnt vmcnt(0)
	v_cvt_f64_f32_e32 v[4:5], v4
.LBB222_2521:
	s_mov_b64 s[12:13], 0
.LBB222_2522:
	s_andn2_b64 vcc, exec, s[12:13]
	s_cbranch_vccnz .LBB222_2524
; %bb.2523:
	global_load_ushort v4, v[24:25], off
	s_waitcnt vmcnt(0)
	v_cvt_f32_f16_e32 v4, v4
	v_cvt_f64_f32_e32 v[4:5], v4
.LBB222_2524:
	s_mov_b64 s[12:13], 0
.LBB222_2525:
	s_andn2_b64 vcc, exec, s[12:13]
	s_cbranch_vccnz .LBB222_2545
; %bb.2526:
	v_cmp_lt_i16_e64 s[12:13], s27, 2
	s_and_b64 vcc, exec, s[12:13]
	s_cbranch_vccnz .LBB222_2530
; %bb.2527:
	v_cmp_lt_i16_e64 s[12:13], s27, 3
	s_and_b64 vcc, exec, s[12:13]
	s_cbranch_vccnz .LBB222_2531
; %bb.2528:
	v_cmp_gt_i16_e64 s[12:13], s27, 3
	s_and_b64 vcc, exec, s[12:13]
	s_cbranch_vccz .LBB222_2532
; %bb.2529:
	global_load_dwordx2 v[4:5], v[24:25], off
	s_mov_b64 s[12:13], 0
	s_waitcnt vmcnt(0)
	v_cvt_f64_i32_e32 v[26:27], v5
	v_cvt_f64_u32_e32 v[4:5], v4
	v_ldexp_f64 v[26:27], v[26:27], 32
	v_add_f64 v[4:5], v[26:27], v[4:5]
	s_branch .LBB222_2533
.LBB222_2530:
	s_mov_b64 s[12:13], -1
                                        ; implicit-def: $vgpr4_vgpr5
	s_branch .LBB222_2539
.LBB222_2531:
	s_mov_b64 s[12:13], -1
                                        ; implicit-def: $vgpr4_vgpr5
	s_branch .LBB222_2536
.LBB222_2532:
	s_mov_b64 s[12:13], -1
                                        ; implicit-def: $vgpr4_vgpr5
.LBB222_2533:
	s_andn2_b64 vcc, exec, s[12:13]
	s_cbranch_vccnz .LBB222_2535
; %bb.2534:
	global_load_dword v4, v[24:25], off
	s_waitcnt vmcnt(0)
	v_cvt_f64_i32_e32 v[4:5], v4
.LBB222_2535:
	s_mov_b64 s[12:13], 0
.LBB222_2536:
	s_andn2_b64 vcc, exec, s[12:13]
	s_cbranch_vccnz .LBB222_2538
; %bb.2537:
	global_load_sshort v4, v[24:25], off
	s_waitcnt vmcnt(0)
	v_cvt_f64_i32_e32 v[4:5], v4
.LBB222_2538:
	s_mov_b64 s[12:13], 0
.LBB222_2539:
	s_andn2_b64 vcc, exec, s[12:13]
	s_cbranch_vccnz .LBB222_2545
; %bb.2540:
	v_cmp_gt_i16_e64 s[12:13], s27, 0
	s_and_b64 vcc, exec, s[12:13]
	s_cbranch_vccz .LBB222_2542
; %bb.2541:
	global_load_sbyte v4, v[24:25], off
	s_mov_b64 s[12:13], 0
	s_waitcnt vmcnt(0)
	v_cvt_f64_i32_e32 v[4:5], v4
	s_branch .LBB222_2543
.LBB222_2542:
	s_mov_b64 s[12:13], -1
                                        ; implicit-def: $vgpr4_vgpr5
.LBB222_2543:
	s_andn2_b64 vcc, exec, s[12:13]
	s_cbranch_vccnz .LBB222_2545
; %bb.2544:
	global_load_ubyte v4, v[24:25], off
	s_waitcnt vmcnt(0)
	v_cvt_f64_u32_e32 v[4:5], v4
.LBB222_2545:
.LBB222_2546:
	v_mov_b32_e32 v7, s39
	v_add_co_u32_e32 v22, vcc, s38, v22
	v_addc_co_u32_e32 v23, vcc, 0, v7, vcc
	v_mov_b32_e32 v7, 11
	v_cmp_lt_i16_sdwa s[12:13], s25, v7 src0_sel:BYTE_0 src1_sel:DWORD
	s_and_b64 vcc, exec, s[12:13]
	s_cbranch_vccnz .LBB222_2553
; %bb.2547:
	v_mov_b32_e32 v7, 25
	v_cmp_gt_i16_sdwa s[12:13], s25, v7 src0_sel:BYTE_0 src1_sel:DWORD
	s_mov_b64 s[14:15], 0
	s_and_b64 vcc, exec, s[12:13]
	s_cbranch_vccz .LBB222_2554
; %bb.2548:
	v_mov_b32_e32 v7, 28
	v_cmp_gt_i16_sdwa s[12:13], s25, v7 src0_sel:BYTE_0 src1_sel:DWORD
	s_and_b64 vcc, exec, s[12:13]
	s_cbranch_vccz .LBB222_2555
; %bb.2549:
	v_mov_b32_e32 v7, 43
	v_cmp_gt_i16_sdwa s[12:13], s25, v7 src0_sel:BYTE_0 src1_sel:DWORD
	;; [unrolled: 5-line block ×3, first 2 shown]
	s_and_b64 vcc, exec, s[12:13]
	s_cbranch_vccz .LBB222_2558
; %bb.2551:
	v_mov_b32_e32 v7, 46
	v_cmp_eq_u16_sdwa s[12:13], s25, v7 src0_sel:BYTE_0 src1_sel:DWORD
	s_mov_b64 s[18:19], 0
	s_and_b64 vcc, exec, s[12:13]
	s_cbranch_vccz .LBB222_2559
; %bb.2552:
	global_load_dword v7, v[22:23], off
	s_mov_b64 s[12:13], 0
	s_mov_b64 s[16:17], -1
	s_waitcnt vmcnt(0)
	v_lshlrev_b32_e32 v7, 16, v7
	v_cvt_f64_f32_e32 v[42:43], v7
	s_branch .LBB222_2560
.LBB222_2553:
	s_mov_b64 s[12:13], -1
	s_mov_b64 s[16:17], 0
                                        ; implicit-def: $vgpr42_vgpr43
	s_branch .LBB222_2626
.LBB222_2554:
	s_mov_b64 s[18:19], -1
	s_mov_b64 s[16:17], 0
	s_mov_b64 s[12:13], 0
                                        ; implicit-def: $vgpr42_vgpr43
	s_branch .LBB222_2589
.LBB222_2555:
	s_mov_b64 s[18:19], -1
	s_mov_b64 s[16:17], 0
	s_mov_b64 s[12:13], 0
                                        ; implicit-def: $vgpr42_vgpr43
	s_branch .LBB222_2570
.LBB222_2556:
	s_mov_b64 s[18:19], -1
	s_mov_b64 s[16:17], 0
	s_mov_b64 s[12:13], 0
                                        ; implicit-def: $vgpr42_vgpr43
	s_branch .LBB222_2565
.LBB222_2557:
	s_trap 2
	s_or_b64 s[90:91], s[90:91], exec
                                        ; implicit-def: $vgpr4_vgpr5
	s_cbranch_execz .LBB222_2496
	s_branch .LBB222_2497
.LBB222_2558:
	s_mov_b64 s[18:19], -1
	s_mov_b64 s[16:17], 0
	s_mov_b64 s[12:13], 0
                                        ; implicit-def: $vgpr42_vgpr43
	s_branch .LBB222_2560
.LBB222_2559:
	s_mov_b64 s[12:13], -1
                                        ; implicit-def: $vgpr42_vgpr43
	s_mov_b64 s[16:17], 0
.LBB222_2560:
	s_and_b64 vcc, exec, s[18:19]
	s_cbranch_vccz .LBB222_2564
; %bb.2561:
	v_mov_b32_e32 v7, 44
	v_cmp_eq_u16_sdwa s[12:13], s25, v7 src0_sel:BYTE_0 src1_sel:DWORD
	s_and_b64 vcc, exec, s[12:13]
	s_cbranch_vccz .LBB222_2563
; %bb.2562:
	global_load_ubyte v7, v[22:23], off
	s_movk_i32 s16, 0xff
	v_bfrev_b32_e32 v9, 4
	v_mov_b32_e32 v11, 0x7ff80000
	v_bfrev_b32_e32 v13, 28
	s_mov_b64 s[12:13], 0
	s_waitcnt vmcnt(0)
	v_lshlrev_b32_e32 v15, 23, v7
	v_cvt_f64_f32_e32 v[24:25], v15
	v_cmp_ne_u32_e32 vcc, s16, v7
	v_cndmask_b32_e32 v9, v9, v24, vcc
	v_cndmask_b32_e32 v11, v11, v25, vcc
	v_cmp_ne_u32_e32 vcc, 0, v7
	v_cndmask_b32_e32 v43, v13, v11, vcc
	v_cndmask_b32_e32 v42, 0, v9, vcc
	s_mov_b64 s[16:17], -1
	s_branch .LBB222_2564
.LBB222_2563:
	s_mov_b64 s[12:13], -1
                                        ; implicit-def: $vgpr42_vgpr43
.LBB222_2564:
	s_mov_b64 s[18:19], 0
.LBB222_2565:
	s_and_b64 vcc, exec, s[18:19]
	s_cbranch_vccz .LBB222_2569
; %bb.2566:
	v_mov_b32_e32 v7, 29
	v_cmp_eq_u16_sdwa s[12:13], s25, v7 src0_sel:BYTE_0 src1_sel:DWORD
	s_and_b64 vcc, exec, s[12:13]
	s_cbranch_vccz .LBB222_2568
; %bb.2567:
	global_load_dwordx2 v[24:25], v[22:23], off
	s_mov_b64 s[12:13], 0
	s_mov_b64 s[16:17], -1
	s_mov_b64 s[18:19], 0
	s_waitcnt vmcnt(0)
	v_cvt_f64_u32_e32 v[26:27], v25
	v_cvt_f64_u32_e32 v[24:25], v24
	v_ldexp_f64 v[26:27], v[26:27], 32
	v_add_f64 v[42:43], v[26:27], v[24:25]
	s_branch .LBB222_2570
.LBB222_2568:
	s_mov_b64 s[12:13], -1
                                        ; implicit-def: $vgpr42_vgpr43
.LBB222_2569:
	s_mov_b64 s[18:19], 0
.LBB222_2570:
	s_and_b64 vcc, exec, s[18:19]
	s_cbranch_vccz .LBB222_2588
; %bb.2571:
	v_mov_b32_e32 v7, 27
	v_cmp_lt_i16_sdwa s[16:17], s25, v7 src0_sel:BYTE_0 src1_sel:DWORD
	s_and_b64 vcc, exec, s[16:17]
	s_cbranch_vccnz .LBB222_2574
; %bb.2572:
	v_cmp_gt_i16_sdwa s[16:17], s25, v7 src0_sel:BYTE_0 src1_sel:DWORD
	s_and_b64 vcc, exec, s[16:17]
	s_cbranch_vccz .LBB222_2575
; %bb.2573:
	global_load_dword v7, v[22:23], off
	s_mov_b64 s[16:17], 0
	s_waitcnt vmcnt(0)
	v_cvt_f64_u32_e32 v[42:43], v7
	s_branch .LBB222_2576
.LBB222_2574:
	s_mov_b64 s[16:17], -1
                                        ; implicit-def: $vgpr42_vgpr43
	s_branch .LBB222_2579
.LBB222_2575:
	s_mov_b64 s[16:17], -1
                                        ; implicit-def: $vgpr42_vgpr43
.LBB222_2576:
	s_andn2_b64 vcc, exec, s[16:17]
	s_cbranch_vccnz .LBB222_2578
; %bb.2577:
	global_load_ushort v7, v[22:23], off
	s_waitcnt vmcnt(0)
	v_cvt_f64_u32_e32 v[42:43], v7
.LBB222_2578:
	s_mov_b64 s[16:17], 0
.LBB222_2579:
	s_andn2_b64 vcc, exec, s[16:17]
	s_cbranch_vccnz .LBB222_2587
; %bb.2580:
	global_load_ubyte v7, v[22:23], off
	s_movk_i32 s16, 0x7f
                                        ; implicit-def: $sgpr18_sgpr19
	s_waitcnt vmcnt(0)
	v_cmp_lt_i16_e32 vcc, s16, v7
	s_mov_b64 s[16:17], 0
	s_and_saveexec_b64 s[20:21], vcc
	s_xor_b64 s[20:21], exec, s[20:21]
	s_cbranch_execz .LBB222_2601
; %bb.2581:
	s_movk_i32 s16, 0x80
	v_cmp_eq_u16_e32 vcc, s16, v7
	s_mov_b64 s[22:23], -1
                                        ; implicit-def: $sgpr18_sgpr19
	s_and_saveexec_b64 s[16:17], vcc
; %bb.2582:
	s_mov_b32 s19, 0x7ff80000
	s_brev_b32 s18, 4
	s_xor_b64 s[22:23], exec, -1
; %bb.2583:
	s_or_b64 exec, exec, s[16:17]
	s_and_b64 s[16:17], s[22:23], exec
	s_or_saveexec_b64 s[20:21], s[20:21]
	v_pk_mov_b32 v[42:43], s[18:19], s[18:19] op_sel:[0,1]
	s_xor_b64 exec, exec, s[20:21]
	s_cbranch_execnz .LBB222_2602
.LBB222_2584:
	s_or_b64 exec, exec, s[20:21]
	s_and_saveexec_b64 s[18:19], s[16:17]
	s_cbranch_execz .LBB222_2586
.LBB222_2585:
	v_lshlrev_b32_e32 v9, 24, v7
	v_and_b32_e32 v7, 0xffff, v7
	v_and_b32_e32 v11, 7, v7
	v_ffbh_u32_e32 v15, v11
	v_min_u32_e32 v15, 32, v15
	v_subrev_u32_e32 v17, 28, v15
	v_bfe_u32 v13, v7, 3, 4
	v_lshlrev_b32_e32 v7, v17, v7
	v_sub_u32_e32 v15, 29, v15
	v_and_b32_e32 v7, 7, v7
	v_cmp_eq_u32_e32 vcc, 0, v13
	v_cndmask_b32_e32 v13, v13, v15, vcc
	v_cndmask_b32_e32 v7, v11, v7, vcc
	v_mov_b32_e32 v11, 0x3b800000
	v_lshlrev_b32_e32 v7, 20, v7
	v_and_b32_e32 v9, 0x80000000, v9
	v_lshl_add_u32 v11, v13, 23, v11
	v_or3_b32 v7, v9, v11, v7
	v_cvt_f64_f32_e32 v[42:43], v7
.LBB222_2586:
	s_or_b64 exec, exec, s[18:19]
.LBB222_2587:
	s_mov_b64 s[16:17], -1
.LBB222_2588:
	s_mov_b64 s[18:19], 0
.LBB222_2589:
	s_and_b64 vcc, exec, s[18:19]
	s_cbranch_vccz .LBB222_2622
; %bb.2590:
	v_mov_b32_e32 v7, 22
	v_cmp_gt_i16_sdwa s[14:15], s25, v7 src0_sel:BYTE_0 src1_sel:DWORD
	s_and_b64 vcc, exec, s[14:15]
	s_cbranch_vccz .LBB222_2600
; %bb.2591:
	v_mov_b32_e32 v7, 24
	v_cmp_lt_i16_sdwa s[14:15], s25, v7 src0_sel:BYTE_0 src1_sel:DWORD
	s_and_b64 vcc, exec, s[14:15]
	s_cbranch_vccnz .LBB222_2603
; %bb.2592:
	v_cmp_gt_i16_sdwa s[14:15], s25, v7 src0_sel:BYTE_0 src1_sel:DWORD
	s_and_b64 vcc, exec, s[14:15]
	s_cbranch_vccz .LBB222_2604
; %bb.2593:
	global_load_ubyte v7, v[22:23], off
	s_movk_i32 s14, 0x7f
                                        ; implicit-def: $sgpr16_sgpr17
	s_waitcnt vmcnt(0)
	v_cmp_lt_i16_e32 vcc, s14, v7
	s_mov_b64 s[14:15], 0
	s_and_saveexec_b64 s[18:19], vcc
	s_xor_b64 s[18:19], exec, s[18:19]
	s_cbranch_execz .LBB222_2616
; %bb.2594:
	s_movk_i32 s14, 0x80
	v_cmp_eq_u16_e32 vcc, s14, v7
	s_mov_b64 s[20:21], -1
                                        ; implicit-def: $sgpr16_sgpr17
	s_and_saveexec_b64 s[14:15], vcc
; %bb.2595:
	s_mov_b32 s17, 0x7ff80000
	s_brev_b32 s16, 4
	s_xor_b64 s[20:21], exec, -1
; %bb.2596:
	s_or_b64 exec, exec, s[14:15]
	s_and_b64 s[14:15], s[20:21], exec
	s_or_saveexec_b64 s[18:19], s[18:19]
	v_pk_mov_b32 v[42:43], s[16:17], s[16:17] op_sel:[0,1]
	s_xor_b64 exec, exec, s[18:19]
	s_cbranch_execnz .LBB222_2617
.LBB222_2597:
	s_or_b64 exec, exec, s[18:19]
	s_and_saveexec_b64 s[16:17], s[14:15]
	s_cbranch_execz .LBB222_2599
.LBB222_2598:
	v_lshlrev_b32_e32 v9, 24, v7
	v_and_b32_e32 v7, 0xffff, v7
	v_and_b32_e32 v11, 3, v7
	v_ffbh_u32_e32 v15, v11
	v_min_u32_e32 v15, 32, v15
	v_subrev_u32_e32 v17, 29, v15
	v_bfe_u32 v13, v7, 2, 5
	v_lshlrev_b32_e32 v7, v17, v7
	v_sub_u32_e32 v15, 30, v15
	v_and_b32_e32 v7, 3, v7
	v_cmp_eq_u32_e32 vcc, 0, v13
	v_cndmask_b32_e32 v13, v13, v15, vcc
	v_cndmask_b32_e32 v7, v11, v7, vcc
	v_mov_b32_e32 v11, 0x37800000
	v_lshlrev_b32_e32 v7, 21, v7
	v_and_b32_e32 v9, 0x80000000, v9
	v_lshl_add_u32 v11, v13, 23, v11
	v_or3_b32 v7, v9, v11, v7
	v_cvt_f64_f32_e32 v[42:43], v7
.LBB222_2599:
	s_or_b64 exec, exec, s[16:17]
	s_mov_b64 s[14:15], 0
	s_branch .LBB222_2605
.LBB222_2600:
	s_mov_b64 s[14:15], -1
                                        ; implicit-def: $vgpr42_vgpr43
	s_branch .LBB222_2611
.LBB222_2601:
	s_or_saveexec_b64 s[20:21], s[20:21]
	v_pk_mov_b32 v[42:43], s[18:19], s[18:19] op_sel:[0,1]
	s_xor_b64 exec, exec, s[20:21]
	s_cbranch_execz .LBB222_2584
.LBB222_2602:
	v_cmp_ne_u16_e32 vcc, 0, v7
	s_andn2_b64 s[16:17], s[16:17], exec
	s_and_b64 s[18:19], vcc, exec
	v_pk_mov_b32 v[42:43], 0, 0
	s_or_b64 s[16:17], s[16:17], s[18:19]
	s_or_b64 exec, exec, s[20:21]
	s_and_saveexec_b64 s[18:19], s[16:17]
	s_cbranch_execnz .LBB222_2585
	s_branch .LBB222_2586
.LBB222_2603:
	s_mov_b64 s[14:15], -1
                                        ; implicit-def: $vgpr42_vgpr43
	s_branch .LBB222_2608
.LBB222_2604:
	s_mov_b64 s[14:15], -1
                                        ; implicit-def: $vgpr42_vgpr43
.LBB222_2605:
	s_and_b64 vcc, exec, s[14:15]
	s_cbranch_vccz .LBB222_2607
; %bb.2606:
	global_load_ubyte v7, v[22:23], off
	s_mov_b32 s14, 0x7f800000
	s_waitcnt vmcnt(0)
	v_lshlrev_b32_e32 v7, 24, v7
	v_and_b32_e32 v9, 0x7f000000, v7
	v_ffbh_u32_e32 v11, v9
	v_min_u32_e32 v11, 32, v11
	v_sub_u32_e64 v11, v11, 4 clamp
	v_lshlrev_b32_e32 v15, v11, v9
	v_lshlrev_b32_e32 v11, 23, v11
	v_lshrrev_b32_e32 v15, 4, v15
	v_add_u32_e32 v13, 0x1000000, v9
	v_sub_u32_e32 v11, v15, v11
	v_ashrrev_i32_e32 v13, 8, v13
	v_add_u32_e32 v11, 0x3c000000, v11
	v_and_or_b32 v11, v13, s14, v11
	v_cmp_ne_u32_e32 vcc, 0, v9
	v_cndmask_b32_e32 v9, 0, v11, vcc
	s_brev_b32 s14, 1
	v_and_or_b32 v7, v7, s14, v9
	v_cvt_f64_f32_e32 v[42:43], v7
.LBB222_2607:
	s_mov_b64 s[14:15], 0
.LBB222_2608:
	s_andn2_b64 vcc, exec, s[14:15]
	s_cbranch_vccnz .LBB222_2610
; %bb.2609:
	global_load_ubyte v7, v[22:23], off
	s_movk_i32 s14, 0x7f00
	s_brev_b32 s15, 16
	s_waitcnt vmcnt(0)
	v_lshlrev_b16_e32 v9, 8, v7
	v_lshlrev_b32_e32 v7, 25, v7
	v_lshrrev_b32_e32 v11, 4, v7
	v_and_or_b32 v13, v9, s14, 0.5
	v_or_b32_e32 v11, 0x70000000, v11
	v_add_f32_e32 v13, -0.5, v13
	v_mul_f32_e32 v11, 0x7800000, v11
	v_cmp_gt_u32_e32 vcc, s15, v7
	v_bfe_i32 v9, v9, 0, 16
	v_cndmask_b32_e32 v7, v11, v13, vcc
	s_brev_b32 s14, 1
	v_and_or_b32 v7, v9, s14, v7
	v_cvt_f64_f32_e32 v[42:43], v7
.LBB222_2610:
	s_mov_b64 s[14:15], 0
	s_mov_b64 s[16:17], -1
.LBB222_2611:
	s_andn2_b64 vcc, exec, s[14:15]
	s_mov_b64 s[14:15], 0
	s_cbranch_vccnz .LBB222_2622
; %bb.2612:
	v_mov_b32_e32 v7, 14
	v_cmp_gt_i16_sdwa s[14:15], s25, v7 src0_sel:BYTE_0 src1_sel:DWORD
	s_and_b64 vcc, exec, s[14:15]
	s_cbranch_vccz .LBB222_2615
; %bb.2613:
	v_mov_b32_e32 v7, 15
	v_cmp_eq_u16_sdwa s[12:13], s25, v7 src0_sel:BYTE_0 src1_sel:DWORD
	s_and_b64 vcc, exec, s[12:13]
	s_cbranch_vccz .LBB222_2618
; %bb.2614:
	global_load_ushort v7, v[22:23], off
	s_mov_b64 s[12:13], 0
	s_mov_b64 s[16:17], -1
	s_waitcnt vmcnt(0)
	v_lshlrev_b32_e32 v7, 16, v7
	v_cvt_f64_f32_e32 v[42:43], v7
	s_branch .LBB222_2619
.LBB222_2615:
	s_mov_b64 s[18:19], -1
                                        ; implicit-def: $vgpr42_vgpr43
	s_branch .LBB222_2620
.LBB222_2616:
	s_or_saveexec_b64 s[18:19], s[18:19]
	v_pk_mov_b32 v[42:43], s[16:17], s[16:17] op_sel:[0,1]
	s_xor_b64 exec, exec, s[18:19]
	s_cbranch_execz .LBB222_2597
.LBB222_2617:
	v_cmp_ne_u16_e32 vcc, 0, v7
	s_andn2_b64 s[14:15], s[14:15], exec
	s_and_b64 s[16:17], vcc, exec
	v_pk_mov_b32 v[42:43], 0, 0
	s_or_b64 s[14:15], s[14:15], s[16:17]
	s_or_b64 exec, exec, s[18:19]
	s_and_saveexec_b64 s[16:17], s[14:15]
	s_cbranch_execnz .LBB222_2598
	s_branch .LBB222_2599
.LBB222_2618:
	s_mov_b64 s[12:13], -1
                                        ; implicit-def: $vgpr42_vgpr43
.LBB222_2619:
	s_mov_b64 s[18:19], 0
.LBB222_2620:
	s_mov_b64 s[14:15], 0
	s_and_b64 vcc, exec, s[18:19]
	s_cbranch_vccz .LBB222_2622
; %bb.2621:
	v_mov_b32_e32 v7, 11
	v_cmp_ne_u16_sdwa s[12:13], s25, v7 src0_sel:BYTE_0 src1_sel:DWORD
	s_mov_b64 s[14:15], -1
                                        ; implicit-def: $vgpr42_vgpr43
.LBB222_2622:
	s_and_b64 vcc, exec, s[12:13]
	s_cbranch_vccnz .LBB222_2687
; %bb.2623:
	s_andn2_b64 vcc, exec, s[14:15]
	s_cbranch_vccnz .LBB222_2625
.LBB222_2624:
	global_load_ubyte v7, v[22:23], off
	v_mov_b32_e32 v9, 0x3ff00000
	v_mov_b32_e32 v42, 0
	s_mov_b64 s[16:17], -1
	s_waitcnt vmcnt(0)
	v_cmp_ne_u16_e32 vcc, 0, v7
	v_cndmask_b32_e32 v43, 0, v9, vcc
.LBB222_2625:
	s_mov_b64 s[12:13], 0
.LBB222_2626:
	s_and_b64 vcc, exec, s[12:13]
	s_cbranch_vccz .LBB222_2675
; %bb.2627:
	v_mov_b32_e32 v7, 5
	v_cmp_lt_i16_sdwa s[12:13], s25, v7 src0_sel:BYTE_0 src1_sel:DWORD
	s_and_b64 vcc, exec, s[12:13]
	s_cbranch_vccnz .LBB222_2632
; %bb.2628:
	v_mov_b32_e32 v7, 8
	v_cmp_lt_i16_sdwa s[12:13], s25, v7 src0_sel:BYTE_0 src1_sel:DWORD
	s_and_b64 vcc, exec, s[12:13]
	s_cbranch_vccnz .LBB222_2633
	;; [unrolled: 5-line block ×3, first 2 shown]
; %bb.2630:
	v_cmp_gt_i16_sdwa s[12:13], s25, v7 src0_sel:BYTE_0 src1_sel:DWORD
	s_and_b64 vcc, exec, s[12:13]
	s_cbranch_vccz .LBB222_2635
; %bb.2631:
	global_load_dwordx2 v[42:43], v[22:23], off
	s_mov_b64 s[12:13], 0
	s_branch .LBB222_2636
.LBB222_2632:
	s_mov_b64 s[12:13], -1
                                        ; implicit-def: $vgpr42_vgpr43
	s_branch .LBB222_2654
.LBB222_2633:
	s_mov_b64 s[12:13], -1
                                        ; implicit-def: $vgpr42_vgpr43
	s_branch .LBB222_2642
.LBB222_2634:
	s_mov_b64 s[12:13], -1
                                        ; implicit-def: $vgpr42_vgpr43
	s_branch .LBB222_2639
.LBB222_2635:
	s_mov_b64 s[12:13], -1
                                        ; implicit-def: $vgpr42_vgpr43
.LBB222_2636:
	s_andn2_b64 vcc, exec, s[12:13]
	s_cbranch_vccnz .LBB222_2638
; %bb.2637:
	global_load_dword v7, v[22:23], off
	s_waitcnt vmcnt(0)
	v_cvt_f64_f32_e32 v[42:43], v7
.LBB222_2638:
	s_mov_b64 s[12:13], 0
.LBB222_2639:
	s_andn2_b64 vcc, exec, s[12:13]
	s_cbranch_vccnz .LBB222_2641
; %bb.2640:
	global_load_dword v7, v[22:23], off
	s_waitcnt vmcnt(0)
	v_cvt_f32_f16_e32 v7, v7
	v_cvt_f64_f32_e32 v[42:43], v7
.LBB222_2641:
	s_mov_b64 s[12:13], 0
.LBB222_2642:
	s_andn2_b64 vcc, exec, s[12:13]
	s_cbranch_vccnz .LBB222_2653
; %bb.2643:
	v_mov_b32_e32 v7, 6
	v_cmp_lt_i16_sdwa s[12:13], s25, v7 src0_sel:BYTE_0 src1_sel:DWORD
	s_and_b64 vcc, exec, s[12:13]
	s_cbranch_vccnz .LBB222_2646
; %bb.2644:
	v_cmp_gt_i16_sdwa s[12:13], s25, v7 src0_sel:BYTE_0 src1_sel:DWORD
	s_and_b64 vcc, exec, s[12:13]
	s_cbranch_vccz .LBB222_2647
; %bb.2645:
	global_load_dwordx2 v[42:43], v[22:23], off
	s_mov_b64 s[12:13], 0
	s_branch .LBB222_2648
.LBB222_2646:
	s_mov_b64 s[12:13], -1
                                        ; implicit-def: $vgpr42_vgpr43
	s_branch .LBB222_2651
.LBB222_2647:
	s_mov_b64 s[12:13], -1
                                        ; implicit-def: $vgpr42_vgpr43
.LBB222_2648:
	s_andn2_b64 vcc, exec, s[12:13]
	s_cbranch_vccnz .LBB222_2650
; %bb.2649:
	global_load_dword v7, v[22:23], off
	s_waitcnt vmcnt(0)
	v_cvt_f64_f32_e32 v[42:43], v7
.LBB222_2650:
	s_mov_b64 s[12:13], 0
.LBB222_2651:
	s_andn2_b64 vcc, exec, s[12:13]
	s_cbranch_vccnz .LBB222_2653
; %bb.2652:
	global_load_ushort v7, v[22:23], off
	s_waitcnt vmcnt(0)
	v_cvt_f32_f16_e32 v7, v7
	v_cvt_f64_f32_e32 v[42:43], v7
.LBB222_2653:
	s_mov_b64 s[12:13], 0
.LBB222_2654:
	s_andn2_b64 vcc, exec, s[12:13]
	s_cbranch_vccnz .LBB222_2674
; %bb.2655:
	v_mov_b32_e32 v7, 2
	v_cmp_lt_i16_sdwa s[12:13], s25, v7 src0_sel:BYTE_0 src1_sel:DWORD
	s_and_b64 vcc, exec, s[12:13]
	s_cbranch_vccnz .LBB222_2659
; %bb.2656:
	v_mov_b32_e32 v7, 3
	v_cmp_lt_i16_sdwa s[12:13], s25, v7 src0_sel:BYTE_0 src1_sel:DWORD
	s_and_b64 vcc, exec, s[12:13]
	s_cbranch_vccnz .LBB222_2660
; %bb.2657:
	v_cmp_gt_i16_sdwa s[12:13], s25, v7 src0_sel:BYTE_0 src1_sel:DWORD
	s_and_b64 vcc, exec, s[12:13]
	s_cbranch_vccz .LBB222_2661
; %bb.2658:
	global_load_dwordx2 v[24:25], v[22:23], off
	s_mov_b64 s[12:13], 0
	s_waitcnt vmcnt(0)
	v_cvt_f64_i32_e32 v[26:27], v25
	v_cvt_f64_u32_e32 v[24:25], v24
	v_ldexp_f64 v[26:27], v[26:27], 32
	v_add_f64 v[42:43], v[26:27], v[24:25]
	s_branch .LBB222_2662
.LBB222_2659:
	s_mov_b64 s[12:13], -1
                                        ; implicit-def: $vgpr42_vgpr43
	s_branch .LBB222_2668
.LBB222_2660:
	s_mov_b64 s[12:13], -1
                                        ; implicit-def: $vgpr42_vgpr43
	s_branch .LBB222_2665
.LBB222_2661:
	s_mov_b64 s[12:13], -1
                                        ; implicit-def: $vgpr42_vgpr43
.LBB222_2662:
	s_andn2_b64 vcc, exec, s[12:13]
	s_cbranch_vccnz .LBB222_2664
; %bb.2663:
	global_load_dword v7, v[22:23], off
	s_waitcnt vmcnt(0)
	v_cvt_f64_i32_e32 v[42:43], v7
.LBB222_2664:
	s_mov_b64 s[12:13], 0
.LBB222_2665:
	s_andn2_b64 vcc, exec, s[12:13]
	s_cbranch_vccnz .LBB222_2667
; %bb.2666:
	global_load_sshort v7, v[22:23], off
	s_waitcnt vmcnt(0)
	v_cvt_f64_i32_e32 v[42:43], v7
.LBB222_2667:
	s_mov_b64 s[12:13], 0
.LBB222_2668:
	s_andn2_b64 vcc, exec, s[12:13]
	s_cbranch_vccnz .LBB222_2674
; %bb.2669:
	v_mov_b32_e32 v7, 0
	v_cmp_gt_i16_sdwa s[12:13], s25, v7 src0_sel:BYTE_0 src1_sel:DWORD
	s_and_b64 vcc, exec, s[12:13]
	s_cbranch_vccz .LBB222_2671
; %bb.2670:
	global_load_sbyte v7, v[22:23], off
	s_mov_b64 s[12:13], 0
	s_waitcnt vmcnt(0)
	v_cvt_f64_i32_e32 v[42:43], v7
	s_branch .LBB222_2672
.LBB222_2671:
	s_mov_b64 s[12:13], -1
                                        ; implicit-def: $vgpr42_vgpr43
.LBB222_2672:
	s_andn2_b64 vcc, exec, s[12:13]
	s_cbranch_vccnz .LBB222_2674
; %bb.2673:
	global_load_ubyte v7, v[22:23], off
	s_waitcnt vmcnt(0)
	v_cvt_f64_u32_e32 v[42:43], v7
.LBB222_2674:
	s_mov_b64 s[16:17], -1
.LBB222_2675:
	s_andn2_b64 vcc, exec, s[16:17]
	s_cbranch_vccnz .LBB222_4173
; %bb.2676:
	v_mov_b32_e32 v7, s5
	v_add_co_u32_e32 v20, vcc, s4, v20
	v_addc_co_u32_e32 v21, vcc, 0, v7, vcc
	s_and_b64 vcc, exec, s[6:7]
	s_cbranch_vccnz .LBB222_2683
; %bb.2677:
	v_cmp_gt_i16_e64 s[12:13], s26, 25
	s_mov_b64 s[14:15], 0
	s_and_b64 vcc, exec, s[12:13]
	s_cbranch_vccz .LBB222_2684
; %bb.2678:
	v_cmp_gt_i16_e64 s[12:13], s26, 28
	s_and_b64 vcc, exec, s[12:13]
	s_cbranch_vccz .LBB222_2685
; %bb.2679:
	v_cmp_gt_i16_e64 s[12:13], s26, 43
	;; [unrolled: 4-line block ×3, first 2 shown]
	s_and_b64 vcc, exec, s[12:13]
	s_cbranch_vccz .LBB222_2688
; %bb.2681:
	v_cmp_eq_u16_e64 s[12:13], s26, 46
	s_mov_b64 s[18:19], 0
	s_and_b64 vcc, exec, s[12:13]
	s_cbranch_vccz .LBB222_2689
; %bb.2682:
	global_load_dword v7, v[20:21], off
	s_mov_b64 s[12:13], 0
	s_mov_b64 s[16:17], -1
	s_waitcnt vmcnt(0)
	v_lshlrev_b32_e32 v7, 16, v7
	v_cvt_f64_f32_e32 v[44:45], v7
	s_branch .LBB222_2690
.LBB222_2683:
	s_mov_b64 s[12:13], -1
	s_mov_b64 s[16:17], 0
                                        ; implicit-def: $vgpr44_vgpr45
	s_branch .LBB222_2756
.LBB222_2684:
	s_mov_b64 s[18:19], -1
	s_mov_b64 s[16:17], 0
	s_mov_b64 s[12:13], 0
                                        ; implicit-def: $vgpr44_vgpr45
	s_branch .LBB222_2719
.LBB222_2685:
	s_mov_b64 s[18:19], -1
	s_mov_b64 s[16:17], 0
	s_mov_b64 s[12:13], 0
                                        ; implicit-def: $vgpr44_vgpr45
	s_branch .LBB222_2700
.LBB222_2686:
	s_mov_b64 s[18:19], -1
	s_mov_b64 s[16:17], 0
	s_mov_b64 s[12:13], 0
                                        ; implicit-def: $vgpr44_vgpr45
	s_branch .LBB222_2695
.LBB222_2687:
	s_trap 2
	s_or_b64 s[90:91], s[90:91], exec
                                        ; implicit-def: $vgpr42_vgpr43
	s_cbranch_execz .LBB222_2624
	s_branch .LBB222_2625
.LBB222_2688:
	s_mov_b64 s[18:19], -1
	s_mov_b64 s[16:17], 0
	s_mov_b64 s[12:13], 0
                                        ; implicit-def: $vgpr44_vgpr45
	s_branch .LBB222_2690
.LBB222_2689:
	s_mov_b64 s[12:13], -1
                                        ; implicit-def: $vgpr44_vgpr45
	s_mov_b64 s[16:17], 0
.LBB222_2690:
	s_and_b64 vcc, exec, s[18:19]
	s_cbranch_vccz .LBB222_2694
; %bb.2691:
	v_cmp_eq_u16_e64 s[12:13], s26, 44
	s_and_b64 vcc, exec, s[12:13]
	s_cbranch_vccz .LBB222_2693
; %bb.2692:
	global_load_ubyte v7, v[20:21], off
	s_movk_i32 s16, 0xff
	v_bfrev_b32_e32 v9, 4
	v_mov_b32_e32 v11, 0x7ff80000
	v_bfrev_b32_e32 v13, 28
	s_mov_b64 s[12:13], 0
	s_waitcnt vmcnt(0)
	v_lshlrev_b32_e32 v15, 23, v7
	v_cvt_f64_f32_e32 v[22:23], v15
	v_cmp_ne_u32_e32 vcc, s16, v7
	v_cndmask_b32_e32 v9, v9, v22, vcc
	v_cndmask_b32_e32 v11, v11, v23, vcc
	v_cmp_ne_u32_e32 vcc, 0, v7
	v_cndmask_b32_e32 v45, v13, v11, vcc
	v_cndmask_b32_e32 v44, 0, v9, vcc
	s_mov_b64 s[16:17], -1
	s_branch .LBB222_2694
.LBB222_2693:
	s_mov_b64 s[12:13], -1
                                        ; implicit-def: $vgpr44_vgpr45
.LBB222_2694:
	s_mov_b64 s[18:19], 0
.LBB222_2695:
	s_and_b64 vcc, exec, s[18:19]
	s_cbranch_vccz .LBB222_2699
; %bb.2696:
	v_cmp_eq_u16_e64 s[12:13], s26, 29
	s_and_b64 vcc, exec, s[12:13]
	s_cbranch_vccz .LBB222_2698
; %bb.2697:
	global_load_dwordx2 v[22:23], v[20:21], off
	s_mov_b64 s[12:13], 0
	s_mov_b64 s[16:17], -1
	s_mov_b64 s[18:19], 0
	s_waitcnt vmcnt(0)
	v_cvt_f64_u32_e32 v[24:25], v23
	v_cvt_f64_u32_e32 v[22:23], v22
	v_ldexp_f64 v[24:25], v[24:25], 32
	v_add_f64 v[44:45], v[24:25], v[22:23]
	s_branch .LBB222_2700
.LBB222_2698:
	s_mov_b64 s[12:13], -1
                                        ; implicit-def: $vgpr44_vgpr45
.LBB222_2699:
	s_mov_b64 s[18:19], 0
.LBB222_2700:
	s_and_b64 vcc, exec, s[18:19]
	s_cbranch_vccz .LBB222_2718
; %bb.2701:
	v_cmp_lt_i16_e64 s[16:17], s26, 27
	s_and_b64 vcc, exec, s[16:17]
	s_cbranch_vccnz .LBB222_2704
; %bb.2702:
	v_cmp_gt_i16_e64 s[16:17], s26, 27
	s_and_b64 vcc, exec, s[16:17]
	s_cbranch_vccz .LBB222_2705
; %bb.2703:
	global_load_dword v7, v[20:21], off
	s_mov_b64 s[16:17], 0
	s_waitcnt vmcnt(0)
	v_cvt_f64_u32_e32 v[44:45], v7
	s_branch .LBB222_2706
.LBB222_2704:
	s_mov_b64 s[16:17], -1
                                        ; implicit-def: $vgpr44_vgpr45
	s_branch .LBB222_2709
.LBB222_2705:
	s_mov_b64 s[16:17], -1
                                        ; implicit-def: $vgpr44_vgpr45
.LBB222_2706:
	s_andn2_b64 vcc, exec, s[16:17]
	s_cbranch_vccnz .LBB222_2708
; %bb.2707:
	global_load_ushort v7, v[20:21], off
	s_waitcnt vmcnt(0)
	v_cvt_f64_u32_e32 v[44:45], v7
.LBB222_2708:
	s_mov_b64 s[16:17], 0
.LBB222_2709:
	s_andn2_b64 vcc, exec, s[16:17]
	s_cbranch_vccnz .LBB222_2717
; %bb.2710:
	global_load_ubyte v7, v[20:21], off
	s_movk_i32 s16, 0x7f
                                        ; implicit-def: $sgpr18_sgpr19
	s_waitcnt vmcnt(0)
	v_cmp_lt_i16_e32 vcc, s16, v7
	s_mov_b64 s[16:17], 0
	s_and_saveexec_b64 s[20:21], vcc
	s_xor_b64 s[20:21], exec, s[20:21]
	s_cbranch_execz .LBB222_2731
; %bb.2711:
	s_movk_i32 s16, 0x80
	v_cmp_eq_u16_e32 vcc, s16, v7
	s_mov_b64 s[22:23], -1
                                        ; implicit-def: $sgpr18_sgpr19
	s_and_saveexec_b64 s[16:17], vcc
; %bb.2712:
	s_mov_b32 s19, 0x7ff80000
	s_brev_b32 s18, 4
	s_xor_b64 s[22:23], exec, -1
; %bb.2713:
	s_or_b64 exec, exec, s[16:17]
	s_and_b64 s[16:17], s[22:23], exec
	s_or_saveexec_b64 s[20:21], s[20:21]
	v_pk_mov_b32 v[44:45], s[18:19], s[18:19] op_sel:[0,1]
	s_xor_b64 exec, exec, s[20:21]
	s_cbranch_execnz .LBB222_2732
.LBB222_2714:
	s_or_b64 exec, exec, s[20:21]
	s_and_saveexec_b64 s[18:19], s[16:17]
	s_cbranch_execz .LBB222_2716
.LBB222_2715:
	v_lshlrev_b32_e32 v9, 24, v7
	v_and_b32_e32 v7, 0xffff, v7
	v_and_b32_e32 v11, 7, v7
	v_ffbh_u32_e32 v15, v11
	v_min_u32_e32 v15, 32, v15
	v_subrev_u32_e32 v17, 28, v15
	v_bfe_u32 v13, v7, 3, 4
	v_lshlrev_b32_e32 v7, v17, v7
	v_sub_u32_e32 v15, 29, v15
	v_and_b32_e32 v7, 7, v7
	v_cmp_eq_u32_e32 vcc, 0, v13
	v_cndmask_b32_e32 v13, v13, v15, vcc
	v_cndmask_b32_e32 v7, v11, v7, vcc
	v_mov_b32_e32 v11, 0x3b800000
	v_lshlrev_b32_e32 v7, 20, v7
	v_and_b32_e32 v9, 0x80000000, v9
	v_lshl_add_u32 v11, v13, 23, v11
	v_or3_b32 v7, v9, v11, v7
	v_cvt_f64_f32_e32 v[44:45], v7
.LBB222_2716:
	s_or_b64 exec, exec, s[18:19]
.LBB222_2717:
	s_mov_b64 s[16:17], -1
.LBB222_2718:
	s_mov_b64 s[18:19], 0
.LBB222_2719:
	s_and_b64 vcc, exec, s[18:19]
	s_cbranch_vccz .LBB222_2752
; %bb.2720:
	v_cmp_gt_i16_e64 s[14:15], s26, 22
	s_and_b64 vcc, exec, s[14:15]
	s_cbranch_vccz .LBB222_2730
; %bb.2721:
	v_cmp_lt_i16_e64 s[14:15], s26, 24
	s_and_b64 vcc, exec, s[14:15]
	s_cbranch_vccnz .LBB222_2733
; %bb.2722:
	v_cmp_gt_i16_e64 s[14:15], s26, 24
	s_and_b64 vcc, exec, s[14:15]
	s_cbranch_vccz .LBB222_2734
; %bb.2723:
	global_load_ubyte v7, v[20:21], off
	s_movk_i32 s14, 0x7f
                                        ; implicit-def: $sgpr16_sgpr17
	s_waitcnt vmcnt(0)
	v_cmp_lt_i16_e32 vcc, s14, v7
	s_mov_b64 s[14:15], 0
	s_and_saveexec_b64 s[18:19], vcc
	s_xor_b64 s[18:19], exec, s[18:19]
	s_cbranch_execz .LBB222_2746
; %bb.2724:
	s_movk_i32 s14, 0x80
	v_cmp_eq_u16_e32 vcc, s14, v7
	s_mov_b64 s[20:21], -1
                                        ; implicit-def: $sgpr16_sgpr17
	s_and_saveexec_b64 s[14:15], vcc
; %bb.2725:
	s_mov_b32 s17, 0x7ff80000
	s_brev_b32 s16, 4
	s_xor_b64 s[20:21], exec, -1
; %bb.2726:
	s_or_b64 exec, exec, s[14:15]
	s_and_b64 s[14:15], s[20:21], exec
	s_or_saveexec_b64 s[18:19], s[18:19]
	v_pk_mov_b32 v[44:45], s[16:17], s[16:17] op_sel:[0,1]
	s_xor_b64 exec, exec, s[18:19]
	s_cbranch_execnz .LBB222_2747
.LBB222_2727:
	s_or_b64 exec, exec, s[18:19]
	s_and_saveexec_b64 s[16:17], s[14:15]
	s_cbranch_execz .LBB222_2729
.LBB222_2728:
	v_lshlrev_b32_e32 v9, 24, v7
	v_and_b32_e32 v7, 0xffff, v7
	v_and_b32_e32 v11, 3, v7
	v_ffbh_u32_e32 v15, v11
	v_min_u32_e32 v15, 32, v15
	v_subrev_u32_e32 v17, 29, v15
	v_bfe_u32 v13, v7, 2, 5
	v_lshlrev_b32_e32 v7, v17, v7
	v_sub_u32_e32 v15, 30, v15
	v_and_b32_e32 v7, 3, v7
	v_cmp_eq_u32_e32 vcc, 0, v13
	v_cndmask_b32_e32 v13, v13, v15, vcc
	v_cndmask_b32_e32 v7, v11, v7, vcc
	v_mov_b32_e32 v11, 0x37800000
	v_lshlrev_b32_e32 v7, 21, v7
	v_and_b32_e32 v9, 0x80000000, v9
	v_lshl_add_u32 v11, v13, 23, v11
	v_or3_b32 v7, v9, v11, v7
	v_cvt_f64_f32_e32 v[44:45], v7
.LBB222_2729:
	s_or_b64 exec, exec, s[16:17]
	s_mov_b64 s[14:15], 0
	s_branch .LBB222_2735
.LBB222_2730:
	s_mov_b64 s[14:15], -1
                                        ; implicit-def: $vgpr44_vgpr45
	s_branch .LBB222_2741
.LBB222_2731:
	s_or_saveexec_b64 s[20:21], s[20:21]
	v_pk_mov_b32 v[44:45], s[18:19], s[18:19] op_sel:[0,1]
	s_xor_b64 exec, exec, s[20:21]
	s_cbranch_execz .LBB222_2714
.LBB222_2732:
	v_cmp_ne_u16_e32 vcc, 0, v7
	s_andn2_b64 s[16:17], s[16:17], exec
	s_and_b64 s[18:19], vcc, exec
	v_pk_mov_b32 v[44:45], 0, 0
	s_or_b64 s[16:17], s[16:17], s[18:19]
	s_or_b64 exec, exec, s[20:21]
	s_and_saveexec_b64 s[18:19], s[16:17]
	s_cbranch_execnz .LBB222_2715
	s_branch .LBB222_2716
.LBB222_2733:
	s_mov_b64 s[14:15], -1
                                        ; implicit-def: $vgpr44_vgpr45
	s_branch .LBB222_2738
.LBB222_2734:
	s_mov_b64 s[14:15], -1
                                        ; implicit-def: $vgpr44_vgpr45
.LBB222_2735:
	s_and_b64 vcc, exec, s[14:15]
	s_cbranch_vccz .LBB222_2737
; %bb.2736:
	global_load_ubyte v7, v[20:21], off
	s_mov_b32 s14, 0x7f800000
	s_waitcnt vmcnt(0)
	v_lshlrev_b32_e32 v7, 24, v7
	v_and_b32_e32 v9, 0x7f000000, v7
	v_ffbh_u32_e32 v11, v9
	v_min_u32_e32 v11, 32, v11
	v_sub_u32_e64 v11, v11, 4 clamp
	v_lshlrev_b32_e32 v15, v11, v9
	v_lshlrev_b32_e32 v11, 23, v11
	v_lshrrev_b32_e32 v15, 4, v15
	v_add_u32_e32 v13, 0x1000000, v9
	v_sub_u32_e32 v11, v15, v11
	v_ashrrev_i32_e32 v13, 8, v13
	v_add_u32_e32 v11, 0x3c000000, v11
	v_and_or_b32 v11, v13, s14, v11
	v_cmp_ne_u32_e32 vcc, 0, v9
	v_cndmask_b32_e32 v9, 0, v11, vcc
	s_brev_b32 s14, 1
	v_and_or_b32 v7, v7, s14, v9
	v_cvt_f64_f32_e32 v[44:45], v7
.LBB222_2737:
	s_mov_b64 s[14:15], 0
.LBB222_2738:
	s_andn2_b64 vcc, exec, s[14:15]
	s_cbranch_vccnz .LBB222_2740
; %bb.2739:
	global_load_ubyte v7, v[20:21], off
	s_movk_i32 s14, 0x7f00
	s_brev_b32 s15, 16
	s_waitcnt vmcnt(0)
	v_lshlrev_b16_e32 v9, 8, v7
	v_lshlrev_b32_e32 v7, 25, v7
	v_lshrrev_b32_e32 v11, 4, v7
	v_and_or_b32 v13, v9, s14, 0.5
	v_or_b32_e32 v11, 0x70000000, v11
	v_add_f32_e32 v13, -0.5, v13
	v_mul_f32_e32 v11, 0x7800000, v11
	v_cmp_gt_u32_e32 vcc, s15, v7
	v_bfe_i32 v9, v9, 0, 16
	v_cndmask_b32_e32 v7, v11, v13, vcc
	s_brev_b32 s14, 1
	v_and_or_b32 v7, v9, s14, v7
	v_cvt_f64_f32_e32 v[44:45], v7
.LBB222_2740:
	s_mov_b64 s[14:15], 0
	s_mov_b64 s[16:17], -1
.LBB222_2741:
	s_andn2_b64 vcc, exec, s[14:15]
	s_mov_b64 s[14:15], 0
	s_cbranch_vccnz .LBB222_2752
; %bb.2742:
	v_cmp_gt_i16_e64 s[14:15], s26, 14
	s_and_b64 vcc, exec, s[14:15]
	s_cbranch_vccz .LBB222_2745
; %bb.2743:
	v_cmp_eq_u16_e64 s[12:13], s26, 15
	s_and_b64 vcc, exec, s[12:13]
	s_cbranch_vccz .LBB222_2748
; %bb.2744:
	global_load_ushort v7, v[20:21], off
	s_mov_b64 s[12:13], 0
	s_mov_b64 s[16:17], -1
	s_waitcnt vmcnt(0)
	v_lshlrev_b32_e32 v7, 16, v7
	v_cvt_f64_f32_e32 v[44:45], v7
	s_branch .LBB222_2749
.LBB222_2745:
	s_mov_b64 s[18:19], -1
                                        ; implicit-def: $vgpr44_vgpr45
	s_branch .LBB222_2750
.LBB222_2746:
	s_or_saveexec_b64 s[18:19], s[18:19]
	v_pk_mov_b32 v[44:45], s[16:17], s[16:17] op_sel:[0,1]
	s_xor_b64 exec, exec, s[18:19]
	s_cbranch_execz .LBB222_2727
.LBB222_2747:
	v_cmp_ne_u16_e32 vcc, 0, v7
	s_andn2_b64 s[14:15], s[14:15], exec
	s_and_b64 s[16:17], vcc, exec
	v_pk_mov_b32 v[44:45], 0, 0
	s_or_b64 s[14:15], s[14:15], s[16:17]
	s_or_b64 exec, exec, s[18:19]
	s_and_saveexec_b64 s[16:17], s[14:15]
	s_cbranch_execnz .LBB222_2728
	s_branch .LBB222_2729
.LBB222_2748:
	s_mov_b64 s[12:13], -1
                                        ; implicit-def: $vgpr44_vgpr45
.LBB222_2749:
	s_mov_b64 s[18:19], 0
.LBB222_2750:
	s_mov_b64 s[14:15], 0
	s_and_b64 vcc, exec, s[18:19]
	s_cbranch_vccz .LBB222_2752
; %bb.2751:
	v_cmp_ne_u16_e64 s[12:13], s26, 11
	s_mov_b64 s[14:15], -1
                                        ; implicit-def: $vgpr44_vgpr45
.LBB222_2752:
	s_and_b64 vcc, exec, s[12:13]
	s_cbranch_vccnz .LBB222_2817
; %bb.2753:
	s_andn2_b64 vcc, exec, s[14:15]
	s_cbranch_vccnz .LBB222_2755
.LBB222_2754:
	global_load_ubyte v7, v[20:21], off
	v_mov_b32_e32 v9, 0x3ff00000
	v_mov_b32_e32 v44, 0
	s_mov_b64 s[16:17], -1
	s_waitcnt vmcnt(0)
	v_cmp_ne_u16_e32 vcc, 0, v7
	v_cndmask_b32_e32 v45, 0, v9, vcc
.LBB222_2755:
	s_mov_b64 s[12:13], 0
.LBB222_2756:
	s_and_b64 vcc, exec, s[12:13]
	s_cbranch_vccz .LBB222_2805
; %bb.2757:
	v_cmp_lt_i16_e64 s[12:13], s26, 5
	s_and_b64 vcc, exec, s[12:13]
	s_cbranch_vccnz .LBB222_2762
; %bb.2758:
	v_cmp_lt_i16_e64 s[12:13], s26, 8
	s_and_b64 vcc, exec, s[12:13]
	s_cbranch_vccnz .LBB222_2763
; %bb.2759:
	v_cmp_lt_i16_e64 s[12:13], s26, 9
	s_and_b64 vcc, exec, s[12:13]
	s_cbranch_vccnz .LBB222_2764
; %bb.2760:
	v_cmp_gt_i16_e64 s[12:13], s26, 9
	s_and_b64 vcc, exec, s[12:13]
	s_cbranch_vccz .LBB222_2765
; %bb.2761:
	global_load_dwordx2 v[44:45], v[20:21], off
	s_mov_b64 s[12:13], 0
	s_branch .LBB222_2766
.LBB222_2762:
	s_mov_b64 s[12:13], -1
                                        ; implicit-def: $vgpr44_vgpr45
	s_branch .LBB222_2784
.LBB222_2763:
	s_mov_b64 s[12:13], -1
                                        ; implicit-def: $vgpr44_vgpr45
	s_branch .LBB222_2772
.LBB222_2764:
	s_mov_b64 s[12:13], -1
                                        ; implicit-def: $vgpr44_vgpr45
	s_branch .LBB222_2769
.LBB222_2765:
	s_mov_b64 s[12:13], -1
                                        ; implicit-def: $vgpr44_vgpr45
.LBB222_2766:
	s_andn2_b64 vcc, exec, s[12:13]
	s_cbranch_vccnz .LBB222_2768
; %bb.2767:
	global_load_dword v7, v[20:21], off
	s_waitcnt vmcnt(0)
	v_cvt_f64_f32_e32 v[44:45], v7
.LBB222_2768:
	s_mov_b64 s[12:13], 0
.LBB222_2769:
	s_andn2_b64 vcc, exec, s[12:13]
	s_cbranch_vccnz .LBB222_2771
; %bb.2770:
	global_load_dword v7, v[20:21], off
	s_waitcnt vmcnt(0)
	v_cvt_f32_f16_e32 v7, v7
	v_cvt_f64_f32_e32 v[44:45], v7
.LBB222_2771:
	s_mov_b64 s[12:13], 0
.LBB222_2772:
	s_andn2_b64 vcc, exec, s[12:13]
	s_cbranch_vccnz .LBB222_2783
; %bb.2773:
	v_cmp_lt_i16_e64 s[12:13], s26, 6
	s_and_b64 vcc, exec, s[12:13]
	s_cbranch_vccnz .LBB222_2776
; %bb.2774:
	v_cmp_gt_i16_e64 s[12:13], s26, 6
	s_and_b64 vcc, exec, s[12:13]
	s_cbranch_vccz .LBB222_2777
; %bb.2775:
	global_load_dwordx2 v[44:45], v[20:21], off
	s_mov_b64 s[12:13], 0
	s_branch .LBB222_2778
.LBB222_2776:
	s_mov_b64 s[12:13], -1
                                        ; implicit-def: $vgpr44_vgpr45
	s_branch .LBB222_2781
.LBB222_2777:
	s_mov_b64 s[12:13], -1
                                        ; implicit-def: $vgpr44_vgpr45
.LBB222_2778:
	s_andn2_b64 vcc, exec, s[12:13]
	s_cbranch_vccnz .LBB222_2780
; %bb.2779:
	global_load_dword v7, v[20:21], off
	s_waitcnt vmcnt(0)
	v_cvt_f64_f32_e32 v[44:45], v7
.LBB222_2780:
	s_mov_b64 s[12:13], 0
.LBB222_2781:
	s_andn2_b64 vcc, exec, s[12:13]
	s_cbranch_vccnz .LBB222_2783
; %bb.2782:
	global_load_ushort v7, v[20:21], off
	s_waitcnt vmcnt(0)
	v_cvt_f32_f16_e32 v7, v7
	v_cvt_f64_f32_e32 v[44:45], v7
.LBB222_2783:
	s_mov_b64 s[12:13], 0
.LBB222_2784:
	s_andn2_b64 vcc, exec, s[12:13]
	s_cbranch_vccnz .LBB222_2804
; %bb.2785:
	v_cmp_lt_i16_e64 s[12:13], s26, 2
	s_and_b64 vcc, exec, s[12:13]
	s_cbranch_vccnz .LBB222_2789
; %bb.2786:
	v_cmp_lt_i16_e64 s[12:13], s26, 3
	s_and_b64 vcc, exec, s[12:13]
	s_cbranch_vccnz .LBB222_2790
; %bb.2787:
	v_cmp_gt_i16_e64 s[12:13], s26, 3
	s_and_b64 vcc, exec, s[12:13]
	s_cbranch_vccz .LBB222_2791
; %bb.2788:
	global_load_dwordx2 v[22:23], v[20:21], off
	s_mov_b64 s[12:13], 0
	s_waitcnt vmcnt(0)
	v_cvt_f64_i32_e32 v[24:25], v23
	v_cvt_f64_u32_e32 v[22:23], v22
	v_ldexp_f64 v[24:25], v[24:25], 32
	v_add_f64 v[44:45], v[24:25], v[22:23]
	s_branch .LBB222_2792
.LBB222_2789:
	s_mov_b64 s[12:13], -1
                                        ; implicit-def: $vgpr44_vgpr45
	s_branch .LBB222_2798
.LBB222_2790:
	s_mov_b64 s[12:13], -1
                                        ; implicit-def: $vgpr44_vgpr45
	s_branch .LBB222_2795
.LBB222_2791:
	s_mov_b64 s[12:13], -1
                                        ; implicit-def: $vgpr44_vgpr45
.LBB222_2792:
	s_andn2_b64 vcc, exec, s[12:13]
	s_cbranch_vccnz .LBB222_2794
; %bb.2793:
	global_load_dword v7, v[20:21], off
	s_waitcnt vmcnt(0)
	v_cvt_f64_i32_e32 v[44:45], v7
.LBB222_2794:
	s_mov_b64 s[12:13], 0
.LBB222_2795:
	s_andn2_b64 vcc, exec, s[12:13]
	s_cbranch_vccnz .LBB222_2797
; %bb.2796:
	global_load_sshort v7, v[20:21], off
	s_waitcnt vmcnt(0)
	v_cvt_f64_i32_e32 v[44:45], v7
.LBB222_2797:
	s_mov_b64 s[12:13], 0
.LBB222_2798:
	s_andn2_b64 vcc, exec, s[12:13]
	s_cbranch_vccnz .LBB222_2804
; %bb.2799:
	v_cmp_gt_i16_e64 s[12:13], s26, 0
	s_and_b64 vcc, exec, s[12:13]
	s_cbranch_vccz .LBB222_2801
; %bb.2800:
	global_load_sbyte v7, v[20:21], off
	s_mov_b64 s[12:13], 0
	s_waitcnt vmcnt(0)
	v_cvt_f64_i32_e32 v[44:45], v7
	s_branch .LBB222_2802
.LBB222_2801:
	s_mov_b64 s[12:13], -1
                                        ; implicit-def: $vgpr44_vgpr45
.LBB222_2802:
	s_andn2_b64 vcc, exec, s[12:13]
	s_cbranch_vccnz .LBB222_2804
; %bb.2803:
	global_load_ubyte v7, v[20:21], off
	s_waitcnt vmcnt(0)
	v_cvt_f64_u32_e32 v[44:45], v7
.LBB222_2804:
	s_mov_b64 s[16:17], -1
.LBB222_2805:
	s_andn2_b64 vcc, exec, s[16:17]
	s_cbranch_vccnz .LBB222_4173
; %bb.2806:
	v_mov_b32_e32 v7, s9
	v_add_co_u32_e32 v18, vcc, s8, v18
	v_addc_co_u32_e32 v19, vcc, 0, v7, vcc
	s_and_b64 vcc, exec, s[10:11]
	s_cbranch_vccnz .LBB222_2813
; %bb.2807:
	v_cmp_gt_i16_e64 s[12:13], s27, 25
	s_mov_b64 s[14:15], 0
	s_and_b64 vcc, exec, s[12:13]
	s_cbranch_vccz .LBB222_2814
; %bb.2808:
	v_cmp_gt_i16_e64 s[12:13], s27, 28
	s_and_b64 vcc, exec, s[12:13]
	s_cbranch_vccz .LBB222_2815
; %bb.2809:
	v_cmp_gt_i16_e64 s[12:13], s27, 43
	;; [unrolled: 4-line block ×3, first 2 shown]
	s_and_b64 vcc, exec, s[12:13]
	s_cbranch_vccz .LBB222_2818
; %bb.2811:
	v_cmp_eq_u16_e64 s[12:13], s27, 46
	s_mov_b64 s[18:19], 0
	s_and_b64 vcc, exec, s[12:13]
	s_cbranch_vccz .LBB222_2821
; %bb.2812:
	global_load_dword v7, v[18:19], off
	s_mov_b64 s[12:13], 0
	s_mov_b64 s[16:17], -1
	s_waitcnt vmcnt(0)
	v_lshlrev_b32_e32 v7, 16, v7
	v_cvt_f64_f32_e32 v[46:47], v7
	s_branch .LBB222_2822
.LBB222_2813:
	s_mov_b64 s[12:13], -1
	s_mov_b64 s[16:17], 0
                                        ; implicit-def: $vgpr46_vgpr47
	s_branch .LBB222_2888
.LBB222_2814:
	s_mov_b64 s[18:19], -1
	s_mov_b64 s[16:17], 0
	s_mov_b64 s[12:13], 0
                                        ; implicit-def: $vgpr46_vgpr47
	s_branch .LBB222_2851
.LBB222_2815:
	s_mov_b64 s[18:19], -1
	s_mov_b64 s[16:17], 0
	s_mov_b64 s[12:13], 0
                                        ; implicit-def: $vgpr46_vgpr47
	s_branch .LBB222_2832
.LBB222_2816:
	s_mov_b64 s[18:19], -1
	s_mov_b64 s[16:17], 0
	s_mov_b64 s[12:13], 0
                                        ; implicit-def: $vgpr46_vgpr47
	s_branch .LBB222_2827
.LBB222_2817:
	s_trap 2
	s_or_b64 s[90:91], s[90:91], exec
                                        ; implicit-def: $vgpr44_vgpr45
	s_cbranch_execz .LBB222_2754
	s_branch .LBB222_2755
.LBB222_2818:
	s_mov_b64 s[18:19], -1
	s_mov_b64 s[16:17], 0
	s_mov_b64 s[12:13], 0
                                        ; implicit-def: $vgpr46_vgpr47
	s_branch .LBB222_2822
.LBB222_2819:
	s_or_saveexec_b64 s[12:13], s[12:13]
                                        ; implicit-def: $sgpr14
	s_xor_b64 exec, exec, s[12:13]
	s_cbranch_execz .LBB222_1511
.LBB222_2820:
	s_mov_b32 s14, 0x46000000
	v_add_f32_e64 v3, |v2|, s14
	v_and_b32_e32 v3, 0xff, v3
	v_cmp_ne_u32_e32 vcc, 0, v3
	s_andn2_b64 s[10:11], s[10:11], exec
	s_and_b64 s[16:17], vcc, exec
	s_mov_b32 s14, 0
	s_or_b64 s[10:11], s[10:11], s[16:17]
	s_or_b64 exec, exec, s[12:13]
	v_mov_b32_e32 v6, s14
	s_and_saveexec_b64 s[12:13], s[10:11]
	s_cbranch_execnz .LBB222_1512
	s_branch .LBB222_1513
.LBB222_2821:
	s_mov_b64 s[12:13], -1
                                        ; implicit-def: $vgpr46_vgpr47
	s_mov_b64 s[16:17], 0
.LBB222_2822:
	s_and_b64 vcc, exec, s[18:19]
	s_cbranch_vccz .LBB222_2826
; %bb.2823:
	v_cmp_eq_u16_e64 s[12:13], s27, 44
	s_and_b64 vcc, exec, s[12:13]
	s_cbranch_vccz .LBB222_2825
; %bb.2824:
	global_load_ubyte v7, v[18:19], off
	s_movk_i32 s16, 0xff
	v_bfrev_b32_e32 v9, 4
	v_mov_b32_e32 v11, 0x7ff80000
	v_bfrev_b32_e32 v13, 28
	s_mov_b64 s[12:13], 0
	s_waitcnt vmcnt(0)
	v_lshlrev_b32_e32 v15, 23, v7
	v_cvt_f64_f32_e32 v[20:21], v15
	v_cmp_ne_u32_e32 vcc, s16, v7
	v_cndmask_b32_e32 v9, v9, v20, vcc
	v_cndmask_b32_e32 v11, v11, v21, vcc
	v_cmp_ne_u32_e32 vcc, 0, v7
	v_cndmask_b32_e32 v47, v13, v11, vcc
	v_cndmask_b32_e32 v46, 0, v9, vcc
	s_mov_b64 s[16:17], -1
	s_branch .LBB222_2826
.LBB222_2825:
	s_mov_b64 s[12:13], -1
                                        ; implicit-def: $vgpr46_vgpr47
.LBB222_2826:
	s_mov_b64 s[18:19], 0
.LBB222_2827:
	s_and_b64 vcc, exec, s[18:19]
	s_cbranch_vccz .LBB222_2831
; %bb.2828:
	v_cmp_eq_u16_e64 s[12:13], s27, 29
	s_and_b64 vcc, exec, s[12:13]
	s_cbranch_vccz .LBB222_2830
; %bb.2829:
	global_load_dwordx2 v[20:21], v[18:19], off
	s_mov_b64 s[12:13], 0
	s_mov_b64 s[16:17], -1
	s_mov_b64 s[18:19], 0
	s_waitcnt vmcnt(0)
	v_cvt_f64_u32_e32 v[22:23], v21
	v_cvt_f64_u32_e32 v[20:21], v20
	v_ldexp_f64 v[22:23], v[22:23], 32
	v_add_f64 v[46:47], v[22:23], v[20:21]
	s_branch .LBB222_2832
.LBB222_2830:
	s_mov_b64 s[12:13], -1
                                        ; implicit-def: $vgpr46_vgpr47
.LBB222_2831:
	s_mov_b64 s[18:19], 0
.LBB222_2832:
	s_and_b64 vcc, exec, s[18:19]
	s_cbranch_vccz .LBB222_2850
; %bb.2833:
	v_cmp_lt_i16_e64 s[16:17], s27, 27
	s_and_b64 vcc, exec, s[16:17]
	s_cbranch_vccnz .LBB222_2836
; %bb.2834:
	v_cmp_gt_i16_e64 s[16:17], s27, 27
	s_and_b64 vcc, exec, s[16:17]
	s_cbranch_vccz .LBB222_2837
; %bb.2835:
	global_load_dword v7, v[18:19], off
	s_mov_b64 s[16:17], 0
	s_waitcnt vmcnt(0)
	v_cvt_f64_u32_e32 v[46:47], v7
	s_branch .LBB222_2838
.LBB222_2836:
	s_mov_b64 s[16:17], -1
                                        ; implicit-def: $vgpr46_vgpr47
	s_branch .LBB222_2841
.LBB222_2837:
	s_mov_b64 s[16:17], -1
                                        ; implicit-def: $vgpr46_vgpr47
.LBB222_2838:
	s_andn2_b64 vcc, exec, s[16:17]
	s_cbranch_vccnz .LBB222_2840
; %bb.2839:
	global_load_ushort v7, v[18:19], off
	s_waitcnt vmcnt(0)
	v_cvt_f64_u32_e32 v[46:47], v7
.LBB222_2840:
	s_mov_b64 s[16:17], 0
.LBB222_2841:
	s_andn2_b64 vcc, exec, s[16:17]
	s_cbranch_vccnz .LBB222_2849
; %bb.2842:
	global_load_ubyte v7, v[18:19], off
	s_movk_i32 s16, 0x7f
                                        ; implicit-def: $sgpr18_sgpr19
	s_waitcnt vmcnt(0)
	v_cmp_lt_i16_e32 vcc, s16, v7
	s_mov_b64 s[16:17], 0
	s_and_saveexec_b64 s[20:21], vcc
	s_xor_b64 s[20:21], exec, s[20:21]
	s_cbranch_execz .LBB222_2863
; %bb.2843:
	s_movk_i32 s16, 0x80
	v_cmp_eq_u16_e32 vcc, s16, v7
	s_mov_b64 s[22:23], -1
                                        ; implicit-def: $sgpr18_sgpr19
	s_and_saveexec_b64 s[16:17], vcc
; %bb.2844:
	s_mov_b32 s19, 0x7ff80000
	s_brev_b32 s18, 4
	s_xor_b64 s[22:23], exec, -1
; %bb.2845:
	s_or_b64 exec, exec, s[16:17]
	s_and_b64 s[16:17], s[22:23], exec
	s_or_saveexec_b64 s[20:21], s[20:21]
	v_pk_mov_b32 v[46:47], s[18:19], s[18:19] op_sel:[0,1]
	s_xor_b64 exec, exec, s[20:21]
	s_cbranch_execnz .LBB222_2864
.LBB222_2846:
	s_or_b64 exec, exec, s[20:21]
	s_and_saveexec_b64 s[18:19], s[16:17]
	s_cbranch_execz .LBB222_2848
.LBB222_2847:
	v_lshlrev_b32_e32 v9, 24, v7
	v_and_b32_e32 v7, 0xffff, v7
	v_and_b32_e32 v11, 7, v7
	v_ffbh_u32_e32 v15, v11
	v_min_u32_e32 v15, 32, v15
	v_subrev_u32_e32 v17, 28, v15
	v_bfe_u32 v13, v7, 3, 4
	v_lshlrev_b32_e32 v7, v17, v7
	v_sub_u32_e32 v15, 29, v15
	v_and_b32_e32 v7, 7, v7
	v_cmp_eq_u32_e32 vcc, 0, v13
	v_cndmask_b32_e32 v13, v13, v15, vcc
	v_cndmask_b32_e32 v7, v11, v7, vcc
	v_mov_b32_e32 v11, 0x3b800000
	v_lshlrev_b32_e32 v7, 20, v7
	v_and_b32_e32 v9, 0x80000000, v9
	v_lshl_add_u32 v11, v13, 23, v11
	v_or3_b32 v7, v9, v11, v7
	v_cvt_f64_f32_e32 v[46:47], v7
.LBB222_2848:
	s_or_b64 exec, exec, s[18:19]
.LBB222_2849:
	s_mov_b64 s[16:17], -1
.LBB222_2850:
	s_mov_b64 s[18:19], 0
.LBB222_2851:
	s_and_b64 vcc, exec, s[18:19]
	s_cbranch_vccz .LBB222_2884
; %bb.2852:
	v_cmp_gt_i16_e64 s[14:15], s27, 22
	s_and_b64 vcc, exec, s[14:15]
	s_cbranch_vccz .LBB222_2862
; %bb.2853:
	v_cmp_lt_i16_e64 s[14:15], s27, 24
	s_and_b64 vcc, exec, s[14:15]
	s_cbranch_vccnz .LBB222_2865
; %bb.2854:
	v_cmp_gt_i16_e64 s[14:15], s27, 24
	s_and_b64 vcc, exec, s[14:15]
	s_cbranch_vccz .LBB222_2866
; %bb.2855:
	global_load_ubyte v7, v[18:19], off
	s_movk_i32 s14, 0x7f
                                        ; implicit-def: $sgpr16_sgpr17
	s_waitcnt vmcnt(0)
	v_cmp_lt_i16_e32 vcc, s14, v7
	s_mov_b64 s[14:15], 0
	s_and_saveexec_b64 s[18:19], vcc
	s_xor_b64 s[18:19], exec, s[18:19]
	s_cbranch_execz .LBB222_2878
; %bb.2856:
	s_movk_i32 s14, 0x80
	v_cmp_eq_u16_e32 vcc, s14, v7
	s_mov_b64 s[20:21], -1
                                        ; implicit-def: $sgpr16_sgpr17
	s_and_saveexec_b64 s[14:15], vcc
; %bb.2857:
	s_mov_b32 s17, 0x7ff80000
	s_brev_b32 s16, 4
	s_xor_b64 s[20:21], exec, -1
; %bb.2858:
	s_or_b64 exec, exec, s[14:15]
	s_and_b64 s[14:15], s[20:21], exec
	s_or_saveexec_b64 s[18:19], s[18:19]
	v_pk_mov_b32 v[46:47], s[16:17], s[16:17] op_sel:[0,1]
	s_xor_b64 exec, exec, s[18:19]
	s_cbranch_execnz .LBB222_2879
.LBB222_2859:
	s_or_b64 exec, exec, s[18:19]
	s_and_saveexec_b64 s[16:17], s[14:15]
	s_cbranch_execz .LBB222_2861
.LBB222_2860:
	v_lshlrev_b32_e32 v9, 24, v7
	v_and_b32_e32 v7, 0xffff, v7
	v_and_b32_e32 v11, 3, v7
	v_ffbh_u32_e32 v15, v11
	v_min_u32_e32 v15, 32, v15
	v_subrev_u32_e32 v17, 29, v15
	v_bfe_u32 v13, v7, 2, 5
	v_lshlrev_b32_e32 v7, v17, v7
	v_sub_u32_e32 v15, 30, v15
	v_and_b32_e32 v7, 3, v7
	v_cmp_eq_u32_e32 vcc, 0, v13
	v_cndmask_b32_e32 v13, v13, v15, vcc
	v_cndmask_b32_e32 v7, v11, v7, vcc
	v_mov_b32_e32 v11, 0x37800000
	v_lshlrev_b32_e32 v7, 21, v7
	v_and_b32_e32 v9, 0x80000000, v9
	v_lshl_add_u32 v11, v13, 23, v11
	v_or3_b32 v7, v9, v11, v7
	v_cvt_f64_f32_e32 v[46:47], v7
.LBB222_2861:
	s_or_b64 exec, exec, s[16:17]
	s_mov_b64 s[14:15], 0
	s_branch .LBB222_2867
.LBB222_2862:
	s_mov_b64 s[14:15], -1
                                        ; implicit-def: $vgpr46_vgpr47
	s_branch .LBB222_2873
.LBB222_2863:
	s_or_saveexec_b64 s[20:21], s[20:21]
	v_pk_mov_b32 v[46:47], s[18:19], s[18:19] op_sel:[0,1]
	s_xor_b64 exec, exec, s[20:21]
	s_cbranch_execz .LBB222_2846
.LBB222_2864:
	v_cmp_ne_u16_e32 vcc, 0, v7
	s_andn2_b64 s[16:17], s[16:17], exec
	s_and_b64 s[18:19], vcc, exec
	v_pk_mov_b32 v[46:47], 0, 0
	s_or_b64 s[16:17], s[16:17], s[18:19]
	s_or_b64 exec, exec, s[20:21]
	s_and_saveexec_b64 s[18:19], s[16:17]
	s_cbranch_execnz .LBB222_2847
	s_branch .LBB222_2848
.LBB222_2865:
	s_mov_b64 s[14:15], -1
                                        ; implicit-def: $vgpr46_vgpr47
	s_branch .LBB222_2870
.LBB222_2866:
	s_mov_b64 s[14:15], -1
                                        ; implicit-def: $vgpr46_vgpr47
.LBB222_2867:
	s_and_b64 vcc, exec, s[14:15]
	s_cbranch_vccz .LBB222_2869
; %bb.2868:
	global_load_ubyte v7, v[18:19], off
	s_mov_b32 s14, 0x7f800000
	s_waitcnt vmcnt(0)
	v_lshlrev_b32_e32 v7, 24, v7
	v_and_b32_e32 v9, 0x7f000000, v7
	v_ffbh_u32_e32 v11, v9
	v_min_u32_e32 v11, 32, v11
	v_sub_u32_e64 v11, v11, 4 clamp
	v_lshlrev_b32_e32 v15, v11, v9
	v_lshlrev_b32_e32 v11, 23, v11
	v_lshrrev_b32_e32 v15, 4, v15
	v_add_u32_e32 v13, 0x1000000, v9
	v_sub_u32_e32 v11, v15, v11
	v_ashrrev_i32_e32 v13, 8, v13
	v_add_u32_e32 v11, 0x3c000000, v11
	v_and_or_b32 v11, v13, s14, v11
	v_cmp_ne_u32_e32 vcc, 0, v9
	v_cndmask_b32_e32 v9, 0, v11, vcc
	s_brev_b32 s14, 1
	v_and_or_b32 v7, v7, s14, v9
	v_cvt_f64_f32_e32 v[46:47], v7
.LBB222_2869:
	s_mov_b64 s[14:15], 0
.LBB222_2870:
	s_andn2_b64 vcc, exec, s[14:15]
	s_cbranch_vccnz .LBB222_2872
; %bb.2871:
	global_load_ubyte v7, v[18:19], off
	s_movk_i32 s14, 0x7f00
	s_brev_b32 s15, 16
	s_waitcnt vmcnt(0)
	v_lshlrev_b16_e32 v9, 8, v7
	v_lshlrev_b32_e32 v7, 25, v7
	v_lshrrev_b32_e32 v11, 4, v7
	v_and_or_b32 v13, v9, s14, 0.5
	v_or_b32_e32 v11, 0x70000000, v11
	v_add_f32_e32 v13, -0.5, v13
	v_mul_f32_e32 v11, 0x7800000, v11
	v_cmp_gt_u32_e32 vcc, s15, v7
	v_bfe_i32 v9, v9, 0, 16
	v_cndmask_b32_e32 v7, v11, v13, vcc
	s_brev_b32 s14, 1
	v_and_or_b32 v7, v9, s14, v7
	v_cvt_f64_f32_e32 v[46:47], v7
.LBB222_2872:
	s_mov_b64 s[14:15], 0
	s_mov_b64 s[16:17], -1
.LBB222_2873:
	s_andn2_b64 vcc, exec, s[14:15]
	s_mov_b64 s[14:15], 0
	s_cbranch_vccnz .LBB222_2884
; %bb.2874:
	v_cmp_gt_i16_e64 s[14:15], s27, 14
	s_and_b64 vcc, exec, s[14:15]
	s_cbranch_vccz .LBB222_2877
; %bb.2875:
	v_cmp_eq_u16_e64 s[12:13], s27, 15
	s_and_b64 vcc, exec, s[12:13]
	s_cbranch_vccz .LBB222_2880
; %bb.2876:
	global_load_ushort v7, v[18:19], off
	s_mov_b64 s[12:13], 0
	s_mov_b64 s[16:17], -1
	s_waitcnt vmcnt(0)
	v_lshlrev_b32_e32 v7, 16, v7
	v_cvt_f64_f32_e32 v[46:47], v7
	s_branch .LBB222_2881
.LBB222_2877:
	s_mov_b64 s[18:19], -1
                                        ; implicit-def: $vgpr46_vgpr47
	s_branch .LBB222_2882
.LBB222_2878:
	s_or_saveexec_b64 s[18:19], s[18:19]
	v_pk_mov_b32 v[46:47], s[16:17], s[16:17] op_sel:[0,1]
	s_xor_b64 exec, exec, s[18:19]
	s_cbranch_execz .LBB222_2859
.LBB222_2879:
	v_cmp_ne_u16_e32 vcc, 0, v7
	s_andn2_b64 s[14:15], s[14:15], exec
	s_and_b64 s[16:17], vcc, exec
	v_pk_mov_b32 v[46:47], 0, 0
	s_or_b64 s[14:15], s[14:15], s[16:17]
	s_or_b64 exec, exec, s[18:19]
	s_and_saveexec_b64 s[16:17], s[14:15]
	s_cbranch_execnz .LBB222_2860
	s_branch .LBB222_2861
.LBB222_2880:
	s_mov_b64 s[12:13], -1
                                        ; implicit-def: $vgpr46_vgpr47
.LBB222_2881:
	s_mov_b64 s[18:19], 0
.LBB222_2882:
	s_mov_b64 s[14:15], 0
	s_and_b64 vcc, exec, s[18:19]
	s_cbranch_vccz .LBB222_2884
; %bb.2883:
	v_cmp_ne_u16_e64 s[12:13], s27, 11
	s_mov_b64 s[14:15], -1
                                        ; implicit-def: $vgpr46_vgpr47
.LBB222_2884:
	s_and_b64 vcc, exec, s[12:13]
	s_cbranch_vccnz .LBB222_2949
; %bb.2885:
	s_andn2_b64 vcc, exec, s[14:15]
	s_cbranch_vccnz .LBB222_2887
.LBB222_2886:
	global_load_ubyte v7, v[18:19], off
	v_mov_b32_e32 v9, 0x3ff00000
	v_mov_b32_e32 v46, 0
	s_mov_b64 s[16:17], -1
	s_waitcnt vmcnt(0)
	v_cmp_ne_u16_e32 vcc, 0, v7
	v_cndmask_b32_e32 v47, 0, v9, vcc
.LBB222_2887:
	s_mov_b64 s[12:13], 0
.LBB222_2888:
	s_and_b64 vcc, exec, s[12:13]
	s_cbranch_vccz .LBB222_2937
; %bb.2889:
	v_cmp_lt_i16_e64 s[12:13], s27, 5
	s_and_b64 vcc, exec, s[12:13]
	s_cbranch_vccnz .LBB222_2894
; %bb.2890:
	v_cmp_lt_i16_e64 s[12:13], s27, 8
	s_and_b64 vcc, exec, s[12:13]
	s_cbranch_vccnz .LBB222_2895
; %bb.2891:
	v_cmp_lt_i16_e64 s[12:13], s27, 9
	s_and_b64 vcc, exec, s[12:13]
	s_cbranch_vccnz .LBB222_2896
; %bb.2892:
	v_cmp_gt_i16_e64 s[12:13], s27, 9
	s_and_b64 vcc, exec, s[12:13]
	s_cbranch_vccz .LBB222_2897
; %bb.2893:
	global_load_dwordx2 v[46:47], v[18:19], off
	s_mov_b64 s[12:13], 0
	s_branch .LBB222_2898
.LBB222_2894:
	s_mov_b64 s[12:13], -1
                                        ; implicit-def: $vgpr46_vgpr47
	s_branch .LBB222_2916
.LBB222_2895:
	s_mov_b64 s[12:13], -1
                                        ; implicit-def: $vgpr46_vgpr47
	s_branch .LBB222_2904
.LBB222_2896:
	s_mov_b64 s[12:13], -1
                                        ; implicit-def: $vgpr46_vgpr47
	s_branch .LBB222_2901
.LBB222_2897:
	s_mov_b64 s[12:13], -1
                                        ; implicit-def: $vgpr46_vgpr47
.LBB222_2898:
	s_andn2_b64 vcc, exec, s[12:13]
	s_cbranch_vccnz .LBB222_2900
; %bb.2899:
	global_load_dword v7, v[18:19], off
	s_waitcnt vmcnt(0)
	v_cvt_f64_f32_e32 v[46:47], v7
.LBB222_2900:
	s_mov_b64 s[12:13], 0
.LBB222_2901:
	s_andn2_b64 vcc, exec, s[12:13]
	s_cbranch_vccnz .LBB222_2903
; %bb.2902:
	global_load_dword v7, v[18:19], off
	s_waitcnt vmcnt(0)
	v_cvt_f32_f16_e32 v7, v7
	v_cvt_f64_f32_e32 v[46:47], v7
.LBB222_2903:
	s_mov_b64 s[12:13], 0
.LBB222_2904:
	s_andn2_b64 vcc, exec, s[12:13]
	s_cbranch_vccnz .LBB222_2915
; %bb.2905:
	v_cmp_lt_i16_e64 s[12:13], s27, 6
	s_and_b64 vcc, exec, s[12:13]
	s_cbranch_vccnz .LBB222_2908
; %bb.2906:
	v_cmp_gt_i16_e64 s[12:13], s27, 6
	s_and_b64 vcc, exec, s[12:13]
	s_cbranch_vccz .LBB222_2909
; %bb.2907:
	global_load_dwordx2 v[46:47], v[18:19], off
	s_mov_b64 s[12:13], 0
	s_branch .LBB222_2910
.LBB222_2908:
	s_mov_b64 s[12:13], -1
                                        ; implicit-def: $vgpr46_vgpr47
	s_branch .LBB222_2913
.LBB222_2909:
	s_mov_b64 s[12:13], -1
                                        ; implicit-def: $vgpr46_vgpr47
.LBB222_2910:
	s_andn2_b64 vcc, exec, s[12:13]
	s_cbranch_vccnz .LBB222_2912
; %bb.2911:
	global_load_dword v7, v[18:19], off
	s_waitcnt vmcnt(0)
	v_cvt_f64_f32_e32 v[46:47], v7
.LBB222_2912:
	s_mov_b64 s[12:13], 0
.LBB222_2913:
	s_andn2_b64 vcc, exec, s[12:13]
	s_cbranch_vccnz .LBB222_2915
; %bb.2914:
	global_load_ushort v7, v[18:19], off
	s_waitcnt vmcnt(0)
	v_cvt_f32_f16_e32 v7, v7
	v_cvt_f64_f32_e32 v[46:47], v7
.LBB222_2915:
	s_mov_b64 s[12:13], 0
.LBB222_2916:
	s_andn2_b64 vcc, exec, s[12:13]
	s_cbranch_vccnz .LBB222_2936
; %bb.2917:
	v_cmp_lt_i16_e64 s[12:13], s27, 2
	s_and_b64 vcc, exec, s[12:13]
	s_cbranch_vccnz .LBB222_2921
; %bb.2918:
	v_cmp_lt_i16_e64 s[12:13], s27, 3
	s_and_b64 vcc, exec, s[12:13]
	s_cbranch_vccnz .LBB222_2922
; %bb.2919:
	v_cmp_gt_i16_e64 s[12:13], s27, 3
	s_and_b64 vcc, exec, s[12:13]
	s_cbranch_vccz .LBB222_2923
; %bb.2920:
	global_load_dwordx2 v[20:21], v[18:19], off
	s_mov_b64 s[12:13], 0
	s_waitcnt vmcnt(0)
	v_cvt_f64_i32_e32 v[22:23], v21
	v_cvt_f64_u32_e32 v[20:21], v20
	v_ldexp_f64 v[22:23], v[22:23], 32
	v_add_f64 v[46:47], v[22:23], v[20:21]
	s_branch .LBB222_2924
.LBB222_2921:
	s_mov_b64 s[12:13], -1
                                        ; implicit-def: $vgpr46_vgpr47
	s_branch .LBB222_2930
.LBB222_2922:
	s_mov_b64 s[12:13], -1
                                        ; implicit-def: $vgpr46_vgpr47
	s_branch .LBB222_2927
.LBB222_2923:
	s_mov_b64 s[12:13], -1
                                        ; implicit-def: $vgpr46_vgpr47
.LBB222_2924:
	s_andn2_b64 vcc, exec, s[12:13]
	s_cbranch_vccnz .LBB222_2926
; %bb.2925:
	global_load_dword v7, v[18:19], off
	s_waitcnt vmcnt(0)
	v_cvt_f64_i32_e32 v[46:47], v7
.LBB222_2926:
	s_mov_b64 s[12:13], 0
.LBB222_2927:
	s_andn2_b64 vcc, exec, s[12:13]
	s_cbranch_vccnz .LBB222_2929
; %bb.2928:
	global_load_sshort v7, v[18:19], off
	s_waitcnt vmcnt(0)
	v_cvt_f64_i32_e32 v[46:47], v7
.LBB222_2929:
	s_mov_b64 s[12:13], 0
.LBB222_2930:
	s_andn2_b64 vcc, exec, s[12:13]
	s_cbranch_vccnz .LBB222_2936
; %bb.2931:
	v_cmp_gt_i16_e64 s[12:13], s27, 0
	s_and_b64 vcc, exec, s[12:13]
	s_cbranch_vccz .LBB222_2933
; %bb.2932:
	global_load_sbyte v7, v[18:19], off
	s_mov_b64 s[12:13], 0
	s_waitcnt vmcnt(0)
	v_cvt_f64_i32_e32 v[46:47], v7
	s_branch .LBB222_2934
.LBB222_2933:
	s_mov_b64 s[12:13], -1
                                        ; implicit-def: $vgpr46_vgpr47
.LBB222_2934:
	s_andn2_b64 vcc, exec, s[12:13]
	s_cbranch_vccnz .LBB222_2936
; %bb.2935:
	global_load_ubyte v7, v[18:19], off
	s_waitcnt vmcnt(0)
	v_cvt_f64_u32_e32 v[46:47], v7
.LBB222_2936:
	s_mov_b64 s[16:17], -1
.LBB222_2937:
	s_andn2_b64 vcc, exec, s[16:17]
	s_cbranch_vccnz .LBB222_4173
; %bb.2938:
	v_mov_b32_e32 v7, s39
	v_add_co_u32_e32 v16, vcc, s38, v16
	v_addc_co_u32_e32 v17, vcc, 0, v7, vcc
	v_mov_b32_e32 v7, 11
	v_cmp_lt_i16_sdwa s[12:13], s25, v7 src0_sel:BYTE_0 src1_sel:DWORD
	s_and_b64 vcc, exec, s[12:13]
	s_cbranch_vccnz .LBB222_2945
; %bb.2939:
	v_mov_b32_e32 v7, 25
	v_cmp_gt_i16_sdwa s[12:13], s25, v7 src0_sel:BYTE_0 src1_sel:DWORD
	s_mov_b64 s[14:15], 0
	s_and_b64 vcc, exec, s[12:13]
	s_cbranch_vccz .LBB222_2946
; %bb.2940:
	v_mov_b32_e32 v7, 28
	v_cmp_gt_i16_sdwa s[12:13], s25, v7 src0_sel:BYTE_0 src1_sel:DWORD
	s_and_b64 vcc, exec, s[12:13]
	s_cbranch_vccz .LBB222_2947
; %bb.2941:
	v_mov_b32_e32 v7, 43
	v_cmp_gt_i16_sdwa s[12:13], s25, v7 src0_sel:BYTE_0 src1_sel:DWORD
	;; [unrolled: 5-line block ×3, first 2 shown]
	s_and_b64 vcc, exec, s[12:13]
	s_cbranch_vccz .LBB222_2950
; %bb.2943:
	v_mov_b32_e32 v7, 46
	v_cmp_eq_u16_sdwa s[12:13], s25, v7 src0_sel:BYTE_0 src1_sel:DWORD
	s_mov_b64 s[18:19], 0
	s_and_b64 vcc, exec, s[12:13]
	s_cbranch_vccz .LBB222_2953
; %bb.2944:
	global_load_dword v7, v[16:17], off
	s_mov_b64 s[12:13], 0
	s_mov_b64 s[16:17], -1
	s_waitcnt vmcnt(0)
	v_lshlrev_b32_e32 v7, 16, v7
	v_cvt_f64_f32_e32 v[56:57], v7
	s_branch .LBB222_2954
.LBB222_2945:
	s_mov_b64 s[12:13], -1
	s_mov_b64 s[16:17], 0
                                        ; implicit-def: $vgpr56_vgpr57
	s_branch .LBB222_3020
.LBB222_2946:
	s_mov_b64 s[18:19], -1
	s_mov_b64 s[16:17], 0
	s_mov_b64 s[12:13], 0
                                        ; implicit-def: $vgpr56_vgpr57
	s_branch .LBB222_2983
.LBB222_2947:
	s_mov_b64 s[18:19], -1
	s_mov_b64 s[16:17], 0
	s_mov_b64 s[12:13], 0
                                        ; implicit-def: $vgpr56_vgpr57
	s_branch .LBB222_2964
.LBB222_2948:
	s_mov_b64 s[18:19], -1
	s_mov_b64 s[16:17], 0
	s_mov_b64 s[12:13], 0
                                        ; implicit-def: $vgpr56_vgpr57
	s_branch .LBB222_2959
.LBB222_2949:
	s_trap 2
	s_or_b64 s[90:91], s[90:91], exec
                                        ; implicit-def: $vgpr46_vgpr47
	s_cbranch_execz .LBB222_2886
	s_branch .LBB222_2887
.LBB222_2950:
	s_mov_b64 s[18:19], -1
	s_mov_b64 s[16:17], 0
	s_mov_b64 s[12:13], 0
                                        ; implicit-def: $vgpr56_vgpr57
	s_branch .LBB222_2954
.LBB222_2951:
	s_or_saveexec_b64 s[12:13], s[12:13]
                                        ; implicit-def: $sgpr14
	s_xor_b64 exec, exec, s[12:13]
	s_cbranch_execz .LBB222_1524
.LBB222_2952:
	s_mov_b32 s14, 0x42800000
	v_add_f32_e64 v3, |v2|, s14
	v_and_b32_e32 v3, 0xff, v3
	v_cmp_ne_u32_e32 vcc, 0, v3
	s_andn2_b64 s[10:11], s[10:11], exec
	s_and_b64 s[16:17], vcc, exec
	s_mov_b32 s14, 0
	s_or_b64 s[10:11], s[10:11], s[16:17]
	s_or_b64 exec, exec, s[12:13]
	v_mov_b32_e32 v6, s14
	s_and_saveexec_b64 s[12:13], s[10:11]
	s_cbranch_execnz .LBB222_1525
	s_branch .LBB222_1526
.LBB222_2953:
	s_mov_b64 s[12:13], -1
                                        ; implicit-def: $vgpr56_vgpr57
	s_mov_b64 s[16:17], 0
.LBB222_2954:
	s_and_b64 vcc, exec, s[18:19]
	s_cbranch_vccz .LBB222_2958
; %bb.2955:
	v_mov_b32_e32 v7, 44
	v_cmp_eq_u16_sdwa s[12:13], s25, v7 src0_sel:BYTE_0 src1_sel:DWORD
	s_and_b64 vcc, exec, s[12:13]
	s_cbranch_vccz .LBB222_2957
; %bb.2956:
	global_load_ubyte v7, v[16:17], off
	s_movk_i32 s16, 0xff
	v_bfrev_b32_e32 v9, 4
	v_mov_b32_e32 v11, 0x7ff80000
	v_bfrev_b32_e32 v13, 28
	s_mov_b64 s[12:13], 0
	s_waitcnt vmcnt(0)
	v_lshlrev_b32_e32 v15, 23, v7
	v_cvt_f64_f32_e32 v[18:19], v15
	v_cmp_ne_u32_e32 vcc, s16, v7
	v_cndmask_b32_e32 v9, v9, v18, vcc
	v_cndmask_b32_e32 v11, v11, v19, vcc
	v_cmp_ne_u32_e32 vcc, 0, v7
	v_cndmask_b32_e32 v57, v13, v11, vcc
	v_cndmask_b32_e32 v56, 0, v9, vcc
	s_mov_b64 s[16:17], -1
	s_branch .LBB222_2958
.LBB222_2957:
	s_mov_b64 s[12:13], -1
                                        ; implicit-def: $vgpr56_vgpr57
.LBB222_2958:
	s_mov_b64 s[18:19], 0
.LBB222_2959:
	s_and_b64 vcc, exec, s[18:19]
	s_cbranch_vccz .LBB222_2963
; %bb.2960:
	v_mov_b32_e32 v7, 29
	v_cmp_eq_u16_sdwa s[12:13], s25, v7 src0_sel:BYTE_0 src1_sel:DWORD
	s_and_b64 vcc, exec, s[12:13]
	s_cbranch_vccz .LBB222_2962
; %bb.2961:
	global_load_dwordx2 v[18:19], v[16:17], off
	s_mov_b64 s[12:13], 0
	s_mov_b64 s[16:17], -1
	s_mov_b64 s[18:19], 0
	s_waitcnt vmcnt(0)
	v_cvt_f64_u32_e32 v[20:21], v19
	v_cvt_f64_u32_e32 v[18:19], v18
	v_ldexp_f64 v[20:21], v[20:21], 32
	v_add_f64 v[56:57], v[20:21], v[18:19]
	s_branch .LBB222_2964
.LBB222_2962:
	s_mov_b64 s[12:13], -1
                                        ; implicit-def: $vgpr56_vgpr57
.LBB222_2963:
	s_mov_b64 s[18:19], 0
.LBB222_2964:
	s_and_b64 vcc, exec, s[18:19]
	s_cbranch_vccz .LBB222_2982
; %bb.2965:
	v_mov_b32_e32 v7, 27
	v_cmp_lt_i16_sdwa s[16:17], s25, v7 src0_sel:BYTE_0 src1_sel:DWORD
	s_and_b64 vcc, exec, s[16:17]
	s_cbranch_vccnz .LBB222_2968
; %bb.2966:
	v_cmp_gt_i16_sdwa s[16:17], s25, v7 src0_sel:BYTE_0 src1_sel:DWORD
	s_and_b64 vcc, exec, s[16:17]
	s_cbranch_vccz .LBB222_2969
; %bb.2967:
	global_load_dword v7, v[16:17], off
	s_mov_b64 s[16:17], 0
	s_waitcnt vmcnt(0)
	v_cvt_f64_u32_e32 v[56:57], v7
	s_branch .LBB222_2970
.LBB222_2968:
	s_mov_b64 s[16:17], -1
                                        ; implicit-def: $vgpr56_vgpr57
	s_branch .LBB222_2973
.LBB222_2969:
	s_mov_b64 s[16:17], -1
                                        ; implicit-def: $vgpr56_vgpr57
.LBB222_2970:
	s_andn2_b64 vcc, exec, s[16:17]
	s_cbranch_vccnz .LBB222_2972
; %bb.2971:
	global_load_ushort v7, v[16:17], off
	s_waitcnt vmcnt(0)
	v_cvt_f64_u32_e32 v[56:57], v7
.LBB222_2972:
	s_mov_b64 s[16:17], 0
.LBB222_2973:
	s_andn2_b64 vcc, exec, s[16:17]
	s_cbranch_vccnz .LBB222_2981
; %bb.2974:
	global_load_ubyte v7, v[16:17], off
	s_movk_i32 s16, 0x7f
                                        ; implicit-def: $sgpr18_sgpr19
	s_waitcnt vmcnt(0)
	v_cmp_lt_i16_e32 vcc, s16, v7
	s_mov_b64 s[16:17], 0
	s_and_saveexec_b64 s[20:21], vcc
	s_xor_b64 s[20:21], exec, s[20:21]
	s_cbranch_execz .LBB222_2995
; %bb.2975:
	s_movk_i32 s16, 0x80
	v_cmp_eq_u16_e32 vcc, s16, v7
	s_mov_b64 s[22:23], -1
                                        ; implicit-def: $sgpr18_sgpr19
	s_and_saveexec_b64 s[16:17], vcc
; %bb.2976:
	s_mov_b32 s19, 0x7ff80000
	s_brev_b32 s18, 4
	s_xor_b64 s[22:23], exec, -1
; %bb.2977:
	s_or_b64 exec, exec, s[16:17]
	s_and_b64 s[16:17], s[22:23], exec
	s_or_saveexec_b64 s[20:21], s[20:21]
	v_pk_mov_b32 v[56:57], s[18:19], s[18:19] op_sel:[0,1]
	s_xor_b64 exec, exec, s[20:21]
	s_cbranch_execnz .LBB222_2996
.LBB222_2978:
	s_or_b64 exec, exec, s[20:21]
	s_and_saveexec_b64 s[18:19], s[16:17]
	s_cbranch_execz .LBB222_2980
.LBB222_2979:
	v_lshlrev_b32_e32 v9, 24, v7
	v_and_b32_e32 v7, 0xffff, v7
	v_and_b32_e32 v11, 7, v7
	v_ffbh_u32_e32 v15, v11
	v_min_u32_e32 v15, 32, v15
	v_subrev_u32_e32 v18, 28, v15
	v_bfe_u32 v13, v7, 3, 4
	v_lshlrev_b32_e32 v7, v18, v7
	v_sub_u32_e32 v15, 29, v15
	v_and_b32_e32 v7, 7, v7
	v_cmp_eq_u32_e32 vcc, 0, v13
	v_cndmask_b32_e32 v13, v13, v15, vcc
	v_cndmask_b32_e32 v7, v11, v7, vcc
	v_mov_b32_e32 v11, 0x3b800000
	v_lshlrev_b32_e32 v7, 20, v7
	v_and_b32_e32 v9, 0x80000000, v9
	v_lshl_add_u32 v11, v13, 23, v11
	v_or3_b32 v7, v9, v11, v7
	v_cvt_f64_f32_e32 v[56:57], v7
.LBB222_2980:
	s_or_b64 exec, exec, s[18:19]
.LBB222_2981:
	s_mov_b64 s[16:17], -1
.LBB222_2982:
	s_mov_b64 s[18:19], 0
.LBB222_2983:
	s_and_b64 vcc, exec, s[18:19]
	s_cbranch_vccz .LBB222_3016
; %bb.2984:
	v_mov_b32_e32 v7, 22
	v_cmp_gt_i16_sdwa s[14:15], s25, v7 src0_sel:BYTE_0 src1_sel:DWORD
	s_and_b64 vcc, exec, s[14:15]
	s_cbranch_vccz .LBB222_2994
; %bb.2985:
	v_mov_b32_e32 v7, 24
	v_cmp_lt_i16_sdwa s[14:15], s25, v7 src0_sel:BYTE_0 src1_sel:DWORD
	s_and_b64 vcc, exec, s[14:15]
	s_cbranch_vccnz .LBB222_2997
; %bb.2986:
	v_cmp_gt_i16_sdwa s[14:15], s25, v7 src0_sel:BYTE_0 src1_sel:DWORD
	s_and_b64 vcc, exec, s[14:15]
	s_cbranch_vccz .LBB222_2998
; %bb.2987:
	global_load_ubyte v7, v[16:17], off
	s_movk_i32 s14, 0x7f
                                        ; implicit-def: $sgpr16_sgpr17
	s_waitcnt vmcnt(0)
	v_cmp_lt_i16_e32 vcc, s14, v7
	s_mov_b64 s[14:15], 0
	s_and_saveexec_b64 s[18:19], vcc
	s_xor_b64 s[18:19], exec, s[18:19]
	s_cbranch_execz .LBB222_3010
; %bb.2988:
	s_movk_i32 s14, 0x80
	v_cmp_eq_u16_e32 vcc, s14, v7
	s_mov_b64 s[20:21], -1
                                        ; implicit-def: $sgpr16_sgpr17
	s_and_saveexec_b64 s[14:15], vcc
; %bb.2989:
	s_mov_b32 s17, 0x7ff80000
	s_brev_b32 s16, 4
	s_xor_b64 s[20:21], exec, -1
; %bb.2990:
	s_or_b64 exec, exec, s[14:15]
	s_and_b64 s[14:15], s[20:21], exec
	s_or_saveexec_b64 s[18:19], s[18:19]
	v_pk_mov_b32 v[56:57], s[16:17], s[16:17] op_sel:[0,1]
	s_xor_b64 exec, exec, s[18:19]
	s_cbranch_execnz .LBB222_3011
.LBB222_2991:
	s_or_b64 exec, exec, s[18:19]
	s_and_saveexec_b64 s[16:17], s[14:15]
	s_cbranch_execz .LBB222_2993
.LBB222_2992:
	v_lshlrev_b32_e32 v9, 24, v7
	v_and_b32_e32 v7, 0xffff, v7
	v_and_b32_e32 v11, 3, v7
	v_ffbh_u32_e32 v15, v11
	v_min_u32_e32 v15, 32, v15
	v_subrev_u32_e32 v18, 29, v15
	v_bfe_u32 v13, v7, 2, 5
	v_lshlrev_b32_e32 v7, v18, v7
	v_sub_u32_e32 v15, 30, v15
	v_and_b32_e32 v7, 3, v7
	v_cmp_eq_u32_e32 vcc, 0, v13
	v_cndmask_b32_e32 v13, v13, v15, vcc
	v_cndmask_b32_e32 v7, v11, v7, vcc
	v_mov_b32_e32 v11, 0x37800000
	v_lshlrev_b32_e32 v7, 21, v7
	v_and_b32_e32 v9, 0x80000000, v9
	v_lshl_add_u32 v11, v13, 23, v11
	v_or3_b32 v7, v9, v11, v7
	v_cvt_f64_f32_e32 v[56:57], v7
.LBB222_2993:
	s_or_b64 exec, exec, s[16:17]
	s_mov_b64 s[14:15], 0
	s_branch .LBB222_2999
.LBB222_2994:
	s_mov_b64 s[14:15], -1
                                        ; implicit-def: $vgpr56_vgpr57
	s_branch .LBB222_3005
.LBB222_2995:
	s_or_saveexec_b64 s[20:21], s[20:21]
	v_pk_mov_b32 v[56:57], s[18:19], s[18:19] op_sel:[0,1]
	s_xor_b64 exec, exec, s[20:21]
	s_cbranch_execz .LBB222_2978
.LBB222_2996:
	v_cmp_ne_u16_e32 vcc, 0, v7
	s_andn2_b64 s[16:17], s[16:17], exec
	s_and_b64 s[18:19], vcc, exec
	v_pk_mov_b32 v[56:57], 0, 0
	s_or_b64 s[16:17], s[16:17], s[18:19]
	s_or_b64 exec, exec, s[20:21]
	s_and_saveexec_b64 s[18:19], s[16:17]
	s_cbranch_execnz .LBB222_2979
	s_branch .LBB222_2980
.LBB222_2997:
	s_mov_b64 s[14:15], -1
                                        ; implicit-def: $vgpr56_vgpr57
	s_branch .LBB222_3002
.LBB222_2998:
	s_mov_b64 s[14:15], -1
                                        ; implicit-def: $vgpr56_vgpr57
.LBB222_2999:
	s_and_b64 vcc, exec, s[14:15]
	s_cbranch_vccz .LBB222_3001
; %bb.3000:
	global_load_ubyte v7, v[16:17], off
	s_mov_b32 s14, 0x7f800000
	s_waitcnt vmcnt(0)
	v_lshlrev_b32_e32 v7, 24, v7
	v_and_b32_e32 v9, 0x7f000000, v7
	v_ffbh_u32_e32 v11, v9
	v_min_u32_e32 v11, 32, v11
	v_sub_u32_e64 v11, v11, 4 clamp
	v_lshlrev_b32_e32 v15, v11, v9
	v_lshlrev_b32_e32 v11, 23, v11
	v_lshrrev_b32_e32 v15, 4, v15
	v_add_u32_e32 v13, 0x1000000, v9
	v_sub_u32_e32 v11, v15, v11
	v_ashrrev_i32_e32 v13, 8, v13
	v_add_u32_e32 v11, 0x3c000000, v11
	v_and_or_b32 v11, v13, s14, v11
	v_cmp_ne_u32_e32 vcc, 0, v9
	v_cndmask_b32_e32 v9, 0, v11, vcc
	s_brev_b32 s14, 1
	v_and_or_b32 v7, v7, s14, v9
	v_cvt_f64_f32_e32 v[56:57], v7
.LBB222_3001:
	s_mov_b64 s[14:15], 0
.LBB222_3002:
	s_andn2_b64 vcc, exec, s[14:15]
	s_cbranch_vccnz .LBB222_3004
; %bb.3003:
	global_load_ubyte v7, v[16:17], off
	s_movk_i32 s14, 0x7f00
	s_brev_b32 s15, 16
	s_waitcnt vmcnt(0)
	v_lshlrev_b16_e32 v9, 8, v7
	v_lshlrev_b32_e32 v7, 25, v7
	v_lshrrev_b32_e32 v11, 4, v7
	v_and_or_b32 v13, v9, s14, 0.5
	v_or_b32_e32 v11, 0x70000000, v11
	v_add_f32_e32 v13, -0.5, v13
	v_mul_f32_e32 v11, 0x7800000, v11
	v_cmp_gt_u32_e32 vcc, s15, v7
	v_bfe_i32 v9, v9, 0, 16
	v_cndmask_b32_e32 v7, v11, v13, vcc
	s_brev_b32 s14, 1
	v_and_or_b32 v7, v9, s14, v7
	v_cvt_f64_f32_e32 v[56:57], v7
.LBB222_3004:
	s_mov_b64 s[14:15], 0
	s_mov_b64 s[16:17], -1
.LBB222_3005:
	s_andn2_b64 vcc, exec, s[14:15]
	s_mov_b64 s[14:15], 0
	s_cbranch_vccnz .LBB222_3016
; %bb.3006:
	v_mov_b32_e32 v7, 14
	v_cmp_gt_i16_sdwa s[14:15], s25, v7 src0_sel:BYTE_0 src1_sel:DWORD
	s_and_b64 vcc, exec, s[14:15]
	s_cbranch_vccz .LBB222_3009
; %bb.3007:
	v_mov_b32_e32 v7, 15
	v_cmp_eq_u16_sdwa s[12:13], s25, v7 src0_sel:BYTE_0 src1_sel:DWORD
	s_and_b64 vcc, exec, s[12:13]
	s_cbranch_vccz .LBB222_3012
; %bb.3008:
	global_load_ushort v7, v[16:17], off
	s_mov_b64 s[12:13], 0
	s_mov_b64 s[16:17], -1
	s_waitcnt vmcnt(0)
	v_lshlrev_b32_e32 v7, 16, v7
	v_cvt_f64_f32_e32 v[56:57], v7
	s_branch .LBB222_3013
.LBB222_3009:
	s_mov_b64 s[18:19], -1
                                        ; implicit-def: $vgpr56_vgpr57
	s_branch .LBB222_3014
.LBB222_3010:
	s_or_saveexec_b64 s[18:19], s[18:19]
	v_pk_mov_b32 v[56:57], s[16:17], s[16:17] op_sel:[0,1]
	s_xor_b64 exec, exec, s[18:19]
	s_cbranch_execz .LBB222_2991
.LBB222_3011:
	v_cmp_ne_u16_e32 vcc, 0, v7
	s_andn2_b64 s[14:15], s[14:15], exec
	s_and_b64 s[16:17], vcc, exec
	v_pk_mov_b32 v[56:57], 0, 0
	s_or_b64 s[14:15], s[14:15], s[16:17]
	s_or_b64 exec, exec, s[18:19]
	s_and_saveexec_b64 s[16:17], s[14:15]
	s_cbranch_execnz .LBB222_2992
	s_branch .LBB222_2993
.LBB222_3012:
	s_mov_b64 s[12:13], -1
                                        ; implicit-def: $vgpr56_vgpr57
.LBB222_3013:
	s_mov_b64 s[18:19], 0
.LBB222_3014:
	s_mov_b64 s[14:15], 0
	s_and_b64 vcc, exec, s[18:19]
	s_cbranch_vccz .LBB222_3016
; %bb.3015:
	v_mov_b32_e32 v7, 11
	v_cmp_ne_u16_sdwa s[12:13], s25, v7 src0_sel:BYTE_0 src1_sel:DWORD
	s_mov_b64 s[14:15], -1
                                        ; implicit-def: $vgpr56_vgpr57
.LBB222_3016:
	s_and_b64 vcc, exec, s[12:13]
	s_cbranch_vccnz .LBB222_3081
; %bb.3017:
	s_andn2_b64 vcc, exec, s[14:15]
	s_cbranch_vccnz .LBB222_3019
.LBB222_3018:
	global_load_ubyte v7, v[16:17], off
	v_mov_b32_e32 v9, 0x3ff00000
	v_mov_b32_e32 v56, 0
	s_mov_b64 s[16:17], -1
	s_waitcnt vmcnt(0)
	v_cmp_ne_u16_e32 vcc, 0, v7
	v_cndmask_b32_e32 v57, 0, v9, vcc
.LBB222_3019:
	s_mov_b64 s[12:13], 0
.LBB222_3020:
	s_and_b64 vcc, exec, s[12:13]
	s_cbranch_vccz .LBB222_3069
; %bb.3021:
	v_mov_b32_e32 v7, 5
	v_cmp_lt_i16_sdwa s[12:13], s25, v7 src0_sel:BYTE_0 src1_sel:DWORD
	s_and_b64 vcc, exec, s[12:13]
	s_cbranch_vccnz .LBB222_3026
; %bb.3022:
	v_mov_b32_e32 v7, 8
	v_cmp_lt_i16_sdwa s[12:13], s25, v7 src0_sel:BYTE_0 src1_sel:DWORD
	s_and_b64 vcc, exec, s[12:13]
	s_cbranch_vccnz .LBB222_3027
	;; [unrolled: 5-line block ×3, first 2 shown]
; %bb.3024:
	v_cmp_gt_i16_sdwa s[12:13], s25, v7 src0_sel:BYTE_0 src1_sel:DWORD
	s_and_b64 vcc, exec, s[12:13]
	s_cbranch_vccz .LBB222_3029
; %bb.3025:
	global_load_dwordx2 v[56:57], v[16:17], off
	s_mov_b64 s[12:13], 0
	s_branch .LBB222_3030
.LBB222_3026:
	s_mov_b64 s[12:13], -1
                                        ; implicit-def: $vgpr56_vgpr57
	s_branch .LBB222_3048
.LBB222_3027:
	s_mov_b64 s[12:13], -1
                                        ; implicit-def: $vgpr56_vgpr57
	s_branch .LBB222_3036
.LBB222_3028:
	s_mov_b64 s[12:13], -1
                                        ; implicit-def: $vgpr56_vgpr57
	s_branch .LBB222_3033
.LBB222_3029:
	s_mov_b64 s[12:13], -1
                                        ; implicit-def: $vgpr56_vgpr57
.LBB222_3030:
	s_andn2_b64 vcc, exec, s[12:13]
	s_cbranch_vccnz .LBB222_3032
; %bb.3031:
	global_load_dword v7, v[16:17], off
	s_waitcnt vmcnt(0)
	v_cvt_f64_f32_e32 v[56:57], v7
.LBB222_3032:
	s_mov_b64 s[12:13], 0
.LBB222_3033:
	s_andn2_b64 vcc, exec, s[12:13]
	s_cbranch_vccnz .LBB222_3035
; %bb.3034:
	global_load_dword v7, v[16:17], off
	s_waitcnt vmcnt(0)
	v_cvt_f32_f16_e32 v7, v7
	v_cvt_f64_f32_e32 v[56:57], v7
.LBB222_3035:
	s_mov_b64 s[12:13], 0
.LBB222_3036:
	s_andn2_b64 vcc, exec, s[12:13]
	s_cbranch_vccnz .LBB222_3047
; %bb.3037:
	v_mov_b32_e32 v7, 6
	v_cmp_lt_i16_sdwa s[12:13], s25, v7 src0_sel:BYTE_0 src1_sel:DWORD
	s_and_b64 vcc, exec, s[12:13]
	s_cbranch_vccnz .LBB222_3040
; %bb.3038:
	v_cmp_gt_i16_sdwa s[12:13], s25, v7 src0_sel:BYTE_0 src1_sel:DWORD
	s_and_b64 vcc, exec, s[12:13]
	s_cbranch_vccz .LBB222_3041
; %bb.3039:
	global_load_dwordx2 v[56:57], v[16:17], off
	s_mov_b64 s[12:13], 0
	s_branch .LBB222_3042
.LBB222_3040:
	s_mov_b64 s[12:13], -1
                                        ; implicit-def: $vgpr56_vgpr57
	s_branch .LBB222_3045
.LBB222_3041:
	s_mov_b64 s[12:13], -1
                                        ; implicit-def: $vgpr56_vgpr57
.LBB222_3042:
	s_andn2_b64 vcc, exec, s[12:13]
	s_cbranch_vccnz .LBB222_3044
; %bb.3043:
	global_load_dword v7, v[16:17], off
	s_waitcnt vmcnt(0)
	v_cvt_f64_f32_e32 v[56:57], v7
.LBB222_3044:
	s_mov_b64 s[12:13], 0
.LBB222_3045:
	s_andn2_b64 vcc, exec, s[12:13]
	s_cbranch_vccnz .LBB222_3047
; %bb.3046:
	global_load_ushort v7, v[16:17], off
	s_waitcnt vmcnt(0)
	v_cvt_f32_f16_e32 v7, v7
	v_cvt_f64_f32_e32 v[56:57], v7
.LBB222_3047:
	s_mov_b64 s[12:13], 0
.LBB222_3048:
	s_andn2_b64 vcc, exec, s[12:13]
	s_cbranch_vccnz .LBB222_3068
; %bb.3049:
	v_mov_b32_e32 v7, 2
	v_cmp_lt_i16_sdwa s[12:13], s25, v7 src0_sel:BYTE_0 src1_sel:DWORD
	s_and_b64 vcc, exec, s[12:13]
	s_cbranch_vccnz .LBB222_3053
; %bb.3050:
	v_mov_b32_e32 v7, 3
	v_cmp_lt_i16_sdwa s[12:13], s25, v7 src0_sel:BYTE_0 src1_sel:DWORD
	s_and_b64 vcc, exec, s[12:13]
	s_cbranch_vccnz .LBB222_3054
; %bb.3051:
	v_cmp_gt_i16_sdwa s[12:13], s25, v7 src0_sel:BYTE_0 src1_sel:DWORD
	s_and_b64 vcc, exec, s[12:13]
	s_cbranch_vccz .LBB222_3055
; %bb.3052:
	global_load_dwordx2 v[18:19], v[16:17], off
	s_mov_b64 s[12:13], 0
	s_waitcnt vmcnt(0)
	v_cvt_f64_i32_e32 v[20:21], v19
	v_cvt_f64_u32_e32 v[18:19], v18
	v_ldexp_f64 v[20:21], v[20:21], 32
	v_add_f64 v[56:57], v[20:21], v[18:19]
	s_branch .LBB222_3056
.LBB222_3053:
	s_mov_b64 s[12:13], -1
                                        ; implicit-def: $vgpr56_vgpr57
	s_branch .LBB222_3062
.LBB222_3054:
	s_mov_b64 s[12:13], -1
                                        ; implicit-def: $vgpr56_vgpr57
	s_branch .LBB222_3059
.LBB222_3055:
	s_mov_b64 s[12:13], -1
                                        ; implicit-def: $vgpr56_vgpr57
.LBB222_3056:
	s_andn2_b64 vcc, exec, s[12:13]
	s_cbranch_vccnz .LBB222_3058
; %bb.3057:
	global_load_dword v7, v[16:17], off
	s_waitcnt vmcnt(0)
	v_cvt_f64_i32_e32 v[56:57], v7
.LBB222_3058:
	s_mov_b64 s[12:13], 0
.LBB222_3059:
	s_andn2_b64 vcc, exec, s[12:13]
	s_cbranch_vccnz .LBB222_3061
; %bb.3060:
	global_load_sshort v7, v[16:17], off
	s_waitcnt vmcnt(0)
	v_cvt_f64_i32_e32 v[56:57], v7
.LBB222_3061:
	s_mov_b64 s[12:13], 0
.LBB222_3062:
	s_andn2_b64 vcc, exec, s[12:13]
	s_cbranch_vccnz .LBB222_3068
; %bb.3063:
	v_mov_b32_e32 v7, 0
	v_cmp_gt_i16_sdwa s[12:13], s25, v7 src0_sel:BYTE_0 src1_sel:DWORD
	s_and_b64 vcc, exec, s[12:13]
	s_cbranch_vccz .LBB222_3065
; %bb.3064:
	global_load_sbyte v7, v[16:17], off
	s_mov_b64 s[12:13], 0
	s_waitcnt vmcnt(0)
	v_cvt_f64_i32_e32 v[56:57], v7
	s_branch .LBB222_3066
.LBB222_3065:
	s_mov_b64 s[12:13], -1
                                        ; implicit-def: $vgpr56_vgpr57
.LBB222_3066:
	s_andn2_b64 vcc, exec, s[12:13]
	s_cbranch_vccnz .LBB222_3068
; %bb.3067:
	global_load_ubyte v7, v[16:17], off
	s_waitcnt vmcnt(0)
	v_cvt_f64_u32_e32 v[56:57], v7
.LBB222_3068:
	s_mov_b64 s[16:17], -1
.LBB222_3069:
	s_andn2_b64 vcc, exec, s[16:17]
	s_cbranch_vccnz .LBB222_4173
; %bb.3070:
	v_mov_b32_e32 v7, s5
	v_add_co_u32_e32 v14, vcc, s4, v14
	v_addc_co_u32_e32 v15, vcc, 0, v7, vcc
	s_and_b64 vcc, exec, s[6:7]
	s_cbranch_vccnz .LBB222_3077
; %bb.3071:
	v_cmp_gt_i16_e64 s[12:13], s26, 25
	s_mov_b64 s[14:15], 0
	s_and_b64 vcc, exec, s[12:13]
	s_cbranch_vccz .LBB222_3078
; %bb.3072:
	v_cmp_gt_i16_e64 s[12:13], s26, 28
	s_and_b64 vcc, exec, s[12:13]
	s_cbranch_vccz .LBB222_3079
; %bb.3073:
	v_cmp_gt_i16_e64 s[12:13], s26, 43
	;; [unrolled: 4-line block ×3, first 2 shown]
	s_and_b64 vcc, exec, s[12:13]
	s_cbranch_vccz .LBB222_3082
; %bb.3075:
	v_cmp_eq_u16_e64 s[12:13], s26, 46
	s_mov_b64 s[18:19], 0
	s_and_b64 vcc, exec, s[12:13]
	s_cbranch_vccz .LBB222_3083
; %bb.3076:
	global_load_dword v7, v[14:15], off
	s_mov_b64 s[12:13], 0
	s_mov_b64 s[16:17], -1
	s_waitcnt vmcnt(0)
	v_lshlrev_b32_e32 v7, 16, v7
	v_cvt_f64_f32_e32 v[58:59], v7
	s_branch .LBB222_3084
.LBB222_3077:
	s_mov_b64 s[12:13], -1
	s_mov_b64 s[16:17], 0
                                        ; implicit-def: $vgpr58_vgpr59
	s_branch .LBB222_3150
.LBB222_3078:
	s_mov_b64 s[18:19], -1
	s_mov_b64 s[16:17], 0
	s_mov_b64 s[12:13], 0
                                        ; implicit-def: $vgpr58_vgpr59
	s_branch .LBB222_3113
.LBB222_3079:
	s_mov_b64 s[18:19], -1
	s_mov_b64 s[16:17], 0
	s_mov_b64 s[12:13], 0
                                        ; implicit-def: $vgpr58_vgpr59
	s_branch .LBB222_3094
.LBB222_3080:
	s_mov_b64 s[18:19], -1
	s_mov_b64 s[16:17], 0
	s_mov_b64 s[12:13], 0
                                        ; implicit-def: $vgpr58_vgpr59
	s_branch .LBB222_3089
.LBB222_3081:
	s_trap 2
	s_or_b64 s[90:91], s[90:91], exec
                                        ; implicit-def: $vgpr56_vgpr57
	s_cbranch_execz .LBB222_3018
	s_branch .LBB222_3019
.LBB222_3082:
	s_mov_b64 s[18:19], -1
	s_mov_b64 s[16:17], 0
	s_mov_b64 s[12:13], 0
                                        ; implicit-def: $vgpr58_vgpr59
	s_branch .LBB222_3084
.LBB222_3083:
	s_mov_b64 s[12:13], -1
                                        ; implicit-def: $vgpr58_vgpr59
	s_mov_b64 s[16:17], 0
.LBB222_3084:
	s_and_b64 vcc, exec, s[18:19]
	s_cbranch_vccz .LBB222_3088
; %bb.3085:
	v_cmp_eq_u16_e64 s[12:13], s26, 44
	s_and_b64 vcc, exec, s[12:13]
	s_cbranch_vccz .LBB222_3087
; %bb.3086:
	global_load_ubyte v7, v[14:15], off
	s_movk_i32 s16, 0xff
	v_bfrev_b32_e32 v9, 4
	v_mov_b32_e32 v11, 0x7ff80000
	v_bfrev_b32_e32 v13, 28
	s_mov_b64 s[12:13], 0
	s_waitcnt vmcnt(0)
	v_lshlrev_b32_e32 v16, 23, v7
	v_cvt_f64_f32_e32 v[16:17], v16
	v_cmp_ne_u32_e32 vcc, s16, v7
	v_cndmask_b32_e32 v9, v9, v16, vcc
	v_cndmask_b32_e32 v11, v11, v17, vcc
	v_cmp_ne_u32_e32 vcc, 0, v7
	v_cndmask_b32_e32 v59, v13, v11, vcc
	v_cndmask_b32_e32 v58, 0, v9, vcc
	s_mov_b64 s[16:17], -1
	s_branch .LBB222_3088
.LBB222_3087:
	s_mov_b64 s[12:13], -1
                                        ; implicit-def: $vgpr58_vgpr59
.LBB222_3088:
	s_mov_b64 s[18:19], 0
.LBB222_3089:
	s_and_b64 vcc, exec, s[18:19]
	s_cbranch_vccz .LBB222_3093
; %bb.3090:
	v_cmp_eq_u16_e64 s[12:13], s26, 29
	s_and_b64 vcc, exec, s[12:13]
	s_cbranch_vccz .LBB222_3092
; %bb.3091:
	global_load_dwordx2 v[16:17], v[14:15], off
	s_mov_b64 s[12:13], 0
	s_mov_b64 s[16:17], -1
	s_mov_b64 s[18:19], 0
	s_waitcnt vmcnt(0)
	v_cvt_f64_u32_e32 v[18:19], v17
	v_cvt_f64_u32_e32 v[16:17], v16
	v_ldexp_f64 v[18:19], v[18:19], 32
	v_add_f64 v[58:59], v[18:19], v[16:17]
	s_branch .LBB222_3094
.LBB222_3092:
	s_mov_b64 s[12:13], -1
                                        ; implicit-def: $vgpr58_vgpr59
.LBB222_3093:
	s_mov_b64 s[18:19], 0
.LBB222_3094:
	s_and_b64 vcc, exec, s[18:19]
	s_cbranch_vccz .LBB222_3112
; %bb.3095:
	v_cmp_lt_i16_e64 s[16:17], s26, 27
	s_and_b64 vcc, exec, s[16:17]
	s_cbranch_vccnz .LBB222_3098
; %bb.3096:
	v_cmp_gt_i16_e64 s[16:17], s26, 27
	s_and_b64 vcc, exec, s[16:17]
	s_cbranch_vccz .LBB222_3099
; %bb.3097:
	global_load_dword v7, v[14:15], off
	s_mov_b64 s[16:17], 0
	s_waitcnt vmcnt(0)
	v_cvt_f64_u32_e32 v[58:59], v7
	s_branch .LBB222_3100
.LBB222_3098:
	s_mov_b64 s[16:17], -1
                                        ; implicit-def: $vgpr58_vgpr59
	s_branch .LBB222_3103
.LBB222_3099:
	s_mov_b64 s[16:17], -1
                                        ; implicit-def: $vgpr58_vgpr59
.LBB222_3100:
	s_andn2_b64 vcc, exec, s[16:17]
	s_cbranch_vccnz .LBB222_3102
; %bb.3101:
	global_load_ushort v7, v[14:15], off
	s_waitcnt vmcnt(0)
	v_cvt_f64_u32_e32 v[58:59], v7
.LBB222_3102:
	s_mov_b64 s[16:17], 0
.LBB222_3103:
	s_andn2_b64 vcc, exec, s[16:17]
	s_cbranch_vccnz .LBB222_3111
; %bb.3104:
	global_load_ubyte v7, v[14:15], off
	s_movk_i32 s16, 0x7f
                                        ; implicit-def: $sgpr18_sgpr19
	s_waitcnt vmcnt(0)
	v_cmp_lt_i16_e32 vcc, s16, v7
	s_mov_b64 s[16:17], 0
	s_and_saveexec_b64 s[20:21], vcc
	s_xor_b64 s[20:21], exec, s[20:21]
	s_cbranch_execz .LBB222_3125
; %bb.3105:
	s_movk_i32 s16, 0x80
	v_cmp_eq_u16_e32 vcc, s16, v7
	s_mov_b64 s[22:23], -1
                                        ; implicit-def: $sgpr18_sgpr19
	s_and_saveexec_b64 s[16:17], vcc
; %bb.3106:
	s_mov_b32 s19, 0x7ff80000
	s_brev_b32 s18, 4
	s_xor_b64 s[22:23], exec, -1
; %bb.3107:
	s_or_b64 exec, exec, s[16:17]
	s_and_b64 s[16:17], s[22:23], exec
	s_or_saveexec_b64 s[20:21], s[20:21]
	v_pk_mov_b32 v[58:59], s[18:19], s[18:19] op_sel:[0,1]
	s_xor_b64 exec, exec, s[20:21]
	s_cbranch_execnz .LBB222_3126
.LBB222_3108:
	s_or_b64 exec, exec, s[20:21]
	s_and_saveexec_b64 s[18:19], s[16:17]
	s_cbranch_execz .LBB222_3110
.LBB222_3109:
	v_lshlrev_b32_e32 v9, 24, v7
	v_and_b32_e32 v7, 0xffff, v7
	v_and_b32_e32 v11, 7, v7
	v_ffbh_u32_e32 v16, v11
	v_min_u32_e32 v16, 32, v16
	v_subrev_u32_e32 v17, 28, v16
	v_bfe_u32 v13, v7, 3, 4
	v_lshlrev_b32_e32 v7, v17, v7
	v_sub_u32_e32 v16, 29, v16
	v_and_b32_e32 v7, 7, v7
	v_cmp_eq_u32_e32 vcc, 0, v13
	v_cndmask_b32_e32 v13, v13, v16, vcc
	v_cndmask_b32_e32 v7, v11, v7, vcc
	v_mov_b32_e32 v11, 0x3b800000
	v_lshlrev_b32_e32 v7, 20, v7
	v_and_b32_e32 v9, 0x80000000, v9
	v_lshl_add_u32 v11, v13, 23, v11
	v_or3_b32 v7, v9, v11, v7
	v_cvt_f64_f32_e32 v[58:59], v7
.LBB222_3110:
	s_or_b64 exec, exec, s[18:19]
.LBB222_3111:
	s_mov_b64 s[16:17], -1
.LBB222_3112:
	s_mov_b64 s[18:19], 0
.LBB222_3113:
	s_and_b64 vcc, exec, s[18:19]
	s_cbranch_vccz .LBB222_3146
; %bb.3114:
	v_cmp_gt_i16_e64 s[14:15], s26, 22
	s_and_b64 vcc, exec, s[14:15]
	s_cbranch_vccz .LBB222_3124
; %bb.3115:
	v_cmp_lt_i16_e64 s[14:15], s26, 24
	s_and_b64 vcc, exec, s[14:15]
	s_cbranch_vccnz .LBB222_3127
; %bb.3116:
	v_cmp_gt_i16_e64 s[14:15], s26, 24
	s_and_b64 vcc, exec, s[14:15]
	s_cbranch_vccz .LBB222_3128
; %bb.3117:
	global_load_ubyte v7, v[14:15], off
	s_movk_i32 s14, 0x7f
                                        ; implicit-def: $sgpr16_sgpr17
	s_waitcnt vmcnt(0)
	v_cmp_lt_i16_e32 vcc, s14, v7
	s_mov_b64 s[14:15], 0
	s_and_saveexec_b64 s[18:19], vcc
	s_xor_b64 s[18:19], exec, s[18:19]
	s_cbranch_execz .LBB222_3140
; %bb.3118:
	s_movk_i32 s14, 0x80
	v_cmp_eq_u16_e32 vcc, s14, v7
	s_mov_b64 s[20:21], -1
                                        ; implicit-def: $sgpr16_sgpr17
	s_and_saveexec_b64 s[14:15], vcc
; %bb.3119:
	s_mov_b32 s17, 0x7ff80000
	s_brev_b32 s16, 4
	s_xor_b64 s[20:21], exec, -1
; %bb.3120:
	s_or_b64 exec, exec, s[14:15]
	s_and_b64 s[14:15], s[20:21], exec
	s_or_saveexec_b64 s[18:19], s[18:19]
	v_pk_mov_b32 v[58:59], s[16:17], s[16:17] op_sel:[0,1]
	s_xor_b64 exec, exec, s[18:19]
	s_cbranch_execnz .LBB222_3141
.LBB222_3121:
	s_or_b64 exec, exec, s[18:19]
	s_and_saveexec_b64 s[16:17], s[14:15]
	s_cbranch_execz .LBB222_3123
.LBB222_3122:
	v_lshlrev_b32_e32 v9, 24, v7
	v_and_b32_e32 v7, 0xffff, v7
	v_and_b32_e32 v11, 3, v7
	v_ffbh_u32_e32 v16, v11
	v_min_u32_e32 v16, 32, v16
	v_subrev_u32_e32 v17, 29, v16
	v_bfe_u32 v13, v7, 2, 5
	v_lshlrev_b32_e32 v7, v17, v7
	v_sub_u32_e32 v16, 30, v16
	v_and_b32_e32 v7, 3, v7
	v_cmp_eq_u32_e32 vcc, 0, v13
	v_cndmask_b32_e32 v13, v13, v16, vcc
	v_cndmask_b32_e32 v7, v11, v7, vcc
	v_mov_b32_e32 v11, 0x37800000
	v_lshlrev_b32_e32 v7, 21, v7
	v_and_b32_e32 v9, 0x80000000, v9
	v_lshl_add_u32 v11, v13, 23, v11
	v_or3_b32 v7, v9, v11, v7
	v_cvt_f64_f32_e32 v[58:59], v7
.LBB222_3123:
	s_or_b64 exec, exec, s[16:17]
	s_mov_b64 s[14:15], 0
	s_branch .LBB222_3129
.LBB222_3124:
	s_mov_b64 s[14:15], -1
                                        ; implicit-def: $vgpr58_vgpr59
	s_branch .LBB222_3135
.LBB222_3125:
	s_or_saveexec_b64 s[20:21], s[20:21]
	v_pk_mov_b32 v[58:59], s[18:19], s[18:19] op_sel:[0,1]
	s_xor_b64 exec, exec, s[20:21]
	s_cbranch_execz .LBB222_3108
.LBB222_3126:
	v_cmp_ne_u16_e32 vcc, 0, v7
	s_andn2_b64 s[16:17], s[16:17], exec
	s_and_b64 s[18:19], vcc, exec
	v_pk_mov_b32 v[58:59], 0, 0
	s_or_b64 s[16:17], s[16:17], s[18:19]
	s_or_b64 exec, exec, s[20:21]
	s_and_saveexec_b64 s[18:19], s[16:17]
	s_cbranch_execnz .LBB222_3109
	s_branch .LBB222_3110
.LBB222_3127:
	s_mov_b64 s[14:15], -1
                                        ; implicit-def: $vgpr58_vgpr59
	s_branch .LBB222_3132
.LBB222_3128:
	s_mov_b64 s[14:15], -1
                                        ; implicit-def: $vgpr58_vgpr59
.LBB222_3129:
	s_and_b64 vcc, exec, s[14:15]
	s_cbranch_vccz .LBB222_3131
; %bb.3130:
	global_load_ubyte v7, v[14:15], off
	s_mov_b32 s14, 0x7f800000
	s_waitcnt vmcnt(0)
	v_lshlrev_b32_e32 v7, 24, v7
	v_and_b32_e32 v9, 0x7f000000, v7
	v_ffbh_u32_e32 v11, v9
	v_min_u32_e32 v11, 32, v11
	v_sub_u32_e64 v11, v11, 4 clamp
	v_lshlrev_b32_e32 v16, v11, v9
	v_lshlrev_b32_e32 v11, 23, v11
	v_lshrrev_b32_e32 v16, 4, v16
	v_add_u32_e32 v13, 0x1000000, v9
	v_sub_u32_e32 v11, v16, v11
	v_ashrrev_i32_e32 v13, 8, v13
	v_add_u32_e32 v11, 0x3c000000, v11
	v_and_or_b32 v11, v13, s14, v11
	v_cmp_ne_u32_e32 vcc, 0, v9
	v_cndmask_b32_e32 v9, 0, v11, vcc
	s_brev_b32 s14, 1
	v_and_or_b32 v7, v7, s14, v9
	v_cvt_f64_f32_e32 v[58:59], v7
.LBB222_3131:
	s_mov_b64 s[14:15], 0
.LBB222_3132:
	s_andn2_b64 vcc, exec, s[14:15]
	s_cbranch_vccnz .LBB222_3134
; %bb.3133:
	global_load_ubyte v7, v[14:15], off
	s_movk_i32 s14, 0x7f00
	s_brev_b32 s15, 16
	s_waitcnt vmcnt(0)
	v_lshlrev_b16_e32 v9, 8, v7
	v_lshlrev_b32_e32 v7, 25, v7
	v_lshrrev_b32_e32 v11, 4, v7
	v_and_or_b32 v13, v9, s14, 0.5
	v_or_b32_e32 v11, 0x70000000, v11
	v_add_f32_e32 v13, -0.5, v13
	v_mul_f32_e32 v11, 0x7800000, v11
	v_cmp_gt_u32_e32 vcc, s15, v7
	v_bfe_i32 v9, v9, 0, 16
	v_cndmask_b32_e32 v7, v11, v13, vcc
	s_brev_b32 s14, 1
	v_and_or_b32 v7, v9, s14, v7
	v_cvt_f64_f32_e32 v[58:59], v7
.LBB222_3134:
	s_mov_b64 s[14:15], 0
	s_mov_b64 s[16:17], -1
.LBB222_3135:
	s_andn2_b64 vcc, exec, s[14:15]
	s_mov_b64 s[14:15], 0
	s_cbranch_vccnz .LBB222_3146
; %bb.3136:
	v_cmp_gt_i16_e64 s[14:15], s26, 14
	s_and_b64 vcc, exec, s[14:15]
	s_cbranch_vccz .LBB222_3139
; %bb.3137:
	v_cmp_eq_u16_e64 s[12:13], s26, 15
	s_and_b64 vcc, exec, s[12:13]
	s_cbranch_vccz .LBB222_3142
; %bb.3138:
	global_load_ushort v7, v[14:15], off
	s_mov_b64 s[12:13], 0
	s_mov_b64 s[16:17], -1
	s_waitcnt vmcnt(0)
	v_lshlrev_b32_e32 v7, 16, v7
	v_cvt_f64_f32_e32 v[58:59], v7
	s_branch .LBB222_3143
.LBB222_3139:
	s_mov_b64 s[18:19], -1
                                        ; implicit-def: $vgpr58_vgpr59
	s_branch .LBB222_3144
.LBB222_3140:
	s_or_saveexec_b64 s[18:19], s[18:19]
	v_pk_mov_b32 v[58:59], s[16:17], s[16:17] op_sel:[0,1]
	s_xor_b64 exec, exec, s[18:19]
	s_cbranch_execz .LBB222_3121
.LBB222_3141:
	v_cmp_ne_u16_e32 vcc, 0, v7
	s_andn2_b64 s[14:15], s[14:15], exec
	s_and_b64 s[16:17], vcc, exec
	v_pk_mov_b32 v[58:59], 0, 0
	s_or_b64 s[14:15], s[14:15], s[16:17]
	s_or_b64 exec, exec, s[18:19]
	s_and_saveexec_b64 s[16:17], s[14:15]
	s_cbranch_execnz .LBB222_3122
	s_branch .LBB222_3123
.LBB222_3142:
	s_mov_b64 s[12:13], -1
                                        ; implicit-def: $vgpr58_vgpr59
.LBB222_3143:
	s_mov_b64 s[18:19], 0
.LBB222_3144:
	s_mov_b64 s[14:15], 0
	s_and_b64 vcc, exec, s[18:19]
	s_cbranch_vccz .LBB222_3146
; %bb.3145:
	v_cmp_ne_u16_e64 s[12:13], s26, 11
	s_mov_b64 s[14:15], -1
                                        ; implicit-def: $vgpr58_vgpr59
.LBB222_3146:
	s_and_b64 vcc, exec, s[12:13]
	s_cbranch_vccnz .LBB222_3211
; %bb.3147:
	s_andn2_b64 vcc, exec, s[14:15]
	s_cbranch_vccnz .LBB222_3149
.LBB222_3148:
	global_load_ubyte v7, v[14:15], off
	v_mov_b32_e32 v9, 0x3ff00000
	v_mov_b32_e32 v58, 0
	s_mov_b64 s[16:17], -1
	s_waitcnt vmcnt(0)
	v_cmp_ne_u16_e32 vcc, 0, v7
	v_cndmask_b32_e32 v59, 0, v9, vcc
.LBB222_3149:
	s_mov_b64 s[12:13], 0
.LBB222_3150:
	s_and_b64 vcc, exec, s[12:13]
	s_cbranch_vccz .LBB222_3199
; %bb.3151:
	v_cmp_lt_i16_e64 s[12:13], s26, 5
	s_and_b64 vcc, exec, s[12:13]
	s_cbranch_vccnz .LBB222_3156
; %bb.3152:
	v_cmp_lt_i16_e64 s[12:13], s26, 8
	s_and_b64 vcc, exec, s[12:13]
	s_cbranch_vccnz .LBB222_3157
	;; [unrolled: 4-line block ×3, first 2 shown]
; %bb.3154:
	v_cmp_gt_i16_e64 s[12:13], s26, 9
	s_and_b64 vcc, exec, s[12:13]
	s_cbranch_vccz .LBB222_3159
; %bb.3155:
	global_load_dwordx2 v[58:59], v[14:15], off
	s_mov_b64 s[12:13], 0
	s_branch .LBB222_3160
.LBB222_3156:
	s_mov_b64 s[12:13], -1
                                        ; implicit-def: $vgpr58_vgpr59
	s_branch .LBB222_3178
.LBB222_3157:
	s_mov_b64 s[12:13], -1
                                        ; implicit-def: $vgpr58_vgpr59
	s_branch .LBB222_3166
.LBB222_3158:
	s_mov_b64 s[12:13], -1
                                        ; implicit-def: $vgpr58_vgpr59
	s_branch .LBB222_3163
.LBB222_3159:
	s_mov_b64 s[12:13], -1
                                        ; implicit-def: $vgpr58_vgpr59
.LBB222_3160:
	s_andn2_b64 vcc, exec, s[12:13]
	s_cbranch_vccnz .LBB222_3162
; %bb.3161:
	global_load_dword v7, v[14:15], off
	s_waitcnt vmcnt(0)
	v_cvt_f64_f32_e32 v[58:59], v7
.LBB222_3162:
	s_mov_b64 s[12:13], 0
.LBB222_3163:
	s_andn2_b64 vcc, exec, s[12:13]
	s_cbranch_vccnz .LBB222_3165
; %bb.3164:
	global_load_dword v7, v[14:15], off
	s_waitcnt vmcnt(0)
	v_cvt_f32_f16_e32 v7, v7
	v_cvt_f64_f32_e32 v[58:59], v7
.LBB222_3165:
	s_mov_b64 s[12:13], 0
.LBB222_3166:
	s_andn2_b64 vcc, exec, s[12:13]
	s_cbranch_vccnz .LBB222_3177
; %bb.3167:
	v_cmp_lt_i16_e64 s[12:13], s26, 6
	s_and_b64 vcc, exec, s[12:13]
	s_cbranch_vccnz .LBB222_3170
; %bb.3168:
	v_cmp_gt_i16_e64 s[12:13], s26, 6
	s_and_b64 vcc, exec, s[12:13]
	s_cbranch_vccz .LBB222_3171
; %bb.3169:
	global_load_dwordx2 v[58:59], v[14:15], off
	s_mov_b64 s[12:13], 0
	s_branch .LBB222_3172
.LBB222_3170:
	s_mov_b64 s[12:13], -1
                                        ; implicit-def: $vgpr58_vgpr59
	s_branch .LBB222_3175
.LBB222_3171:
	s_mov_b64 s[12:13], -1
                                        ; implicit-def: $vgpr58_vgpr59
.LBB222_3172:
	s_andn2_b64 vcc, exec, s[12:13]
	s_cbranch_vccnz .LBB222_3174
; %bb.3173:
	global_load_dword v7, v[14:15], off
	s_waitcnt vmcnt(0)
	v_cvt_f64_f32_e32 v[58:59], v7
.LBB222_3174:
	s_mov_b64 s[12:13], 0
.LBB222_3175:
	s_andn2_b64 vcc, exec, s[12:13]
	s_cbranch_vccnz .LBB222_3177
; %bb.3176:
	global_load_ushort v7, v[14:15], off
	s_waitcnt vmcnt(0)
	v_cvt_f32_f16_e32 v7, v7
	v_cvt_f64_f32_e32 v[58:59], v7
.LBB222_3177:
	s_mov_b64 s[12:13], 0
.LBB222_3178:
	s_andn2_b64 vcc, exec, s[12:13]
	s_cbranch_vccnz .LBB222_3198
; %bb.3179:
	v_cmp_lt_i16_e64 s[12:13], s26, 2
	s_and_b64 vcc, exec, s[12:13]
	s_cbranch_vccnz .LBB222_3183
; %bb.3180:
	v_cmp_lt_i16_e64 s[12:13], s26, 3
	s_and_b64 vcc, exec, s[12:13]
	s_cbranch_vccnz .LBB222_3184
; %bb.3181:
	v_cmp_gt_i16_e64 s[12:13], s26, 3
	s_and_b64 vcc, exec, s[12:13]
	s_cbranch_vccz .LBB222_3185
; %bb.3182:
	global_load_dwordx2 v[16:17], v[14:15], off
	s_mov_b64 s[12:13], 0
	s_waitcnt vmcnt(0)
	v_cvt_f64_i32_e32 v[18:19], v17
	v_cvt_f64_u32_e32 v[16:17], v16
	v_ldexp_f64 v[18:19], v[18:19], 32
	v_add_f64 v[58:59], v[18:19], v[16:17]
	s_branch .LBB222_3186
.LBB222_3183:
	s_mov_b64 s[12:13], -1
                                        ; implicit-def: $vgpr58_vgpr59
	s_branch .LBB222_3192
.LBB222_3184:
	s_mov_b64 s[12:13], -1
                                        ; implicit-def: $vgpr58_vgpr59
	s_branch .LBB222_3189
.LBB222_3185:
	s_mov_b64 s[12:13], -1
                                        ; implicit-def: $vgpr58_vgpr59
.LBB222_3186:
	s_andn2_b64 vcc, exec, s[12:13]
	s_cbranch_vccnz .LBB222_3188
; %bb.3187:
	global_load_dword v7, v[14:15], off
	s_waitcnt vmcnt(0)
	v_cvt_f64_i32_e32 v[58:59], v7
.LBB222_3188:
	s_mov_b64 s[12:13], 0
.LBB222_3189:
	s_andn2_b64 vcc, exec, s[12:13]
	s_cbranch_vccnz .LBB222_3191
; %bb.3190:
	global_load_sshort v7, v[14:15], off
	s_waitcnt vmcnt(0)
	v_cvt_f64_i32_e32 v[58:59], v7
.LBB222_3191:
	s_mov_b64 s[12:13], 0
.LBB222_3192:
	s_andn2_b64 vcc, exec, s[12:13]
	s_cbranch_vccnz .LBB222_3198
; %bb.3193:
	v_cmp_gt_i16_e64 s[12:13], s26, 0
	s_and_b64 vcc, exec, s[12:13]
	s_cbranch_vccz .LBB222_3195
; %bb.3194:
	global_load_sbyte v7, v[14:15], off
	s_mov_b64 s[12:13], 0
	s_waitcnt vmcnt(0)
	v_cvt_f64_i32_e32 v[58:59], v7
	s_branch .LBB222_3196
.LBB222_3195:
	s_mov_b64 s[12:13], -1
                                        ; implicit-def: $vgpr58_vgpr59
.LBB222_3196:
	s_andn2_b64 vcc, exec, s[12:13]
	s_cbranch_vccnz .LBB222_3198
; %bb.3197:
	global_load_ubyte v7, v[14:15], off
	s_waitcnt vmcnt(0)
	v_cvt_f64_u32_e32 v[58:59], v7
.LBB222_3198:
	s_mov_b64 s[16:17], -1
.LBB222_3199:
	s_andn2_b64 vcc, exec, s[16:17]
	s_cbranch_vccnz .LBB222_4173
; %bb.3200:
	v_mov_b32_e32 v7, s9
	v_add_co_u32_e32 v12, vcc, s8, v12
	v_addc_co_u32_e32 v13, vcc, 0, v7, vcc
	s_and_b64 vcc, exec, s[10:11]
	s_cbranch_vccnz .LBB222_3207
; %bb.3201:
	v_cmp_gt_i16_e64 s[12:13], s27, 25
	s_mov_b64 s[14:15], 0
	s_and_b64 vcc, exec, s[12:13]
	s_cbranch_vccz .LBB222_3208
; %bb.3202:
	v_cmp_gt_i16_e64 s[12:13], s27, 28
	s_and_b64 vcc, exec, s[12:13]
	s_cbranch_vccz .LBB222_3209
; %bb.3203:
	v_cmp_gt_i16_e64 s[12:13], s27, 43
	s_and_b64 vcc, exec, s[12:13]
	s_cbranch_vccz .LBB222_3210
; %bb.3204:
	v_cmp_gt_i16_e64 s[12:13], s27, 45
	s_and_b64 vcc, exec, s[12:13]
	s_cbranch_vccz .LBB222_3212
; %bb.3205:
	v_cmp_eq_u16_e64 s[12:13], s27, 46
	s_mov_b64 s[18:19], 0
	s_and_b64 vcc, exec, s[12:13]
	s_cbranch_vccz .LBB222_3213
; %bb.3206:
	global_load_dword v7, v[12:13], off
	s_mov_b64 s[12:13], 0
	s_mov_b64 s[16:17], -1
	s_waitcnt vmcnt(0)
	v_lshlrev_b32_e32 v7, 16, v7
	v_cvt_f64_f32_e32 v[60:61], v7
	s_branch .LBB222_3214
.LBB222_3207:
	s_mov_b64 s[12:13], -1
	s_mov_b64 s[16:17], 0
                                        ; implicit-def: $vgpr60_vgpr61
	s_branch .LBB222_3280
.LBB222_3208:
	s_mov_b64 s[18:19], -1
	s_mov_b64 s[16:17], 0
	s_mov_b64 s[12:13], 0
                                        ; implicit-def: $vgpr60_vgpr61
	s_branch .LBB222_3243
.LBB222_3209:
	s_mov_b64 s[18:19], -1
	s_mov_b64 s[16:17], 0
	s_mov_b64 s[12:13], 0
                                        ; implicit-def: $vgpr60_vgpr61
	s_branch .LBB222_3224
.LBB222_3210:
	s_mov_b64 s[18:19], -1
	s_mov_b64 s[16:17], 0
	s_mov_b64 s[12:13], 0
                                        ; implicit-def: $vgpr60_vgpr61
	s_branch .LBB222_3219
.LBB222_3211:
	s_trap 2
	s_or_b64 s[90:91], s[90:91], exec
                                        ; implicit-def: $vgpr58_vgpr59
	s_cbranch_execz .LBB222_3148
	s_branch .LBB222_3149
.LBB222_3212:
	s_mov_b64 s[18:19], -1
	s_mov_b64 s[16:17], 0
	s_mov_b64 s[12:13], 0
                                        ; implicit-def: $vgpr60_vgpr61
	s_branch .LBB222_3214
.LBB222_3213:
	s_mov_b64 s[12:13], -1
                                        ; implicit-def: $vgpr60_vgpr61
	s_mov_b64 s[16:17], 0
.LBB222_3214:
	s_and_b64 vcc, exec, s[18:19]
	s_cbranch_vccz .LBB222_3218
; %bb.3215:
	v_cmp_eq_u16_e64 s[12:13], s27, 44
	s_and_b64 vcc, exec, s[12:13]
	s_cbranch_vccz .LBB222_3217
; %bb.3216:
	global_load_ubyte v7, v[12:13], off
	s_movk_i32 s16, 0xff
	v_bfrev_b32_e32 v9, 4
	v_mov_b32_e32 v11, 0x7ff80000
	v_bfrev_b32_e32 v16, 28
	s_mov_b64 s[12:13], 0
	s_waitcnt vmcnt(0)
	v_lshlrev_b32_e32 v14, 23, v7
	v_cvt_f64_f32_e32 v[14:15], v14
	v_cmp_ne_u32_e32 vcc, s16, v7
	v_cndmask_b32_e32 v9, v9, v14, vcc
	v_cndmask_b32_e32 v11, v11, v15, vcc
	v_cmp_ne_u32_e32 vcc, 0, v7
	v_cndmask_b32_e32 v61, v16, v11, vcc
	v_cndmask_b32_e32 v60, 0, v9, vcc
	s_mov_b64 s[16:17], -1
	s_branch .LBB222_3218
.LBB222_3217:
	s_mov_b64 s[12:13], -1
                                        ; implicit-def: $vgpr60_vgpr61
.LBB222_3218:
	s_mov_b64 s[18:19], 0
.LBB222_3219:
	s_and_b64 vcc, exec, s[18:19]
	s_cbranch_vccz .LBB222_3223
; %bb.3220:
	v_cmp_eq_u16_e64 s[12:13], s27, 29
	s_and_b64 vcc, exec, s[12:13]
	s_cbranch_vccz .LBB222_3222
; %bb.3221:
	global_load_dwordx2 v[14:15], v[12:13], off
	s_mov_b64 s[12:13], 0
	s_mov_b64 s[16:17], -1
	s_mov_b64 s[18:19], 0
	s_waitcnt vmcnt(0)
	v_cvt_f64_u32_e32 v[16:17], v15
	v_cvt_f64_u32_e32 v[14:15], v14
	v_ldexp_f64 v[16:17], v[16:17], 32
	v_add_f64 v[60:61], v[16:17], v[14:15]
	s_branch .LBB222_3224
.LBB222_3222:
	s_mov_b64 s[12:13], -1
                                        ; implicit-def: $vgpr60_vgpr61
.LBB222_3223:
	s_mov_b64 s[18:19], 0
.LBB222_3224:
	s_and_b64 vcc, exec, s[18:19]
	s_cbranch_vccz .LBB222_3242
; %bb.3225:
	v_cmp_lt_i16_e64 s[16:17], s27, 27
	s_and_b64 vcc, exec, s[16:17]
	s_cbranch_vccnz .LBB222_3228
; %bb.3226:
	v_cmp_gt_i16_e64 s[16:17], s27, 27
	s_and_b64 vcc, exec, s[16:17]
	s_cbranch_vccz .LBB222_3229
; %bb.3227:
	global_load_dword v7, v[12:13], off
	s_mov_b64 s[16:17], 0
	s_waitcnt vmcnt(0)
	v_cvt_f64_u32_e32 v[60:61], v7
	s_branch .LBB222_3230
.LBB222_3228:
	s_mov_b64 s[16:17], -1
                                        ; implicit-def: $vgpr60_vgpr61
	s_branch .LBB222_3233
.LBB222_3229:
	s_mov_b64 s[16:17], -1
                                        ; implicit-def: $vgpr60_vgpr61
.LBB222_3230:
	s_andn2_b64 vcc, exec, s[16:17]
	s_cbranch_vccnz .LBB222_3232
; %bb.3231:
	global_load_ushort v7, v[12:13], off
	s_waitcnt vmcnt(0)
	v_cvt_f64_u32_e32 v[60:61], v7
.LBB222_3232:
	s_mov_b64 s[16:17], 0
.LBB222_3233:
	s_andn2_b64 vcc, exec, s[16:17]
	s_cbranch_vccnz .LBB222_3241
; %bb.3234:
	global_load_ubyte v7, v[12:13], off
	s_movk_i32 s16, 0x7f
                                        ; implicit-def: $sgpr18_sgpr19
	s_waitcnt vmcnt(0)
	v_cmp_lt_i16_e32 vcc, s16, v7
	s_mov_b64 s[16:17], 0
	s_and_saveexec_b64 s[20:21], vcc
	s_xor_b64 s[20:21], exec, s[20:21]
	s_cbranch_execz .LBB222_3255
; %bb.3235:
	s_movk_i32 s16, 0x80
	v_cmp_eq_u16_e32 vcc, s16, v7
	s_mov_b64 s[22:23], -1
                                        ; implicit-def: $sgpr18_sgpr19
	s_and_saveexec_b64 s[16:17], vcc
; %bb.3236:
	s_mov_b32 s19, 0x7ff80000
	s_brev_b32 s18, 4
	s_xor_b64 s[22:23], exec, -1
; %bb.3237:
	s_or_b64 exec, exec, s[16:17]
	s_and_b64 s[16:17], s[22:23], exec
	s_or_saveexec_b64 s[20:21], s[20:21]
	v_pk_mov_b32 v[60:61], s[18:19], s[18:19] op_sel:[0,1]
	s_xor_b64 exec, exec, s[20:21]
	s_cbranch_execnz .LBB222_3256
.LBB222_3238:
	s_or_b64 exec, exec, s[20:21]
	s_and_saveexec_b64 s[18:19], s[16:17]
	s_cbranch_execz .LBB222_3240
.LBB222_3239:
	v_lshlrev_b32_e32 v9, 24, v7
	v_and_b32_e32 v7, 0xffff, v7
	v_and_b32_e32 v11, 7, v7
	v_ffbh_u32_e32 v15, v11
	v_min_u32_e32 v15, 32, v15
	v_subrev_u32_e32 v16, 28, v15
	v_bfe_u32 v14, v7, 3, 4
	v_lshlrev_b32_e32 v7, v16, v7
	v_sub_u32_e32 v15, 29, v15
	v_and_b32_e32 v7, 7, v7
	v_cmp_eq_u32_e32 vcc, 0, v14
	v_cndmask_b32_e32 v14, v14, v15, vcc
	v_cndmask_b32_e32 v7, v11, v7, vcc
	v_mov_b32_e32 v11, 0x3b800000
	v_lshlrev_b32_e32 v7, 20, v7
	v_and_b32_e32 v9, 0x80000000, v9
	v_lshl_add_u32 v11, v14, 23, v11
	v_or3_b32 v7, v9, v11, v7
	v_cvt_f64_f32_e32 v[60:61], v7
.LBB222_3240:
	s_or_b64 exec, exec, s[18:19]
.LBB222_3241:
	s_mov_b64 s[16:17], -1
.LBB222_3242:
	s_mov_b64 s[18:19], 0
.LBB222_3243:
	s_and_b64 vcc, exec, s[18:19]
	s_cbranch_vccz .LBB222_3276
; %bb.3244:
	v_cmp_gt_i16_e64 s[14:15], s27, 22
	s_and_b64 vcc, exec, s[14:15]
	s_cbranch_vccz .LBB222_3254
; %bb.3245:
	v_cmp_lt_i16_e64 s[14:15], s27, 24
	s_and_b64 vcc, exec, s[14:15]
	s_cbranch_vccnz .LBB222_3257
; %bb.3246:
	v_cmp_gt_i16_e64 s[14:15], s27, 24
	s_and_b64 vcc, exec, s[14:15]
	s_cbranch_vccz .LBB222_3258
; %bb.3247:
	global_load_ubyte v7, v[12:13], off
	s_movk_i32 s14, 0x7f
                                        ; implicit-def: $sgpr16_sgpr17
	s_waitcnt vmcnt(0)
	v_cmp_lt_i16_e32 vcc, s14, v7
	s_mov_b64 s[14:15], 0
	s_and_saveexec_b64 s[18:19], vcc
	s_xor_b64 s[18:19], exec, s[18:19]
	s_cbranch_execz .LBB222_3270
; %bb.3248:
	s_movk_i32 s14, 0x80
	v_cmp_eq_u16_e32 vcc, s14, v7
	s_mov_b64 s[20:21], -1
                                        ; implicit-def: $sgpr16_sgpr17
	s_and_saveexec_b64 s[14:15], vcc
; %bb.3249:
	s_mov_b32 s17, 0x7ff80000
	s_brev_b32 s16, 4
	s_xor_b64 s[20:21], exec, -1
; %bb.3250:
	s_or_b64 exec, exec, s[14:15]
	s_and_b64 s[14:15], s[20:21], exec
	s_or_saveexec_b64 s[18:19], s[18:19]
	v_pk_mov_b32 v[60:61], s[16:17], s[16:17] op_sel:[0,1]
	s_xor_b64 exec, exec, s[18:19]
	s_cbranch_execnz .LBB222_3271
.LBB222_3251:
	s_or_b64 exec, exec, s[18:19]
	s_and_saveexec_b64 s[16:17], s[14:15]
	s_cbranch_execz .LBB222_3253
.LBB222_3252:
	v_lshlrev_b32_e32 v9, 24, v7
	v_and_b32_e32 v7, 0xffff, v7
	v_and_b32_e32 v11, 3, v7
	v_ffbh_u32_e32 v15, v11
	v_min_u32_e32 v15, 32, v15
	v_subrev_u32_e32 v16, 29, v15
	v_bfe_u32 v14, v7, 2, 5
	v_lshlrev_b32_e32 v7, v16, v7
	v_sub_u32_e32 v15, 30, v15
	v_and_b32_e32 v7, 3, v7
	v_cmp_eq_u32_e32 vcc, 0, v14
	v_cndmask_b32_e32 v14, v14, v15, vcc
	v_cndmask_b32_e32 v7, v11, v7, vcc
	v_mov_b32_e32 v11, 0x37800000
	v_lshlrev_b32_e32 v7, 21, v7
	v_and_b32_e32 v9, 0x80000000, v9
	v_lshl_add_u32 v11, v14, 23, v11
	v_or3_b32 v7, v9, v11, v7
	v_cvt_f64_f32_e32 v[60:61], v7
.LBB222_3253:
	s_or_b64 exec, exec, s[16:17]
	s_mov_b64 s[14:15], 0
	s_branch .LBB222_3259
.LBB222_3254:
	s_mov_b64 s[14:15], -1
                                        ; implicit-def: $vgpr60_vgpr61
	s_branch .LBB222_3265
.LBB222_3255:
	s_or_saveexec_b64 s[20:21], s[20:21]
	v_pk_mov_b32 v[60:61], s[18:19], s[18:19] op_sel:[0,1]
	s_xor_b64 exec, exec, s[20:21]
	s_cbranch_execz .LBB222_3238
.LBB222_3256:
	v_cmp_ne_u16_e32 vcc, 0, v7
	s_andn2_b64 s[16:17], s[16:17], exec
	s_and_b64 s[18:19], vcc, exec
	v_pk_mov_b32 v[60:61], 0, 0
	s_or_b64 s[16:17], s[16:17], s[18:19]
	s_or_b64 exec, exec, s[20:21]
	s_and_saveexec_b64 s[18:19], s[16:17]
	s_cbranch_execnz .LBB222_3239
	s_branch .LBB222_3240
.LBB222_3257:
	s_mov_b64 s[14:15], -1
                                        ; implicit-def: $vgpr60_vgpr61
	s_branch .LBB222_3262
.LBB222_3258:
	s_mov_b64 s[14:15], -1
                                        ; implicit-def: $vgpr60_vgpr61
.LBB222_3259:
	s_and_b64 vcc, exec, s[14:15]
	s_cbranch_vccz .LBB222_3261
; %bb.3260:
	global_load_ubyte v7, v[12:13], off
	s_mov_b32 s14, 0x7f800000
	s_waitcnt vmcnt(0)
	v_lshlrev_b32_e32 v7, 24, v7
	v_and_b32_e32 v9, 0x7f000000, v7
	v_ffbh_u32_e32 v11, v9
	v_min_u32_e32 v11, 32, v11
	v_sub_u32_e64 v11, v11, 4 clamp
	v_lshlrev_b32_e32 v15, v11, v9
	v_lshlrev_b32_e32 v11, 23, v11
	v_lshrrev_b32_e32 v15, 4, v15
	v_add_u32_e32 v14, 0x1000000, v9
	v_sub_u32_e32 v11, v15, v11
	v_ashrrev_i32_e32 v14, 8, v14
	v_add_u32_e32 v11, 0x3c000000, v11
	v_and_or_b32 v11, v14, s14, v11
	v_cmp_ne_u32_e32 vcc, 0, v9
	v_cndmask_b32_e32 v9, 0, v11, vcc
	s_brev_b32 s14, 1
	v_and_or_b32 v7, v7, s14, v9
	v_cvt_f64_f32_e32 v[60:61], v7
.LBB222_3261:
	s_mov_b64 s[14:15], 0
.LBB222_3262:
	s_andn2_b64 vcc, exec, s[14:15]
	s_cbranch_vccnz .LBB222_3264
; %bb.3263:
	global_load_ubyte v7, v[12:13], off
	s_movk_i32 s14, 0x7f00
	s_brev_b32 s15, 16
	s_waitcnt vmcnt(0)
	v_lshlrev_b16_e32 v9, 8, v7
	v_lshlrev_b32_e32 v7, 25, v7
	v_lshrrev_b32_e32 v11, 4, v7
	v_and_or_b32 v14, v9, s14, 0.5
	v_or_b32_e32 v11, 0x70000000, v11
	v_add_f32_e32 v14, -0.5, v14
	v_mul_f32_e32 v11, 0x7800000, v11
	v_cmp_gt_u32_e32 vcc, s15, v7
	v_bfe_i32 v9, v9, 0, 16
	v_cndmask_b32_e32 v7, v11, v14, vcc
	s_brev_b32 s14, 1
	v_and_or_b32 v7, v9, s14, v7
	v_cvt_f64_f32_e32 v[60:61], v7
.LBB222_3264:
	s_mov_b64 s[14:15], 0
	s_mov_b64 s[16:17], -1
.LBB222_3265:
	s_andn2_b64 vcc, exec, s[14:15]
	s_mov_b64 s[14:15], 0
	s_cbranch_vccnz .LBB222_3276
; %bb.3266:
	v_cmp_gt_i16_e64 s[14:15], s27, 14
	s_and_b64 vcc, exec, s[14:15]
	s_cbranch_vccz .LBB222_3269
; %bb.3267:
	v_cmp_eq_u16_e64 s[12:13], s27, 15
	s_and_b64 vcc, exec, s[12:13]
	s_cbranch_vccz .LBB222_3272
; %bb.3268:
	global_load_ushort v7, v[12:13], off
	s_mov_b64 s[12:13], 0
	s_mov_b64 s[16:17], -1
	s_waitcnt vmcnt(0)
	v_lshlrev_b32_e32 v7, 16, v7
	v_cvt_f64_f32_e32 v[60:61], v7
	s_branch .LBB222_3273
.LBB222_3269:
	s_mov_b64 s[18:19], -1
                                        ; implicit-def: $vgpr60_vgpr61
	s_branch .LBB222_3274
.LBB222_3270:
	s_or_saveexec_b64 s[18:19], s[18:19]
	v_pk_mov_b32 v[60:61], s[16:17], s[16:17] op_sel:[0,1]
	s_xor_b64 exec, exec, s[18:19]
	s_cbranch_execz .LBB222_3251
.LBB222_3271:
	v_cmp_ne_u16_e32 vcc, 0, v7
	s_andn2_b64 s[14:15], s[14:15], exec
	s_and_b64 s[16:17], vcc, exec
	v_pk_mov_b32 v[60:61], 0, 0
	s_or_b64 s[14:15], s[14:15], s[16:17]
	s_or_b64 exec, exec, s[18:19]
	s_and_saveexec_b64 s[16:17], s[14:15]
	s_cbranch_execnz .LBB222_3252
	s_branch .LBB222_3253
.LBB222_3272:
	s_mov_b64 s[12:13], -1
                                        ; implicit-def: $vgpr60_vgpr61
.LBB222_3273:
	s_mov_b64 s[18:19], 0
.LBB222_3274:
	s_mov_b64 s[14:15], 0
	s_and_b64 vcc, exec, s[18:19]
	s_cbranch_vccz .LBB222_3276
; %bb.3275:
	v_cmp_ne_u16_e64 s[12:13], s27, 11
	s_mov_b64 s[14:15], -1
                                        ; implicit-def: $vgpr60_vgpr61
.LBB222_3276:
	s_and_b64 vcc, exec, s[12:13]
	s_cbranch_vccnz .LBB222_3341
; %bb.3277:
	s_andn2_b64 vcc, exec, s[14:15]
	s_cbranch_vccnz .LBB222_3279
.LBB222_3278:
	global_load_ubyte v7, v[12:13], off
	v_mov_b32_e32 v9, 0x3ff00000
	v_mov_b32_e32 v60, 0
	s_mov_b64 s[16:17], -1
	s_waitcnt vmcnt(0)
	v_cmp_ne_u16_e32 vcc, 0, v7
	v_cndmask_b32_e32 v61, 0, v9, vcc
.LBB222_3279:
	s_mov_b64 s[12:13], 0
.LBB222_3280:
	s_and_b64 vcc, exec, s[12:13]
	s_cbranch_vccz .LBB222_3329
; %bb.3281:
	v_cmp_lt_i16_e64 s[12:13], s27, 5
	s_and_b64 vcc, exec, s[12:13]
	s_cbranch_vccnz .LBB222_3286
; %bb.3282:
	v_cmp_lt_i16_e64 s[12:13], s27, 8
	s_and_b64 vcc, exec, s[12:13]
	s_cbranch_vccnz .LBB222_3287
; %bb.3283:
	v_cmp_lt_i16_e64 s[12:13], s27, 9
	s_and_b64 vcc, exec, s[12:13]
	s_cbranch_vccnz .LBB222_3288
; %bb.3284:
	v_cmp_gt_i16_e64 s[12:13], s27, 9
	s_and_b64 vcc, exec, s[12:13]
	s_cbranch_vccz .LBB222_3289
; %bb.3285:
	global_load_dwordx2 v[60:61], v[12:13], off
	s_mov_b64 s[12:13], 0
	s_branch .LBB222_3290
.LBB222_3286:
	s_mov_b64 s[12:13], -1
                                        ; implicit-def: $vgpr60_vgpr61
	s_branch .LBB222_3308
.LBB222_3287:
	s_mov_b64 s[12:13], -1
                                        ; implicit-def: $vgpr60_vgpr61
	s_branch .LBB222_3296
.LBB222_3288:
	s_mov_b64 s[12:13], -1
                                        ; implicit-def: $vgpr60_vgpr61
	s_branch .LBB222_3293
.LBB222_3289:
	s_mov_b64 s[12:13], -1
                                        ; implicit-def: $vgpr60_vgpr61
.LBB222_3290:
	s_andn2_b64 vcc, exec, s[12:13]
	s_cbranch_vccnz .LBB222_3292
; %bb.3291:
	global_load_dword v7, v[12:13], off
	s_waitcnt vmcnt(0)
	v_cvt_f64_f32_e32 v[60:61], v7
.LBB222_3292:
	s_mov_b64 s[12:13], 0
.LBB222_3293:
	s_andn2_b64 vcc, exec, s[12:13]
	s_cbranch_vccnz .LBB222_3295
; %bb.3294:
	global_load_dword v7, v[12:13], off
	s_waitcnt vmcnt(0)
	v_cvt_f32_f16_e32 v7, v7
	v_cvt_f64_f32_e32 v[60:61], v7
.LBB222_3295:
	s_mov_b64 s[12:13], 0
.LBB222_3296:
	s_andn2_b64 vcc, exec, s[12:13]
	s_cbranch_vccnz .LBB222_3307
; %bb.3297:
	v_cmp_lt_i16_e64 s[12:13], s27, 6
	s_and_b64 vcc, exec, s[12:13]
	s_cbranch_vccnz .LBB222_3300
; %bb.3298:
	v_cmp_gt_i16_e64 s[12:13], s27, 6
	s_and_b64 vcc, exec, s[12:13]
	s_cbranch_vccz .LBB222_3301
; %bb.3299:
	global_load_dwordx2 v[60:61], v[12:13], off
	s_mov_b64 s[12:13], 0
	s_branch .LBB222_3302
.LBB222_3300:
	s_mov_b64 s[12:13], -1
                                        ; implicit-def: $vgpr60_vgpr61
	s_branch .LBB222_3305
.LBB222_3301:
	s_mov_b64 s[12:13], -1
                                        ; implicit-def: $vgpr60_vgpr61
.LBB222_3302:
	s_andn2_b64 vcc, exec, s[12:13]
	s_cbranch_vccnz .LBB222_3304
; %bb.3303:
	global_load_dword v7, v[12:13], off
	s_waitcnt vmcnt(0)
	v_cvt_f64_f32_e32 v[60:61], v7
.LBB222_3304:
	s_mov_b64 s[12:13], 0
.LBB222_3305:
	s_andn2_b64 vcc, exec, s[12:13]
	s_cbranch_vccnz .LBB222_3307
; %bb.3306:
	global_load_ushort v7, v[12:13], off
	s_waitcnt vmcnt(0)
	v_cvt_f32_f16_e32 v7, v7
	v_cvt_f64_f32_e32 v[60:61], v7
.LBB222_3307:
	s_mov_b64 s[12:13], 0
.LBB222_3308:
	s_andn2_b64 vcc, exec, s[12:13]
	s_cbranch_vccnz .LBB222_3328
; %bb.3309:
	v_cmp_lt_i16_e64 s[12:13], s27, 2
	s_and_b64 vcc, exec, s[12:13]
	s_cbranch_vccnz .LBB222_3313
; %bb.3310:
	v_cmp_lt_i16_e64 s[12:13], s27, 3
	s_and_b64 vcc, exec, s[12:13]
	s_cbranch_vccnz .LBB222_3314
; %bb.3311:
	v_cmp_gt_i16_e64 s[12:13], s27, 3
	s_and_b64 vcc, exec, s[12:13]
	s_cbranch_vccz .LBB222_3315
; %bb.3312:
	global_load_dwordx2 v[14:15], v[12:13], off
	s_mov_b64 s[12:13], 0
	s_waitcnt vmcnt(0)
	v_cvt_f64_i32_e32 v[16:17], v15
	v_cvt_f64_u32_e32 v[14:15], v14
	v_ldexp_f64 v[16:17], v[16:17], 32
	v_add_f64 v[60:61], v[16:17], v[14:15]
	s_branch .LBB222_3316
.LBB222_3313:
	s_mov_b64 s[12:13], -1
                                        ; implicit-def: $vgpr60_vgpr61
	s_branch .LBB222_3322
.LBB222_3314:
	s_mov_b64 s[12:13], -1
                                        ; implicit-def: $vgpr60_vgpr61
	s_branch .LBB222_3319
.LBB222_3315:
	s_mov_b64 s[12:13], -1
                                        ; implicit-def: $vgpr60_vgpr61
.LBB222_3316:
	s_andn2_b64 vcc, exec, s[12:13]
	s_cbranch_vccnz .LBB222_3318
; %bb.3317:
	global_load_dword v7, v[12:13], off
	s_waitcnt vmcnt(0)
	v_cvt_f64_i32_e32 v[60:61], v7
.LBB222_3318:
	s_mov_b64 s[12:13], 0
.LBB222_3319:
	s_andn2_b64 vcc, exec, s[12:13]
	s_cbranch_vccnz .LBB222_3321
; %bb.3320:
	global_load_sshort v7, v[12:13], off
	s_waitcnt vmcnt(0)
	v_cvt_f64_i32_e32 v[60:61], v7
.LBB222_3321:
	s_mov_b64 s[12:13], 0
.LBB222_3322:
	s_andn2_b64 vcc, exec, s[12:13]
	s_cbranch_vccnz .LBB222_3328
; %bb.3323:
	v_cmp_gt_i16_e64 s[12:13], s27, 0
	s_and_b64 vcc, exec, s[12:13]
	s_cbranch_vccz .LBB222_3325
; %bb.3324:
	global_load_sbyte v7, v[12:13], off
	s_mov_b64 s[12:13], 0
	s_waitcnt vmcnt(0)
	v_cvt_f64_i32_e32 v[60:61], v7
	s_branch .LBB222_3326
.LBB222_3325:
	s_mov_b64 s[12:13], -1
                                        ; implicit-def: $vgpr60_vgpr61
.LBB222_3326:
	s_andn2_b64 vcc, exec, s[12:13]
	s_cbranch_vccnz .LBB222_3328
; %bb.3327:
	global_load_ubyte v7, v[12:13], off
	s_waitcnt vmcnt(0)
	v_cvt_f64_u32_e32 v[60:61], v7
.LBB222_3328:
	s_mov_b64 s[16:17], -1
.LBB222_3329:
	s_andn2_b64 vcc, exec, s[16:17]
	s_cbranch_vccnz .LBB222_4173
; %bb.3330:
	v_mov_b32_e32 v7, s39
	v_add_co_u32_e32 v10, vcc, s38, v10
	v_addc_co_u32_e32 v11, vcc, 0, v7, vcc
	v_mov_b32_e32 v7, 11
	v_cmp_lt_i16_sdwa s[12:13], s25, v7 src0_sel:BYTE_0 src1_sel:DWORD
	s_and_b64 vcc, exec, s[12:13]
	s_cbranch_vccnz .LBB222_3337
; %bb.3331:
	v_mov_b32_e32 v7, 25
	v_cmp_gt_i16_sdwa s[12:13], s25, v7 src0_sel:BYTE_0 src1_sel:DWORD
	s_mov_b64 s[14:15], 0
	s_and_b64 vcc, exec, s[12:13]
	s_cbranch_vccz .LBB222_3338
; %bb.3332:
	v_mov_b32_e32 v7, 28
	v_cmp_gt_i16_sdwa s[12:13], s25, v7 src0_sel:BYTE_0 src1_sel:DWORD
	s_and_b64 vcc, exec, s[12:13]
	s_cbranch_vccz .LBB222_3339
; %bb.3333:
	v_mov_b32_e32 v7, 43
	v_cmp_gt_i16_sdwa s[12:13], s25, v7 src0_sel:BYTE_0 src1_sel:DWORD
	;; [unrolled: 5-line block ×3, first 2 shown]
	s_and_b64 vcc, exec, s[12:13]
	s_cbranch_vccz .LBB222_3342
; %bb.3335:
	v_mov_b32_e32 v7, 46
	v_cmp_eq_u16_sdwa s[12:13], s25, v7 src0_sel:BYTE_0 src1_sel:DWORD
	s_mov_b64 s[18:19], 0
	s_and_b64 vcc, exec, s[12:13]
	s_cbranch_vccz .LBB222_3343
; %bb.3336:
	global_load_dword v7, v[10:11], off
	s_mov_b64 s[12:13], 0
	s_mov_b64 s[16:17], -1
	s_waitcnt vmcnt(0)
	v_lshlrev_b32_e32 v7, 16, v7
	v_cvt_f64_f32_e32 v[62:63], v7
	s_branch .LBB222_3344
.LBB222_3337:
	s_mov_b64 s[12:13], -1
	s_mov_b64 s[16:17], 0
                                        ; implicit-def: $vgpr62_vgpr63
	s_branch .LBB222_3410
.LBB222_3338:
	s_mov_b64 s[18:19], -1
	s_mov_b64 s[16:17], 0
	s_mov_b64 s[12:13], 0
                                        ; implicit-def: $vgpr62_vgpr63
	s_branch .LBB222_3373
.LBB222_3339:
	s_mov_b64 s[18:19], -1
	s_mov_b64 s[16:17], 0
	s_mov_b64 s[12:13], 0
                                        ; implicit-def: $vgpr62_vgpr63
	s_branch .LBB222_3354
.LBB222_3340:
	s_mov_b64 s[18:19], -1
	s_mov_b64 s[16:17], 0
	s_mov_b64 s[12:13], 0
                                        ; implicit-def: $vgpr62_vgpr63
	s_branch .LBB222_3349
.LBB222_3341:
	s_trap 2
	s_or_b64 s[90:91], s[90:91], exec
                                        ; implicit-def: $vgpr60_vgpr61
	s_cbranch_execz .LBB222_3278
	s_branch .LBB222_3279
.LBB222_3342:
	s_mov_b64 s[18:19], -1
	s_mov_b64 s[16:17], 0
	s_mov_b64 s[12:13], 0
                                        ; implicit-def: $vgpr62_vgpr63
	s_branch .LBB222_3344
.LBB222_3343:
	s_mov_b64 s[12:13], -1
                                        ; implicit-def: $vgpr62_vgpr63
	s_mov_b64 s[16:17], 0
.LBB222_3344:
	s_and_b64 vcc, exec, s[18:19]
	s_cbranch_vccz .LBB222_3348
; %bb.3345:
	v_mov_b32_e32 v7, 44
	v_cmp_eq_u16_sdwa s[12:13], s25, v7 src0_sel:BYTE_0 src1_sel:DWORD
	s_and_b64 vcc, exec, s[12:13]
	s_cbranch_vccz .LBB222_3347
; %bb.3346:
	global_load_ubyte v7, v[10:11], off
	s_movk_i32 s16, 0xff
	v_bfrev_b32_e32 v9, 4
	v_mov_b32_e32 v14, 0x7ff80000
	v_bfrev_b32_e32 v15, 28
	s_mov_b64 s[12:13], 0
	s_waitcnt vmcnt(0)
	v_lshlrev_b32_e32 v12, 23, v7
	v_cvt_f64_f32_e32 v[12:13], v12
	v_cmp_ne_u32_e32 vcc, s16, v7
	v_cndmask_b32_e32 v9, v9, v12, vcc
	v_cndmask_b32_e32 v12, v14, v13, vcc
	v_cmp_ne_u32_e32 vcc, 0, v7
	v_cndmask_b32_e32 v63, v15, v12, vcc
	v_cndmask_b32_e32 v62, 0, v9, vcc
	s_mov_b64 s[16:17], -1
	s_branch .LBB222_3348
.LBB222_3347:
	s_mov_b64 s[12:13], -1
                                        ; implicit-def: $vgpr62_vgpr63
.LBB222_3348:
	s_mov_b64 s[18:19], 0
.LBB222_3349:
	s_and_b64 vcc, exec, s[18:19]
	s_cbranch_vccz .LBB222_3353
; %bb.3350:
	v_mov_b32_e32 v7, 29
	v_cmp_eq_u16_sdwa s[12:13], s25, v7 src0_sel:BYTE_0 src1_sel:DWORD
	s_and_b64 vcc, exec, s[12:13]
	s_cbranch_vccz .LBB222_3352
; %bb.3351:
	global_load_dwordx2 v[12:13], v[10:11], off
	s_mov_b64 s[12:13], 0
	s_mov_b64 s[16:17], -1
	s_mov_b64 s[18:19], 0
	s_waitcnt vmcnt(0)
	v_cvt_f64_u32_e32 v[14:15], v13
	v_cvt_f64_u32_e32 v[12:13], v12
	v_ldexp_f64 v[14:15], v[14:15], 32
	v_add_f64 v[62:63], v[14:15], v[12:13]
	s_branch .LBB222_3354
.LBB222_3352:
	s_mov_b64 s[12:13], -1
                                        ; implicit-def: $vgpr62_vgpr63
.LBB222_3353:
	s_mov_b64 s[18:19], 0
.LBB222_3354:
	s_and_b64 vcc, exec, s[18:19]
	s_cbranch_vccz .LBB222_3372
; %bb.3355:
	v_mov_b32_e32 v7, 27
	v_cmp_lt_i16_sdwa s[16:17], s25, v7 src0_sel:BYTE_0 src1_sel:DWORD
	s_and_b64 vcc, exec, s[16:17]
	s_cbranch_vccnz .LBB222_3358
; %bb.3356:
	v_cmp_gt_i16_sdwa s[16:17], s25, v7 src0_sel:BYTE_0 src1_sel:DWORD
	s_and_b64 vcc, exec, s[16:17]
	s_cbranch_vccz .LBB222_3359
; %bb.3357:
	global_load_dword v7, v[10:11], off
	s_mov_b64 s[16:17], 0
	s_waitcnt vmcnt(0)
	v_cvt_f64_u32_e32 v[62:63], v7
	s_branch .LBB222_3360
.LBB222_3358:
	s_mov_b64 s[16:17], -1
                                        ; implicit-def: $vgpr62_vgpr63
	s_branch .LBB222_3363
.LBB222_3359:
	s_mov_b64 s[16:17], -1
                                        ; implicit-def: $vgpr62_vgpr63
.LBB222_3360:
	s_andn2_b64 vcc, exec, s[16:17]
	s_cbranch_vccnz .LBB222_3362
; %bb.3361:
	global_load_ushort v7, v[10:11], off
	s_waitcnt vmcnt(0)
	v_cvt_f64_u32_e32 v[62:63], v7
.LBB222_3362:
	s_mov_b64 s[16:17], 0
.LBB222_3363:
	s_andn2_b64 vcc, exec, s[16:17]
	s_cbranch_vccnz .LBB222_3371
; %bb.3364:
	global_load_ubyte v7, v[10:11], off
	s_movk_i32 s16, 0x7f
                                        ; implicit-def: $sgpr18_sgpr19
	s_waitcnt vmcnt(0)
	v_cmp_lt_i16_e32 vcc, s16, v7
	s_mov_b64 s[16:17], 0
	s_and_saveexec_b64 s[20:21], vcc
	s_xor_b64 s[20:21], exec, s[20:21]
	s_cbranch_execz .LBB222_3385
; %bb.3365:
	s_movk_i32 s16, 0x80
	v_cmp_eq_u16_e32 vcc, s16, v7
	s_mov_b64 s[22:23], -1
                                        ; implicit-def: $sgpr18_sgpr19
	s_and_saveexec_b64 s[16:17], vcc
; %bb.3366:
	s_mov_b32 s19, 0x7ff80000
	s_brev_b32 s18, 4
	s_xor_b64 s[22:23], exec, -1
; %bb.3367:
	s_or_b64 exec, exec, s[16:17]
	s_and_b64 s[16:17], s[22:23], exec
	s_or_saveexec_b64 s[20:21], s[20:21]
	v_pk_mov_b32 v[62:63], s[18:19], s[18:19] op_sel:[0,1]
	s_xor_b64 exec, exec, s[20:21]
	s_cbranch_execnz .LBB222_3386
.LBB222_3368:
	s_or_b64 exec, exec, s[20:21]
	s_and_saveexec_b64 s[18:19], s[16:17]
	s_cbranch_execz .LBB222_3370
.LBB222_3369:
	v_lshlrev_b32_e32 v9, 24, v7
	v_and_b32_e32 v7, 0xffff, v7
	v_and_b32_e32 v12, 7, v7
	v_ffbh_u32_e32 v14, v12
	v_min_u32_e32 v14, 32, v14
	v_subrev_u32_e32 v15, 28, v14
	v_bfe_u32 v13, v7, 3, 4
	v_lshlrev_b32_e32 v7, v15, v7
	v_sub_u32_e32 v14, 29, v14
	v_and_b32_e32 v7, 7, v7
	v_cmp_eq_u32_e32 vcc, 0, v13
	v_cndmask_b32_e32 v13, v13, v14, vcc
	v_cndmask_b32_e32 v7, v12, v7, vcc
	v_mov_b32_e32 v12, 0x3b800000
	v_lshlrev_b32_e32 v7, 20, v7
	v_and_b32_e32 v9, 0x80000000, v9
	v_lshl_add_u32 v12, v13, 23, v12
	v_or3_b32 v7, v9, v12, v7
	v_cvt_f64_f32_e32 v[62:63], v7
.LBB222_3370:
	s_or_b64 exec, exec, s[18:19]
.LBB222_3371:
	s_mov_b64 s[16:17], -1
.LBB222_3372:
	s_mov_b64 s[18:19], 0
.LBB222_3373:
	s_and_b64 vcc, exec, s[18:19]
	s_cbranch_vccz .LBB222_3406
; %bb.3374:
	v_mov_b32_e32 v7, 22
	v_cmp_gt_i16_sdwa s[14:15], s25, v7 src0_sel:BYTE_0 src1_sel:DWORD
	s_and_b64 vcc, exec, s[14:15]
	s_cbranch_vccz .LBB222_3384
; %bb.3375:
	v_mov_b32_e32 v7, 24
	v_cmp_lt_i16_sdwa s[14:15], s25, v7 src0_sel:BYTE_0 src1_sel:DWORD
	s_and_b64 vcc, exec, s[14:15]
	s_cbranch_vccnz .LBB222_3387
; %bb.3376:
	v_cmp_gt_i16_sdwa s[14:15], s25, v7 src0_sel:BYTE_0 src1_sel:DWORD
	s_and_b64 vcc, exec, s[14:15]
	s_cbranch_vccz .LBB222_3388
; %bb.3377:
	global_load_ubyte v7, v[10:11], off
	s_movk_i32 s14, 0x7f
                                        ; implicit-def: $sgpr16_sgpr17
	s_waitcnt vmcnt(0)
	v_cmp_lt_i16_e32 vcc, s14, v7
	s_mov_b64 s[14:15], 0
	s_and_saveexec_b64 s[18:19], vcc
	s_xor_b64 s[18:19], exec, s[18:19]
	s_cbranch_execz .LBB222_3400
; %bb.3378:
	s_movk_i32 s14, 0x80
	v_cmp_eq_u16_e32 vcc, s14, v7
	s_mov_b64 s[20:21], -1
                                        ; implicit-def: $sgpr16_sgpr17
	s_and_saveexec_b64 s[14:15], vcc
; %bb.3379:
	s_mov_b32 s17, 0x7ff80000
	s_brev_b32 s16, 4
	s_xor_b64 s[20:21], exec, -1
; %bb.3380:
	s_or_b64 exec, exec, s[14:15]
	s_and_b64 s[14:15], s[20:21], exec
	s_or_saveexec_b64 s[18:19], s[18:19]
	v_pk_mov_b32 v[62:63], s[16:17], s[16:17] op_sel:[0,1]
	s_xor_b64 exec, exec, s[18:19]
	s_cbranch_execnz .LBB222_3401
.LBB222_3381:
	s_or_b64 exec, exec, s[18:19]
	s_and_saveexec_b64 s[16:17], s[14:15]
	s_cbranch_execz .LBB222_3383
.LBB222_3382:
	v_lshlrev_b32_e32 v9, 24, v7
	v_and_b32_e32 v7, 0xffff, v7
	v_and_b32_e32 v12, 3, v7
	v_ffbh_u32_e32 v14, v12
	v_min_u32_e32 v14, 32, v14
	v_subrev_u32_e32 v15, 29, v14
	v_bfe_u32 v13, v7, 2, 5
	v_lshlrev_b32_e32 v7, v15, v7
	v_sub_u32_e32 v14, 30, v14
	v_and_b32_e32 v7, 3, v7
	v_cmp_eq_u32_e32 vcc, 0, v13
	v_cndmask_b32_e32 v13, v13, v14, vcc
	v_cndmask_b32_e32 v7, v12, v7, vcc
	v_mov_b32_e32 v12, 0x37800000
	v_lshlrev_b32_e32 v7, 21, v7
	v_and_b32_e32 v9, 0x80000000, v9
	v_lshl_add_u32 v12, v13, 23, v12
	v_or3_b32 v7, v9, v12, v7
	v_cvt_f64_f32_e32 v[62:63], v7
.LBB222_3383:
	s_or_b64 exec, exec, s[16:17]
	s_mov_b64 s[14:15], 0
	s_branch .LBB222_3389
.LBB222_3384:
	s_mov_b64 s[14:15], -1
                                        ; implicit-def: $vgpr62_vgpr63
	s_branch .LBB222_3395
.LBB222_3385:
	s_or_saveexec_b64 s[20:21], s[20:21]
	v_pk_mov_b32 v[62:63], s[18:19], s[18:19] op_sel:[0,1]
	s_xor_b64 exec, exec, s[20:21]
	s_cbranch_execz .LBB222_3368
.LBB222_3386:
	v_cmp_ne_u16_e32 vcc, 0, v7
	s_andn2_b64 s[16:17], s[16:17], exec
	s_and_b64 s[18:19], vcc, exec
	v_pk_mov_b32 v[62:63], 0, 0
	s_or_b64 s[16:17], s[16:17], s[18:19]
	s_or_b64 exec, exec, s[20:21]
	s_and_saveexec_b64 s[18:19], s[16:17]
	s_cbranch_execnz .LBB222_3369
	s_branch .LBB222_3370
.LBB222_3387:
	s_mov_b64 s[14:15], -1
                                        ; implicit-def: $vgpr62_vgpr63
	s_branch .LBB222_3392
.LBB222_3388:
	s_mov_b64 s[14:15], -1
                                        ; implicit-def: $vgpr62_vgpr63
.LBB222_3389:
	s_and_b64 vcc, exec, s[14:15]
	s_cbranch_vccz .LBB222_3391
; %bb.3390:
	global_load_ubyte v7, v[10:11], off
	s_mov_b32 s14, 0x7f800000
	s_waitcnt vmcnt(0)
	v_lshlrev_b32_e32 v7, 24, v7
	v_and_b32_e32 v9, 0x7f000000, v7
	v_ffbh_u32_e32 v12, v9
	v_min_u32_e32 v12, 32, v12
	v_sub_u32_e64 v12, v12, 4 clamp
	v_lshlrev_b32_e32 v14, v12, v9
	v_lshlrev_b32_e32 v12, 23, v12
	v_lshrrev_b32_e32 v14, 4, v14
	v_add_u32_e32 v13, 0x1000000, v9
	v_sub_u32_e32 v12, v14, v12
	v_ashrrev_i32_e32 v13, 8, v13
	v_add_u32_e32 v12, 0x3c000000, v12
	v_and_or_b32 v12, v13, s14, v12
	v_cmp_ne_u32_e32 vcc, 0, v9
	v_cndmask_b32_e32 v9, 0, v12, vcc
	s_brev_b32 s14, 1
	v_and_or_b32 v7, v7, s14, v9
	v_cvt_f64_f32_e32 v[62:63], v7
.LBB222_3391:
	s_mov_b64 s[14:15], 0
.LBB222_3392:
	s_andn2_b64 vcc, exec, s[14:15]
	s_cbranch_vccnz .LBB222_3394
; %bb.3393:
	global_load_ubyte v7, v[10:11], off
	s_movk_i32 s14, 0x7f00
	s_brev_b32 s15, 16
	s_waitcnt vmcnt(0)
	v_lshlrev_b16_e32 v9, 8, v7
	v_lshlrev_b32_e32 v7, 25, v7
	v_lshrrev_b32_e32 v12, 4, v7
	v_and_or_b32 v13, v9, s14, 0.5
	v_or_b32_e32 v12, 0x70000000, v12
	v_add_f32_e32 v13, -0.5, v13
	v_mul_f32_e32 v12, 0x7800000, v12
	v_cmp_gt_u32_e32 vcc, s15, v7
	v_bfe_i32 v9, v9, 0, 16
	v_cndmask_b32_e32 v7, v12, v13, vcc
	s_brev_b32 s14, 1
	v_and_or_b32 v7, v9, s14, v7
	v_cvt_f64_f32_e32 v[62:63], v7
.LBB222_3394:
	s_mov_b64 s[14:15], 0
	s_mov_b64 s[16:17], -1
.LBB222_3395:
	s_andn2_b64 vcc, exec, s[14:15]
	s_mov_b64 s[14:15], 0
	s_cbranch_vccnz .LBB222_3406
; %bb.3396:
	v_mov_b32_e32 v7, 14
	v_cmp_gt_i16_sdwa s[14:15], s25, v7 src0_sel:BYTE_0 src1_sel:DWORD
	s_and_b64 vcc, exec, s[14:15]
	s_cbranch_vccz .LBB222_3399
; %bb.3397:
	v_mov_b32_e32 v7, 15
	v_cmp_eq_u16_sdwa s[12:13], s25, v7 src0_sel:BYTE_0 src1_sel:DWORD
	s_and_b64 vcc, exec, s[12:13]
	s_cbranch_vccz .LBB222_3402
; %bb.3398:
	global_load_ushort v7, v[10:11], off
	s_mov_b64 s[12:13], 0
	s_mov_b64 s[16:17], -1
	s_waitcnt vmcnt(0)
	v_lshlrev_b32_e32 v7, 16, v7
	v_cvt_f64_f32_e32 v[62:63], v7
	s_branch .LBB222_3403
.LBB222_3399:
	s_mov_b64 s[18:19], -1
                                        ; implicit-def: $vgpr62_vgpr63
	s_branch .LBB222_3404
.LBB222_3400:
	s_or_saveexec_b64 s[18:19], s[18:19]
	v_pk_mov_b32 v[62:63], s[16:17], s[16:17] op_sel:[0,1]
	s_xor_b64 exec, exec, s[18:19]
	s_cbranch_execz .LBB222_3381
.LBB222_3401:
	v_cmp_ne_u16_e32 vcc, 0, v7
	s_andn2_b64 s[14:15], s[14:15], exec
	s_and_b64 s[16:17], vcc, exec
	v_pk_mov_b32 v[62:63], 0, 0
	s_or_b64 s[14:15], s[14:15], s[16:17]
	s_or_b64 exec, exec, s[18:19]
	s_and_saveexec_b64 s[16:17], s[14:15]
	s_cbranch_execnz .LBB222_3382
	s_branch .LBB222_3383
.LBB222_3402:
	s_mov_b64 s[12:13], -1
                                        ; implicit-def: $vgpr62_vgpr63
.LBB222_3403:
	s_mov_b64 s[18:19], 0
.LBB222_3404:
	s_mov_b64 s[14:15], 0
	s_and_b64 vcc, exec, s[18:19]
	s_cbranch_vccz .LBB222_3406
; %bb.3405:
	v_mov_b32_e32 v7, 11
	v_cmp_ne_u16_sdwa s[12:13], s25, v7 src0_sel:BYTE_0 src1_sel:DWORD
	s_mov_b64 s[14:15], -1
                                        ; implicit-def: $vgpr62_vgpr63
.LBB222_3406:
	s_and_b64 vcc, exec, s[12:13]
	s_cbranch_vccnz .LBB222_3471
; %bb.3407:
	s_andn2_b64 vcc, exec, s[14:15]
	s_cbranch_vccnz .LBB222_3409
.LBB222_3408:
	global_load_ubyte v7, v[10:11], off
	v_mov_b32_e32 v9, 0x3ff00000
	v_mov_b32_e32 v62, 0
	s_mov_b64 s[16:17], -1
	s_waitcnt vmcnt(0)
	v_cmp_ne_u16_e32 vcc, 0, v7
	v_cndmask_b32_e32 v63, 0, v9, vcc
.LBB222_3409:
	s_mov_b64 s[12:13], 0
.LBB222_3410:
	s_and_b64 vcc, exec, s[12:13]
	s_cbranch_vccz .LBB222_3459
; %bb.3411:
	v_mov_b32_e32 v7, 5
	v_cmp_lt_i16_sdwa s[12:13], s25, v7 src0_sel:BYTE_0 src1_sel:DWORD
	s_and_b64 vcc, exec, s[12:13]
	s_cbranch_vccnz .LBB222_3416
; %bb.3412:
	v_mov_b32_e32 v7, 8
	v_cmp_lt_i16_sdwa s[12:13], s25, v7 src0_sel:BYTE_0 src1_sel:DWORD
	s_and_b64 vcc, exec, s[12:13]
	s_cbranch_vccnz .LBB222_3417
	;; [unrolled: 5-line block ×3, first 2 shown]
; %bb.3414:
	v_cmp_gt_i16_sdwa s[12:13], s25, v7 src0_sel:BYTE_0 src1_sel:DWORD
	s_and_b64 vcc, exec, s[12:13]
	s_cbranch_vccz .LBB222_3419
; %bb.3415:
	global_load_dwordx2 v[62:63], v[10:11], off
	s_mov_b64 s[12:13], 0
	s_branch .LBB222_3420
.LBB222_3416:
	s_mov_b64 s[12:13], -1
                                        ; implicit-def: $vgpr62_vgpr63
	s_branch .LBB222_3438
.LBB222_3417:
	s_mov_b64 s[12:13], -1
                                        ; implicit-def: $vgpr62_vgpr63
	s_branch .LBB222_3426
.LBB222_3418:
	s_mov_b64 s[12:13], -1
                                        ; implicit-def: $vgpr62_vgpr63
	s_branch .LBB222_3423
.LBB222_3419:
	s_mov_b64 s[12:13], -1
                                        ; implicit-def: $vgpr62_vgpr63
.LBB222_3420:
	s_andn2_b64 vcc, exec, s[12:13]
	s_cbranch_vccnz .LBB222_3422
; %bb.3421:
	global_load_dword v7, v[10:11], off
	s_waitcnt vmcnt(0)
	v_cvt_f64_f32_e32 v[62:63], v7
.LBB222_3422:
	s_mov_b64 s[12:13], 0
.LBB222_3423:
	s_andn2_b64 vcc, exec, s[12:13]
	s_cbranch_vccnz .LBB222_3425
; %bb.3424:
	global_load_dword v7, v[10:11], off
	s_waitcnt vmcnt(0)
	v_cvt_f32_f16_e32 v7, v7
	v_cvt_f64_f32_e32 v[62:63], v7
.LBB222_3425:
	s_mov_b64 s[12:13], 0
.LBB222_3426:
	s_andn2_b64 vcc, exec, s[12:13]
	s_cbranch_vccnz .LBB222_3437
; %bb.3427:
	v_mov_b32_e32 v7, 6
	v_cmp_lt_i16_sdwa s[12:13], s25, v7 src0_sel:BYTE_0 src1_sel:DWORD
	s_and_b64 vcc, exec, s[12:13]
	s_cbranch_vccnz .LBB222_3430
; %bb.3428:
	v_cmp_gt_i16_sdwa s[12:13], s25, v7 src0_sel:BYTE_0 src1_sel:DWORD
	s_and_b64 vcc, exec, s[12:13]
	s_cbranch_vccz .LBB222_3431
; %bb.3429:
	global_load_dwordx2 v[62:63], v[10:11], off
	s_mov_b64 s[12:13], 0
	s_branch .LBB222_3432
.LBB222_3430:
	s_mov_b64 s[12:13], -1
                                        ; implicit-def: $vgpr62_vgpr63
	s_branch .LBB222_3435
.LBB222_3431:
	s_mov_b64 s[12:13], -1
                                        ; implicit-def: $vgpr62_vgpr63
.LBB222_3432:
	s_andn2_b64 vcc, exec, s[12:13]
	s_cbranch_vccnz .LBB222_3434
; %bb.3433:
	global_load_dword v7, v[10:11], off
	s_waitcnt vmcnt(0)
	v_cvt_f64_f32_e32 v[62:63], v7
.LBB222_3434:
	s_mov_b64 s[12:13], 0
.LBB222_3435:
	s_andn2_b64 vcc, exec, s[12:13]
	s_cbranch_vccnz .LBB222_3437
; %bb.3436:
	global_load_ushort v7, v[10:11], off
	s_waitcnt vmcnt(0)
	v_cvt_f32_f16_e32 v7, v7
	v_cvt_f64_f32_e32 v[62:63], v7
.LBB222_3437:
	s_mov_b64 s[12:13], 0
.LBB222_3438:
	s_andn2_b64 vcc, exec, s[12:13]
	s_cbranch_vccnz .LBB222_3458
; %bb.3439:
	v_mov_b32_e32 v7, 2
	v_cmp_lt_i16_sdwa s[12:13], s25, v7 src0_sel:BYTE_0 src1_sel:DWORD
	s_and_b64 vcc, exec, s[12:13]
	s_cbranch_vccnz .LBB222_3443
; %bb.3440:
	v_mov_b32_e32 v7, 3
	v_cmp_lt_i16_sdwa s[12:13], s25, v7 src0_sel:BYTE_0 src1_sel:DWORD
	s_and_b64 vcc, exec, s[12:13]
	s_cbranch_vccnz .LBB222_3444
; %bb.3441:
	v_cmp_gt_i16_sdwa s[12:13], s25, v7 src0_sel:BYTE_0 src1_sel:DWORD
	s_and_b64 vcc, exec, s[12:13]
	s_cbranch_vccz .LBB222_3445
; %bb.3442:
	global_load_dwordx2 v[12:13], v[10:11], off
	s_mov_b64 s[12:13], 0
	s_waitcnt vmcnt(0)
	v_cvt_f64_i32_e32 v[14:15], v13
	v_cvt_f64_u32_e32 v[12:13], v12
	v_ldexp_f64 v[14:15], v[14:15], 32
	v_add_f64 v[62:63], v[14:15], v[12:13]
	s_branch .LBB222_3446
.LBB222_3443:
	s_mov_b64 s[12:13], -1
                                        ; implicit-def: $vgpr62_vgpr63
	s_branch .LBB222_3452
.LBB222_3444:
	s_mov_b64 s[12:13], -1
                                        ; implicit-def: $vgpr62_vgpr63
	s_branch .LBB222_3449
.LBB222_3445:
	s_mov_b64 s[12:13], -1
                                        ; implicit-def: $vgpr62_vgpr63
.LBB222_3446:
	s_andn2_b64 vcc, exec, s[12:13]
	s_cbranch_vccnz .LBB222_3448
; %bb.3447:
	global_load_dword v7, v[10:11], off
	s_waitcnt vmcnt(0)
	v_cvt_f64_i32_e32 v[62:63], v7
.LBB222_3448:
	s_mov_b64 s[12:13], 0
.LBB222_3449:
	s_andn2_b64 vcc, exec, s[12:13]
	s_cbranch_vccnz .LBB222_3451
; %bb.3450:
	global_load_sshort v7, v[10:11], off
	s_waitcnt vmcnt(0)
	v_cvt_f64_i32_e32 v[62:63], v7
.LBB222_3451:
	s_mov_b64 s[12:13], 0
.LBB222_3452:
	s_andn2_b64 vcc, exec, s[12:13]
	s_cbranch_vccnz .LBB222_3458
; %bb.3453:
	v_mov_b32_e32 v7, 0
	v_cmp_gt_i16_sdwa s[12:13], s25, v7 src0_sel:BYTE_0 src1_sel:DWORD
	s_and_b64 vcc, exec, s[12:13]
	s_cbranch_vccz .LBB222_3455
; %bb.3454:
	global_load_sbyte v7, v[10:11], off
	s_mov_b64 s[12:13], 0
	s_waitcnt vmcnt(0)
	v_cvt_f64_i32_e32 v[62:63], v7
	s_branch .LBB222_3456
.LBB222_3455:
	s_mov_b64 s[12:13], -1
                                        ; implicit-def: $vgpr62_vgpr63
.LBB222_3456:
	s_andn2_b64 vcc, exec, s[12:13]
	s_cbranch_vccnz .LBB222_3458
; %bb.3457:
	global_load_ubyte v7, v[10:11], off
	s_waitcnt vmcnt(0)
	v_cvt_f64_u32_e32 v[62:63], v7
.LBB222_3458:
	s_mov_b64 s[16:17], -1
.LBB222_3459:
	s_andn2_b64 vcc, exec, s[16:17]
	s_cbranch_vccnz .LBB222_4173
; %bb.3460:
	v_mov_b32_e32 v7, s5
	v_add_co_u32_e32 v8, vcc, s4, v8
	v_addc_co_u32_e32 v9, vcc, 0, v7, vcc
	s_and_b64 vcc, exec, s[6:7]
	s_cbranch_vccnz .LBB222_3467
; %bb.3461:
	v_cmp_gt_i16_e64 s[4:5], s26, 25
	s_mov_b64 s[6:7], 0
	s_and_b64 vcc, exec, s[4:5]
	s_cbranch_vccz .LBB222_3468
; %bb.3462:
	v_cmp_gt_i16_e64 s[4:5], s26, 28
	s_and_b64 vcc, exec, s[4:5]
	s_cbranch_vccz .LBB222_3469
; %bb.3463:
	v_cmp_gt_i16_e64 s[4:5], s26, 43
	;; [unrolled: 4-line block ×3, first 2 shown]
	s_and_b64 vcc, exec, s[4:5]
	s_cbranch_vccz .LBB222_3472
; %bb.3465:
	v_cmp_eq_u16_e64 s[4:5], s26, 46
	s_mov_b64 s[14:15], 0
	s_and_b64 vcc, exec, s[4:5]
	s_cbranch_vccz .LBB222_3473
; %bb.3466:
	global_load_dword v7, v[8:9], off
	s_mov_b64 s[4:5], 0
	s_mov_b64 s[12:13], -1
	s_waitcnt vmcnt(0)
	v_lshlrev_b32_e32 v7, 16, v7
	v_cvt_f64_f32_e32 v[72:73], v7
	s_branch .LBB222_3474
.LBB222_3467:
	s_mov_b64 s[4:5], -1
	s_mov_b64 s[12:13], 0
                                        ; implicit-def: $vgpr72_vgpr73
	s_branch .LBB222_3540
.LBB222_3468:
	s_mov_b64 s[14:15], -1
	s_mov_b64 s[12:13], 0
	s_mov_b64 s[4:5], 0
                                        ; implicit-def: $vgpr72_vgpr73
	s_branch .LBB222_3503
.LBB222_3469:
	s_mov_b64 s[14:15], -1
	s_mov_b64 s[12:13], 0
	s_mov_b64 s[4:5], 0
                                        ; implicit-def: $vgpr72_vgpr73
	s_branch .LBB222_3484
.LBB222_3470:
	s_mov_b64 s[14:15], -1
	s_mov_b64 s[12:13], 0
	s_mov_b64 s[4:5], 0
                                        ; implicit-def: $vgpr72_vgpr73
	s_branch .LBB222_3479
.LBB222_3471:
	s_trap 2
	s_or_b64 s[90:91], s[90:91], exec
                                        ; implicit-def: $vgpr62_vgpr63
	s_cbranch_execz .LBB222_3408
	s_branch .LBB222_3409
.LBB222_3472:
	s_mov_b64 s[14:15], -1
	s_mov_b64 s[12:13], 0
	s_mov_b64 s[4:5], 0
                                        ; implicit-def: $vgpr72_vgpr73
	s_branch .LBB222_3474
.LBB222_3473:
	s_mov_b64 s[4:5], -1
                                        ; implicit-def: $vgpr72_vgpr73
	s_mov_b64 s[12:13], 0
.LBB222_3474:
	s_and_b64 vcc, exec, s[14:15]
	s_cbranch_vccz .LBB222_3478
; %bb.3475:
	v_cmp_eq_u16_e64 s[4:5], s26, 44
	s_and_b64 vcc, exec, s[4:5]
	s_cbranch_vccz .LBB222_3477
; %bb.3476:
	global_load_ubyte v7, v[8:9], off
	s_movk_i32 s12, 0xff
	v_bfrev_b32_e32 v12, 4
	v_mov_b32_e32 v13, 0x7ff80000
	v_bfrev_b32_e32 v14, 28
	s_mov_b64 s[4:5], 0
	s_waitcnt vmcnt(0)
	v_lshlrev_b32_e32 v10, 23, v7
	v_cvt_f64_f32_e32 v[10:11], v10
	v_cmp_ne_u32_e32 vcc, s12, v7
	v_cndmask_b32_e32 v10, v12, v10, vcc
	v_cndmask_b32_e32 v11, v13, v11, vcc
	v_cmp_ne_u32_e32 vcc, 0, v7
	v_cndmask_b32_e32 v73, v14, v11, vcc
	v_cndmask_b32_e32 v72, 0, v10, vcc
	s_mov_b64 s[12:13], -1
	s_branch .LBB222_3478
.LBB222_3477:
	s_mov_b64 s[4:5], -1
                                        ; implicit-def: $vgpr72_vgpr73
.LBB222_3478:
	s_mov_b64 s[14:15], 0
.LBB222_3479:
	s_and_b64 vcc, exec, s[14:15]
	s_cbranch_vccz .LBB222_3483
; %bb.3480:
	v_cmp_eq_u16_e64 s[4:5], s26, 29
	s_and_b64 vcc, exec, s[4:5]
	s_cbranch_vccz .LBB222_3482
; %bb.3481:
	global_load_dwordx2 v[10:11], v[8:9], off
	s_mov_b64 s[4:5], 0
	s_mov_b64 s[12:13], -1
	s_mov_b64 s[14:15], 0
	s_waitcnt vmcnt(0)
	v_cvt_f64_u32_e32 v[12:13], v11
	v_cvt_f64_u32_e32 v[10:11], v10
	v_ldexp_f64 v[12:13], v[12:13], 32
	v_add_f64 v[72:73], v[12:13], v[10:11]
	s_branch .LBB222_3484
.LBB222_3482:
	s_mov_b64 s[4:5], -1
                                        ; implicit-def: $vgpr72_vgpr73
.LBB222_3483:
	s_mov_b64 s[14:15], 0
.LBB222_3484:
	s_and_b64 vcc, exec, s[14:15]
	s_cbranch_vccz .LBB222_3502
; %bb.3485:
	v_cmp_lt_i16_e64 s[12:13], s26, 27
	s_and_b64 vcc, exec, s[12:13]
	s_cbranch_vccnz .LBB222_3488
; %bb.3486:
	v_cmp_gt_i16_e64 s[12:13], s26, 27
	s_and_b64 vcc, exec, s[12:13]
	s_cbranch_vccz .LBB222_3489
; %bb.3487:
	global_load_dword v7, v[8:9], off
	s_mov_b64 s[12:13], 0
	s_waitcnt vmcnt(0)
	v_cvt_f64_u32_e32 v[72:73], v7
	s_branch .LBB222_3490
.LBB222_3488:
	s_mov_b64 s[12:13], -1
                                        ; implicit-def: $vgpr72_vgpr73
	s_branch .LBB222_3493
.LBB222_3489:
	s_mov_b64 s[12:13], -1
                                        ; implicit-def: $vgpr72_vgpr73
.LBB222_3490:
	s_andn2_b64 vcc, exec, s[12:13]
	s_cbranch_vccnz .LBB222_3492
; %bb.3491:
	global_load_ushort v7, v[8:9], off
	s_waitcnt vmcnt(0)
	v_cvt_f64_u32_e32 v[72:73], v7
.LBB222_3492:
	s_mov_b64 s[12:13], 0
.LBB222_3493:
	s_andn2_b64 vcc, exec, s[12:13]
	s_cbranch_vccnz .LBB222_3501
; %bb.3494:
	global_load_ubyte v7, v[8:9], off
	s_movk_i32 s12, 0x7f
                                        ; implicit-def: $sgpr14_sgpr15
	s_waitcnt vmcnt(0)
	v_cmp_lt_i16_e32 vcc, s12, v7
	s_mov_b64 s[12:13], 0
	s_and_saveexec_b64 s[16:17], vcc
	s_xor_b64 s[16:17], exec, s[16:17]
	s_cbranch_execz .LBB222_3515
; %bb.3495:
	s_movk_i32 s12, 0x80
	v_cmp_eq_u16_e32 vcc, s12, v7
	s_mov_b64 s[18:19], -1
                                        ; implicit-def: $sgpr14_sgpr15
	s_and_saveexec_b64 s[12:13], vcc
; %bb.3496:
	s_mov_b32 s15, 0x7ff80000
	s_brev_b32 s14, 4
	s_xor_b64 s[18:19], exec, -1
; %bb.3497:
	s_or_b64 exec, exec, s[12:13]
	s_and_b64 s[12:13], s[18:19], exec
	s_or_saveexec_b64 s[16:17], s[16:17]
	v_pk_mov_b32 v[72:73], s[14:15], s[14:15] op_sel:[0,1]
	s_xor_b64 exec, exec, s[16:17]
	s_cbranch_execnz .LBB222_3516
.LBB222_3498:
	s_or_b64 exec, exec, s[16:17]
	s_and_saveexec_b64 s[14:15], s[12:13]
	s_cbranch_execz .LBB222_3500
.LBB222_3499:
	v_lshlrev_b32_e32 v10, 24, v7
	v_and_b32_e32 v7, 0xffff, v7
	v_and_b32_e32 v11, 7, v7
	v_ffbh_u32_e32 v13, v11
	v_min_u32_e32 v13, 32, v13
	v_subrev_u32_e32 v14, 28, v13
	v_bfe_u32 v12, v7, 3, 4
	v_lshlrev_b32_e32 v7, v14, v7
	v_sub_u32_e32 v13, 29, v13
	v_and_b32_e32 v7, 7, v7
	v_cmp_eq_u32_e32 vcc, 0, v12
	v_cndmask_b32_e32 v12, v12, v13, vcc
	v_cndmask_b32_e32 v7, v11, v7, vcc
	v_mov_b32_e32 v11, 0x3b800000
	v_lshlrev_b32_e32 v7, 20, v7
	v_and_b32_e32 v10, 0x80000000, v10
	v_lshl_add_u32 v11, v12, 23, v11
	v_or3_b32 v7, v10, v11, v7
	v_cvt_f64_f32_e32 v[72:73], v7
.LBB222_3500:
	s_or_b64 exec, exec, s[14:15]
.LBB222_3501:
	s_mov_b64 s[12:13], -1
.LBB222_3502:
	s_mov_b64 s[14:15], 0
.LBB222_3503:
	s_and_b64 vcc, exec, s[14:15]
	s_cbranch_vccz .LBB222_3536
; %bb.3504:
	v_cmp_gt_i16_e64 s[6:7], s26, 22
	s_and_b64 vcc, exec, s[6:7]
	s_cbranch_vccz .LBB222_3514
; %bb.3505:
	v_cmp_lt_i16_e64 s[6:7], s26, 24
	s_and_b64 vcc, exec, s[6:7]
	s_cbranch_vccnz .LBB222_3517
; %bb.3506:
	v_cmp_gt_i16_e64 s[6:7], s26, 24
	s_and_b64 vcc, exec, s[6:7]
	s_cbranch_vccz .LBB222_3518
; %bb.3507:
	global_load_ubyte v7, v[8:9], off
	s_movk_i32 s6, 0x7f
                                        ; implicit-def: $sgpr12_sgpr13
	s_waitcnt vmcnt(0)
	v_cmp_lt_i16_e32 vcc, s6, v7
	s_mov_b64 s[6:7], 0
	s_and_saveexec_b64 s[14:15], vcc
	s_xor_b64 s[14:15], exec, s[14:15]
	s_cbranch_execz .LBB222_3530
; %bb.3508:
	s_movk_i32 s6, 0x80
	v_cmp_eq_u16_e32 vcc, s6, v7
	s_mov_b64 s[16:17], -1
                                        ; implicit-def: $sgpr12_sgpr13
	s_and_saveexec_b64 s[6:7], vcc
; %bb.3509:
	s_mov_b32 s13, 0x7ff80000
	s_brev_b32 s12, 4
	s_xor_b64 s[16:17], exec, -1
; %bb.3510:
	s_or_b64 exec, exec, s[6:7]
	s_and_b64 s[6:7], s[16:17], exec
	s_or_saveexec_b64 s[14:15], s[14:15]
	v_pk_mov_b32 v[72:73], s[12:13], s[12:13] op_sel:[0,1]
	s_xor_b64 exec, exec, s[14:15]
	s_cbranch_execnz .LBB222_3531
.LBB222_3511:
	s_or_b64 exec, exec, s[14:15]
	s_and_saveexec_b64 s[12:13], s[6:7]
	s_cbranch_execz .LBB222_3513
.LBB222_3512:
	v_lshlrev_b32_e32 v10, 24, v7
	v_and_b32_e32 v7, 0xffff, v7
	v_and_b32_e32 v11, 3, v7
	v_ffbh_u32_e32 v13, v11
	v_min_u32_e32 v13, 32, v13
	v_subrev_u32_e32 v14, 29, v13
	v_bfe_u32 v12, v7, 2, 5
	v_lshlrev_b32_e32 v7, v14, v7
	v_sub_u32_e32 v13, 30, v13
	v_and_b32_e32 v7, 3, v7
	v_cmp_eq_u32_e32 vcc, 0, v12
	v_cndmask_b32_e32 v12, v12, v13, vcc
	v_cndmask_b32_e32 v7, v11, v7, vcc
	v_mov_b32_e32 v11, 0x37800000
	v_lshlrev_b32_e32 v7, 21, v7
	v_and_b32_e32 v10, 0x80000000, v10
	v_lshl_add_u32 v11, v12, 23, v11
	v_or3_b32 v7, v10, v11, v7
	v_cvt_f64_f32_e32 v[72:73], v7
.LBB222_3513:
	s_or_b64 exec, exec, s[12:13]
	s_mov_b64 s[6:7], 0
	s_branch .LBB222_3519
.LBB222_3514:
	s_mov_b64 s[6:7], -1
                                        ; implicit-def: $vgpr72_vgpr73
	s_branch .LBB222_3525
.LBB222_3515:
	s_or_saveexec_b64 s[16:17], s[16:17]
	v_pk_mov_b32 v[72:73], s[14:15], s[14:15] op_sel:[0,1]
	s_xor_b64 exec, exec, s[16:17]
	s_cbranch_execz .LBB222_3498
.LBB222_3516:
	v_cmp_ne_u16_e32 vcc, 0, v7
	s_andn2_b64 s[12:13], s[12:13], exec
	s_and_b64 s[14:15], vcc, exec
	v_pk_mov_b32 v[72:73], 0, 0
	s_or_b64 s[12:13], s[12:13], s[14:15]
	s_or_b64 exec, exec, s[16:17]
	s_and_saveexec_b64 s[14:15], s[12:13]
	s_cbranch_execnz .LBB222_3499
	s_branch .LBB222_3500
.LBB222_3517:
	s_mov_b64 s[6:7], -1
                                        ; implicit-def: $vgpr72_vgpr73
	s_branch .LBB222_3522
.LBB222_3518:
	s_mov_b64 s[6:7], -1
                                        ; implicit-def: $vgpr72_vgpr73
.LBB222_3519:
	s_and_b64 vcc, exec, s[6:7]
	s_cbranch_vccz .LBB222_3521
; %bb.3520:
	global_load_ubyte v7, v[8:9], off
	s_mov_b32 s6, 0x7f800000
	s_waitcnt vmcnt(0)
	v_lshlrev_b32_e32 v7, 24, v7
	v_and_b32_e32 v10, 0x7f000000, v7
	v_ffbh_u32_e32 v11, v10
	v_min_u32_e32 v11, 32, v11
	v_sub_u32_e64 v11, v11, 4 clamp
	v_lshlrev_b32_e32 v13, v11, v10
	v_lshlrev_b32_e32 v11, 23, v11
	v_lshrrev_b32_e32 v13, 4, v13
	v_add_u32_e32 v12, 0x1000000, v10
	v_sub_u32_e32 v11, v13, v11
	v_ashrrev_i32_e32 v12, 8, v12
	v_add_u32_e32 v11, 0x3c000000, v11
	v_and_or_b32 v11, v12, s6, v11
	v_cmp_ne_u32_e32 vcc, 0, v10
	v_cndmask_b32_e32 v10, 0, v11, vcc
	s_brev_b32 s6, 1
	v_and_or_b32 v7, v7, s6, v10
	v_cvt_f64_f32_e32 v[72:73], v7
.LBB222_3521:
	s_mov_b64 s[6:7], 0
.LBB222_3522:
	s_andn2_b64 vcc, exec, s[6:7]
	s_cbranch_vccnz .LBB222_3524
; %bb.3523:
	global_load_ubyte v7, v[8:9], off
	s_movk_i32 s6, 0x7f00
	s_brev_b32 s7, 16
	s_waitcnt vmcnt(0)
	v_lshlrev_b16_e32 v10, 8, v7
	v_lshlrev_b32_e32 v7, 25, v7
	v_lshrrev_b32_e32 v11, 4, v7
	v_and_or_b32 v12, v10, s6, 0.5
	v_or_b32_e32 v11, 0x70000000, v11
	v_add_f32_e32 v12, -0.5, v12
	v_mul_f32_e32 v11, 0x7800000, v11
	v_cmp_gt_u32_e32 vcc, s7, v7
	v_bfe_i32 v10, v10, 0, 16
	v_cndmask_b32_e32 v7, v11, v12, vcc
	s_brev_b32 s6, 1
	v_and_or_b32 v7, v10, s6, v7
	v_cvt_f64_f32_e32 v[72:73], v7
.LBB222_3524:
	s_mov_b64 s[6:7], 0
	s_mov_b64 s[12:13], -1
.LBB222_3525:
	s_andn2_b64 vcc, exec, s[6:7]
	s_mov_b64 s[6:7], 0
	s_cbranch_vccnz .LBB222_3536
; %bb.3526:
	v_cmp_gt_i16_e64 s[6:7], s26, 14
	s_and_b64 vcc, exec, s[6:7]
	s_cbranch_vccz .LBB222_3529
; %bb.3527:
	v_cmp_eq_u16_e64 s[4:5], s26, 15
	s_and_b64 vcc, exec, s[4:5]
	s_cbranch_vccz .LBB222_3532
; %bb.3528:
	global_load_ushort v7, v[8:9], off
	s_mov_b64 s[4:5], 0
	s_mov_b64 s[12:13], -1
	s_waitcnt vmcnt(0)
	v_lshlrev_b32_e32 v7, 16, v7
	v_cvt_f64_f32_e32 v[72:73], v7
	s_branch .LBB222_3533
.LBB222_3529:
	s_mov_b64 s[14:15], -1
                                        ; implicit-def: $vgpr72_vgpr73
	s_branch .LBB222_3534
.LBB222_3530:
	s_or_saveexec_b64 s[14:15], s[14:15]
	v_pk_mov_b32 v[72:73], s[12:13], s[12:13] op_sel:[0,1]
	s_xor_b64 exec, exec, s[14:15]
	s_cbranch_execz .LBB222_3511
.LBB222_3531:
	v_cmp_ne_u16_e32 vcc, 0, v7
	s_andn2_b64 s[6:7], s[6:7], exec
	s_and_b64 s[12:13], vcc, exec
	v_pk_mov_b32 v[72:73], 0, 0
	s_or_b64 s[6:7], s[6:7], s[12:13]
	s_or_b64 exec, exec, s[14:15]
	s_and_saveexec_b64 s[12:13], s[6:7]
	s_cbranch_execnz .LBB222_3512
	s_branch .LBB222_3513
.LBB222_3532:
	s_mov_b64 s[4:5], -1
                                        ; implicit-def: $vgpr72_vgpr73
.LBB222_3533:
	s_mov_b64 s[14:15], 0
.LBB222_3534:
	s_mov_b64 s[6:7], 0
	s_and_b64 vcc, exec, s[14:15]
	s_cbranch_vccz .LBB222_3536
; %bb.3535:
	v_cmp_ne_u16_e64 s[4:5], s26, 11
	s_mov_b64 s[6:7], -1
                                        ; implicit-def: $vgpr72_vgpr73
.LBB222_3536:
	s_and_b64 vcc, exec, s[4:5]
	s_cbranch_vccnz .LBB222_3601
; %bb.3537:
	s_andn2_b64 vcc, exec, s[6:7]
	s_cbranch_vccnz .LBB222_3539
.LBB222_3538:
	global_load_ubyte v7, v[8:9], off
	v_mov_b32_e32 v10, 0x3ff00000
	v_mov_b32_e32 v72, 0
	s_mov_b64 s[12:13], -1
	s_waitcnt vmcnt(0)
	v_cmp_ne_u16_e32 vcc, 0, v7
	v_cndmask_b32_e32 v73, 0, v10, vcc
.LBB222_3539:
	s_mov_b64 s[4:5], 0
.LBB222_3540:
	s_and_b64 vcc, exec, s[4:5]
	s_cbranch_vccz .LBB222_3589
; %bb.3541:
	v_cmp_lt_i16_e64 s[4:5], s26, 5
	s_and_b64 vcc, exec, s[4:5]
	s_cbranch_vccnz .LBB222_3546
; %bb.3542:
	v_cmp_lt_i16_e64 s[4:5], s26, 8
	s_and_b64 vcc, exec, s[4:5]
	s_cbranch_vccnz .LBB222_3547
	;; [unrolled: 4-line block ×3, first 2 shown]
; %bb.3544:
	v_cmp_gt_i16_e64 s[4:5], s26, 9
	s_and_b64 vcc, exec, s[4:5]
	s_cbranch_vccz .LBB222_3549
; %bb.3545:
	global_load_dwordx2 v[72:73], v[8:9], off
	s_mov_b64 s[4:5], 0
	s_branch .LBB222_3550
.LBB222_3546:
	s_mov_b64 s[4:5], -1
                                        ; implicit-def: $vgpr72_vgpr73
	s_branch .LBB222_3568
.LBB222_3547:
	s_mov_b64 s[4:5], -1
                                        ; implicit-def: $vgpr72_vgpr73
	s_branch .LBB222_3556
.LBB222_3548:
	s_mov_b64 s[4:5], -1
                                        ; implicit-def: $vgpr72_vgpr73
	s_branch .LBB222_3553
.LBB222_3549:
	s_mov_b64 s[4:5], -1
                                        ; implicit-def: $vgpr72_vgpr73
.LBB222_3550:
	s_andn2_b64 vcc, exec, s[4:5]
	s_cbranch_vccnz .LBB222_3552
; %bb.3551:
	global_load_dword v7, v[8:9], off
	s_waitcnt vmcnt(0)
	v_cvt_f64_f32_e32 v[72:73], v7
.LBB222_3552:
	s_mov_b64 s[4:5], 0
.LBB222_3553:
	s_andn2_b64 vcc, exec, s[4:5]
	s_cbranch_vccnz .LBB222_3555
; %bb.3554:
	global_load_dword v7, v[8:9], off
	s_waitcnt vmcnt(0)
	v_cvt_f32_f16_e32 v7, v7
	v_cvt_f64_f32_e32 v[72:73], v7
.LBB222_3555:
	s_mov_b64 s[4:5], 0
.LBB222_3556:
	s_andn2_b64 vcc, exec, s[4:5]
	s_cbranch_vccnz .LBB222_3567
; %bb.3557:
	v_cmp_lt_i16_e64 s[4:5], s26, 6
	s_and_b64 vcc, exec, s[4:5]
	s_cbranch_vccnz .LBB222_3560
; %bb.3558:
	v_cmp_gt_i16_e64 s[4:5], s26, 6
	s_and_b64 vcc, exec, s[4:5]
	s_cbranch_vccz .LBB222_3561
; %bb.3559:
	global_load_dwordx2 v[72:73], v[8:9], off
	s_mov_b64 s[4:5], 0
	s_branch .LBB222_3562
.LBB222_3560:
	s_mov_b64 s[4:5], -1
                                        ; implicit-def: $vgpr72_vgpr73
	s_branch .LBB222_3565
.LBB222_3561:
	s_mov_b64 s[4:5], -1
                                        ; implicit-def: $vgpr72_vgpr73
.LBB222_3562:
	s_andn2_b64 vcc, exec, s[4:5]
	s_cbranch_vccnz .LBB222_3564
; %bb.3563:
	global_load_dword v7, v[8:9], off
	s_waitcnt vmcnt(0)
	v_cvt_f64_f32_e32 v[72:73], v7
.LBB222_3564:
	s_mov_b64 s[4:5], 0
.LBB222_3565:
	s_andn2_b64 vcc, exec, s[4:5]
	s_cbranch_vccnz .LBB222_3567
; %bb.3566:
	global_load_ushort v7, v[8:9], off
	s_waitcnt vmcnt(0)
	v_cvt_f32_f16_e32 v7, v7
	v_cvt_f64_f32_e32 v[72:73], v7
.LBB222_3567:
	s_mov_b64 s[4:5], 0
.LBB222_3568:
	s_andn2_b64 vcc, exec, s[4:5]
	s_cbranch_vccnz .LBB222_3588
; %bb.3569:
	v_cmp_lt_i16_e64 s[4:5], s26, 2
	s_and_b64 vcc, exec, s[4:5]
	s_cbranch_vccnz .LBB222_3573
; %bb.3570:
	v_cmp_lt_i16_e64 s[4:5], s26, 3
	s_and_b64 vcc, exec, s[4:5]
	s_cbranch_vccnz .LBB222_3574
; %bb.3571:
	v_cmp_gt_i16_e64 s[4:5], s26, 3
	s_and_b64 vcc, exec, s[4:5]
	s_cbranch_vccz .LBB222_3575
; %bb.3572:
	global_load_dwordx2 v[10:11], v[8:9], off
	s_mov_b64 s[4:5], 0
	s_waitcnt vmcnt(0)
	v_cvt_f64_i32_e32 v[12:13], v11
	v_cvt_f64_u32_e32 v[10:11], v10
	v_ldexp_f64 v[12:13], v[12:13], 32
	v_add_f64 v[72:73], v[12:13], v[10:11]
	s_branch .LBB222_3576
.LBB222_3573:
	s_mov_b64 s[4:5], -1
                                        ; implicit-def: $vgpr72_vgpr73
	s_branch .LBB222_3582
.LBB222_3574:
	s_mov_b64 s[4:5], -1
                                        ; implicit-def: $vgpr72_vgpr73
	s_branch .LBB222_3579
.LBB222_3575:
	s_mov_b64 s[4:5], -1
                                        ; implicit-def: $vgpr72_vgpr73
.LBB222_3576:
	s_andn2_b64 vcc, exec, s[4:5]
	s_cbranch_vccnz .LBB222_3578
; %bb.3577:
	global_load_dword v7, v[8:9], off
	s_waitcnt vmcnt(0)
	v_cvt_f64_i32_e32 v[72:73], v7
.LBB222_3578:
	s_mov_b64 s[4:5], 0
.LBB222_3579:
	s_andn2_b64 vcc, exec, s[4:5]
	s_cbranch_vccnz .LBB222_3581
; %bb.3580:
	global_load_sshort v7, v[8:9], off
	s_waitcnt vmcnt(0)
	v_cvt_f64_i32_e32 v[72:73], v7
.LBB222_3581:
	s_mov_b64 s[4:5], 0
.LBB222_3582:
	s_andn2_b64 vcc, exec, s[4:5]
	s_cbranch_vccnz .LBB222_3588
; %bb.3583:
	v_cmp_gt_i16_e64 s[4:5], s26, 0
	s_and_b64 vcc, exec, s[4:5]
	s_cbranch_vccz .LBB222_3585
; %bb.3584:
	global_load_sbyte v7, v[8:9], off
	s_mov_b64 s[4:5], 0
	s_waitcnt vmcnt(0)
	v_cvt_f64_i32_e32 v[72:73], v7
	s_branch .LBB222_3586
.LBB222_3585:
	s_mov_b64 s[4:5], -1
                                        ; implicit-def: $vgpr72_vgpr73
.LBB222_3586:
	s_andn2_b64 vcc, exec, s[4:5]
	s_cbranch_vccnz .LBB222_3588
; %bb.3587:
	global_load_ubyte v7, v[8:9], off
	s_waitcnt vmcnt(0)
	v_cvt_f64_u32_e32 v[72:73], v7
.LBB222_3588:
	s_mov_b64 s[12:13], -1
.LBB222_3589:
	s_andn2_b64 vcc, exec, s[12:13]
	s_cbranch_vccnz .LBB222_4173
; %bb.3590:
	v_mov_b32_e32 v7, s9
	v_add_co_u32_e32 v6, vcc, s8, v6
	v_addc_co_u32_e32 v7, vcc, 0, v7, vcc
	s_and_b64 vcc, exec, s[10:11]
	s_cbranch_vccnz .LBB222_3597
; %bb.3591:
	v_cmp_gt_i16_e64 s[4:5], s27, 25
	s_mov_b64 s[6:7], 0
	s_and_b64 vcc, exec, s[4:5]
	s_cbranch_vccz .LBB222_3598
; %bb.3592:
	v_cmp_gt_i16_e64 s[4:5], s27, 28
	s_and_b64 vcc, exec, s[4:5]
	s_cbranch_vccz .LBB222_3599
; %bb.3593:
	v_cmp_gt_i16_e64 s[4:5], s27, 43
	s_and_b64 vcc, exec, s[4:5]
	s_cbranch_vccz .LBB222_3600
; %bb.3594:
	v_cmp_gt_i16_e64 s[4:5], s27, 45
	s_and_b64 vcc, exec, s[4:5]
	s_cbranch_vccz .LBB222_3602
; %bb.3595:
	v_cmp_eq_u16_e64 s[4:5], s27, 46
	s_mov_b64 s[10:11], 0
	s_and_b64 vcc, exec, s[4:5]
	s_cbranch_vccz .LBB222_3603
; %bb.3596:
	global_load_dword v8, v[6:7], off
	s_mov_b64 s[4:5], 0
	s_mov_b64 s[8:9], -1
	s_waitcnt vmcnt(0)
	v_lshlrev_b32_e32 v8, 16, v8
	v_cvt_f64_f32_e32 v[74:75], v8
	s_branch .LBB222_3604
.LBB222_3597:
	s_mov_b64 s[4:5], -1
	s_mov_b64 s[8:9], 0
                                        ; implicit-def: $vgpr74_vgpr75
	s_branch .LBB222_3670
.LBB222_3598:
	s_mov_b64 s[10:11], -1
	s_mov_b64 s[8:9], 0
	s_mov_b64 s[4:5], 0
                                        ; implicit-def: $vgpr74_vgpr75
	s_branch .LBB222_3633
.LBB222_3599:
	s_mov_b64 s[10:11], -1
	s_mov_b64 s[8:9], 0
	s_mov_b64 s[4:5], 0
                                        ; implicit-def: $vgpr74_vgpr75
	s_branch .LBB222_3614
.LBB222_3600:
	s_mov_b64 s[10:11], -1
	s_mov_b64 s[8:9], 0
	s_mov_b64 s[4:5], 0
                                        ; implicit-def: $vgpr74_vgpr75
	s_branch .LBB222_3609
.LBB222_3601:
	s_trap 2
	s_or_b64 s[90:91], s[90:91], exec
                                        ; implicit-def: $vgpr72_vgpr73
	s_cbranch_execz .LBB222_3538
	s_branch .LBB222_3539
.LBB222_3602:
	s_mov_b64 s[10:11], -1
	s_mov_b64 s[8:9], 0
	s_mov_b64 s[4:5], 0
                                        ; implicit-def: $vgpr74_vgpr75
	s_branch .LBB222_3604
.LBB222_3603:
	s_mov_b64 s[4:5], -1
                                        ; implicit-def: $vgpr74_vgpr75
	s_mov_b64 s[8:9], 0
.LBB222_3604:
	s_and_b64 vcc, exec, s[10:11]
	s_cbranch_vccz .LBB222_3608
; %bb.3605:
	v_cmp_eq_u16_e64 s[4:5], s27, 44
	s_and_b64 vcc, exec, s[4:5]
	s_cbranch_vccz .LBB222_3607
; %bb.3606:
	global_load_ubyte v10, v[6:7], off
	s_movk_i32 s8, 0xff
	v_bfrev_b32_e32 v11, 4
	v_mov_b32_e32 v12, 0x7ff80000
	v_bfrev_b32_e32 v13, 28
	s_mov_b64 s[4:5], 0
	s_waitcnt vmcnt(0)
	v_lshlrev_b32_e32 v8, 23, v10
	v_cvt_f64_f32_e32 v[8:9], v8
	v_cmp_ne_u32_e32 vcc, s8, v10
	v_cndmask_b32_e32 v8, v11, v8, vcc
	v_cndmask_b32_e32 v9, v12, v9, vcc
	v_cmp_ne_u32_e32 vcc, 0, v10
	v_cndmask_b32_e32 v75, v13, v9, vcc
	v_cndmask_b32_e32 v74, 0, v8, vcc
	s_mov_b64 s[8:9], -1
	s_branch .LBB222_3608
.LBB222_3607:
	s_mov_b64 s[4:5], -1
                                        ; implicit-def: $vgpr74_vgpr75
.LBB222_3608:
	s_mov_b64 s[10:11], 0
.LBB222_3609:
	s_and_b64 vcc, exec, s[10:11]
	s_cbranch_vccz .LBB222_3613
; %bb.3610:
	v_cmp_eq_u16_e64 s[4:5], s27, 29
	s_and_b64 vcc, exec, s[4:5]
	s_cbranch_vccz .LBB222_3612
; %bb.3611:
	global_load_dwordx2 v[8:9], v[6:7], off
	s_mov_b64 s[4:5], 0
	s_mov_b64 s[8:9], -1
	s_mov_b64 s[10:11], 0
	s_waitcnt vmcnt(0)
	v_cvt_f64_u32_e32 v[10:11], v9
	v_cvt_f64_u32_e32 v[8:9], v8
	v_ldexp_f64 v[10:11], v[10:11], 32
	v_add_f64 v[74:75], v[10:11], v[8:9]
	s_branch .LBB222_3614
.LBB222_3612:
	s_mov_b64 s[4:5], -1
                                        ; implicit-def: $vgpr74_vgpr75
.LBB222_3613:
	s_mov_b64 s[10:11], 0
.LBB222_3614:
	s_and_b64 vcc, exec, s[10:11]
	s_cbranch_vccz .LBB222_3632
; %bb.3615:
	v_cmp_lt_i16_e64 s[8:9], s27, 27
	s_and_b64 vcc, exec, s[8:9]
	s_cbranch_vccnz .LBB222_3618
; %bb.3616:
	v_cmp_gt_i16_e64 s[8:9], s27, 27
	s_and_b64 vcc, exec, s[8:9]
	s_cbranch_vccz .LBB222_3619
; %bb.3617:
	global_load_dword v8, v[6:7], off
	s_mov_b64 s[8:9], 0
	s_waitcnt vmcnt(0)
	v_cvt_f64_u32_e32 v[74:75], v8
	s_branch .LBB222_3620
.LBB222_3618:
	s_mov_b64 s[8:9], -1
                                        ; implicit-def: $vgpr74_vgpr75
	s_branch .LBB222_3623
.LBB222_3619:
	s_mov_b64 s[8:9], -1
                                        ; implicit-def: $vgpr74_vgpr75
.LBB222_3620:
	s_andn2_b64 vcc, exec, s[8:9]
	s_cbranch_vccnz .LBB222_3622
; %bb.3621:
	global_load_ushort v8, v[6:7], off
	s_waitcnt vmcnt(0)
	v_cvt_f64_u32_e32 v[74:75], v8
.LBB222_3622:
	s_mov_b64 s[8:9], 0
.LBB222_3623:
	s_andn2_b64 vcc, exec, s[8:9]
	s_cbranch_vccnz .LBB222_3631
; %bb.3624:
	global_load_ubyte v8, v[6:7], off
	s_movk_i32 s8, 0x7f
                                        ; implicit-def: $sgpr10_sgpr11
	s_waitcnt vmcnt(0)
	v_cmp_lt_i16_e32 vcc, s8, v8
	s_mov_b64 s[8:9], 0
	s_and_saveexec_b64 s[12:13], vcc
	s_xor_b64 s[12:13], exec, s[12:13]
	s_cbranch_execz .LBB222_3645
; %bb.3625:
	s_movk_i32 s8, 0x80
	v_cmp_eq_u16_e32 vcc, s8, v8
	s_mov_b64 s[14:15], -1
                                        ; implicit-def: $sgpr10_sgpr11
	s_and_saveexec_b64 s[8:9], vcc
; %bb.3626:
	s_mov_b32 s11, 0x7ff80000
	s_brev_b32 s10, 4
	s_xor_b64 s[14:15], exec, -1
; %bb.3627:
	s_or_b64 exec, exec, s[8:9]
	s_and_b64 s[8:9], s[14:15], exec
	s_or_saveexec_b64 s[12:13], s[12:13]
	v_pk_mov_b32 v[74:75], s[10:11], s[10:11] op_sel:[0,1]
	s_xor_b64 exec, exec, s[12:13]
	s_cbranch_execnz .LBB222_3646
.LBB222_3628:
	s_or_b64 exec, exec, s[12:13]
	s_and_saveexec_b64 s[10:11], s[8:9]
	s_cbranch_execz .LBB222_3630
.LBB222_3629:
	v_lshlrev_b32_e32 v9, 24, v8
	v_and_b32_e32 v8, 0xffff, v8
	v_and_b32_e32 v10, 7, v8
	v_ffbh_u32_e32 v12, v10
	v_min_u32_e32 v12, 32, v12
	v_subrev_u32_e32 v13, 28, v12
	v_bfe_u32 v11, v8, 3, 4
	v_lshlrev_b32_e32 v8, v13, v8
	v_sub_u32_e32 v12, 29, v12
	v_and_b32_e32 v8, 7, v8
	v_cmp_eq_u32_e32 vcc, 0, v11
	v_cndmask_b32_e32 v11, v11, v12, vcc
	v_cndmask_b32_e32 v8, v10, v8, vcc
	v_mov_b32_e32 v10, 0x3b800000
	v_lshlrev_b32_e32 v8, 20, v8
	v_and_b32_e32 v9, 0x80000000, v9
	v_lshl_add_u32 v10, v11, 23, v10
	v_or3_b32 v8, v9, v10, v8
	v_cvt_f64_f32_e32 v[74:75], v8
.LBB222_3630:
	s_or_b64 exec, exec, s[10:11]
.LBB222_3631:
	s_mov_b64 s[8:9], -1
.LBB222_3632:
	s_mov_b64 s[10:11], 0
.LBB222_3633:
	s_and_b64 vcc, exec, s[10:11]
	s_cbranch_vccz .LBB222_3666
; %bb.3634:
	v_cmp_gt_i16_e64 s[6:7], s27, 22
	s_and_b64 vcc, exec, s[6:7]
	s_cbranch_vccz .LBB222_3644
; %bb.3635:
	v_cmp_lt_i16_e64 s[6:7], s27, 24
	s_and_b64 vcc, exec, s[6:7]
	s_cbranch_vccnz .LBB222_3647
; %bb.3636:
	v_cmp_gt_i16_e64 s[6:7], s27, 24
	s_and_b64 vcc, exec, s[6:7]
	s_cbranch_vccz .LBB222_3648
; %bb.3637:
	global_load_ubyte v8, v[6:7], off
	s_movk_i32 s6, 0x7f
                                        ; implicit-def: $sgpr8_sgpr9
	s_waitcnt vmcnt(0)
	v_cmp_lt_i16_e32 vcc, s6, v8
	s_mov_b64 s[6:7], 0
	s_and_saveexec_b64 s[10:11], vcc
	s_xor_b64 s[10:11], exec, s[10:11]
	s_cbranch_execz .LBB222_3660
; %bb.3638:
	s_movk_i32 s6, 0x80
	v_cmp_eq_u16_e32 vcc, s6, v8
	s_mov_b64 s[12:13], -1
                                        ; implicit-def: $sgpr8_sgpr9
	s_and_saveexec_b64 s[6:7], vcc
; %bb.3639:
	s_mov_b32 s9, 0x7ff80000
	s_brev_b32 s8, 4
	s_xor_b64 s[12:13], exec, -1
; %bb.3640:
	s_or_b64 exec, exec, s[6:7]
	s_and_b64 s[6:7], s[12:13], exec
	s_or_saveexec_b64 s[10:11], s[10:11]
	v_pk_mov_b32 v[74:75], s[8:9], s[8:9] op_sel:[0,1]
	s_xor_b64 exec, exec, s[10:11]
	s_cbranch_execnz .LBB222_3661
.LBB222_3641:
	s_or_b64 exec, exec, s[10:11]
	s_and_saveexec_b64 s[8:9], s[6:7]
	s_cbranch_execz .LBB222_3643
.LBB222_3642:
	v_lshlrev_b32_e32 v9, 24, v8
	v_and_b32_e32 v8, 0xffff, v8
	v_and_b32_e32 v10, 3, v8
	v_ffbh_u32_e32 v12, v10
	v_min_u32_e32 v12, 32, v12
	v_subrev_u32_e32 v13, 29, v12
	v_bfe_u32 v11, v8, 2, 5
	v_lshlrev_b32_e32 v8, v13, v8
	v_sub_u32_e32 v12, 30, v12
	v_and_b32_e32 v8, 3, v8
	v_cmp_eq_u32_e32 vcc, 0, v11
	v_cndmask_b32_e32 v11, v11, v12, vcc
	v_cndmask_b32_e32 v8, v10, v8, vcc
	v_mov_b32_e32 v10, 0x37800000
	v_lshlrev_b32_e32 v8, 21, v8
	v_and_b32_e32 v9, 0x80000000, v9
	v_lshl_add_u32 v10, v11, 23, v10
	v_or3_b32 v8, v9, v10, v8
	v_cvt_f64_f32_e32 v[74:75], v8
.LBB222_3643:
	s_or_b64 exec, exec, s[8:9]
	s_mov_b64 s[6:7], 0
	s_branch .LBB222_3649
.LBB222_3644:
	s_mov_b64 s[6:7], -1
                                        ; implicit-def: $vgpr74_vgpr75
	s_branch .LBB222_3655
.LBB222_3645:
	s_or_saveexec_b64 s[12:13], s[12:13]
	v_pk_mov_b32 v[74:75], s[10:11], s[10:11] op_sel:[0,1]
	s_xor_b64 exec, exec, s[12:13]
	s_cbranch_execz .LBB222_3628
.LBB222_3646:
	v_cmp_ne_u16_e32 vcc, 0, v8
	s_andn2_b64 s[8:9], s[8:9], exec
	s_and_b64 s[10:11], vcc, exec
	v_pk_mov_b32 v[74:75], 0, 0
	s_or_b64 s[8:9], s[8:9], s[10:11]
	s_or_b64 exec, exec, s[12:13]
	s_and_saveexec_b64 s[10:11], s[8:9]
	s_cbranch_execnz .LBB222_3629
	s_branch .LBB222_3630
.LBB222_3647:
	s_mov_b64 s[6:7], -1
                                        ; implicit-def: $vgpr74_vgpr75
	s_branch .LBB222_3652
.LBB222_3648:
	s_mov_b64 s[6:7], -1
                                        ; implicit-def: $vgpr74_vgpr75
.LBB222_3649:
	s_and_b64 vcc, exec, s[6:7]
	s_cbranch_vccz .LBB222_3651
; %bb.3650:
	global_load_ubyte v8, v[6:7], off
	s_mov_b32 s6, 0x7f800000
	s_waitcnt vmcnt(0)
	v_lshlrev_b32_e32 v8, 24, v8
	v_and_b32_e32 v9, 0x7f000000, v8
	v_ffbh_u32_e32 v10, v9
	v_min_u32_e32 v10, 32, v10
	v_sub_u32_e64 v10, v10, 4 clamp
	v_lshlrev_b32_e32 v12, v10, v9
	v_lshlrev_b32_e32 v10, 23, v10
	v_lshrrev_b32_e32 v12, 4, v12
	v_add_u32_e32 v11, 0x1000000, v9
	v_sub_u32_e32 v10, v12, v10
	v_ashrrev_i32_e32 v11, 8, v11
	v_add_u32_e32 v10, 0x3c000000, v10
	v_and_or_b32 v10, v11, s6, v10
	v_cmp_ne_u32_e32 vcc, 0, v9
	v_cndmask_b32_e32 v9, 0, v10, vcc
	s_brev_b32 s6, 1
	v_and_or_b32 v8, v8, s6, v9
	v_cvt_f64_f32_e32 v[74:75], v8
.LBB222_3651:
	s_mov_b64 s[6:7], 0
.LBB222_3652:
	s_andn2_b64 vcc, exec, s[6:7]
	s_cbranch_vccnz .LBB222_3654
; %bb.3653:
	global_load_ubyte v8, v[6:7], off
	s_movk_i32 s6, 0x7f00
	s_brev_b32 s7, 16
	s_waitcnt vmcnt(0)
	v_lshlrev_b16_e32 v9, 8, v8
	v_lshlrev_b32_e32 v8, 25, v8
	v_lshrrev_b32_e32 v10, 4, v8
	v_and_or_b32 v11, v9, s6, 0.5
	v_or_b32_e32 v10, 0x70000000, v10
	v_add_f32_e32 v11, -0.5, v11
	v_mul_f32_e32 v10, 0x7800000, v10
	v_cmp_gt_u32_e32 vcc, s7, v8
	v_bfe_i32 v9, v9, 0, 16
	v_cndmask_b32_e32 v8, v10, v11, vcc
	s_brev_b32 s6, 1
	v_and_or_b32 v8, v9, s6, v8
	v_cvt_f64_f32_e32 v[74:75], v8
.LBB222_3654:
	s_mov_b64 s[6:7], 0
	s_mov_b64 s[8:9], -1
.LBB222_3655:
	s_andn2_b64 vcc, exec, s[6:7]
	s_mov_b64 s[6:7], 0
	s_cbranch_vccnz .LBB222_3666
; %bb.3656:
	v_cmp_gt_i16_e64 s[6:7], s27, 14
	s_and_b64 vcc, exec, s[6:7]
	s_cbranch_vccz .LBB222_3659
; %bb.3657:
	v_cmp_eq_u16_e64 s[4:5], s27, 15
	s_and_b64 vcc, exec, s[4:5]
	s_cbranch_vccz .LBB222_3662
; %bb.3658:
	global_load_ushort v8, v[6:7], off
	s_mov_b64 s[4:5], 0
	s_mov_b64 s[8:9], -1
	s_waitcnt vmcnt(0)
	v_lshlrev_b32_e32 v8, 16, v8
	v_cvt_f64_f32_e32 v[74:75], v8
	s_branch .LBB222_3663
.LBB222_3659:
	s_mov_b64 s[10:11], -1
                                        ; implicit-def: $vgpr74_vgpr75
	s_branch .LBB222_3664
.LBB222_3660:
	s_or_saveexec_b64 s[10:11], s[10:11]
	v_pk_mov_b32 v[74:75], s[8:9], s[8:9] op_sel:[0,1]
	s_xor_b64 exec, exec, s[10:11]
	s_cbranch_execz .LBB222_3641
.LBB222_3661:
	v_cmp_ne_u16_e32 vcc, 0, v8
	s_andn2_b64 s[6:7], s[6:7], exec
	s_and_b64 s[8:9], vcc, exec
	v_pk_mov_b32 v[74:75], 0, 0
	s_or_b64 s[6:7], s[6:7], s[8:9]
	s_or_b64 exec, exec, s[10:11]
	s_and_saveexec_b64 s[8:9], s[6:7]
	s_cbranch_execnz .LBB222_3642
	s_branch .LBB222_3643
.LBB222_3662:
	s_mov_b64 s[4:5], -1
                                        ; implicit-def: $vgpr74_vgpr75
.LBB222_3663:
	s_mov_b64 s[10:11], 0
.LBB222_3664:
	s_mov_b64 s[6:7], 0
	s_and_b64 vcc, exec, s[10:11]
	s_cbranch_vccz .LBB222_3666
; %bb.3665:
	v_cmp_ne_u16_e64 s[4:5], s27, 11
	s_mov_b64 s[6:7], -1
                                        ; implicit-def: $vgpr74_vgpr75
.LBB222_3666:
	s_and_b64 vcc, exec, s[4:5]
	s_cbranch_vccnz .LBB222_3730
; %bb.3667:
	s_andn2_b64 vcc, exec, s[6:7]
	s_cbranch_vccnz .LBB222_3669
.LBB222_3668:
	global_load_ubyte v8, v[6:7], off
	v_mov_b32_e32 v9, 0x3ff00000
	v_mov_b32_e32 v74, 0
	s_mov_b64 s[8:9], -1
	s_waitcnt vmcnt(0)
	v_cmp_ne_u16_e32 vcc, 0, v8
	v_cndmask_b32_e32 v75, 0, v9, vcc
.LBB222_3669:
	s_mov_b64 s[4:5], 0
.LBB222_3670:
	s_and_b64 vcc, exec, s[4:5]
	s_cbranch_vccz .LBB222_3719
; %bb.3671:
	v_cmp_lt_i16_e64 s[4:5], s27, 5
	s_and_b64 vcc, exec, s[4:5]
	s_cbranch_vccnz .LBB222_3676
; %bb.3672:
	v_cmp_lt_i16_e64 s[4:5], s27, 8
	s_and_b64 vcc, exec, s[4:5]
	s_cbranch_vccnz .LBB222_3677
	;; [unrolled: 4-line block ×3, first 2 shown]
; %bb.3674:
	v_cmp_gt_i16_e64 s[4:5], s27, 9
	s_and_b64 vcc, exec, s[4:5]
	s_cbranch_vccz .LBB222_3679
; %bb.3675:
	global_load_dwordx2 v[74:75], v[6:7], off
	s_mov_b64 s[4:5], 0
	s_branch .LBB222_3680
.LBB222_3676:
	s_mov_b64 s[4:5], -1
                                        ; implicit-def: $vgpr74_vgpr75
	s_branch .LBB222_3698
.LBB222_3677:
	s_mov_b64 s[4:5], -1
                                        ; implicit-def: $vgpr74_vgpr75
	s_branch .LBB222_3686
.LBB222_3678:
	s_mov_b64 s[4:5], -1
                                        ; implicit-def: $vgpr74_vgpr75
	s_branch .LBB222_3683
.LBB222_3679:
	s_mov_b64 s[4:5], -1
                                        ; implicit-def: $vgpr74_vgpr75
.LBB222_3680:
	s_andn2_b64 vcc, exec, s[4:5]
	s_cbranch_vccnz .LBB222_3682
; %bb.3681:
	global_load_dword v8, v[6:7], off
	s_waitcnt vmcnt(0)
	v_cvt_f64_f32_e32 v[74:75], v8
.LBB222_3682:
	s_mov_b64 s[4:5], 0
.LBB222_3683:
	s_andn2_b64 vcc, exec, s[4:5]
	s_cbranch_vccnz .LBB222_3685
; %bb.3684:
	global_load_dword v8, v[6:7], off
	s_waitcnt vmcnt(0)
	v_cvt_f32_f16_e32 v8, v8
	v_cvt_f64_f32_e32 v[74:75], v8
.LBB222_3685:
	s_mov_b64 s[4:5], 0
.LBB222_3686:
	s_andn2_b64 vcc, exec, s[4:5]
	s_cbranch_vccnz .LBB222_3697
; %bb.3687:
	v_cmp_lt_i16_e64 s[4:5], s27, 6
	s_and_b64 vcc, exec, s[4:5]
	s_cbranch_vccnz .LBB222_3690
; %bb.3688:
	v_cmp_gt_i16_e64 s[4:5], s27, 6
	s_and_b64 vcc, exec, s[4:5]
	s_cbranch_vccz .LBB222_3691
; %bb.3689:
	global_load_dwordx2 v[74:75], v[6:7], off
	s_mov_b64 s[4:5], 0
	s_branch .LBB222_3692
.LBB222_3690:
	s_mov_b64 s[4:5], -1
                                        ; implicit-def: $vgpr74_vgpr75
	s_branch .LBB222_3695
.LBB222_3691:
	s_mov_b64 s[4:5], -1
                                        ; implicit-def: $vgpr74_vgpr75
.LBB222_3692:
	s_andn2_b64 vcc, exec, s[4:5]
	s_cbranch_vccnz .LBB222_3694
; %bb.3693:
	global_load_dword v8, v[6:7], off
	s_waitcnt vmcnt(0)
	v_cvt_f64_f32_e32 v[74:75], v8
.LBB222_3694:
	s_mov_b64 s[4:5], 0
.LBB222_3695:
	s_andn2_b64 vcc, exec, s[4:5]
	s_cbranch_vccnz .LBB222_3697
; %bb.3696:
	global_load_ushort v8, v[6:7], off
	s_waitcnt vmcnt(0)
	v_cvt_f32_f16_e32 v8, v8
	v_cvt_f64_f32_e32 v[74:75], v8
.LBB222_3697:
	s_mov_b64 s[4:5], 0
.LBB222_3698:
	s_andn2_b64 vcc, exec, s[4:5]
	s_cbranch_vccnz .LBB222_3718
; %bb.3699:
	v_cmp_lt_i16_e64 s[4:5], s27, 2
	s_and_b64 vcc, exec, s[4:5]
	s_cbranch_vccnz .LBB222_3703
; %bb.3700:
	v_cmp_lt_i16_e64 s[4:5], s27, 3
	s_and_b64 vcc, exec, s[4:5]
	s_cbranch_vccnz .LBB222_3704
; %bb.3701:
	v_cmp_gt_i16_e64 s[4:5], s27, 3
	s_and_b64 vcc, exec, s[4:5]
	s_cbranch_vccz .LBB222_3705
; %bb.3702:
	global_load_dwordx2 v[8:9], v[6:7], off
	s_mov_b64 s[4:5], 0
	s_waitcnt vmcnt(0)
	v_cvt_f64_i32_e32 v[10:11], v9
	v_cvt_f64_u32_e32 v[8:9], v8
	v_ldexp_f64 v[10:11], v[10:11], 32
	v_add_f64 v[74:75], v[10:11], v[8:9]
	s_branch .LBB222_3706
.LBB222_3703:
	s_mov_b64 s[4:5], -1
                                        ; implicit-def: $vgpr74_vgpr75
	s_branch .LBB222_3712
.LBB222_3704:
	s_mov_b64 s[4:5], -1
                                        ; implicit-def: $vgpr74_vgpr75
	s_branch .LBB222_3709
.LBB222_3705:
	s_mov_b64 s[4:5], -1
                                        ; implicit-def: $vgpr74_vgpr75
.LBB222_3706:
	s_andn2_b64 vcc, exec, s[4:5]
	s_cbranch_vccnz .LBB222_3708
; %bb.3707:
	global_load_dword v8, v[6:7], off
	s_waitcnt vmcnt(0)
	v_cvt_f64_i32_e32 v[74:75], v8
.LBB222_3708:
	s_mov_b64 s[4:5], 0
.LBB222_3709:
	s_andn2_b64 vcc, exec, s[4:5]
	s_cbranch_vccnz .LBB222_3711
; %bb.3710:
	global_load_sshort v8, v[6:7], off
	s_waitcnt vmcnt(0)
	v_cvt_f64_i32_e32 v[74:75], v8
.LBB222_3711:
	s_mov_b64 s[4:5], 0
.LBB222_3712:
	s_andn2_b64 vcc, exec, s[4:5]
	s_cbranch_vccnz .LBB222_3718
; %bb.3713:
	v_cmp_gt_i16_e64 s[4:5], s27, 0
	s_and_b64 vcc, exec, s[4:5]
	s_cbranch_vccz .LBB222_3715
; %bb.3714:
	global_load_sbyte v8, v[6:7], off
	s_mov_b64 s[4:5], 0
	s_waitcnt vmcnt(0)
	v_cvt_f64_i32_e32 v[74:75], v8
	s_branch .LBB222_3716
.LBB222_3715:
	s_mov_b64 s[4:5], -1
                                        ; implicit-def: $vgpr74_vgpr75
.LBB222_3716:
	s_andn2_b64 vcc, exec, s[4:5]
	s_cbranch_vccnz .LBB222_3718
; %bb.3717:
	global_load_ubyte v6, v[6:7], off
	s_waitcnt vmcnt(0)
	v_cvt_f64_u32_e32 v[74:75], v6
.LBB222_3718:
	s_mov_b64 s[8:9], -1
.LBB222_3719:
	s_andn2_b64 vcc, exec, s[8:9]
	s_cbranch_vccnz .LBB222_4173
; %bb.3720:
	s_lshr_b32 s33, s24, 8
	s_getpc_b64 s[4:5]
	s_add_u32 s4, s4, _ZZZZN2at6native28launch_dirichlet_grad_kernelERNS_18TensorIteratorBaseEENKUlvE_clEvENKUlvE_clEvENKUldddE_clEddd@rel32@lo+4
	s_addc_u32 s5, s5, _ZZZZN2at6native28launch_dirichlet_grad_kernelERNS_18TensorIteratorBaseEENKUlvE_clEvENKUlvE_clEvENKUldddE_clEddd@rel32@hi+12
	s_mov_b64 s[88:89], s[36:37]
	s_swappc_b64 s[30:31], s[4:5]
	s_mov_b64 s[4:5], s[88:89]
	v_mov_b32_e32 v2, s5
	v_add_co_u32_e32 v4, vcc, s4, v84
	v_addc_co_u32_e32 v5, vcc, 0, v2, vcc
	v_mov_b32_e32 v2, 11
	v_cmp_lt_i16_sdwa s[4:5], s33, v2 src0_sel:BYTE_0 src1_sel:DWORD
	s_and_b64 vcc, exec, s[4:5]
	s_cbranch_vccnz .LBB222_3727
; %bb.3721:
	v_mov_b32_e32 v2, 25
	v_cmp_gt_i16_sdwa s[4:5], s33, v2 src0_sel:BYTE_0 src1_sel:DWORD
	s_mov_b64 s[10:11], -1
	s_mov_b64 s[6:7], 0
	s_and_b64 vcc, exec, s[4:5]
	s_mov_b64 s[8:9], 0
	s_mov_b64 s[4:5], 0
	s_cbranch_vccz .LBB222_3759
; %bb.3722:
	v_mov_b32_e32 v2, 28
	v_cmp_gt_i16_sdwa s[4:5], s33, v2 src0_sel:BYTE_0 src1_sel:DWORD
	s_and_b64 vcc, exec, s[4:5]
	s_cbranch_vccz .LBB222_3728
; %bb.3723:
	v_mov_b32_e32 v2, 43
	v_cmp_gt_i16_sdwa s[4:5], s33, v2 src0_sel:BYTE_0 src1_sel:DWORD
	s_and_b64 vcc, exec, s[4:5]
	;; [unrolled: 5-line block ×3, first 2 shown]
	s_cbranch_vccz .LBB222_3731
; %bb.3725:
	v_mov_b32_e32 v2, 46
	v_cmp_eq_u16_sdwa s[8:9], s33, v2 src0_sel:BYTE_0 src1_sel:DWORD
	s_mov_b64 s[4:5], -1
	s_mov_b64 s[10:11], 0
	s_and_b64 vcc, exec, s[8:9]
	s_mov_b64 s[8:9], 0
	s_cbranch_vccz .LBB222_3732
; %bb.3726:
	v_cvt_f32_f64_e32 v2, v[0:1]
	v_bfe_u32 v3, v2, 16, 1
	s_movk_i32 s4, 0x7fff
	v_add3_u32 v3, v2, v3, s4
	v_lshrrev_b32_e32 v3, 16, v3
	v_mov_b32_e32 v6, 0x7fc0
	v_cmp_o_f32_e32 vcc, v2, v2
	v_cndmask_b32_e32 v2, v6, v3, vcc
	global_store_dword v[4:5], v2, off
	s_mov_b64 s[4:5], 0
	s_mov_b64 s[8:9], -1
	s_branch .LBB222_3732
.LBB222_3727:
	s_mov_b64 s[4:5], -1
	s_mov_b64 s[8:9], 0
	s_branch .LBB222_3803
.LBB222_3728:
	s_mov_b64 s[4:5], 0
	s_branch .LBB222_3742
.LBB222_3729:
	s_mov_b64 s[4:5], 0
	s_branch .LBB222_3738
.LBB222_3730:
	s_trap 2
	s_or_b64 s[90:91], s[90:91], exec
                                        ; implicit-def: $vgpr74_vgpr75
	s_cbranch_execz .LBB222_3668
	s_branch .LBB222_3669
.LBB222_3731:
	s_mov_b64 s[4:5], 0
.LBB222_3732:
	s_and_b64 vcc, exec, s[10:11]
	s_cbranch_vccz .LBB222_3737
; %bb.3733:
	v_mov_b32_e32 v2, 44
	v_cmp_eq_u16_sdwa s[10:11], s33, v2 src0_sel:BYTE_0 src1_sel:DWORD
	s_mov_b64 s[4:5], -1
	s_and_b64 vcc, exec, s[10:11]
	s_cbranch_vccz .LBB222_3737
; %bb.3734:
	v_cvt_f32_f64_e32 v2, v[0:1]
	v_bfe_u32 v3, v2, 23, 8
	s_movk_i32 s4, 0xff
	v_cmp_ne_u32_e32 vcc, s4, v3
	v_mov_b32_e32 v6, 0xff
	s_and_saveexec_b64 s[8:9], vcc
; %bb.3735:
	s_mov_b32 s4, 0x3fffff
	v_lshrrev_b32_e32 v6, 23, v2
	v_and_b32_e32 v7, 0x400000, v2
	v_and_or_b32 v2, v2, s4, v3
	v_cmp_ne_u32_e32 vcc, 0, v7
	v_cmp_ne_u32_e64 s[4:5], 0, v2
	s_and_b64 s[4:5], vcc, s[4:5]
	v_cndmask_b32_e64 v2, 0, 1, s[4:5]
	v_add_u32_e32 v6, v6, v2
; %bb.3736:
	s_or_b64 exec, exec, s[8:9]
	s_mov_b64 s[4:5], 0
	s_mov_b64 s[8:9], -1
	global_store_byte v[4:5], v6, off
.LBB222_3737:
	s_mov_b64 s[10:11], 0
.LBB222_3738:
	s_and_b64 vcc, exec, s[10:11]
	s_cbranch_vccz .LBB222_3741
; %bb.3739:
	v_mov_b32_e32 v2, 29
	v_cmp_eq_u16_sdwa s[10:11], s33, v2 src0_sel:BYTE_0 src1_sel:DWORD
	s_mov_b64 s[4:5], -1
	s_and_b64 vcc, exec, s[10:11]
	s_cbranch_vccz .LBB222_3741
; %bb.3740:
	v_trunc_f64_e32 v[2:3], v[0:1]
	s_movk_i32 s4, 0xffe0
	v_ldexp_f64 v[6:7], v[2:3], s4
	v_floor_f64_e32 v[6:7], v[6:7]
	v_fmac_f64_e32 v[2:3], 0xc1f00000, v[6:7]
	v_cvt_u32_f64_e32 v9, v[6:7]
	v_cvt_u32_f64_e32 v8, v[2:3]
	global_store_dwordx2 v[4:5], v[8:9], off
	s_mov_b64 s[4:5], 0
	s_mov_b64 s[8:9], -1
.LBB222_3741:
	s_mov_b64 s[10:11], 0
.LBB222_3742:
	s_and_b64 vcc, exec, s[10:11]
	s_cbranch_vccz .LBB222_3758
; %bb.3743:
	v_mov_b32_e32 v2, 27
	v_cmp_lt_i16_sdwa s[10:11], s33, v2 src0_sel:BYTE_0 src1_sel:DWORD
	s_mov_b64 s[8:9], -1
	s_and_b64 vcc, exec, s[10:11]
	s_cbranch_vccnz .LBB222_3749
; %bb.3744:
	v_cmp_gt_i16_sdwa s[10:11], s33, v2 src0_sel:BYTE_0 src1_sel:DWORD
	s_and_b64 vcc, exec, s[10:11]
	v_cvt_u32_f64_e32 v2, v[0:1]
	s_cbranch_vccz .LBB222_3746
; %bb.3745:
	s_mov_b64 s[8:9], 0
	global_store_dword v[4:5], v2, off
.LBB222_3746:
	s_andn2_b64 vcc, exec, s[8:9]
	s_cbranch_vccnz .LBB222_3748
; %bb.3747:
	global_store_short v[4:5], v2, off
.LBB222_3748:
	s_mov_b64 s[8:9], 0
.LBB222_3749:
	s_andn2_b64 vcc, exec, s[8:9]
	s_cbranch_vccnz .LBB222_3757
; %bb.3750:
	v_cvt_f32_f64_e32 v2, v[0:1]
	v_and_b32_e32 v3, 0x7fffffff, v2
	s_mov_b32 s8, 0x43800000
	v_cmp_gt_u32_e32 vcc, s8, v3
	v_mov_b32_e32 v6, 0x80
	s_and_saveexec_b64 s[8:9], vcc
	s_cbranch_execz .LBB222_3756
; %bb.3751:
	s_mov_b32 s10, 0x3bffffff
	v_cmp_lt_u32_e32 vcc, s10, v3
	s_mov_b64 s[10:11], 0
                                        ; implicit-def: $vgpr3
	s_and_saveexec_b64 s[12:13], vcc
	s_xor_b64 s[12:13], exec, s[12:13]
	s_cbranch_execz .LBB222_3852
; %bb.3752:
	v_bfe_u32 v3, v2, 20, 1
	s_mov_b32 s14, 0x487ffff
	v_add3_u32 v3, v2, v3, s14
	s_mov_b64 s[10:11], exec
	v_lshrrev_b32_e32 v3, 20, v3
	s_or_saveexec_b64 s[12:13], s[12:13]
                                        ; implicit-def: $sgpr14
	s_xor_b64 exec, exec, s[12:13]
	s_cbranch_execnz .LBB222_3853
.LBB222_3753:
	s_or_b64 exec, exec, s[12:13]
	v_mov_b32_e32 v6, s14
	s_and_saveexec_b64 s[12:13], s[10:11]
.LBB222_3754:
	v_lshrrev_b32_e32 v2, 24, v2
	s_movk_i32 s10, 0x80
	v_and_or_b32 v6, v2, s10, v3
.LBB222_3755:
	s_or_b64 exec, exec, s[12:13]
.LBB222_3756:
	s_or_b64 exec, exec, s[8:9]
	global_store_byte v[4:5], v6, off
.LBB222_3757:
	s_mov_b64 s[8:9], -1
.LBB222_3758:
	s_mov_b64 s[10:11], 0
.LBB222_3759:
	s_and_b64 vcc, exec, s[10:11]
	s_cbranch_vccz .LBB222_3799
; %bb.3760:
	v_mov_b32_e32 v2, 22
	v_cmp_gt_i16_sdwa s[10:11], s33, v2 src0_sel:BYTE_0 src1_sel:DWORD
	s_mov_b64 s[6:7], -1
	s_and_b64 vcc, exec, s[10:11]
	s_cbranch_vccz .LBB222_3792
; %bb.3761:
	v_mov_b32_e32 v2, 24
	v_cmp_lt_i16_sdwa s[8:9], s33, v2 src0_sel:BYTE_0 src1_sel:DWORD
	s_and_b64 vcc, exec, s[8:9]
	s_cbranch_vccnz .LBB222_3781
; %bb.3762:
	v_cmp_gt_i16_sdwa s[8:9], s33, v2 src0_sel:BYTE_0 src1_sel:DWORD
	s_and_b64 vcc, exec, s[8:9]
	s_cbranch_vccz .LBB222_3770
; %bb.3763:
	v_cvt_f32_f64_e32 v2, v[0:1]
	v_and_b32_e32 v3, 0x7fffffff, v2
	s_mov_b32 s6, 0x47800000
	v_cmp_gt_u32_e32 vcc, s6, v3
	v_mov_b32_e32 v6, 0x80
	s_and_saveexec_b64 s[6:7], vcc
	s_cbranch_execz .LBB222_3769
; %bb.3764:
	s_mov_b32 s8, 0x37ffffff
	v_cmp_lt_u32_e32 vcc, s8, v3
	s_mov_b64 s[8:9], 0
                                        ; implicit-def: $vgpr3
	s_and_saveexec_b64 s[10:11], vcc
	s_xor_b64 s[10:11], exec, s[10:11]
	s_cbranch_execz .LBB222_3856
; %bb.3765:
	v_bfe_u32 v3, v2, 21, 1
	s_mov_b32 s12, 0x88fffff
	v_add3_u32 v3, v2, v3, s12
	s_mov_b64 s[8:9], exec
	v_lshrrev_b32_e32 v3, 21, v3
	s_or_saveexec_b64 s[10:11], s[10:11]
                                        ; implicit-def: $sgpr12
	s_xor_b64 exec, exec, s[10:11]
	s_cbranch_execnz .LBB222_3857
.LBB222_3766:
	s_or_b64 exec, exec, s[10:11]
	v_mov_b32_e32 v6, s12
	s_and_saveexec_b64 s[10:11], s[8:9]
.LBB222_3767:
	v_lshrrev_b32_e32 v2, 24, v2
	s_movk_i32 s8, 0x80
	v_and_or_b32 v6, v2, s8, v3
.LBB222_3768:
	s_or_b64 exec, exec, s[10:11]
.LBB222_3769:
	s_or_b64 exec, exec, s[6:7]
	s_mov_b64 s[6:7], 0
	global_store_byte v[4:5], v6, off
.LBB222_3770:
	s_and_b64 vcc, exec, s[6:7]
	s_cbranch_vccz .LBB222_3780
; %bb.3771:
	v_cvt_f32_f64_e32 v2, v[0:1]
	v_and_b32_e32 v6, 0x7fffffff, v2
	s_mov_b32 s6, 0x43f00000
	v_cmp_gt_u32_e32 vcc, s6, v6
                                        ; implicit-def: $vgpr3
	s_and_saveexec_b64 s[6:7], vcc
	s_xor_b64 s[6:7], exec, s[6:7]
	s_cbranch_execz .LBB222_3777
; %bb.3772:
	s_mov_b32 s8, 0x3c7fffff
	v_cmp_lt_u32_e32 vcc, s8, v6
                                        ; implicit-def: $vgpr3
	s_and_saveexec_b64 s[8:9], vcc
	s_xor_b64 s[8:9], exec, s[8:9]
; %bb.3773:
	v_bfe_u32 v3, v2, 20, 1
	s_mov_b32 s10, 0x407ffff
	v_add3_u32 v3, v2, v3, s10
	v_lshrrev_b32_e32 v6, 20, v3
	v_and_b32_e32 v3, 0xff00000, v3
	s_mov_b32 s10, 0x7f00000
	v_mov_b32_e32 v7, 0x7e
	v_cmp_ne_u32_e32 vcc, s10, v3
	v_cndmask_b32_e32 v3, v7, v6, vcc
; %bb.3774:
	s_andn2_saveexec_b64 s[8:9], s[8:9]
; %bb.3775:
	s_mov_b32 s10, 0x46800000
	v_add_f32_e64 v3, |v2|, s10
; %bb.3776:
	s_or_b64 exec, exec, s[8:9]
                                        ; implicit-def: $vgpr6
.LBB222_3777:
	s_andn2_saveexec_b64 s[6:7], s[6:7]
; %bb.3778:
	s_mov_b32 s8, 0x7f800000
	v_mov_b32_e32 v3, 0x7e
	v_mov_b32_e32 v7, 0x7f
	v_cmp_lt_u32_e32 vcc, s8, v6
	v_cndmask_b32_e32 v3, v3, v7, vcc
; %bb.3779:
	s_or_b64 exec, exec, s[6:7]
	v_lshrrev_b32_e32 v2, 24, v2
	s_movk_i32 s6, 0x80
	v_and_or_b32 v2, v2, s6, v3
	global_store_byte v[4:5], v2, off
.LBB222_3780:
	s_mov_b64 s[6:7], 0
.LBB222_3781:
	s_andn2_b64 vcc, exec, s[6:7]
	s_cbranch_vccnz .LBB222_3791
; %bb.3782:
	v_cvt_f32_f64_e32 v2, v[0:1]
	v_and_b32_e32 v6, 0x7fffffff, v2
	s_mov_b32 s6, 0x47800000
	v_cmp_gt_u32_e32 vcc, s6, v6
                                        ; implicit-def: $vgpr3
	s_and_saveexec_b64 s[6:7], vcc
	s_xor_b64 s[6:7], exec, s[6:7]
	s_cbranch_execz .LBB222_3788
; %bb.3783:
	s_mov_b32 s8, 0x387fffff
	v_cmp_lt_u32_e32 vcc, s8, v6
                                        ; implicit-def: $vgpr3
	s_and_saveexec_b64 s[8:9], vcc
	s_xor_b64 s[8:9], exec, s[8:9]
; %bb.3784:
	v_bfe_u32 v3, v2, 21, 1
	s_mov_b32 s10, 0x80fffff
	v_add3_u32 v3, v2, v3, s10
	v_lshrrev_b32_e32 v3, 21, v3
; %bb.3785:
	s_andn2_saveexec_b64 s[8:9], s[8:9]
; %bb.3786:
	s_mov_b32 s10, 0x43000000
	v_add_f32_e64 v3, |v2|, s10
; %bb.3787:
	s_or_b64 exec, exec, s[8:9]
                                        ; implicit-def: $vgpr6
.LBB222_3788:
	s_andn2_saveexec_b64 s[6:7], s[6:7]
; %bb.3789:
	s_mov_b32 s8, 0x7f800000
	v_mov_b32_e32 v3, 0x7c
	v_mov_b32_e32 v7, 0x7f
	v_cmp_lt_u32_e32 vcc, s8, v6
	v_cndmask_b32_e32 v3, v3, v7, vcc
; %bb.3790:
	s_or_b64 exec, exec, s[6:7]
	v_lshrrev_b32_e32 v2, 24, v2
	s_movk_i32 s6, 0x80
	v_and_or_b32 v2, v2, s6, v3
	global_store_byte v[4:5], v2, off
.LBB222_3791:
	s_mov_b64 s[6:7], 0
	s_mov_b64 s[8:9], -1
.LBB222_3792:
	s_andn2_b64 vcc, exec, s[6:7]
	s_mov_b64 s[6:7], 0
	s_cbranch_vccnz .LBB222_3799
; %bb.3793:
	v_mov_b32_e32 v2, 14
	v_cmp_gt_i16_sdwa s[6:7], s33, v2 src0_sel:BYTE_0 src1_sel:DWORD
	s_mov_b64 s[10:11], -1
	s_and_b64 vcc, exec, s[6:7]
	s_cbranch_vccz .LBB222_3797
; %bb.3794:
	v_mov_b32_e32 v2, 15
	v_cmp_eq_u16_sdwa s[6:7], s33, v2 src0_sel:BYTE_0 src1_sel:DWORD
	s_mov_b64 s[4:5], -1
	s_and_b64 vcc, exec, s[6:7]
	s_cbranch_vccz .LBB222_3796
; %bb.3795:
	v_cvt_f32_f64_e32 v2, v[0:1]
	v_bfe_u32 v3, v2, 16, 1
	s_movk_i32 s4, 0x7fff
	v_add3_u32 v3, v2, v3, s4
	v_lshrrev_b32_e32 v3, 16, v3
	v_mov_b32_e32 v6, 0x7fc0
	v_cmp_o_f32_e32 vcc, v2, v2
	v_cndmask_b32_e32 v2, v6, v3, vcc
	global_store_short v[4:5], v2, off
	s_mov_b64 s[4:5], 0
	s_mov_b64 s[8:9], -1
.LBB222_3796:
	s_mov_b64 s[10:11], 0
.LBB222_3797:
	s_mov_b64 s[6:7], 0
	s_and_b64 vcc, exec, s[10:11]
	s_cbranch_vccz .LBB222_3799
; %bb.3798:
	v_mov_b32_e32 v2, 11
	v_cmp_ne_u16_sdwa s[4:5], s33, v2 src0_sel:BYTE_0 src1_sel:DWORD
	s_mov_b64 s[6:7], -1
.LBB222_3799:
	s_and_b64 vcc, exec, s[4:5]
	s_cbranch_vccnz .LBB222_3855
; %bb.3800:
	s_andn2_b64 vcc, exec, s[6:7]
	s_cbranch_vccnz .LBB222_3802
.LBB222_3801:
	v_cmp_neq_f64_e32 vcc, 0, v[0:1]
	v_cndmask_b32_e64 v2, 0, 1, vcc
	s_mov_b64 s[8:9], -1
	global_store_byte v[4:5], v2, off
.LBB222_3802:
	s_mov_b64 s[4:5], 0
.LBB222_3803:
	s_and_b64 vcc, exec, s[4:5]
	s_cbranch_vccz .LBB222_3842
; %bb.3804:
	v_mov_b32_e32 v2, 5
	v_cmp_lt_i16_sdwa s[6:7], s33, v2 src0_sel:BYTE_0 src1_sel:DWORD
	s_mov_b64 s[4:5], -1
	s_and_b64 vcc, exec, s[6:7]
	s_cbranch_vccnz .LBB222_3825
; %bb.3805:
	v_mov_b32_e32 v2, 8
	v_cmp_lt_i16_sdwa s[6:7], s33, v2 src0_sel:BYTE_0 src1_sel:DWORD
	s_and_b64 vcc, exec, s[6:7]
	s_cbranch_vccnz .LBB222_3815
; %bb.3806:
	v_mov_b32_e32 v2, 9
	v_cmp_lt_i16_sdwa s[6:7], s33, v2 src0_sel:BYTE_0 src1_sel:DWORD
	s_and_b64 vcc, exec, s[6:7]
	s_cbranch_vccnz .LBB222_3812
; %bb.3807:
	v_cmp_gt_i16_sdwa s[6:7], s33, v2 src0_sel:BYTE_0 src1_sel:DWORD
	s_and_b64 vcc, exec, s[6:7]
	s_cbranch_vccz .LBB222_3809
; %bb.3808:
	v_mov_b32_e32 v2, 0
	v_mov_b32_e32 v3, v2
	global_store_dwordx4 v[4:5], v[0:3], off
	s_mov_b64 s[4:5], 0
.LBB222_3809:
	s_andn2_b64 vcc, exec, s[4:5]
	s_cbranch_vccnz .LBB222_3811
; %bb.3810:
	v_cvt_f32_f64_e32 v2, v[0:1]
	v_mov_b32_e32 v3, 0
	global_store_dwordx2 v[4:5], v[2:3], off
.LBB222_3811:
	s_mov_b64 s[4:5], 0
.LBB222_3812:
	s_andn2_b64 vcc, exec, s[4:5]
	s_cbranch_vccnz .LBB222_3814
; %bb.3813:
	v_cvt_f32_f64_e32 v2, v[0:1]
	v_cvt_f16_f32_e32 v2, v2
	global_store_dword v[4:5], v2, off
.LBB222_3814:
	s_mov_b64 s[4:5], 0
.LBB222_3815:
	s_andn2_b64 vcc, exec, s[4:5]
	s_cbranch_vccnz .LBB222_3824
; %bb.3816:
	v_mov_b32_e32 v2, 6
	v_cmp_lt_i16_sdwa s[6:7], s33, v2 src0_sel:BYTE_0 src1_sel:DWORD
	s_mov_b64 s[4:5], -1
	s_and_b64 vcc, exec, s[6:7]
	s_cbranch_vccnz .LBB222_3822
; %bb.3817:
	v_cmp_gt_i16_sdwa s[6:7], s33, v2 src0_sel:BYTE_0 src1_sel:DWORD
	s_and_b64 vcc, exec, s[6:7]
	s_cbranch_vccz .LBB222_3819
; %bb.3818:
	global_store_dwordx2 v[4:5], v[0:1], off
	s_mov_b64 s[4:5], 0
.LBB222_3819:
	s_andn2_b64 vcc, exec, s[4:5]
	s_cbranch_vccnz .LBB222_3821
; %bb.3820:
	v_cvt_f32_f64_e32 v2, v[0:1]
	global_store_dword v[4:5], v2, off
.LBB222_3821:
	s_mov_b64 s[4:5], 0
.LBB222_3822:
	s_andn2_b64 vcc, exec, s[4:5]
	s_cbranch_vccnz .LBB222_3824
; %bb.3823:
	v_cvt_f32_f64_e32 v2, v[0:1]
	v_cvt_f16_f32_e32 v2, v2
	global_store_short v[4:5], v2, off
.LBB222_3824:
	s_mov_b64 s[4:5], 0
.LBB222_3825:
	s_andn2_b64 vcc, exec, s[4:5]
	s_cbranch_vccnz .LBB222_3841
; %bb.3826:
	v_mov_b32_e32 v2, 2
	v_cmp_lt_i16_sdwa s[6:7], s33, v2 src0_sel:BYTE_0 src1_sel:DWORD
	s_mov_b64 s[4:5], -1
	s_and_b64 vcc, exec, s[6:7]
	s_cbranch_vccnz .LBB222_3836
; %bb.3827:
	v_mov_b32_e32 v2, 3
	v_cmp_lt_i16_sdwa s[6:7], s33, v2 src0_sel:BYTE_0 src1_sel:DWORD
	s_and_b64 vcc, exec, s[6:7]
	s_cbranch_vccnz .LBB222_3833
; %bb.3828:
	v_cmp_gt_i16_sdwa s[6:7], s33, v2 src0_sel:BYTE_0 src1_sel:DWORD
	s_and_b64 vcc, exec, s[6:7]
	s_cbranch_vccz .LBB222_3830
; %bb.3829:
	v_trunc_f64_e32 v[2:3], v[0:1]
	s_movk_i32 s4, 0xffe0
	v_ldexp_f64 v[6:7], v[2:3], s4
	v_floor_f64_e32 v[6:7], v[6:7]
	v_fmac_f64_e32 v[2:3], 0xc1f00000, v[6:7]
	v_cvt_i32_f64_e32 v9, v[6:7]
	v_cvt_u32_f64_e32 v8, v[2:3]
	global_store_dwordx2 v[4:5], v[8:9], off
	s_mov_b64 s[4:5], 0
.LBB222_3830:
	s_andn2_b64 vcc, exec, s[4:5]
	s_cbranch_vccnz .LBB222_3832
; %bb.3831:
	v_cvt_i32_f64_e32 v2, v[0:1]
	global_store_dword v[4:5], v2, off
.LBB222_3832:
	s_mov_b64 s[4:5], 0
.LBB222_3833:
	s_andn2_b64 vcc, exec, s[4:5]
	s_cbranch_vccnz .LBB222_3835
; %bb.3834:
	v_cvt_i32_f64_e32 v2, v[0:1]
	global_store_short v[4:5], v2, off
.LBB222_3835:
	s_mov_b64 s[4:5], 0
.LBB222_3836:
	s_andn2_b64 vcc, exec, s[4:5]
	s_cbranch_vccnz .LBB222_3841
; %bb.3837:
	v_mov_b32_e32 v2, 0
	v_cmp_gt_i16_sdwa s[6:7], s33, v2 src0_sel:BYTE_0 src1_sel:DWORD
	s_mov_b64 s[4:5], -1
	s_and_b64 vcc, exec, s[6:7]
	s_cbranch_vccz .LBB222_3839
; %bb.3838:
	v_cvt_i32_f64_e32 v2, v[0:1]
	global_store_byte v[4:5], v2, off
	s_mov_b64 s[4:5], 0
.LBB222_3839:
	s_andn2_b64 vcc, exec, s[4:5]
	s_cbranch_vccnz .LBB222_3841
; %bb.3840:
	v_trunc_f64_e32 v[0:1], v[0:1]
	s_movk_i32 s4, 0xffe0
	v_ldexp_f64 v[2:3], v[0:1], s4
	v_floor_f64_e32 v[2:3], v[2:3]
	v_fmac_f64_e32 v[0:1], 0xc1f00000, v[2:3]
	v_cvt_u32_f64_e32 v0, v[0:1]
	global_store_byte v[4:5], v0, off
.LBB222_3841:
	s_mov_b64 s[8:9], -1
.LBB222_3842:
	s_andn2_b64 vcc, exec, s[8:9]
	s_cbranch_vccnz .LBB222_4173
; %bb.3843:
	v_mov_b32_e32 v0, v42
	v_mov_b32_e32 v1, v43
	;; [unrolled: 1-line block ×6, first 2 shown]
	s_getpc_b64 s[4:5]
	s_add_u32 s4, s4, _ZZZZN2at6native28launch_dirichlet_grad_kernelERNS_18TensorIteratorBaseEENKUlvE_clEvENKUlvE_clEvENKUldddE_clEddd@rel32@lo+4
	s_addc_u32 s5, s5, _ZZZZN2at6native28launch_dirichlet_grad_kernelERNS_18TensorIteratorBaseEENKUlvE_clEvENKUlvE_clEvENKUldddE_clEddd@rel32@hi+12
	s_swappc_b64 s[30:31], s[4:5]
	s_mov_b64 s[4:5], s[88:89]
	v_mov_b32_e32 v2, s5
	v_add_co_u32_e32 v4, vcc, s4, v82
	v_addc_co_u32_e32 v5, vcc, 0, v2, vcc
	v_mov_b32_e32 v2, 11
	v_cmp_lt_i16_sdwa s[4:5], s33, v2 src0_sel:BYTE_0 src1_sel:DWORD
	s_and_b64 vcc, exec, s[4:5]
	s_cbranch_vccnz .LBB222_3850
; %bb.3844:
	v_mov_b32_e32 v2, 25
	v_cmp_gt_i16_sdwa s[4:5], s33, v2 src0_sel:BYTE_0 src1_sel:DWORD
	s_mov_b64 s[10:11], -1
	s_mov_b64 s[6:7], 0
	s_and_b64 vcc, exec, s[4:5]
	s_mov_b64 s[8:9], 0
	s_mov_b64 s[4:5], 0
	s_cbranch_vccz .LBB222_3886
; %bb.3845:
	v_mov_b32_e32 v2, 28
	v_cmp_gt_i16_sdwa s[4:5], s33, v2 src0_sel:BYTE_0 src1_sel:DWORD
	s_and_b64 vcc, exec, s[4:5]
	s_cbranch_vccz .LBB222_3851
; %bb.3846:
	v_mov_b32_e32 v2, 43
	v_cmp_gt_i16_sdwa s[4:5], s33, v2 src0_sel:BYTE_0 src1_sel:DWORD
	s_and_b64 vcc, exec, s[4:5]
	;; [unrolled: 5-line block ×3, first 2 shown]
	s_cbranch_vccz .LBB222_3858
; %bb.3848:
	v_mov_b32_e32 v2, 46
	v_cmp_eq_u16_sdwa s[8:9], s33, v2 src0_sel:BYTE_0 src1_sel:DWORD
	s_mov_b64 s[4:5], -1
	s_mov_b64 s[10:11], 0
	s_and_b64 vcc, exec, s[8:9]
	s_mov_b64 s[8:9], 0
	s_cbranch_vccz .LBB222_3859
; %bb.3849:
	v_cvt_f32_f64_e32 v2, v[0:1]
	v_bfe_u32 v3, v2, 16, 1
	s_movk_i32 s4, 0x7fff
	v_add3_u32 v3, v2, v3, s4
	v_lshrrev_b32_e32 v3, 16, v3
	v_mov_b32_e32 v6, 0x7fc0
	v_cmp_o_f32_e32 vcc, v2, v2
	v_cndmask_b32_e32 v2, v6, v3, vcc
	global_store_dword v[4:5], v2, off
	s_mov_b64 s[4:5], 0
	s_mov_b64 s[8:9], -1
	s_branch .LBB222_3859
.LBB222_3850:
	s_mov_b64 s[4:5], -1
	s_mov_b64 s[8:9], 0
	s_branch .LBB222_3930
.LBB222_3851:
	s_mov_b64 s[4:5], 0
	s_branch .LBB222_3869
.LBB222_3852:
	s_or_saveexec_b64 s[12:13], s[12:13]
                                        ; implicit-def: $sgpr14
	s_xor_b64 exec, exec, s[12:13]
	s_cbranch_execz .LBB222_3753
.LBB222_3853:
	s_mov_b32 s14, 0x46000000
	v_add_f32_e64 v3, |v2|, s14
	v_and_b32_e32 v3, 0xff, v3
	v_cmp_ne_u32_e32 vcc, 0, v3
	s_andn2_b64 s[10:11], s[10:11], exec
	s_and_b64 s[16:17], vcc, exec
	s_mov_b32 s14, 0
	s_or_b64 s[10:11], s[10:11], s[16:17]
	s_or_b64 exec, exec, s[12:13]
	v_mov_b32_e32 v6, s14
	s_and_saveexec_b64 s[12:13], s[10:11]
	s_cbranch_execnz .LBB222_3754
	s_branch .LBB222_3755
.LBB222_3854:
	s_mov_b64 s[4:5], 0
	s_branch .LBB222_3865
.LBB222_3855:
	s_trap 2
	s_or_b64 s[90:91], s[90:91], exec
	s_cbranch_execz .LBB222_3801
	s_branch .LBB222_3802
.LBB222_3856:
	s_or_saveexec_b64 s[10:11], s[10:11]
                                        ; implicit-def: $sgpr12
	s_xor_b64 exec, exec, s[10:11]
	s_cbranch_execz .LBB222_3766
.LBB222_3857:
	s_mov_b32 s12, 0x42800000
	v_add_f32_e64 v3, |v2|, s12
	v_and_b32_e32 v3, 0xff, v3
	v_cmp_ne_u32_e32 vcc, 0, v3
	s_andn2_b64 s[8:9], s[8:9], exec
	s_and_b64 s[14:15], vcc, exec
	s_mov_b32 s12, 0
	s_or_b64 s[8:9], s[8:9], s[14:15]
	s_or_b64 exec, exec, s[10:11]
	v_mov_b32_e32 v6, s12
	s_and_saveexec_b64 s[10:11], s[8:9]
	s_cbranch_execnz .LBB222_3767
	s_branch .LBB222_3768
.LBB222_3858:
	s_mov_b64 s[4:5], 0
.LBB222_3859:
	s_and_b64 vcc, exec, s[10:11]
	s_cbranch_vccz .LBB222_3864
; %bb.3860:
	v_mov_b32_e32 v2, 44
	v_cmp_eq_u16_sdwa s[10:11], s33, v2 src0_sel:BYTE_0 src1_sel:DWORD
	s_mov_b64 s[4:5], -1
	s_and_b64 vcc, exec, s[10:11]
	s_cbranch_vccz .LBB222_3864
; %bb.3861:
	v_cvt_f32_f64_e32 v2, v[0:1]
	v_bfe_u32 v3, v2, 23, 8
	s_movk_i32 s4, 0xff
	v_cmp_ne_u32_e32 vcc, s4, v3
	v_mov_b32_e32 v6, 0xff
	s_and_saveexec_b64 s[8:9], vcc
; %bb.3862:
	s_mov_b32 s4, 0x3fffff
	v_lshrrev_b32_e32 v6, 23, v2
	v_and_b32_e32 v7, 0x400000, v2
	v_and_or_b32 v2, v2, s4, v3
	v_cmp_ne_u32_e32 vcc, 0, v7
	v_cmp_ne_u32_e64 s[4:5], 0, v2
	s_and_b64 s[4:5], vcc, s[4:5]
	v_cndmask_b32_e64 v2, 0, 1, s[4:5]
	v_add_u32_e32 v6, v6, v2
; %bb.3863:
	s_or_b64 exec, exec, s[8:9]
	s_mov_b64 s[4:5], 0
	s_mov_b64 s[8:9], -1
	global_store_byte v[4:5], v6, off
.LBB222_3864:
	s_mov_b64 s[10:11], 0
.LBB222_3865:
	s_and_b64 vcc, exec, s[10:11]
	s_cbranch_vccz .LBB222_3868
; %bb.3866:
	v_mov_b32_e32 v2, 29
	v_cmp_eq_u16_sdwa s[10:11], s33, v2 src0_sel:BYTE_0 src1_sel:DWORD
	s_mov_b64 s[4:5], -1
	s_and_b64 vcc, exec, s[10:11]
	s_cbranch_vccz .LBB222_3868
; %bb.3867:
	v_trunc_f64_e32 v[2:3], v[0:1]
	s_movk_i32 s4, 0xffe0
	v_ldexp_f64 v[6:7], v[2:3], s4
	v_floor_f64_e32 v[6:7], v[6:7]
	v_fmac_f64_e32 v[2:3], 0xc1f00000, v[6:7]
	v_cvt_u32_f64_e32 v9, v[6:7]
	v_cvt_u32_f64_e32 v8, v[2:3]
	global_store_dwordx2 v[4:5], v[8:9], off
	s_mov_b64 s[4:5], 0
	s_mov_b64 s[8:9], -1
.LBB222_3868:
	s_mov_b64 s[10:11], 0
.LBB222_3869:
	s_and_b64 vcc, exec, s[10:11]
	s_cbranch_vccz .LBB222_3885
; %bb.3870:
	v_mov_b32_e32 v2, 27
	v_cmp_lt_i16_sdwa s[10:11], s33, v2 src0_sel:BYTE_0 src1_sel:DWORD
	s_mov_b64 s[8:9], -1
	s_and_b64 vcc, exec, s[10:11]
	s_cbranch_vccnz .LBB222_3876
; %bb.3871:
	v_cmp_gt_i16_sdwa s[10:11], s33, v2 src0_sel:BYTE_0 src1_sel:DWORD
	s_and_b64 vcc, exec, s[10:11]
	s_cbranch_vccz .LBB222_3873
; %bb.3872:
	v_cvt_u32_f64_e32 v2, v[0:1]
	s_mov_b64 s[8:9], 0
	global_store_dword v[4:5], v2, off
.LBB222_3873:
	s_andn2_b64 vcc, exec, s[8:9]
	s_cbranch_vccnz .LBB222_3875
; %bb.3874:
	v_cvt_u32_f64_e32 v2, v[0:1]
	global_store_short v[4:5], v2, off
.LBB222_3875:
	s_mov_b64 s[8:9], 0
.LBB222_3876:
	s_andn2_b64 vcc, exec, s[8:9]
	s_cbranch_vccnz .LBB222_3884
; %bb.3877:
	v_cvt_f32_f64_e32 v2, v[0:1]
	v_and_b32_e32 v3, 0x7fffffff, v2
	s_mov_b32 s8, 0x43800000
	v_cmp_gt_u32_e32 vcc, s8, v3
	v_mov_b32_e32 v6, 0x80
	s_and_saveexec_b64 s[8:9], vcc
	s_cbranch_execz .LBB222_3883
; %bb.3878:
	s_mov_b32 s10, 0x3bffffff
	v_cmp_lt_u32_e32 vcc, s10, v3
	s_mov_b64 s[10:11], 0
                                        ; implicit-def: $vgpr3
	s_and_saveexec_b64 s[12:13], vcc
	s_xor_b64 s[12:13], exec, s[12:13]
	s_cbranch_execz .LBB222_3979
; %bb.3879:
	v_bfe_u32 v3, v2, 20, 1
	s_mov_b32 s14, 0x487ffff
	v_add3_u32 v3, v2, v3, s14
	s_mov_b64 s[10:11], exec
	v_lshrrev_b32_e32 v3, 20, v3
	s_or_saveexec_b64 s[12:13], s[12:13]
                                        ; implicit-def: $sgpr14
	s_xor_b64 exec, exec, s[12:13]
	s_cbranch_execnz .LBB222_3980
.LBB222_3880:
	s_or_b64 exec, exec, s[12:13]
	v_mov_b32_e32 v6, s14
	s_and_saveexec_b64 s[12:13], s[10:11]
.LBB222_3881:
	v_lshrrev_b32_e32 v2, 24, v2
	s_movk_i32 s10, 0x80
	v_and_or_b32 v6, v2, s10, v3
.LBB222_3882:
	s_or_b64 exec, exec, s[12:13]
.LBB222_3883:
	s_or_b64 exec, exec, s[8:9]
	global_store_byte v[4:5], v6, off
.LBB222_3884:
	s_mov_b64 s[8:9], -1
.LBB222_3885:
	s_mov_b64 s[10:11], 0
.LBB222_3886:
	s_and_b64 vcc, exec, s[10:11]
	s_cbranch_vccz .LBB222_3926
; %bb.3887:
	v_mov_b32_e32 v2, 22
	v_cmp_gt_i16_sdwa s[10:11], s33, v2 src0_sel:BYTE_0 src1_sel:DWORD
	s_mov_b64 s[6:7], -1
	s_and_b64 vcc, exec, s[10:11]
	s_cbranch_vccz .LBB222_3919
; %bb.3888:
	v_mov_b32_e32 v2, 24
	v_cmp_lt_i16_sdwa s[8:9], s33, v2 src0_sel:BYTE_0 src1_sel:DWORD
	s_and_b64 vcc, exec, s[8:9]
	s_cbranch_vccnz .LBB222_3908
; %bb.3889:
	v_cmp_gt_i16_sdwa s[8:9], s33, v2 src0_sel:BYTE_0 src1_sel:DWORD
	s_and_b64 vcc, exec, s[8:9]
	s_cbranch_vccz .LBB222_3897
; %bb.3890:
	v_cvt_f32_f64_e32 v2, v[0:1]
	v_and_b32_e32 v3, 0x7fffffff, v2
	s_mov_b32 s6, 0x47800000
	v_cmp_gt_u32_e32 vcc, s6, v3
	v_mov_b32_e32 v6, 0x80
	s_and_saveexec_b64 s[6:7], vcc
	s_cbranch_execz .LBB222_3896
; %bb.3891:
	s_mov_b32 s8, 0x37ffffff
	v_cmp_lt_u32_e32 vcc, s8, v3
	s_mov_b64 s[8:9], 0
                                        ; implicit-def: $vgpr3
	s_and_saveexec_b64 s[10:11], vcc
	s_xor_b64 s[10:11], exec, s[10:11]
	s_cbranch_execz .LBB222_3983
; %bb.3892:
	v_bfe_u32 v3, v2, 21, 1
	s_mov_b32 s12, 0x88fffff
	v_add3_u32 v3, v2, v3, s12
	s_mov_b64 s[8:9], exec
	v_lshrrev_b32_e32 v3, 21, v3
	s_or_saveexec_b64 s[10:11], s[10:11]
                                        ; implicit-def: $sgpr12
	s_xor_b64 exec, exec, s[10:11]
	s_cbranch_execnz .LBB222_3984
.LBB222_3893:
	s_or_b64 exec, exec, s[10:11]
	v_mov_b32_e32 v6, s12
	s_and_saveexec_b64 s[10:11], s[8:9]
.LBB222_3894:
	v_lshrrev_b32_e32 v2, 24, v2
	s_movk_i32 s8, 0x80
	v_and_or_b32 v6, v2, s8, v3
.LBB222_3895:
	s_or_b64 exec, exec, s[10:11]
.LBB222_3896:
	s_or_b64 exec, exec, s[6:7]
	s_mov_b64 s[6:7], 0
	global_store_byte v[4:5], v6, off
.LBB222_3897:
	s_and_b64 vcc, exec, s[6:7]
	s_cbranch_vccz .LBB222_3907
; %bb.3898:
	v_cvt_f32_f64_e32 v2, v[0:1]
	v_and_b32_e32 v6, 0x7fffffff, v2
	s_mov_b32 s6, 0x43f00000
	v_cmp_gt_u32_e32 vcc, s6, v6
                                        ; implicit-def: $vgpr3
	s_and_saveexec_b64 s[6:7], vcc
	s_xor_b64 s[6:7], exec, s[6:7]
	s_cbranch_execz .LBB222_3904
; %bb.3899:
	s_mov_b32 s8, 0x3c7fffff
	v_cmp_lt_u32_e32 vcc, s8, v6
                                        ; implicit-def: $vgpr3
	s_and_saveexec_b64 s[8:9], vcc
	s_xor_b64 s[8:9], exec, s[8:9]
; %bb.3900:
	v_bfe_u32 v3, v2, 20, 1
	s_mov_b32 s10, 0x407ffff
	v_add3_u32 v3, v2, v3, s10
	v_lshrrev_b32_e32 v6, 20, v3
	v_and_b32_e32 v3, 0xff00000, v3
	s_mov_b32 s10, 0x7f00000
	v_mov_b32_e32 v7, 0x7e
	v_cmp_ne_u32_e32 vcc, s10, v3
	v_cndmask_b32_e32 v3, v7, v6, vcc
; %bb.3901:
	s_andn2_saveexec_b64 s[8:9], s[8:9]
; %bb.3902:
	s_mov_b32 s10, 0x46800000
	v_add_f32_e64 v3, |v2|, s10
; %bb.3903:
	s_or_b64 exec, exec, s[8:9]
                                        ; implicit-def: $vgpr6
.LBB222_3904:
	s_andn2_saveexec_b64 s[6:7], s[6:7]
; %bb.3905:
	s_mov_b32 s8, 0x7f800000
	v_mov_b32_e32 v3, 0x7e
	v_mov_b32_e32 v7, 0x7f
	v_cmp_lt_u32_e32 vcc, s8, v6
	v_cndmask_b32_e32 v3, v3, v7, vcc
; %bb.3906:
	s_or_b64 exec, exec, s[6:7]
	v_lshrrev_b32_e32 v2, 24, v2
	s_movk_i32 s6, 0x80
	v_and_or_b32 v2, v2, s6, v3
	global_store_byte v[4:5], v2, off
.LBB222_3907:
	s_mov_b64 s[6:7], 0
.LBB222_3908:
	s_andn2_b64 vcc, exec, s[6:7]
	s_cbranch_vccnz .LBB222_3918
; %bb.3909:
	v_cvt_f32_f64_e32 v2, v[0:1]
	v_and_b32_e32 v6, 0x7fffffff, v2
	s_mov_b32 s6, 0x47800000
	v_cmp_gt_u32_e32 vcc, s6, v6
                                        ; implicit-def: $vgpr3
	s_and_saveexec_b64 s[6:7], vcc
	s_xor_b64 s[6:7], exec, s[6:7]
	s_cbranch_execz .LBB222_3915
; %bb.3910:
	s_mov_b32 s8, 0x387fffff
	v_cmp_lt_u32_e32 vcc, s8, v6
                                        ; implicit-def: $vgpr3
	s_and_saveexec_b64 s[8:9], vcc
	s_xor_b64 s[8:9], exec, s[8:9]
; %bb.3911:
	v_bfe_u32 v3, v2, 21, 1
	s_mov_b32 s10, 0x80fffff
	v_add3_u32 v3, v2, v3, s10
	v_lshrrev_b32_e32 v3, 21, v3
; %bb.3912:
	s_andn2_saveexec_b64 s[8:9], s[8:9]
; %bb.3913:
	s_mov_b32 s10, 0x43000000
	v_add_f32_e64 v3, |v2|, s10
; %bb.3914:
	s_or_b64 exec, exec, s[8:9]
                                        ; implicit-def: $vgpr6
.LBB222_3915:
	s_andn2_saveexec_b64 s[6:7], s[6:7]
; %bb.3916:
	s_mov_b32 s8, 0x7f800000
	v_mov_b32_e32 v3, 0x7c
	v_mov_b32_e32 v7, 0x7f
	v_cmp_lt_u32_e32 vcc, s8, v6
	v_cndmask_b32_e32 v3, v3, v7, vcc
; %bb.3917:
	s_or_b64 exec, exec, s[6:7]
	v_lshrrev_b32_e32 v2, 24, v2
	s_movk_i32 s6, 0x80
	v_and_or_b32 v2, v2, s6, v3
	global_store_byte v[4:5], v2, off
.LBB222_3918:
	s_mov_b64 s[6:7], 0
	s_mov_b64 s[8:9], -1
.LBB222_3919:
	s_andn2_b64 vcc, exec, s[6:7]
	s_mov_b64 s[6:7], 0
	s_cbranch_vccnz .LBB222_3926
; %bb.3920:
	v_mov_b32_e32 v2, 14
	v_cmp_gt_i16_sdwa s[6:7], s33, v2 src0_sel:BYTE_0 src1_sel:DWORD
	s_mov_b64 s[10:11], -1
	s_and_b64 vcc, exec, s[6:7]
	s_cbranch_vccz .LBB222_3924
; %bb.3921:
	v_mov_b32_e32 v2, 15
	v_cmp_eq_u16_sdwa s[6:7], s33, v2 src0_sel:BYTE_0 src1_sel:DWORD
	s_mov_b64 s[4:5], -1
	s_and_b64 vcc, exec, s[6:7]
	s_cbranch_vccz .LBB222_3923
; %bb.3922:
	v_cvt_f32_f64_e32 v2, v[0:1]
	v_bfe_u32 v3, v2, 16, 1
	s_movk_i32 s4, 0x7fff
	v_add3_u32 v3, v2, v3, s4
	v_lshrrev_b32_e32 v3, 16, v3
	v_mov_b32_e32 v6, 0x7fc0
	v_cmp_o_f32_e32 vcc, v2, v2
	v_cndmask_b32_e32 v2, v6, v3, vcc
	global_store_short v[4:5], v2, off
	s_mov_b64 s[4:5], 0
	s_mov_b64 s[8:9], -1
.LBB222_3923:
	s_mov_b64 s[10:11], 0
.LBB222_3924:
	s_mov_b64 s[6:7], 0
	s_and_b64 vcc, exec, s[10:11]
	s_cbranch_vccz .LBB222_3926
; %bb.3925:
	v_mov_b32_e32 v2, 11
	v_cmp_ne_u16_sdwa s[4:5], s33, v2 src0_sel:BYTE_0 src1_sel:DWORD
	s_mov_b64 s[6:7], -1
.LBB222_3926:
	s_and_b64 vcc, exec, s[4:5]
	s_cbranch_vccnz .LBB222_3982
; %bb.3927:
	s_andn2_b64 vcc, exec, s[6:7]
	s_cbranch_vccnz .LBB222_3929
.LBB222_3928:
	v_cmp_neq_f64_e32 vcc, 0, v[0:1]
	v_cndmask_b32_e64 v2, 0, 1, vcc
	s_mov_b64 s[8:9], -1
	global_store_byte v[4:5], v2, off
.LBB222_3929:
	s_mov_b64 s[4:5], 0
.LBB222_3930:
	s_and_b64 vcc, exec, s[4:5]
	s_cbranch_vccz .LBB222_3969
; %bb.3931:
	v_mov_b32_e32 v2, 5
	v_cmp_lt_i16_sdwa s[6:7], s33, v2 src0_sel:BYTE_0 src1_sel:DWORD
	s_mov_b64 s[4:5], -1
	s_and_b64 vcc, exec, s[6:7]
	s_cbranch_vccnz .LBB222_3952
; %bb.3932:
	v_mov_b32_e32 v2, 8
	v_cmp_lt_i16_sdwa s[6:7], s33, v2 src0_sel:BYTE_0 src1_sel:DWORD
	s_and_b64 vcc, exec, s[6:7]
	s_cbranch_vccnz .LBB222_3942
; %bb.3933:
	v_mov_b32_e32 v2, 9
	v_cmp_lt_i16_sdwa s[6:7], s33, v2 src0_sel:BYTE_0 src1_sel:DWORD
	s_and_b64 vcc, exec, s[6:7]
	s_cbranch_vccnz .LBB222_3939
; %bb.3934:
	v_cmp_gt_i16_sdwa s[6:7], s33, v2 src0_sel:BYTE_0 src1_sel:DWORD
	s_and_b64 vcc, exec, s[6:7]
	s_cbranch_vccz .LBB222_3936
; %bb.3935:
	v_mov_b32_e32 v2, 0
	v_mov_b32_e32 v3, v2
	global_store_dwordx4 v[4:5], v[0:3], off
	s_mov_b64 s[4:5], 0
.LBB222_3936:
	s_andn2_b64 vcc, exec, s[4:5]
	s_cbranch_vccnz .LBB222_3938
; %bb.3937:
	v_cvt_f32_f64_e32 v2, v[0:1]
	v_mov_b32_e32 v3, 0
	global_store_dwordx2 v[4:5], v[2:3], off
.LBB222_3938:
	s_mov_b64 s[4:5], 0
.LBB222_3939:
	s_andn2_b64 vcc, exec, s[4:5]
	s_cbranch_vccnz .LBB222_3941
; %bb.3940:
	v_cvt_f32_f64_e32 v2, v[0:1]
	v_cvt_f16_f32_e32 v2, v2
	global_store_dword v[4:5], v2, off
.LBB222_3941:
	s_mov_b64 s[4:5], 0
.LBB222_3942:
	s_andn2_b64 vcc, exec, s[4:5]
	s_cbranch_vccnz .LBB222_3951
; %bb.3943:
	v_mov_b32_e32 v2, 6
	v_cmp_lt_i16_sdwa s[6:7], s33, v2 src0_sel:BYTE_0 src1_sel:DWORD
	s_mov_b64 s[4:5], -1
	s_and_b64 vcc, exec, s[6:7]
	s_cbranch_vccnz .LBB222_3949
; %bb.3944:
	v_cmp_gt_i16_sdwa s[6:7], s33, v2 src0_sel:BYTE_0 src1_sel:DWORD
	s_and_b64 vcc, exec, s[6:7]
	s_cbranch_vccz .LBB222_3946
; %bb.3945:
	global_store_dwordx2 v[4:5], v[0:1], off
	s_mov_b64 s[4:5], 0
.LBB222_3946:
	s_andn2_b64 vcc, exec, s[4:5]
	s_cbranch_vccnz .LBB222_3948
; %bb.3947:
	v_cvt_f32_f64_e32 v2, v[0:1]
	global_store_dword v[4:5], v2, off
.LBB222_3948:
	s_mov_b64 s[4:5], 0
.LBB222_3949:
	s_andn2_b64 vcc, exec, s[4:5]
	s_cbranch_vccnz .LBB222_3951
; %bb.3950:
	v_cvt_f32_f64_e32 v2, v[0:1]
	v_cvt_f16_f32_e32 v2, v2
	global_store_short v[4:5], v2, off
.LBB222_3951:
	s_mov_b64 s[4:5], 0
.LBB222_3952:
	s_andn2_b64 vcc, exec, s[4:5]
	s_cbranch_vccnz .LBB222_3968
; %bb.3953:
	v_mov_b32_e32 v2, 2
	v_cmp_lt_i16_sdwa s[6:7], s33, v2 src0_sel:BYTE_0 src1_sel:DWORD
	s_mov_b64 s[4:5], -1
	s_and_b64 vcc, exec, s[6:7]
	s_cbranch_vccnz .LBB222_3963
; %bb.3954:
	v_mov_b32_e32 v2, 3
	v_cmp_lt_i16_sdwa s[6:7], s33, v2 src0_sel:BYTE_0 src1_sel:DWORD
	s_and_b64 vcc, exec, s[6:7]
	s_cbranch_vccnz .LBB222_3960
; %bb.3955:
	v_cmp_gt_i16_sdwa s[6:7], s33, v2 src0_sel:BYTE_0 src1_sel:DWORD
	s_and_b64 vcc, exec, s[6:7]
	s_cbranch_vccz .LBB222_3957
; %bb.3956:
	v_trunc_f64_e32 v[2:3], v[0:1]
	s_movk_i32 s4, 0xffe0
	v_ldexp_f64 v[6:7], v[2:3], s4
	v_floor_f64_e32 v[6:7], v[6:7]
	v_fmac_f64_e32 v[2:3], 0xc1f00000, v[6:7]
	v_cvt_i32_f64_e32 v9, v[6:7]
	v_cvt_u32_f64_e32 v8, v[2:3]
	global_store_dwordx2 v[4:5], v[8:9], off
	s_mov_b64 s[4:5], 0
.LBB222_3957:
	s_andn2_b64 vcc, exec, s[4:5]
	s_cbranch_vccnz .LBB222_3959
; %bb.3958:
	v_cvt_i32_f64_e32 v2, v[0:1]
	global_store_dword v[4:5], v2, off
.LBB222_3959:
	s_mov_b64 s[4:5], 0
.LBB222_3960:
	s_andn2_b64 vcc, exec, s[4:5]
	s_cbranch_vccnz .LBB222_3962
; %bb.3961:
	v_cvt_i32_f64_e32 v2, v[0:1]
	global_store_short v[4:5], v2, off
.LBB222_3962:
	s_mov_b64 s[4:5], 0
.LBB222_3963:
	s_andn2_b64 vcc, exec, s[4:5]
	s_cbranch_vccnz .LBB222_3968
; %bb.3964:
	v_mov_b32_e32 v2, 0
	v_cmp_gt_i16_sdwa s[6:7], s33, v2 src0_sel:BYTE_0 src1_sel:DWORD
	s_mov_b64 s[4:5], -1
	s_and_b64 vcc, exec, s[6:7]
	s_cbranch_vccz .LBB222_3966
; %bb.3965:
	v_cvt_i32_f64_e32 v2, v[0:1]
	global_store_byte v[4:5], v2, off
	s_mov_b64 s[4:5], 0
.LBB222_3966:
	s_andn2_b64 vcc, exec, s[4:5]
	s_cbranch_vccnz .LBB222_3968
; %bb.3967:
	v_trunc_f64_e32 v[0:1], v[0:1]
	s_movk_i32 s4, 0xffe0
	v_ldexp_f64 v[2:3], v[0:1], s4
	v_floor_f64_e32 v[2:3], v[2:3]
	v_fmac_f64_e32 v[0:1], 0xc1f00000, v[2:3]
	v_cvt_u32_f64_e32 v0, v[0:1]
	global_store_byte v[4:5], v0, off
.LBB222_3968:
	s_mov_b64 s[8:9], -1
.LBB222_3969:
	s_andn2_b64 vcc, exec, s[8:9]
	s_cbranch_vccnz .LBB222_4173
; %bb.3970:
	v_mov_b32_e32 v0, v56
	v_mov_b32_e32 v1, v57
	v_mov_b32_e32 v2, v58
	v_mov_b32_e32 v3, v59
	v_mov_b32_e32 v4, v60
	v_mov_b32_e32 v5, v61
	s_getpc_b64 s[4:5]
	s_add_u32 s4, s4, _ZZZZN2at6native28launch_dirichlet_grad_kernelERNS_18TensorIteratorBaseEENKUlvE_clEvENKUlvE_clEvENKUldddE_clEddd@rel32@lo+4
	s_addc_u32 s5, s5, _ZZZZN2at6native28launch_dirichlet_grad_kernelERNS_18TensorIteratorBaseEENKUlvE_clEvENKUlvE_clEvENKUldddE_clEddd@rel32@hi+12
	s_swappc_b64 s[30:31], s[4:5]
	s_mov_b64 s[4:5], s[88:89]
	v_mov_b32_e32 v2, s5
	v_add_co_u32_e32 v4, vcc, s4, v78
	v_addc_co_u32_e32 v5, vcc, 0, v2, vcc
	v_mov_b32_e32 v2, 11
	v_cmp_lt_i16_sdwa s[4:5], s33, v2 src0_sel:BYTE_0 src1_sel:DWORD
	s_and_b64 vcc, exec, s[4:5]
	s_cbranch_vccnz .LBB222_3977
; %bb.3971:
	v_mov_b32_e32 v2, 25
	v_cmp_gt_i16_sdwa s[4:5], s33, v2 src0_sel:BYTE_0 src1_sel:DWORD
	s_mov_b64 s[10:11], -1
	s_mov_b64 s[6:7], 0
	s_and_b64 vcc, exec, s[4:5]
	s_mov_b64 s[8:9], 0
	s_mov_b64 s[4:5], 0
	s_cbranch_vccz .LBB222_4013
; %bb.3972:
	v_mov_b32_e32 v2, 28
	v_cmp_gt_i16_sdwa s[4:5], s33, v2 src0_sel:BYTE_0 src1_sel:DWORD
	s_and_b64 vcc, exec, s[4:5]
	s_cbranch_vccz .LBB222_3978
; %bb.3973:
	v_mov_b32_e32 v2, 43
	v_cmp_gt_i16_sdwa s[4:5], s33, v2 src0_sel:BYTE_0 src1_sel:DWORD
	s_and_b64 vcc, exec, s[4:5]
	;; [unrolled: 5-line block ×3, first 2 shown]
	s_cbranch_vccz .LBB222_3985
; %bb.3975:
	v_mov_b32_e32 v2, 46
	v_cmp_eq_u16_sdwa s[8:9], s33, v2 src0_sel:BYTE_0 src1_sel:DWORD
	s_mov_b64 s[4:5], -1
	s_mov_b64 s[10:11], 0
	s_and_b64 vcc, exec, s[8:9]
	s_mov_b64 s[8:9], 0
	s_cbranch_vccz .LBB222_3986
; %bb.3976:
	v_cvt_f32_f64_e32 v2, v[0:1]
	v_bfe_u32 v3, v2, 16, 1
	s_movk_i32 s4, 0x7fff
	v_add3_u32 v3, v2, v3, s4
	v_lshrrev_b32_e32 v3, 16, v3
	v_mov_b32_e32 v6, 0x7fc0
	v_cmp_o_f32_e32 vcc, v2, v2
	v_cndmask_b32_e32 v2, v6, v3, vcc
	global_store_dword v[4:5], v2, off
	s_mov_b64 s[4:5], 0
	s_mov_b64 s[8:9], -1
	s_branch .LBB222_3986
.LBB222_3977:
	s_mov_b64 s[4:5], -1
	s_mov_b64 s[8:9], 0
	s_branch .LBB222_4057
.LBB222_3978:
	s_mov_b64 s[4:5], 0
	s_branch .LBB222_3996
.LBB222_3979:
	s_or_saveexec_b64 s[12:13], s[12:13]
                                        ; implicit-def: $sgpr14
	s_xor_b64 exec, exec, s[12:13]
	s_cbranch_execz .LBB222_3880
.LBB222_3980:
	s_mov_b32 s14, 0x46000000
	v_add_f32_e64 v3, |v2|, s14
	v_and_b32_e32 v3, 0xff, v3
	v_cmp_ne_u32_e32 vcc, 0, v3
	s_andn2_b64 s[10:11], s[10:11], exec
	s_and_b64 s[16:17], vcc, exec
	s_mov_b32 s14, 0
	s_or_b64 s[10:11], s[10:11], s[16:17]
	s_or_b64 exec, exec, s[12:13]
	v_mov_b32_e32 v6, s14
	s_and_saveexec_b64 s[12:13], s[10:11]
	s_cbranch_execnz .LBB222_3881
	s_branch .LBB222_3882
.LBB222_3981:
	s_mov_b64 s[4:5], 0
	s_branch .LBB222_3992
.LBB222_3982:
	s_trap 2
	s_or_b64 s[90:91], s[90:91], exec
	s_cbranch_execz .LBB222_3928
	s_branch .LBB222_3929
.LBB222_3983:
	s_or_saveexec_b64 s[10:11], s[10:11]
                                        ; implicit-def: $sgpr12
	s_xor_b64 exec, exec, s[10:11]
	s_cbranch_execz .LBB222_3893
.LBB222_3984:
	s_mov_b32 s12, 0x42800000
	v_add_f32_e64 v3, |v2|, s12
	v_and_b32_e32 v3, 0xff, v3
	v_cmp_ne_u32_e32 vcc, 0, v3
	s_andn2_b64 s[8:9], s[8:9], exec
	s_and_b64 s[14:15], vcc, exec
	s_mov_b32 s12, 0
	s_or_b64 s[8:9], s[8:9], s[14:15]
	s_or_b64 exec, exec, s[10:11]
	v_mov_b32_e32 v6, s12
	s_and_saveexec_b64 s[10:11], s[8:9]
	s_cbranch_execnz .LBB222_3894
	s_branch .LBB222_3895
.LBB222_3985:
	s_mov_b64 s[4:5], 0
.LBB222_3986:
	s_and_b64 vcc, exec, s[10:11]
	s_cbranch_vccz .LBB222_3991
; %bb.3987:
	v_mov_b32_e32 v2, 44
	v_cmp_eq_u16_sdwa s[10:11], s33, v2 src0_sel:BYTE_0 src1_sel:DWORD
	s_mov_b64 s[4:5], -1
	s_and_b64 vcc, exec, s[10:11]
	s_cbranch_vccz .LBB222_3991
; %bb.3988:
	v_cvt_f32_f64_e32 v2, v[0:1]
	v_bfe_u32 v3, v2, 23, 8
	s_movk_i32 s4, 0xff
	v_cmp_ne_u32_e32 vcc, s4, v3
	v_mov_b32_e32 v6, 0xff
	s_and_saveexec_b64 s[8:9], vcc
; %bb.3989:
	s_mov_b32 s4, 0x3fffff
	v_lshrrev_b32_e32 v6, 23, v2
	v_and_b32_e32 v7, 0x400000, v2
	v_and_or_b32 v2, v2, s4, v3
	v_cmp_ne_u32_e32 vcc, 0, v7
	v_cmp_ne_u32_e64 s[4:5], 0, v2
	s_and_b64 s[4:5], vcc, s[4:5]
	v_cndmask_b32_e64 v2, 0, 1, s[4:5]
	v_add_u32_e32 v6, v6, v2
; %bb.3990:
	s_or_b64 exec, exec, s[8:9]
	s_mov_b64 s[4:5], 0
	s_mov_b64 s[8:9], -1
	global_store_byte v[4:5], v6, off
.LBB222_3991:
	s_mov_b64 s[10:11], 0
.LBB222_3992:
	s_and_b64 vcc, exec, s[10:11]
	s_cbranch_vccz .LBB222_3995
; %bb.3993:
	v_mov_b32_e32 v2, 29
	v_cmp_eq_u16_sdwa s[10:11], s33, v2 src0_sel:BYTE_0 src1_sel:DWORD
	s_mov_b64 s[4:5], -1
	s_and_b64 vcc, exec, s[10:11]
	s_cbranch_vccz .LBB222_3995
; %bb.3994:
	v_trunc_f64_e32 v[2:3], v[0:1]
	s_movk_i32 s4, 0xffe0
	v_ldexp_f64 v[6:7], v[2:3], s4
	v_floor_f64_e32 v[6:7], v[6:7]
	v_fmac_f64_e32 v[2:3], 0xc1f00000, v[6:7]
	v_cvt_u32_f64_e32 v9, v[6:7]
	v_cvt_u32_f64_e32 v8, v[2:3]
	global_store_dwordx2 v[4:5], v[8:9], off
	s_mov_b64 s[4:5], 0
	s_mov_b64 s[8:9], -1
.LBB222_3995:
	s_mov_b64 s[10:11], 0
.LBB222_3996:
	s_and_b64 vcc, exec, s[10:11]
	s_cbranch_vccz .LBB222_4012
; %bb.3997:
	v_mov_b32_e32 v2, 27
	v_cmp_lt_i16_sdwa s[10:11], s33, v2 src0_sel:BYTE_0 src1_sel:DWORD
	s_mov_b64 s[8:9], -1
	s_and_b64 vcc, exec, s[10:11]
	s_cbranch_vccnz .LBB222_4003
; %bb.3998:
	v_cmp_gt_i16_sdwa s[10:11], s33, v2 src0_sel:BYTE_0 src1_sel:DWORD
	s_and_b64 vcc, exec, s[10:11]
	s_cbranch_vccz .LBB222_4000
; %bb.3999:
	v_cvt_u32_f64_e32 v2, v[0:1]
	s_mov_b64 s[8:9], 0
	global_store_dword v[4:5], v2, off
.LBB222_4000:
	s_andn2_b64 vcc, exec, s[8:9]
	s_cbranch_vccnz .LBB222_4002
; %bb.4001:
	v_cvt_u32_f64_e32 v2, v[0:1]
	global_store_short v[4:5], v2, off
.LBB222_4002:
	s_mov_b64 s[8:9], 0
.LBB222_4003:
	s_andn2_b64 vcc, exec, s[8:9]
	s_cbranch_vccnz .LBB222_4011
; %bb.4004:
	v_cvt_f32_f64_e32 v2, v[0:1]
	v_and_b32_e32 v3, 0x7fffffff, v2
	s_mov_b32 s8, 0x43800000
	v_cmp_gt_u32_e32 vcc, s8, v3
	v_mov_b32_e32 v6, 0x80
	s_and_saveexec_b64 s[8:9], vcc
	s_cbranch_execz .LBB222_4010
; %bb.4005:
	s_mov_b32 s10, 0x3bffffff
	v_cmp_lt_u32_e32 vcc, s10, v3
	s_mov_b64 s[10:11], 0
                                        ; implicit-def: $vgpr3
	s_and_saveexec_b64 s[12:13], vcc
	s_xor_b64 s[12:13], exec, s[12:13]
	s_cbranch_execz .LBB222_4219
; %bb.4006:
	v_bfe_u32 v3, v2, 20, 1
	s_mov_b32 s14, 0x487ffff
	v_add3_u32 v3, v2, v3, s14
	s_mov_b64 s[10:11], exec
	v_lshrrev_b32_e32 v3, 20, v3
	s_or_saveexec_b64 s[12:13], s[12:13]
                                        ; implicit-def: $sgpr14
	s_xor_b64 exec, exec, s[12:13]
	s_cbranch_execnz .LBB222_4220
.LBB222_4007:
	s_or_b64 exec, exec, s[12:13]
	v_mov_b32_e32 v6, s14
	s_and_saveexec_b64 s[12:13], s[10:11]
.LBB222_4008:
	v_lshrrev_b32_e32 v2, 24, v2
	s_movk_i32 s10, 0x80
	v_and_or_b32 v6, v2, s10, v3
.LBB222_4009:
	s_or_b64 exec, exec, s[12:13]
.LBB222_4010:
	s_or_b64 exec, exec, s[8:9]
	global_store_byte v[4:5], v6, off
.LBB222_4011:
	s_mov_b64 s[8:9], -1
.LBB222_4012:
	s_mov_b64 s[10:11], 0
.LBB222_4013:
	s_and_b64 vcc, exec, s[10:11]
	s_cbranch_vccz .LBB222_4053
; %bb.4014:
	v_mov_b32_e32 v2, 22
	v_cmp_gt_i16_sdwa s[10:11], s33, v2 src0_sel:BYTE_0 src1_sel:DWORD
	s_mov_b64 s[6:7], -1
	s_and_b64 vcc, exec, s[10:11]
	s_cbranch_vccz .LBB222_4046
; %bb.4015:
	v_mov_b32_e32 v2, 24
	v_cmp_lt_i16_sdwa s[8:9], s33, v2 src0_sel:BYTE_0 src1_sel:DWORD
	s_and_b64 vcc, exec, s[8:9]
	s_cbranch_vccnz .LBB222_4035
; %bb.4016:
	v_cmp_gt_i16_sdwa s[8:9], s33, v2 src0_sel:BYTE_0 src1_sel:DWORD
	s_and_b64 vcc, exec, s[8:9]
	s_cbranch_vccz .LBB222_4024
; %bb.4017:
	v_cvt_f32_f64_e32 v2, v[0:1]
	v_and_b32_e32 v3, 0x7fffffff, v2
	s_mov_b32 s6, 0x47800000
	v_cmp_gt_u32_e32 vcc, s6, v3
	v_mov_b32_e32 v6, 0x80
	s_and_saveexec_b64 s[6:7], vcc
	s_cbranch_execz .LBB222_4023
; %bb.4018:
	s_mov_b32 s8, 0x37ffffff
	v_cmp_lt_u32_e32 vcc, s8, v3
	s_mov_b64 s[8:9], 0
                                        ; implicit-def: $vgpr3
	s_and_saveexec_b64 s[10:11], vcc
	s_xor_b64 s[10:11], exec, s[10:11]
	s_cbranch_execz .LBB222_4222
; %bb.4019:
	v_bfe_u32 v3, v2, 21, 1
	s_mov_b32 s12, 0x88fffff
	v_add3_u32 v3, v2, v3, s12
	s_mov_b64 s[8:9], exec
	v_lshrrev_b32_e32 v3, 21, v3
	s_or_saveexec_b64 s[10:11], s[10:11]
                                        ; implicit-def: $sgpr12
	s_xor_b64 exec, exec, s[10:11]
	s_cbranch_execnz .LBB222_4223
.LBB222_4020:
	s_or_b64 exec, exec, s[10:11]
	v_mov_b32_e32 v6, s12
	s_and_saveexec_b64 s[10:11], s[8:9]
.LBB222_4021:
	v_lshrrev_b32_e32 v2, 24, v2
	s_movk_i32 s8, 0x80
	v_and_or_b32 v6, v2, s8, v3
.LBB222_4022:
	s_or_b64 exec, exec, s[10:11]
.LBB222_4023:
	s_or_b64 exec, exec, s[6:7]
	s_mov_b64 s[6:7], 0
	global_store_byte v[4:5], v6, off
.LBB222_4024:
	s_and_b64 vcc, exec, s[6:7]
	s_cbranch_vccz .LBB222_4034
; %bb.4025:
	v_cvt_f32_f64_e32 v2, v[0:1]
	v_and_b32_e32 v6, 0x7fffffff, v2
	s_mov_b32 s6, 0x43f00000
	v_cmp_gt_u32_e32 vcc, s6, v6
                                        ; implicit-def: $vgpr3
	s_and_saveexec_b64 s[6:7], vcc
	s_xor_b64 s[6:7], exec, s[6:7]
	s_cbranch_execz .LBB222_4031
; %bb.4026:
	s_mov_b32 s8, 0x3c7fffff
	v_cmp_lt_u32_e32 vcc, s8, v6
                                        ; implicit-def: $vgpr3
	s_and_saveexec_b64 s[8:9], vcc
	s_xor_b64 s[8:9], exec, s[8:9]
; %bb.4027:
	v_bfe_u32 v3, v2, 20, 1
	s_mov_b32 s10, 0x407ffff
	v_add3_u32 v3, v2, v3, s10
	v_lshrrev_b32_e32 v6, 20, v3
	v_and_b32_e32 v3, 0xff00000, v3
	s_mov_b32 s10, 0x7f00000
	v_mov_b32_e32 v7, 0x7e
	v_cmp_ne_u32_e32 vcc, s10, v3
	v_cndmask_b32_e32 v3, v7, v6, vcc
; %bb.4028:
	s_andn2_saveexec_b64 s[8:9], s[8:9]
; %bb.4029:
	s_mov_b32 s10, 0x46800000
	v_add_f32_e64 v3, |v2|, s10
; %bb.4030:
	s_or_b64 exec, exec, s[8:9]
                                        ; implicit-def: $vgpr6
.LBB222_4031:
	s_andn2_saveexec_b64 s[6:7], s[6:7]
; %bb.4032:
	s_mov_b32 s8, 0x7f800000
	v_mov_b32_e32 v3, 0x7e
	v_mov_b32_e32 v7, 0x7f
	v_cmp_lt_u32_e32 vcc, s8, v6
	v_cndmask_b32_e32 v3, v3, v7, vcc
; %bb.4033:
	s_or_b64 exec, exec, s[6:7]
	v_lshrrev_b32_e32 v2, 24, v2
	s_movk_i32 s6, 0x80
	v_and_or_b32 v2, v2, s6, v3
	global_store_byte v[4:5], v2, off
.LBB222_4034:
	s_mov_b64 s[6:7], 0
.LBB222_4035:
	s_andn2_b64 vcc, exec, s[6:7]
	s_cbranch_vccnz .LBB222_4045
; %bb.4036:
	v_cvt_f32_f64_e32 v2, v[0:1]
	v_and_b32_e32 v6, 0x7fffffff, v2
	s_mov_b32 s6, 0x47800000
	v_cmp_gt_u32_e32 vcc, s6, v6
                                        ; implicit-def: $vgpr3
	s_and_saveexec_b64 s[6:7], vcc
	s_xor_b64 s[6:7], exec, s[6:7]
	s_cbranch_execz .LBB222_4042
; %bb.4037:
	s_mov_b32 s8, 0x387fffff
	v_cmp_lt_u32_e32 vcc, s8, v6
                                        ; implicit-def: $vgpr3
	s_and_saveexec_b64 s[8:9], vcc
	s_xor_b64 s[8:9], exec, s[8:9]
; %bb.4038:
	v_bfe_u32 v3, v2, 21, 1
	s_mov_b32 s10, 0x80fffff
	v_add3_u32 v3, v2, v3, s10
	v_lshrrev_b32_e32 v3, 21, v3
; %bb.4039:
	s_andn2_saveexec_b64 s[8:9], s[8:9]
; %bb.4040:
	s_mov_b32 s10, 0x43000000
	v_add_f32_e64 v3, |v2|, s10
; %bb.4041:
	s_or_b64 exec, exec, s[8:9]
                                        ; implicit-def: $vgpr6
.LBB222_4042:
	s_andn2_saveexec_b64 s[6:7], s[6:7]
; %bb.4043:
	s_mov_b32 s8, 0x7f800000
	v_mov_b32_e32 v3, 0x7c
	v_mov_b32_e32 v7, 0x7f
	v_cmp_lt_u32_e32 vcc, s8, v6
	v_cndmask_b32_e32 v3, v3, v7, vcc
; %bb.4044:
	s_or_b64 exec, exec, s[6:7]
	v_lshrrev_b32_e32 v2, 24, v2
	s_movk_i32 s6, 0x80
	v_and_or_b32 v2, v2, s6, v3
	global_store_byte v[4:5], v2, off
.LBB222_4045:
	s_mov_b64 s[6:7], 0
	s_mov_b64 s[8:9], -1
.LBB222_4046:
	s_andn2_b64 vcc, exec, s[6:7]
	s_mov_b64 s[6:7], 0
	s_cbranch_vccnz .LBB222_4053
; %bb.4047:
	v_mov_b32_e32 v2, 14
	v_cmp_gt_i16_sdwa s[6:7], s33, v2 src0_sel:BYTE_0 src1_sel:DWORD
	s_mov_b64 s[10:11], -1
	s_and_b64 vcc, exec, s[6:7]
	s_cbranch_vccz .LBB222_4051
; %bb.4048:
	v_mov_b32_e32 v2, 15
	v_cmp_eq_u16_sdwa s[6:7], s33, v2 src0_sel:BYTE_0 src1_sel:DWORD
	s_mov_b64 s[4:5], -1
	s_and_b64 vcc, exec, s[6:7]
	s_cbranch_vccz .LBB222_4050
; %bb.4049:
	v_cvt_f32_f64_e32 v2, v[0:1]
	v_bfe_u32 v3, v2, 16, 1
	s_movk_i32 s4, 0x7fff
	v_add3_u32 v3, v2, v3, s4
	v_lshrrev_b32_e32 v3, 16, v3
	v_mov_b32_e32 v6, 0x7fc0
	v_cmp_o_f32_e32 vcc, v2, v2
	v_cndmask_b32_e32 v2, v6, v3, vcc
	global_store_short v[4:5], v2, off
	s_mov_b64 s[4:5], 0
	s_mov_b64 s[8:9], -1
.LBB222_4050:
	s_mov_b64 s[10:11], 0
.LBB222_4051:
	s_mov_b64 s[6:7], 0
	s_and_b64 vcc, exec, s[10:11]
	s_cbranch_vccz .LBB222_4053
; %bb.4052:
	v_mov_b32_e32 v2, 11
	v_cmp_ne_u16_sdwa s[4:5], s33, v2 src0_sel:BYTE_0 src1_sel:DWORD
	s_mov_b64 s[6:7], -1
.LBB222_4053:
	s_and_b64 vcc, exec, s[4:5]
	s_cbranch_vccnz .LBB222_4221
; %bb.4054:
	s_andn2_b64 vcc, exec, s[6:7]
	s_cbranch_vccnz .LBB222_4056
.LBB222_4055:
	v_cmp_neq_f64_e32 vcc, 0, v[0:1]
	v_cndmask_b32_e64 v2, 0, 1, vcc
	s_mov_b64 s[8:9], -1
	global_store_byte v[4:5], v2, off
.LBB222_4056:
	s_mov_b64 s[4:5], 0
.LBB222_4057:
	s_and_b64 vcc, exec, s[4:5]
	s_cbranch_vccz .LBB222_4096
; %bb.4058:
	v_mov_b32_e32 v2, 5
	v_cmp_lt_i16_sdwa s[6:7], s33, v2 src0_sel:BYTE_0 src1_sel:DWORD
	s_mov_b64 s[4:5], -1
	s_and_b64 vcc, exec, s[6:7]
	s_cbranch_vccnz .LBB222_4079
; %bb.4059:
	v_mov_b32_e32 v2, 8
	v_cmp_lt_i16_sdwa s[6:7], s33, v2 src0_sel:BYTE_0 src1_sel:DWORD
	s_and_b64 vcc, exec, s[6:7]
	s_cbranch_vccnz .LBB222_4069
; %bb.4060:
	v_mov_b32_e32 v2, 9
	v_cmp_lt_i16_sdwa s[6:7], s33, v2 src0_sel:BYTE_0 src1_sel:DWORD
	s_and_b64 vcc, exec, s[6:7]
	s_cbranch_vccnz .LBB222_4066
; %bb.4061:
	v_cmp_gt_i16_sdwa s[6:7], s33, v2 src0_sel:BYTE_0 src1_sel:DWORD
	s_and_b64 vcc, exec, s[6:7]
	s_cbranch_vccz .LBB222_4063
; %bb.4062:
	v_mov_b32_e32 v2, 0
	v_mov_b32_e32 v3, v2
	global_store_dwordx4 v[4:5], v[0:3], off
	s_mov_b64 s[4:5], 0
.LBB222_4063:
	s_andn2_b64 vcc, exec, s[4:5]
	s_cbranch_vccnz .LBB222_4065
; %bb.4064:
	v_cvt_f32_f64_e32 v2, v[0:1]
	v_mov_b32_e32 v3, 0
	global_store_dwordx2 v[4:5], v[2:3], off
.LBB222_4065:
	s_mov_b64 s[4:5], 0
.LBB222_4066:
	s_andn2_b64 vcc, exec, s[4:5]
	s_cbranch_vccnz .LBB222_4068
; %bb.4067:
	v_cvt_f32_f64_e32 v2, v[0:1]
	v_cvt_f16_f32_e32 v2, v2
	global_store_dword v[4:5], v2, off
.LBB222_4068:
	s_mov_b64 s[4:5], 0
.LBB222_4069:
	s_andn2_b64 vcc, exec, s[4:5]
	s_cbranch_vccnz .LBB222_4078
; %bb.4070:
	v_mov_b32_e32 v2, 6
	v_cmp_lt_i16_sdwa s[6:7], s33, v2 src0_sel:BYTE_0 src1_sel:DWORD
	s_mov_b64 s[4:5], -1
	s_and_b64 vcc, exec, s[6:7]
	s_cbranch_vccnz .LBB222_4076
; %bb.4071:
	v_cmp_gt_i16_sdwa s[6:7], s33, v2 src0_sel:BYTE_0 src1_sel:DWORD
	s_and_b64 vcc, exec, s[6:7]
	s_cbranch_vccz .LBB222_4073
; %bb.4072:
	global_store_dwordx2 v[4:5], v[0:1], off
	s_mov_b64 s[4:5], 0
.LBB222_4073:
	s_andn2_b64 vcc, exec, s[4:5]
	s_cbranch_vccnz .LBB222_4075
; %bb.4074:
	v_cvt_f32_f64_e32 v2, v[0:1]
	global_store_dword v[4:5], v2, off
.LBB222_4075:
	s_mov_b64 s[4:5], 0
.LBB222_4076:
	s_andn2_b64 vcc, exec, s[4:5]
	s_cbranch_vccnz .LBB222_4078
; %bb.4077:
	v_cvt_f32_f64_e32 v2, v[0:1]
	v_cvt_f16_f32_e32 v2, v2
	global_store_short v[4:5], v2, off
.LBB222_4078:
	s_mov_b64 s[4:5], 0
.LBB222_4079:
	s_andn2_b64 vcc, exec, s[4:5]
	s_cbranch_vccnz .LBB222_4095
; %bb.4080:
	v_mov_b32_e32 v2, 2
	v_cmp_lt_i16_sdwa s[6:7], s33, v2 src0_sel:BYTE_0 src1_sel:DWORD
	s_mov_b64 s[4:5], -1
	s_and_b64 vcc, exec, s[6:7]
	s_cbranch_vccnz .LBB222_4090
; %bb.4081:
	v_mov_b32_e32 v2, 3
	v_cmp_lt_i16_sdwa s[6:7], s33, v2 src0_sel:BYTE_0 src1_sel:DWORD
	s_and_b64 vcc, exec, s[6:7]
	s_cbranch_vccnz .LBB222_4087
; %bb.4082:
	v_cmp_gt_i16_sdwa s[6:7], s33, v2 src0_sel:BYTE_0 src1_sel:DWORD
	s_and_b64 vcc, exec, s[6:7]
	s_cbranch_vccz .LBB222_4084
; %bb.4083:
	v_trunc_f64_e32 v[2:3], v[0:1]
	s_movk_i32 s4, 0xffe0
	v_ldexp_f64 v[6:7], v[2:3], s4
	v_floor_f64_e32 v[6:7], v[6:7]
	v_fmac_f64_e32 v[2:3], 0xc1f00000, v[6:7]
	v_cvt_i32_f64_e32 v9, v[6:7]
	v_cvt_u32_f64_e32 v8, v[2:3]
	global_store_dwordx2 v[4:5], v[8:9], off
	s_mov_b64 s[4:5], 0
.LBB222_4084:
	s_andn2_b64 vcc, exec, s[4:5]
	s_cbranch_vccnz .LBB222_4086
; %bb.4085:
	v_cvt_i32_f64_e32 v2, v[0:1]
	global_store_dword v[4:5], v2, off
.LBB222_4086:
	s_mov_b64 s[4:5], 0
.LBB222_4087:
	s_andn2_b64 vcc, exec, s[4:5]
	s_cbranch_vccnz .LBB222_4089
; %bb.4088:
	v_cvt_i32_f64_e32 v2, v[0:1]
	global_store_short v[4:5], v2, off
.LBB222_4089:
	s_mov_b64 s[4:5], 0
.LBB222_4090:
	s_andn2_b64 vcc, exec, s[4:5]
	s_cbranch_vccnz .LBB222_4095
; %bb.4091:
	v_mov_b32_e32 v2, 0
	v_cmp_gt_i16_sdwa s[6:7], s33, v2 src0_sel:BYTE_0 src1_sel:DWORD
	s_mov_b64 s[4:5], -1
	s_and_b64 vcc, exec, s[6:7]
	s_cbranch_vccz .LBB222_4093
; %bb.4092:
	v_cvt_i32_f64_e32 v2, v[0:1]
	global_store_byte v[4:5], v2, off
	s_mov_b64 s[4:5], 0
.LBB222_4093:
	s_andn2_b64 vcc, exec, s[4:5]
	s_cbranch_vccnz .LBB222_4095
; %bb.4094:
	v_trunc_f64_e32 v[0:1], v[0:1]
	s_movk_i32 s4, 0xffe0
	v_ldexp_f64 v[2:3], v[0:1], s4
	v_floor_f64_e32 v[2:3], v[2:3]
	v_fmac_f64_e32 v[0:1], 0xc1f00000, v[2:3]
	v_cvt_u32_f64_e32 v0, v[0:1]
	global_store_byte v[4:5], v0, off
.LBB222_4095:
	s_mov_b64 s[8:9], -1
.LBB222_4096:
	s_andn2_b64 vcc, exec, s[8:9]
	s_cbranch_vccnz .LBB222_4173
; %bb.4097:
	v_mov_b32_e32 v0, v62
	v_mov_b32_e32 v1, v63
	;; [unrolled: 1-line block ×6, first 2 shown]
	s_getpc_b64 s[4:5]
	s_add_u32 s4, s4, _ZZZZN2at6native28launch_dirichlet_grad_kernelERNS_18TensorIteratorBaseEENKUlvE_clEvENKUlvE_clEvENKUldddE_clEddd@rel32@lo+4
	s_addc_u32 s5, s5, _ZZZZN2at6native28launch_dirichlet_grad_kernelERNS_18TensorIteratorBaseEENKUlvE_clEvENKUlvE_clEvENKUldddE_clEddd@rel32@hi+12
	s_swappc_b64 s[30:31], s[4:5]
	v_mov_b32_e32 v2, 0xff
	v_and_b32_e32 v6, s33, v2
	v_mov_b32_e32 v2, s89
	v_add_co_u32_e32 v4, vcc, s88, v76
	v_addc_co_u32_e32 v5, vcc, 0, v2, vcc
	v_cmp_gt_i16_e32 vcc, 11, v6
	s_cbranch_vccnz .LBB222_4218
; %bb.4098:
	v_cmp_lt_i16_e32 vcc, 25, v6
	s_mov_b64 s[8:9], -1
	s_mov_b64 s[6:7], 0
	s_mov_b64 s[4:5], 0
	s_cbranch_vccz .LBB222_4131
; %bb.4099:
	v_cmp_lt_i16_e32 vcc, 28, v6
	s_cbranch_vccz .LBB222_4115
; %bb.4100:
	v_cmp_lt_i16_e32 vcc, 43, v6
	;; [unrolled: 3-line block ×3, first 2 shown]
	s_cbranch_vccz .LBB222_4105
; %bb.4102:
	v_cmp_eq_u16_e32 vcc, 46, v6
	s_mov_b64 s[4:5], -1
	s_cbranch_vccz .LBB222_4104
; %bb.4103:
	v_cvt_f32_f64_e32 v2, v[0:1]
	v_bfe_u32 v3, v2, 16, 1
	s_movk_i32 s4, 0x7fff
	v_add3_u32 v3, v2, v3, s4
	v_lshrrev_b32_e32 v3, 16, v3
	v_mov_b32_e32 v7, 0x7fc0
	v_cmp_o_f32_e32 vcc, v2, v2
	v_cndmask_b32_e32 v2, v7, v3, vcc
	global_store_dword v[4:5], v2, off
	s_mov_b64 s[4:5], 0
.LBB222_4104:
	s_mov_b64 s[8:9], 0
.LBB222_4105:
	s_and_b64 vcc, exec, s[8:9]
	s_cbranch_vccz .LBB222_4110
; %bb.4106:
	v_cmp_eq_u16_e32 vcc, 44, v6
	s_mov_b64 s[4:5], -1
	s_cbranch_vccz .LBB222_4110
; %bb.4107:
	v_cvt_f32_f64_e32 v2, v[0:1]
	v_bfe_u32 v3, v2, 23, 8
	s_movk_i32 s4, 0xff
	v_cmp_ne_u32_e32 vcc, s4, v3
	v_mov_b32_e32 v7, 0xff
	s_and_saveexec_b64 s[8:9], vcc
; %bb.4108:
	s_mov_b32 s4, 0x3fffff
	v_lshrrev_b32_e32 v7, 23, v2
	v_and_b32_e32 v8, 0x400000, v2
	v_and_or_b32 v2, v2, s4, v3
	v_cmp_ne_u32_e32 vcc, 0, v8
	v_cmp_ne_u32_e64 s[4:5], 0, v2
	s_and_b64 s[4:5], vcc, s[4:5]
	v_cndmask_b32_e64 v2, 0, 1, s[4:5]
	v_add_u32_e32 v7, v7, v2
; %bb.4109:
	s_or_b64 exec, exec, s[8:9]
	s_mov_b64 s[4:5], 0
	global_store_byte v[4:5], v7, off
.LBB222_4110:
	s_mov_b64 s[8:9], 0
.LBB222_4111:
	s_and_b64 vcc, exec, s[8:9]
	s_cbranch_vccz .LBB222_4114
; %bb.4112:
	v_cmp_eq_u16_e32 vcc, 29, v6
	s_mov_b64 s[4:5], -1
	s_cbranch_vccz .LBB222_4114
; %bb.4113:
	v_trunc_f64_e32 v[2:3], v[0:1]
	s_movk_i32 s4, 0xffe0
	v_ldexp_f64 v[8:9], v[2:3], s4
	v_floor_f64_e32 v[8:9], v[8:9]
	v_fmac_f64_e32 v[2:3], 0xc1f00000, v[8:9]
	v_cvt_u32_f64_e32 v11, v[8:9]
	v_cvt_u32_f64_e32 v10, v[2:3]
	global_store_dwordx2 v[4:5], v[10:11], off
	s_mov_b64 s[4:5], 0
.LBB222_4114:
	s_mov_b64 s[8:9], 0
.LBB222_4115:
	s_and_b64 vcc, exec, s[8:9]
	s_cbranch_vccz .LBB222_4130
; %bb.4116:
	v_cmp_gt_i16_e32 vcc, 27, v6
	s_mov_b64 s[8:9], -1
	s_cbranch_vccnz .LBB222_4122
; %bb.4117:
	v_cmp_lt_i16_e32 vcc, 27, v6
	v_cvt_u32_f64_e32 v2, v[0:1]
	s_cbranch_vccz .LBB222_4119
; %bb.4118:
	global_store_dword v[4:5], v2, off
	s_mov_b64 s[8:9], 0
.LBB222_4119:
	s_andn2_b64 vcc, exec, s[8:9]
	s_cbranch_vccnz .LBB222_4121
; %bb.4120:
	global_store_short v[4:5], v2, off
.LBB222_4121:
	s_mov_b64 s[8:9], 0
.LBB222_4122:
	s_andn2_b64 vcc, exec, s[8:9]
	s_cbranch_vccnz .LBB222_4130
; %bb.4123:
	v_cvt_f32_f64_e32 v2, v[0:1]
	v_and_b32_e32 v3, 0x7fffffff, v2
	s_mov_b32 s8, 0x43800000
	v_cmp_gt_u32_e32 vcc, s8, v3
	v_mov_b32_e32 v7, 0x80
	s_and_saveexec_b64 s[8:9], vcc
	s_cbranch_execz .LBB222_4129
; %bb.4124:
	s_mov_b32 s10, 0x3bffffff
	v_cmp_lt_u32_e32 vcc, s10, v3
	s_mov_b64 s[10:11], 0
                                        ; implicit-def: $vgpr3
	s_and_saveexec_b64 s[12:13], vcc
	s_xor_b64 s[12:13], exec, s[12:13]
	s_cbranch_execz .LBB222_4224
; %bb.4125:
	v_bfe_u32 v3, v2, 20, 1
	s_mov_b32 s14, 0x487ffff
	v_add3_u32 v3, v2, v3, s14
	s_mov_b64 s[10:11], exec
	v_lshrrev_b32_e32 v3, 20, v3
	s_or_saveexec_b64 s[12:13], s[12:13]
                                        ; implicit-def: $sgpr14
	s_xor_b64 exec, exec, s[12:13]
	s_cbranch_execnz .LBB222_4225
.LBB222_4126:
	s_or_b64 exec, exec, s[12:13]
	v_mov_b32_e32 v7, s14
	s_and_saveexec_b64 s[12:13], s[10:11]
.LBB222_4127:
	v_lshrrev_b32_e32 v2, 24, v2
	s_movk_i32 s10, 0x80
	v_and_or_b32 v7, v2, s10, v3
.LBB222_4128:
	s_or_b64 exec, exec, s[12:13]
.LBB222_4129:
	s_or_b64 exec, exec, s[8:9]
	global_store_byte v[4:5], v7, off
.LBB222_4130:
	s_mov_b64 s[8:9], 0
.LBB222_4131:
	s_and_b64 vcc, exec, s[8:9]
	s_cbranch_vccz .LBB222_4171
; %bb.4132:
	v_cmp_lt_i16_e32 vcc, 22, v6
	s_mov_b64 s[6:7], -1
	s_cbranch_vccz .LBB222_4164
; %bb.4133:
	v_cmp_gt_i16_e32 vcc, 24, v6
	s_cbranch_vccnz .LBB222_4153
; %bb.4134:
	v_cmp_lt_i16_e32 vcc, 24, v6
	s_cbranch_vccz .LBB222_4142
; %bb.4135:
	v_cvt_f32_f64_e32 v2, v[0:1]
	v_and_b32_e32 v3, 0x7fffffff, v2
	s_mov_b32 s6, 0x47800000
	v_cmp_gt_u32_e32 vcc, s6, v3
	v_mov_b32_e32 v7, 0x80
	s_and_saveexec_b64 s[6:7], vcc
	s_cbranch_execz .LBB222_4141
; %bb.4136:
	s_mov_b32 s8, 0x37ffffff
	v_cmp_lt_u32_e32 vcc, s8, v3
	s_mov_b64 s[8:9], 0
                                        ; implicit-def: $vgpr3
	s_and_saveexec_b64 s[10:11], vcc
	s_xor_b64 s[10:11], exec, s[10:11]
	s_cbranch_execz .LBB222_4227
; %bb.4137:
	v_bfe_u32 v3, v2, 21, 1
	s_mov_b32 s12, 0x88fffff
	v_add3_u32 v3, v2, v3, s12
	s_mov_b64 s[8:9], exec
	v_lshrrev_b32_e32 v3, 21, v3
	s_or_saveexec_b64 s[10:11], s[10:11]
                                        ; implicit-def: $sgpr12
	s_xor_b64 exec, exec, s[10:11]
	s_cbranch_execnz .LBB222_4228
.LBB222_4138:
	s_or_b64 exec, exec, s[10:11]
	v_mov_b32_e32 v7, s12
	s_and_saveexec_b64 s[10:11], s[8:9]
.LBB222_4139:
	v_lshrrev_b32_e32 v2, 24, v2
	s_movk_i32 s8, 0x80
	v_and_or_b32 v7, v2, s8, v3
.LBB222_4140:
	s_or_b64 exec, exec, s[10:11]
.LBB222_4141:
	s_or_b64 exec, exec, s[6:7]
	s_mov_b64 s[6:7], 0
	global_store_byte v[4:5], v7, off
.LBB222_4142:
	s_and_b64 vcc, exec, s[6:7]
	s_cbranch_vccz .LBB222_4152
; %bb.4143:
	v_cvt_f32_f64_e32 v2, v[0:1]
	v_and_b32_e32 v7, 0x7fffffff, v2
	s_mov_b32 s6, 0x43f00000
	v_cmp_gt_u32_e32 vcc, s6, v7
                                        ; implicit-def: $vgpr3
	s_and_saveexec_b64 s[6:7], vcc
	s_xor_b64 s[6:7], exec, s[6:7]
	s_cbranch_execz .LBB222_4149
; %bb.4144:
	s_mov_b32 s8, 0x3c7fffff
	v_cmp_lt_u32_e32 vcc, s8, v7
                                        ; implicit-def: $vgpr3
	s_and_saveexec_b64 s[8:9], vcc
	s_xor_b64 s[8:9], exec, s[8:9]
; %bb.4145:
	v_bfe_u32 v3, v2, 20, 1
	s_mov_b32 s10, 0x407ffff
	v_add3_u32 v3, v2, v3, s10
	v_lshrrev_b32_e32 v7, 20, v3
	v_and_b32_e32 v3, 0xff00000, v3
	s_mov_b32 s10, 0x7f00000
	v_mov_b32_e32 v8, 0x7e
	v_cmp_ne_u32_e32 vcc, s10, v3
	v_cndmask_b32_e32 v3, v8, v7, vcc
; %bb.4146:
	s_andn2_saveexec_b64 s[8:9], s[8:9]
; %bb.4147:
	s_mov_b32 s10, 0x46800000
	v_add_f32_e64 v3, |v2|, s10
; %bb.4148:
	s_or_b64 exec, exec, s[8:9]
                                        ; implicit-def: $vgpr7
.LBB222_4149:
	s_andn2_saveexec_b64 s[6:7], s[6:7]
; %bb.4150:
	s_mov_b32 s8, 0x7f800000
	v_mov_b32_e32 v3, 0x7e
	v_mov_b32_e32 v8, 0x7f
	v_cmp_lt_u32_e32 vcc, s8, v7
	v_cndmask_b32_e32 v3, v3, v8, vcc
; %bb.4151:
	s_or_b64 exec, exec, s[6:7]
	v_lshrrev_b32_e32 v2, 24, v2
	s_movk_i32 s6, 0x80
	v_and_or_b32 v2, v2, s6, v3
	global_store_byte v[4:5], v2, off
.LBB222_4152:
	s_mov_b64 s[6:7], 0
.LBB222_4153:
	s_andn2_b64 vcc, exec, s[6:7]
	s_cbranch_vccnz .LBB222_4163
; %bb.4154:
	v_cvt_f32_f64_e32 v2, v[0:1]
	v_and_b32_e32 v7, 0x7fffffff, v2
	s_mov_b32 s6, 0x47800000
	v_cmp_gt_u32_e32 vcc, s6, v7
                                        ; implicit-def: $vgpr3
	s_and_saveexec_b64 s[6:7], vcc
	s_xor_b64 s[6:7], exec, s[6:7]
	s_cbranch_execz .LBB222_4160
; %bb.4155:
	s_mov_b32 s8, 0x387fffff
	v_cmp_lt_u32_e32 vcc, s8, v7
                                        ; implicit-def: $vgpr3
	s_and_saveexec_b64 s[8:9], vcc
	s_xor_b64 s[8:9], exec, s[8:9]
; %bb.4156:
	v_bfe_u32 v3, v2, 21, 1
	s_mov_b32 s10, 0x80fffff
	v_add3_u32 v3, v2, v3, s10
	v_lshrrev_b32_e32 v3, 21, v3
; %bb.4157:
	s_andn2_saveexec_b64 s[8:9], s[8:9]
; %bb.4158:
	s_mov_b32 s10, 0x43000000
	v_add_f32_e64 v3, |v2|, s10
; %bb.4159:
	s_or_b64 exec, exec, s[8:9]
                                        ; implicit-def: $vgpr7
.LBB222_4160:
	s_andn2_saveexec_b64 s[6:7], s[6:7]
; %bb.4161:
	s_mov_b32 s8, 0x7f800000
	v_mov_b32_e32 v3, 0x7c
	v_mov_b32_e32 v8, 0x7f
	v_cmp_lt_u32_e32 vcc, s8, v7
	v_cndmask_b32_e32 v3, v3, v8, vcc
; %bb.4162:
	s_or_b64 exec, exec, s[6:7]
	v_lshrrev_b32_e32 v2, 24, v2
	s_movk_i32 s6, 0x80
	v_and_or_b32 v2, v2, s6, v3
	global_store_byte v[4:5], v2, off
.LBB222_4163:
	s_mov_b64 s[6:7], 0
.LBB222_4164:
	s_andn2_b64 vcc, exec, s[6:7]
	s_mov_b64 s[6:7], 0
	s_cbranch_vccnz .LBB222_4171
; %bb.4165:
	v_cmp_lt_i16_e32 vcc, 14, v6
	s_mov_b64 s[8:9], -1
	s_cbranch_vccz .LBB222_4169
; %bb.4166:
	v_cmp_eq_u16_e32 vcc, 15, v6
	s_mov_b64 s[4:5], -1
	s_cbranch_vccz .LBB222_4168
; %bb.4167:
	v_cvt_f32_f64_e32 v2, v[0:1]
	v_bfe_u32 v3, v2, 16, 1
	s_movk_i32 s4, 0x7fff
	v_add3_u32 v3, v2, v3, s4
	v_lshrrev_b32_e32 v3, 16, v3
	v_mov_b32_e32 v7, 0x7fc0
	v_cmp_o_f32_e32 vcc, v2, v2
	v_cndmask_b32_e32 v2, v7, v3, vcc
	global_store_short v[4:5], v2, off
	s_mov_b64 s[4:5], 0
.LBB222_4168:
	s_mov_b64 s[8:9], 0
.LBB222_4169:
	s_and_b64 vcc, exec, s[8:9]
	s_cbranch_vccz .LBB222_4171
; %bb.4170:
	v_cmp_ne_u16_e64 s[4:5], 11, v6
	s_mov_b64 s[6:7], -1
.LBB222_4171:
	s_and_b64 vcc, exec, s[4:5]
	s_cbranch_vccnz .LBB222_4226
.LBB222_4172:
	s_mov_b64 s[4:5], 0
	s_branch .LBB222_4174
.LBB222_4173:
	s_mov_b64 s[4:5], 0
	s_mov_b64 s[6:7], 0
                                        ; implicit-def: $vgpr4_vgpr5
                                        ; implicit-def: $vgpr6
                                        ; implicit-def: $vgpr0_vgpr1
.LBB222_4174:
	s_and_b64 s[8:9], s[4:5], exec
	s_and_b64 s[42:43], s[6:7], exec
	s_andn2_b64 s[4:5], s[94:95], exec
	s_and_b64 s[6:7], s[90:91], exec
	s_or_b64 s[94:95], s[4:5], s[6:7]
.LBB222_4175:
	s_or_b64 exec, exec, s[92:93]
	s_and_saveexec_b64 s[4:5], s[94:95]
	s_cbranch_execz .LBB222_4178
; %bb.4176:
	; divergent unreachable
	s_or_b64 exec, exec, s[4:5]
	s_and_saveexec_b64 s[4:5], s[42:43]
	s_xor_b64 s[4:5], exec, s[4:5]
	s_cbranch_execnz .LBB222_4179
.LBB222_4177:
	s_or_b64 exec, exec, s[4:5]
	s_and_saveexec_b64 s[4:5], s[8:9]
	s_cbranch_execnz .LBB222_4180
	s_branch .LBB222_4217
.LBB222_4178:
	s_or_b64 exec, exec, s[4:5]
	s_and_saveexec_b64 s[4:5], s[42:43]
	s_xor_b64 s[4:5], exec, s[4:5]
	s_cbranch_execz .LBB222_4177
.LBB222_4179:
	s_waitcnt vmcnt(0)
	v_cmp_neq_f64_e32 vcc, 0, v[0:1]
	v_cndmask_b32_e64 v2, 0, 1, vcc
	global_store_byte v[4:5], v2, off
	s_or_b64 exec, exec, s[4:5]
	s_and_saveexec_b64 s[4:5], s[8:9]
	s_cbranch_execz .LBB222_4217
.LBB222_4180:
	s_waitcnt vmcnt(0)
	v_cmp_gt_i16_e32 vcc, 5, v6
	s_mov_b64 s[4:5], -1
	s_cbranch_vccnz .LBB222_4201
; %bb.4181:
	v_cmp_gt_i16_e32 vcc, 8, v6
	s_cbranch_vccnz .LBB222_4191
; %bb.4182:
	v_cmp_gt_i16_e32 vcc, 9, v6
	s_cbranch_vccnz .LBB222_4188
; %bb.4183:
	v_cmp_lt_i16_e32 vcc, 9, v6
	s_cbranch_vccz .LBB222_4185
; %bb.4184:
	v_mov_b32_e32 v2, 0
	v_mov_b32_e32 v3, v2
	global_store_dwordx4 v[4:5], v[0:3], off
	s_mov_b64 s[4:5], 0
.LBB222_4185:
	s_andn2_b64 vcc, exec, s[4:5]
	s_cbranch_vccnz .LBB222_4187
; %bb.4186:
	v_cvt_f32_f64_e32 v2, v[0:1]
	v_mov_b32_e32 v3, 0
	global_store_dwordx2 v[4:5], v[2:3], off
.LBB222_4187:
	s_mov_b64 s[4:5], 0
.LBB222_4188:
	s_andn2_b64 vcc, exec, s[4:5]
	s_cbranch_vccnz .LBB222_4190
; %bb.4189:
	v_cvt_f32_f64_e32 v2, v[0:1]
	v_cvt_f16_f32_e32 v2, v2
	global_store_dword v[4:5], v2, off
.LBB222_4190:
	s_mov_b64 s[4:5], 0
.LBB222_4191:
	s_andn2_b64 vcc, exec, s[4:5]
	s_cbranch_vccnz .LBB222_4200
; %bb.4192:
	v_cmp_gt_i16_e32 vcc, 6, v6
	s_mov_b64 s[4:5], -1
	s_cbranch_vccnz .LBB222_4198
; %bb.4193:
	v_cmp_lt_i16_e32 vcc, 6, v6
	s_cbranch_vccz .LBB222_4195
; %bb.4194:
	global_store_dwordx2 v[4:5], v[0:1], off
	s_mov_b64 s[4:5], 0
.LBB222_4195:
	s_andn2_b64 vcc, exec, s[4:5]
	s_cbranch_vccnz .LBB222_4197
; %bb.4196:
	v_cvt_f32_f64_e32 v2, v[0:1]
	global_store_dword v[4:5], v2, off
.LBB222_4197:
	s_mov_b64 s[4:5], 0
.LBB222_4198:
	s_andn2_b64 vcc, exec, s[4:5]
	s_cbranch_vccnz .LBB222_4200
; %bb.4199:
	v_cvt_f32_f64_e32 v2, v[0:1]
	v_cvt_f16_f32_e32 v2, v2
	global_store_short v[4:5], v2, off
.LBB222_4200:
	s_mov_b64 s[4:5], 0
.LBB222_4201:
	s_andn2_b64 vcc, exec, s[4:5]
	s_cbranch_vccnz .LBB222_4217
; %bb.4202:
	v_cmp_gt_i16_e32 vcc, 2, v6
	s_mov_b64 s[4:5], -1
	s_cbranch_vccnz .LBB222_4212
; %bb.4203:
	v_cmp_gt_i16_e32 vcc, 3, v6
	s_cbranch_vccnz .LBB222_4209
; %bb.4204:
	v_cmp_lt_i16_e32 vcc, 3, v6
	s_cbranch_vccz .LBB222_4206
; %bb.4205:
	v_trunc_f64_e32 v[2:3], v[0:1]
	s_movk_i32 s4, 0xffe0
	v_ldexp_f64 v[8:9], v[2:3], s4
	v_floor_f64_e32 v[8:9], v[8:9]
	v_fmac_f64_e32 v[2:3], 0xc1f00000, v[8:9]
	v_cvt_i32_f64_e32 v11, v[8:9]
	v_cvt_u32_f64_e32 v10, v[2:3]
	global_store_dwordx2 v[4:5], v[10:11], off
	s_mov_b64 s[4:5], 0
.LBB222_4206:
	s_andn2_b64 vcc, exec, s[4:5]
	s_cbranch_vccnz .LBB222_4208
; %bb.4207:
	v_cvt_i32_f64_e32 v2, v[0:1]
	global_store_dword v[4:5], v2, off
.LBB222_4208:
	s_mov_b64 s[4:5], 0
.LBB222_4209:
	s_andn2_b64 vcc, exec, s[4:5]
	s_cbranch_vccnz .LBB222_4211
; %bb.4210:
	v_cvt_i32_f64_e32 v2, v[0:1]
	global_store_short v[4:5], v2, off
.LBB222_4211:
	s_mov_b64 s[4:5], 0
.LBB222_4212:
	s_andn2_b64 vcc, exec, s[4:5]
	s_cbranch_vccnz .LBB222_4217
; %bb.4213:
	v_cmp_lt_i16_e32 vcc, 0, v6
	s_mov_b64 s[4:5], -1
	s_cbranch_vccz .LBB222_4215
; %bb.4214:
	v_cvt_i32_f64_e32 v2, v[0:1]
	global_store_byte v[4:5], v2, off
	s_mov_b64 s[4:5], 0
.LBB222_4215:
	s_andn2_b64 vcc, exec, s[4:5]
	s_cbranch_vccnz .LBB222_4217
; %bb.4216:
	v_trunc_f64_e32 v[0:1], v[0:1]
	s_movk_i32 s4, 0xffe0
	v_ldexp_f64 v[2:3], v[0:1], s4
	v_floor_f64_e32 v[2:3], v[2:3]
	v_fmac_f64_e32 v[0:1], 0xc1f00000, v[2:3]
	v_cvt_u32_f64_e32 v0, v[0:1]
	global_store_byte v[4:5], v0, off
	s_endpgm
.LBB222_4217:
	s_endpgm
.LBB222_4218:
	s_mov_b64 s[6:7], 0
	s_mov_b64 s[4:5], -1
	s_branch .LBB222_4174
.LBB222_4219:
	s_or_saveexec_b64 s[12:13], s[12:13]
                                        ; implicit-def: $sgpr14
	s_xor_b64 exec, exec, s[12:13]
	s_cbranch_execz .LBB222_4007
.LBB222_4220:
	s_mov_b32 s14, 0x46000000
	v_add_f32_e64 v3, |v2|, s14
	v_and_b32_e32 v3, 0xff, v3
	v_cmp_ne_u32_e32 vcc, 0, v3
	s_andn2_b64 s[10:11], s[10:11], exec
	s_and_b64 s[16:17], vcc, exec
	s_mov_b32 s14, 0
	s_or_b64 s[10:11], s[10:11], s[16:17]
	s_or_b64 exec, exec, s[12:13]
	v_mov_b32_e32 v6, s14
	s_and_saveexec_b64 s[12:13], s[10:11]
	s_cbranch_execnz .LBB222_4008
	s_branch .LBB222_4009
.LBB222_4221:
	s_trap 2
	s_or_b64 s[90:91], s[90:91], exec
	s_cbranch_execz .LBB222_4055
	s_branch .LBB222_4056
.LBB222_4222:
	s_or_saveexec_b64 s[10:11], s[10:11]
                                        ; implicit-def: $sgpr12
	s_xor_b64 exec, exec, s[10:11]
	s_cbranch_execz .LBB222_4020
.LBB222_4223:
	s_mov_b32 s12, 0x42800000
	v_add_f32_e64 v3, |v2|, s12
	v_and_b32_e32 v3, 0xff, v3
	v_cmp_ne_u32_e32 vcc, 0, v3
	s_andn2_b64 s[8:9], s[8:9], exec
	s_and_b64 s[14:15], vcc, exec
	s_mov_b32 s12, 0
	s_or_b64 s[8:9], s[8:9], s[14:15]
	s_or_b64 exec, exec, s[10:11]
	v_mov_b32_e32 v6, s12
	s_and_saveexec_b64 s[10:11], s[8:9]
	s_cbranch_execnz .LBB222_4021
	s_branch .LBB222_4022
.LBB222_4224:
	s_or_saveexec_b64 s[12:13], s[12:13]
                                        ; implicit-def: $sgpr14
	s_xor_b64 exec, exec, s[12:13]
	s_cbranch_execz .LBB222_4126
.LBB222_4225:
	s_mov_b32 s14, 0x46000000
	v_add_f32_e64 v3, |v2|, s14
	v_and_b32_e32 v3, 0xff, v3
	v_cmp_ne_u32_e32 vcc, 0, v3
	s_andn2_b64 s[10:11], s[10:11], exec
	s_and_b64 s[16:17], vcc, exec
	s_mov_b32 s14, 0
	s_or_b64 s[10:11], s[10:11], s[16:17]
	s_or_b64 exec, exec, s[12:13]
	v_mov_b32_e32 v7, s14
	s_and_saveexec_b64 s[12:13], s[10:11]
	s_cbranch_execnz .LBB222_4127
	s_branch .LBB222_4128
.LBB222_4226:
	s_mov_b64 s[6:7], 0
	s_or_b64 s[90:91], s[90:91], exec
	s_trap 2
	s_branch .LBB222_4172
.LBB222_4227:
	s_or_saveexec_b64 s[10:11], s[10:11]
                                        ; implicit-def: $sgpr12
	s_xor_b64 exec, exec, s[10:11]
	s_cbranch_execz .LBB222_4138
.LBB222_4228:
	s_mov_b32 s12, 0x42800000
	v_add_f32_e64 v3, |v2|, s12
	v_and_b32_e32 v3, 0xff, v3
	v_cmp_ne_u32_e32 vcc, 0, v3
	s_andn2_b64 s[8:9], s[8:9], exec
	s_and_b64 s[14:15], vcc, exec
	s_mov_b32 s12, 0
	s_or_b64 s[8:9], s[8:9], s[14:15]
	s_or_b64 exec, exec, s[10:11]
	v_mov_b32_e32 v7, s12
	s_and_saveexec_b64 s[10:11], s[8:9]
	s_cbranch_execnz .LBB222_4139
	s_branch .LBB222_4140
	.section	.rodata,"a",@progbits
	.p2align	6, 0x0
	.amdhsa_kernel _ZN2at6native32elementwise_kernel_manual_unrollILi128ELi4EZNS0_15gpu_kernel_implIZZZNS0_28launch_dirichlet_grad_kernelERNS_18TensorIteratorBaseEENKUlvE_clEvENKUlvE_clEvEUldddE_EEvS4_RKT_EUlibE0_EEviT1_
		.amdhsa_group_segment_fixed_size 0
		.amdhsa_private_segment_fixed_size 8
		.amdhsa_kernarg_size 504
		.amdhsa_user_sgpr_count 8
		.amdhsa_user_sgpr_private_segment_buffer 1
		.amdhsa_user_sgpr_dispatch_ptr 0
		.amdhsa_user_sgpr_queue_ptr 0
		.amdhsa_user_sgpr_kernarg_segment_ptr 1
		.amdhsa_user_sgpr_dispatch_id 0
		.amdhsa_user_sgpr_flat_scratch_init 1
		.amdhsa_user_sgpr_kernarg_preload_length 0
		.amdhsa_user_sgpr_kernarg_preload_offset 0
		.amdhsa_user_sgpr_private_segment_size 0
		.amdhsa_uses_dynamic_stack 0
		.amdhsa_system_sgpr_private_segment_wavefront_offset 1
		.amdhsa_system_sgpr_workgroup_id_x 1
		.amdhsa_system_sgpr_workgroup_id_y 0
		.amdhsa_system_sgpr_workgroup_id_z 0
		.amdhsa_system_sgpr_workgroup_info 0
		.amdhsa_system_vgpr_workitem_id 0
		.amdhsa_next_free_vgpr 88
		.amdhsa_next_free_sgpr 98
		.amdhsa_accum_offset 88
		.amdhsa_reserve_vcc 1
		.amdhsa_reserve_flat_scratch 1
		.amdhsa_float_round_mode_32 0
		.amdhsa_float_round_mode_16_64 0
		.amdhsa_float_denorm_mode_32 3
		.amdhsa_float_denorm_mode_16_64 3
		.amdhsa_dx10_clamp 1
		.amdhsa_ieee_mode 1
		.amdhsa_fp16_overflow 0
		.amdhsa_tg_split 0
		.amdhsa_exception_fp_ieee_invalid_op 0
		.amdhsa_exception_fp_denorm_src 0
		.amdhsa_exception_fp_ieee_div_zero 0
		.amdhsa_exception_fp_ieee_overflow 0
		.amdhsa_exception_fp_ieee_underflow 0
		.amdhsa_exception_fp_ieee_inexact 0
		.amdhsa_exception_int_div_zero 0
	.end_amdhsa_kernel
	.section	.text._ZN2at6native32elementwise_kernel_manual_unrollILi128ELi4EZNS0_15gpu_kernel_implIZZZNS0_28launch_dirichlet_grad_kernelERNS_18TensorIteratorBaseEENKUlvE_clEvENKUlvE_clEvEUldddE_EEvS4_RKT_EUlibE0_EEviT1_,"axG",@progbits,_ZN2at6native32elementwise_kernel_manual_unrollILi128ELi4EZNS0_15gpu_kernel_implIZZZNS0_28launch_dirichlet_grad_kernelERNS_18TensorIteratorBaseEENKUlvE_clEvENKUlvE_clEvEUldddE_EEvS4_RKT_EUlibE0_EEviT1_,comdat
.Lfunc_end222:
	.size	_ZN2at6native32elementwise_kernel_manual_unrollILi128ELi4EZNS0_15gpu_kernel_implIZZZNS0_28launch_dirichlet_grad_kernelERNS_18TensorIteratorBaseEENKUlvE_clEvENKUlvE_clEvEUldddE_EEvS4_RKT_EUlibE0_EEviT1_, .Lfunc_end222-_ZN2at6native32elementwise_kernel_manual_unrollILi128ELi4EZNS0_15gpu_kernel_implIZZZNS0_28launch_dirichlet_grad_kernelERNS_18TensorIteratorBaseEENKUlvE_clEvENKUlvE_clEvEUldddE_EEvS4_RKT_EUlibE0_EEviT1_
                                        ; -- End function
	.section	.AMDGPU.csdata,"",@progbits
; Kernel info:
; codeLenInByte = 79996
; NumSgprs: 104
; NumVgprs: 88
; NumAgprs: 0
; TotalNumVgprs: 88
; ScratchSize: 8
; MemoryBound: 1
; FloatMode: 240
; IeeeMode: 1
; LDSByteSize: 0 bytes/workgroup (compile time only)
; SGPRBlocks: 12
; VGPRBlocks: 10
; NumSGPRsForWavesPerEU: 104
; NumVGPRsForWavesPerEU: 88
; AccumOffset: 88
; Occupancy: 5
; WaveLimiterHint : 1
; COMPUTE_PGM_RSRC2:SCRATCH_EN: 1
; COMPUTE_PGM_RSRC2:USER_SGPR: 8
; COMPUTE_PGM_RSRC2:TRAP_HANDLER: 0
; COMPUTE_PGM_RSRC2:TGID_X_EN: 1
; COMPUTE_PGM_RSRC2:TGID_Y_EN: 0
; COMPUTE_PGM_RSRC2:TGID_Z_EN: 0
; COMPUTE_PGM_RSRC2:TIDIG_COMP_CNT: 0
; COMPUTE_PGM_RSRC3_GFX90A:ACCUM_OFFSET: 21
; COMPUTE_PGM_RSRC3_GFX90A:TG_SPLIT: 0
	.text
	.p2align	2                               ; -- Begin function _ZZZZN2at6native28launch_dirichlet_grad_kernelERNS_18TensorIteratorBaseEENKUlvE_clEvENKUlvE0_clEvENKUlfffE_clEfff
	.type	_ZZZZN2at6native28launch_dirichlet_grad_kernelERNS_18TensorIteratorBaseEENKUlvE_clEvENKUlvE0_clEvENKUlfffE_clEfff,@function
_ZZZZN2at6native28launch_dirichlet_grad_kernelERNS_18TensorIteratorBaseEENKUlvE_clEvENKUlvE0_clEvENKUlfffE_clEfff: ; @_ZZZZN2at6native28launch_dirichlet_grad_kernelERNS_18TensorIteratorBaseEENKUlvE_clEvENKUlvE0_clEvENKUlfffE_clEfff
; %bb.0:
	s_waitcnt vmcnt(0) expcnt(0) lgkmcnt(0)
	v_mov_b32_e32 v7, v2
	v_mov_b32_e32 v6, 1.0
	v_mov_b32_e32 v4, v1
	v_pk_add_f32 v[2:3], v[6:7], v[0:1] neg_lo:[0,1] neg_hi:[0,1]
	v_mul_f32_e32 v1, v0, v7
	v_mul_f32_e32 v5, v2, v1
	s_mov_b32 s4, 0x40200000
	v_cmp_nge_f32_e32 vcc, 0.5, v0
	v_cmp_ngt_f32_e64 s[4:5], s4, v5
	s_or_b64 s[4:5], vcc, s[4:5]
                                        ; implicit-def: $vgpr1
	s_and_saveexec_b64 s[6:7], s[4:5]
	s_xor_b64 s[10:11], exec, s[6:7]
	s_cbranch_execnz .LBB223_3
; %bb.1:
	s_andn2_saveexec_b64 s[10:11], s[10:11]
	s_cbranch_execnz .LBB223_103
.LBB223_2:
	s_or_b64 exec, exec, s[10:11]
	v_mov_b32_e32 v0, v1
	s_setpc_b64 s[30:31]
.LBB223_3:
	s_mov_b32 s4, 0x3f400000
	v_cmp_nle_f32_e32 vcc, 0.5, v0
	v_cmp_ngt_f32_e64 s[4:5], s4, v5
	s_or_b64 s[4:5], vcc, s[4:5]
                                        ; implicit-def: $vgpr1
	s_and_saveexec_b64 s[6:7], s[4:5]
	s_xor_b64 s[12:13], exec, s[6:7]
	s_cbranch_execz .LBB223_56
; %bb.4:
	s_mov_b32 s4, 0x40c00000
	v_cmp_nlt_f32_e32 vcc, s4, v4
	v_cmp_nlt_f32_e64 s[4:5], s4, v3
	s_or_b64 s[4:5], vcc, s[4:5]
                                        ; implicit-def: $vgpr1
	s_and_saveexec_b64 s[6:7], s[4:5]
	s_xor_b64 s[14:15], exec, s[6:7]
	s_cbranch_execz .LBB223_50
; %bb.5:
	v_cmp_neq_f32_e32 vcc, 0, v7
	v_mov_b32_e32 v1, 0x7f800000
	v_mov_b32_e32 v2, 0x7f800000
	s_and_saveexec_b64 s[16:17], vcc
	s_cbranch_execz .LBB223_27
; %bb.6:
	v_cmp_gt_f32_e32 vcc, 0, v7
	s_mov_b64 s[4:5], -1
	v_mov_b32_e32 v5, 0
	v_mov_b32_e32 v6, v7
                                        ; implicit-def: $sgpr6
	s_and_saveexec_b64 s[18:19], vcc
	s_cbranch_execz .LBB223_14
; %bb.7:
	v_floor_f32_e32 v2, v7
	v_cmp_neq_f32_e32 vcc, v2, v7
	s_mov_b64 s[4:5], 0
	v_mov_b32_e32 v5, 0
                                        ; implicit-def: $vgpr6
	s_and_saveexec_b64 s[20:21], vcc
	s_cbranch_execz .LBB223_13
; %bb.8:
	v_mul_f32_e32 v2, 0x40490fdb, v7
	s_brev_b32 s4, 18
	v_and_b32_e32 v5, 0x7fffffff, v2
	v_cmp_nlt_f32_e64 s[4:5], |v2|, s4
                                        ; implicit-def: $vgpr8
                                        ; implicit-def: $vgpr6
	s_and_saveexec_b64 s[6:7], s[4:5]
	s_xor_b64 s[22:23], exec, s[6:7]
	s_cbranch_execz .LBB223_10
; %bb.9:
	v_lshrrev_b32_e32 v6, 23, v5
	v_add_u32_e32 v6, 0xffffff88, v6
	v_not_b32_e32 v8, 63
	v_cmp_lt_u32_e32 vcc, 63, v6
	v_cndmask_b32_e32 v8, 0, v8, vcc
	v_add_u32_e32 v6, v8, v6
	v_not_b32_e32 v8, 31
	v_cmp_lt_u32_e64 s[4:5], 31, v6
	v_cndmask_b32_e64 v10, 0, v8, s[4:5]
	v_add_u32_e32 v6, v10, v6
	v_cmp_lt_u32_e64 s[6:7], 31, v6
	v_cndmask_b32_e64 v8, 0, v8, s[6:7]
	v_add_u32_e32 v6, v8, v6
	v_and_b32_e32 v8, 0x7fffff, v5
	v_or_b32_e32 v22, 0x800000, v8
	s_mov_b32 s8, 0xfe5163ab
	v_mad_u64_u32 v[10:11], s[8:9], v22, s8, 0
	v_mov_b32_e32 v9, 0
	v_mov_b32_e32 v8, v11
	s_mov_b32 s8, 0x3c439041
	v_mad_u64_u32 v[12:13], s[8:9], v22, s8, v[8:9]
	v_mov_b32_e32 v8, v13
	s_mov_b32 s8, 0xdb629599
	v_mad_u64_u32 v[14:15], s[8:9], v22, s8, v[8:9]
	;; [unrolled: 3-line block ×6, first 2 shown]
	v_cndmask_b32_e32 v11, v20, v16, vcc
	v_cndmask_b32_e32 v8, v8, v18, vcc
	v_cndmask_b32_e32 v9, v9, v20, vcc
	v_cndmask_b32_e64 v13, v8, v11, s[4:5]
	v_cndmask_b32_e64 v8, v9, v8, s[4:5]
	v_cndmask_b32_e32 v9, v18, v14, vcc
	v_cndmask_b32_e64 v11, v11, v9, s[4:5]
	v_sub_u32_e32 v15, 32, v6
	v_cmp_eq_u32_e64 s[8:9], 0, v6
	v_cndmask_b32_e32 v6, v16, v12, vcc
	v_cndmask_b32_e64 v8, v8, v13, s[6:7]
	v_cndmask_b32_e64 v13, v13, v11, s[6:7]
	;; [unrolled: 1-line block ×3, first 2 shown]
	v_alignbit_b32 v17, v8, v13, v15
	v_cndmask_b32_e64 v11, v11, v9, s[6:7]
	v_cndmask_b32_e64 v8, v17, v8, s[8:9]
	v_alignbit_b32 v12, v13, v11, v15
	v_cndmask_b32_e32 v10, v14, v10, vcc
	v_cndmask_b32_e64 v12, v12, v13, s[8:9]
	v_bfe_u32 v17, v8, 29, 1
	v_cndmask_b32_e64 v6, v6, v10, s[4:5]
	v_alignbit_b32 v13, v8, v12, 30
	v_sub_u32_e32 v18, 0, v17
	v_cndmask_b32_e64 v6, v9, v6, s[6:7]
	v_xor_b32_e32 v19, v13, v18
	v_alignbit_b32 v9, v11, v6, v15
	v_cndmask_b32_e64 v9, v9, v11, s[8:9]
	v_ffbh_u32_e32 v11, v19
	v_add_u32_e32 v11, 1, v11
	v_cmp_ne_u32_e32 vcc, v13, v18
	v_alignbit_b32 v10, v12, v9, 30
	v_cndmask_b32_e32 v11, 33, v11, vcc
	v_alignbit_b32 v6, v9, v6, 30
	v_xor_b32_e32 v10, v10, v18
	v_sub_u32_e32 v12, 32, v11
	v_xor_b32_e32 v6, v6, v18
	v_alignbit_b32 v13, v19, v10, v12
	v_alignbit_b32 v6, v10, v6, v12
	;; [unrolled: 1-line block ×3, first 2 shown]
	v_ffbh_u32_e32 v10, v9
	v_min_u32_e32 v10, 32, v10
	v_lshrrev_b32_e32 v16, 29, v8
	v_sub_u32_e32 v12, 31, v10
	v_alignbit_b32 v6, v9, v6, v12
	v_lshlrev_b32_e32 v9, 31, v16
	v_or_b32_e32 v12, 0x33800000, v9
	v_add_lshl_u32 v10, v10, v11, 23
	v_lshrrev_b32_e32 v6, 9, v6
	v_sub_u32_e32 v10, v12, v10
	v_or_b32_e32 v6, v10, v6
	v_alignbit_b32 v10, v11, v13, 9
	v_or_b32_e32 v9, v10, v9
	v_xor_b32_e32 v9, 1.0, v9
	s_mov_b32 s4, 0x3fc90fda
	v_mul_f32_e32 v10, 0x3fc90fda, v9
	v_fma_f32 v11, v9, s4, -v10
	v_fmac_f32_e32 v11, 0x33a22168, v9
	v_fmac_f32_e32 v11, 0x3fc90fda, v6
	v_lshrrev_b32_e32 v8, 30, v8
	v_add_f32_e32 v6, v10, v11
	v_add_u32_e32 v8, v17, v8
.LBB223_10:
	s_andn2_saveexec_b64 s[4:5], s[22:23]
; %bb.11:
	s_mov_b32 s6, 0x3f22f983
	v_mul_f32_e64 v6, |v2|, s6
	v_rndne_f32_e32 v9, v6
	s_mov_b32 s6, 0xbfc90fda
	v_cvt_i32_f32_e32 v8, v9
	v_fma_f32 v6, v9, s6, |v2|
	v_fmac_f32_e32 v6, 0xb3a22168, v9
	v_fmac_f32_e32 v6, 0xa7c234c4, v9
; %bb.12:
	s_or_b64 exec, exec, s[4:5]
	v_mul_f32_e32 v9, v6, v6
	v_mov_b32_e32 v10, 0xbf039337
	v_fmac_f32_e32 v10, 0x3c971480, v9
	v_mov_b32_e32 v11, 0x3f93f425
	v_fmac_f32_e32 v11, v9, v10
	v_rcp_f32_e32 v10, v11
	v_mov_b32_e32 v11, 0x3ec54587
	v_fmac_f32_e32 v11, 0xbc8cedd3, v9
	v_and_b32_e32 v8, 1, v8
	v_mul_f32_e32 v10, v11, v10
	v_mul_f32_e32 v9, v9, v10
	v_fma_f32 v10, v9, v6, v6
	v_rcp_f32_e32 v11, v10
	v_sub_f32_e32 v12, v10, v6
	v_fma_f32 v6, v9, v6, -v12
	v_cmp_eq_u32_e32 vcc, 0, v8
	v_fma_f32 v9, v10, -v11, 1.0
	v_fma_f32 v6, v6, -v11, v9
	v_fma_f32 v6, v6, -v11, -v11
	v_cndmask_b32_e32 v6, v6, v10, vcc
	v_xor_b32_e32 v5, v5, v2
	v_xor_b32_e32 v5, v5, v6
	s_mov_b32 s8, 0xc0490fdb
	v_div_scale_f32 v6, s[6:7], v5, v5, s8
	v_rcp_f32_e32 v8, v6
	s_movk_i32 s6, 0x1f8
	s_mov_b64 s[4:5], exec
	v_fma_f32 v9, -v6, v8, 1.0
	v_fmac_f32_e32 v8, v9, v8
	v_div_scale_f32 v9, vcc, s8, v5, s8
	v_mul_f32_e32 v10, v9, v8
	v_fma_f32 v11, -v6, v10, v9
	v_fmac_f32_e32 v10, v11, v8
	v_fma_f32 v6, -v6, v10, v9
	v_div_fmas_f32 v6, v6, v8, v10
	v_div_fixup_f32 v5, v6, v5, s8
	v_mov_b32_e32 v6, 0x7fc00000
	v_cmp_class_f32_e64 vcc, v2, s6
	v_cndmask_b32_e32 v5, v6, v5, vcc
	v_sub_f32_e32 v6, 1.0, v7
.LBB223_13:
	s_or_b64 exec, exec, s[20:21]
	s_mov_b32 s6, 0x7f800000
	s_orn2_b64 s[4:5], s[4:5], exec
.LBB223_14:
	s_or_b64 exec, exec, s[18:19]
	v_mov_b32_e32 v2, s6
	s_and_saveexec_b64 s[6:7], s[4:5]
	s_cbranch_execz .LBB223_26
; %bb.15:
	s_mov_b32 s18, 0x41200000
	v_cmp_gt_f32_e32 vcc, s18, v6
	v_mov_b32_e32 v2, 0
	s_and_saveexec_b64 s[4:5], vcc
	s_cbranch_execz .LBB223_19
; %bb.16:
	s_mov_b64 s[8:9], 0
	v_mov_b32_e32 v2, 0
.LBB223_17:                             ; =>This Inner Loop Header: Depth=1
	v_div_scale_f32 v8, s[20:21], v6, v6, 1.0
	v_rcp_f32_e32 v9, v8
	v_div_scale_f32 v10, vcc, 1.0, v6, 1.0
	v_fma_f32 v11, -v8, v9, 1.0
	v_fmac_f32_e32 v9, v11, v9
	v_mul_f32_e32 v11, v10, v9
	v_fma_f32 v12, -v8, v11, v10
	v_fmac_f32_e32 v11, v12, v9
	v_fma_f32 v8, -v8, v11, v10
	v_div_fmas_f32 v8, v8, v9, v11
	v_div_fixup_f32 v8, v8, v6, 1.0
	v_add_f32_e32 v6, 1.0, v6
	v_cmp_ngt_f32_e32 vcc, s18, v6
	s_or_b64 s[8:9], vcc, s[8:9]
	v_sub_f32_e32 v2, v2, v8
	s_andn2_b64 exec, exec, s[8:9]
	s_cbranch_execnz .LBB223_17
; %bb.18:
	s_or_b64 exec, exec, s[8:9]
.LBB223_19:
	s_or_b64 exec, exec, s[4:5]
	s_mov_b32 s4, 0x41200000
	v_cmp_neq_f32_e32 vcc, s4, v6
                                        ; implicit-def: $vgpr8
	s_and_saveexec_b64 s[4:5], vcc
	s_xor_b64 s[8:9], exec, s[4:5]
	s_cbranch_execz .LBB223_23
; %bb.20:
	s_mov_b32 s4, 0x5bb1a2bc
	v_cmp_gt_f32_e32 vcc, s4, v6
	v_mov_b32_e32 v8, 0
	s_and_saveexec_b64 s[4:5], vcc
	s_cbranch_execz .LBB223_22
; %bb.21:
	v_mul_f32_e32 v8, v6, v6
	v_div_scale_f32 v9, s[18:19], v8, v8, 1.0
	v_rcp_f32_e32 v10, v9
	v_div_scale_f32 v11, vcc, 1.0, v8, 1.0
	v_fma_f32 v12, -v9, v10, 1.0
	v_fmac_f32_e32 v10, v12, v10
	v_mul_f32_e32 v12, v11, v10
	v_fma_f32 v13, -v9, v12, v11
	v_fmac_f32_e32 v12, v13, v10
	v_fma_f32 v9, -v9, v12, v11
	v_div_fmas_f32 v9, v9, v10, v12
	v_div_fixup_f32 v8, v9, v8, 1.0
	v_mov_b32_e32 v9, 0x3daaaaab
	v_fma_f32 v10, 0, v8, v9
	v_mov_b32_e32 v11, 0xbcaccacd
	v_fmac_f32_e32 v11, v8, v10
	v_mov_b32_e32 v10, 0x3bf83e10
	v_fmac_f32_e32 v10, v8, v11
	;; [unrolled: 2-line block ×5, first 2 shown]
	v_fmac_f32_e32 v9, v8, v11
	v_mul_f32_e32 v8, v8, v9
.LBB223_22:
	s_or_b64 exec, exec, s[4:5]
	s_mov_b32 s4, 0x800000
	v_mov_b32_e32 v9, 0x4f800000
	v_cmp_gt_f32_e32 vcc, s4, v6
	v_cndmask_b32_e32 v9, 1.0, v9, vcc
	v_mul_f32_e32 v9, v6, v9
	v_log_f32_e32 v9, v9
	s_mov_b32 s4, 0x3f317217
	v_mul_f32_e32 v10, 0x3f317217, v9
	v_fma_f32 v11, v9, s4, -v10
	v_fmac_f32_e32 v11, 0x3377d1cf, v9
	s_mov_b32 s4, 0x7f800000
	v_add_f32_e32 v10, v10, v11
	v_cmp_lt_f32_e64 s[4:5], |v9|, s4
	v_cndmask_b32_e64 v9, v9, v10, s[4:5]
	v_div_scale_f32 v11, s[4:5], v6, v6, -0.5
	v_rcp_f32_e32 v12, v11
	v_mov_b32_e32 v10, 0x41b17218
	v_cndmask_b32_e32 v10, 0, v10, vcc
	v_sub_f32_e32 v9, v9, v10
	v_add_f32_e32 v2, v2, v9
	v_fma_f32 v9, -v11, v12, 1.0
	v_fmac_f32_e32 v12, v9, v12
	v_div_scale_f32 v9, vcc, -0.5, v6, -0.5
	v_mul_f32_e32 v10, v9, v12
	v_fma_f32 v13, -v11, v10, v9
	v_fmac_f32_e32 v10, v13, v12
	v_fma_f32 v9, -v11, v10, v9
	v_div_fmas_f32 v9, v9, v12, v10
	v_div_fixup_f32 v6, v9, v6, -0.5
	v_add_f32_e32 v2, v2, v6
	v_sub_f32_e32 v8, v2, v8
                                        ; implicit-def: $vgpr2
.LBB223_23:
	s_andn2_saveexec_b64 s[4:5], s[8:9]
; %bb.24:
	v_add_f32_e32 v8, 0x40101cb7, v2
; %bb.25:
	s_or_b64 exec, exec, s[4:5]
	v_add_f32_e32 v2, v5, v8
.LBB223_26:
	s_or_b64 exec, exec, s[6:7]
.LBB223_27:
	s_or_b64 exec, exec, s[16:17]
	v_cmp_neq_f32_e32 vcc, 0, v4
	s_and_saveexec_b64 s[16:17], vcc
	s_cbranch_execz .LBB223_49
; %bb.28:
	v_cmp_gt_f32_e32 vcc, 0, v4
	s_mov_b64 s[4:5], -1
	v_mov_b32_e32 v5, 0
	v_mov_b32_e32 v6, v4
                                        ; implicit-def: $sgpr6
	s_and_saveexec_b64 s[18:19], vcc
	s_cbranch_execz .LBB223_36
; %bb.29:
	v_floor_f32_e32 v1, v4
	v_cmp_neq_f32_e32 vcc, v1, v4
	s_mov_b64 s[4:5], 0
	v_mov_b32_e32 v5, 0
                                        ; implicit-def: $vgpr6
	s_and_saveexec_b64 s[20:21], vcc
	s_cbranch_execz .LBB223_35
; %bb.30:
	v_mul_f32_e32 v1, 0x40490fdb, v4
	s_brev_b32 s4, 18
	v_and_b32_e32 v5, 0x7fffffff, v1
	v_cmp_nlt_f32_e64 s[4:5], |v1|, s4
                                        ; implicit-def: $vgpr8
                                        ; implicit-def: $vgpr6
	s_and_saveexec_b64 s[6:7], s[4:5]
	s_xor_b64 s[22:23], exec, s[6:7]
	s_cbranch_execz .LBB223_32
; %bb.31:
	v_lshrrev_b32_e32 v6, 23, v5
	v_add_u32_e32 v6, 0xffffff88, v6
	v_not_b32_e32 v8, 63
	v_cmp_lt_u32_e32 vcc, 63, v6
	v_cndmask_b32_e32 v8, 0, v8, vcc
	v_add_u32_e32 v6, v8, v6
	v_not_b32_e32 v8, 31
	v_cmp_lt_u32_e64 s[4:5], 31, v6
	v_cndmask_b32_e64 v10, 0, v8, s[4:5]
	v_add_u32_e32 v6, v10, v6
	v_cmp_lt_u32_e64 s[6:7], 31, v6
	v_cndmask_b32_e64 v8, 0, v8, s[6:7]
	v_add_u32_e32 v6, v8, v6
	v_and_b32_e32 v8, 0x7fffff, v5
	v_or_b32_e32 v22, 0x800000, v8
	s_mov_b32 s8, 0xfe5163ab
	v_mad_u64_u32 v[10:11], s[8:9], v22, s8, 0
	v_mov_b32_e32 v9, 0
	v_mov_b32_e32 v8, v11
	s_mov_b32 s8, 0x3c439041
	v_mad_u64_u32 v[12:13], s[8:9], v22, s8, v[8:9]
	v_mov_b32_e32 v8, v13
	s_mov_b32 s8, 0xdb629599
	v_mad_u64_u32 v[14:15], s[8:9], v22, s8, v[8:9]
	;; [unrolled: 3-line block ×6, first 2 shown]
	v_cndmask_b32_e32 v11, v20, v16, vcc
	v_cndmask_b32_e32 v8, v8, v18, vcc
	;; [unrolled: 1-line block ×3, first 2 shown]
	v_cndmask_b32_e64 v13, v8, v11, s[4:5]
	v_cndmask_b32_e64 v8, v9, v8, s[4:5]
	v_cndmask_b32_e32 v9, v18, v14, vcc
	v_cndmask_b32_e64 v11, v11, v9, s[4:5]
	v_sub_u32_e32 v15, 32, v6
	v_cmp_eq_u32_e64 s[8:9], 0, v6
	v_cndmask_b32_e32 v6, v16, v12, vcc
	v_cndmask_b32_e64 v8, v8, v13, s[6:7]
	v_cndmask_b32_e64 v13, v13, v11, s[6:7]
	;; [unrolled: 1-line block ×3, first 2 shown]
	v_alignbit_b32 v17, v8, v13, v15
	v_cndmask_b32_e64 v11, v11, v9, s[6:7]
	v_cndmask_b32_e64 v8, v17, v8, s[8:9]
	v_alignbit_b32 v12, v13, v11, v15
	v_cndmask_b32_e32 v10, v14, v10, vcc
	v_cndmask_b32_e64 v12, v12, v13, s[8:9]
	v_bfe_u32 v17, v8, 29, 1
	v_cndmask_b32_e64 v6, v6, v10, s[4:5]
	v_alignbit_b32 v13, v8, v12, 30
	v_sub_u32_e32 v18, 0, v17
	v_cndmask_b32_e64 v6, v9, v6, s[6:7]
	v_xor_b32_e32 v19, v13, v18
	v_alignbit_b32 v9, v11, v6, v15
	v_cndmask_b32_e64 v9, v9, v11, s[8:9]
	v_ffbh_u32_e32 v11, v19
	v_add_u32_e32 v11, 1, v11
	v_cmp_ne_u32_e32 vcc, v13, v18
	v_alignbit_b32 v10, v12, v9, 30
	v_cndmask_b32_e32 v11, 33, v11, vcc
	v_alignbit_b32 v6, v9, v6, 30
	v_xor_b32_e32 v10, v10, v18
	v_sub_u32_e32 v12, 32, v11
	v_xor_b32_e32 v6, v6, v18
	v_alignbit_b32 v13, v19, v10, v12
	v_alignbit_b32 v6, v10, v6, v12
	;; [unrolled: 1-line block ×3, first 2 shown]
	v_ffbh_u32_e32 v10, v9
	v_min_u32_e32 v10, 32, v10
	v_lshrrev_b32_e32 v16, 29, v8
	v_sub_u32_e32 v12, 31, v10
	v_alignbit_b32 v6, v9, v6, v12
	v_lshlrev_b32_e32 v9, 31, v16
	v_or_b32_e32 v12, 0x33800000, v9
	v_add_lshl_u32 v10, v10, v11, 23
	v_lshrrev_b32_e32 v6, 9, v6
	v_sub_u32_e32 v10, v12, v10
	v_or_b32_e32 v6, v10, v6
	v_alignbit_b32 v10, v11, v13, 9
	v_or_b32_e32 v9, v10, v9
	v_xor_b32_e32 v9, 1.0, v9
	s_mov_b32 s4, 0x3fc90fda
	v_mul_f32_e32 v10, 0x3fc90fda, v9
	v_fma_f32 v11, v9, s4, -v10
	v_fmac_f32_e32 v11, 0x33a22168, v9
	v_fmac_f32_e32 v11, 0x3fc90fda, v6
	v_lshrrev_b32_e32 v8, 30, v8
	v_add_f32_e32 v6, v10, v11
	v_add_u32_e32 v8, v17, v8
.LBB223_32:
	s_andn2_saveexec_b64 s[4:5], s[22:23]
; %bb.33:
	s_mov_b32 s6, 0x3f22f983
	v_mul_f32_e64 v6, |v1|, s6
	v_rndne_f32_e32 v9, v6
	s_mov_b32 s6, 0xbfc90fda
	v_cvt_i32_f32_e32 v8, v9
	v_fma_f32 v6, v9, s6, |v1|
	v_fmac_f32_e32 v6, 0xb3a22168, v9
	v_fmac_f32_e32 v6, 0xa7c234c4, v9
; %bb.34:
	s_or_b64 exec, exec, s[4:5]
	v_mul_f32_e32 v9, v6, v6
	v_mov_b32_e32 v10, 0xbf039337
	v_fmac_f32_e32 v10, 0x3c971480, v9
	v_mov_b32_e32 v11, 0x3f93f425
	v_fmac_f32_e32 v11, v9, v10
	v_rcp_f32_e32 v10, v11
	v_mov_b32_e32 v11, 0x3ec54587
	v_fmac_f32_e32 v11, 0xbc8cedd3, v9
	v_and_b32_e32 v8, 1, v8
	v_mul_f32_e32 v10, v11, v10
	v_mul_f32_e32 v9, v9, v10
	v_fma_f32 v10, v9, v6, v6
	v_rcp_f32_e32 v11, v10
	v_sub_f32_e32 v12, v10, v6
	v_fma_f32 v6, v9, v6, -v12
	v_cmp_eq_u32_e32 vcc, 0, v8
	v_fma_f32 v9, v10, -v11, 1.0
	v_fma_f32 v6, v6, -v11, v9
	v_fma_f32 v6, v6, -v11, -v11
	v_cndmask_b32_e32 v6, v6, v10, vcc
	v_xor_b32_e32 v5, v5, v1
	v_xor_b32_e32 v5, v5, v6
	s_mov_b32 s8, 0xc0490fdb
	v_div_scale_f32 v6, s[6:7], v5, v5, s8
	v_rcp_f32_e32 v8, v6
	s_movk_i32 s6, 0x1f8
	s_mov_b64 s[4:5], exec
	v_fma_f32 v9, -v6, v8, 1.0
	v_fmac_f32_e32 v8, v9, v8
	v_div_scale_f32 v9, vcc, s8, v5, s8
	v_mul_f32_e32 v10, v9, v8
	v_fma_f32 v11, -v6, v10, v9
	v_fmac_f32_e32 v10, v11, v8
	v_fma_f32 v6, -v6, v10, v9
	v_div_fmas_f32 v6, v6, v8, v10
	v_div_fixup_f32 v5, v6, v5, s8
	v_mov_b32_e32 v6, 0x7fc00000
	v_cmp_class_f32_e64 vcc, v1, s6
	v_cndmask_b32_e32 v5, v6, v5, vcc
	v_sub_f32_e32 v6, 1.0, v4
.LBB223_35:
	s_or_b64 exec, exec, s[20:21]
	s_mov_b32 s6, 0x7f800000
	s_orn2_b64 s[4:5], s[4:5], exec
.LBB223_36:
	s_or_b64 exec, exec, s[18:19]
	v_mov_b32_e32 v1, s6
	s_and_saveexec_b64 s[6:7], s[4:5]
	s_cbranch_execz .LBB223_48
; %bb.37:
	s_mov_b32 s18, 0x41200000
	v_cmp_gt_f32_e32 vcc, s18, v6
	v_mov_b32_e32 v1, 0
	s_and_saveexec_b64 s[4:5], vcc
	s_cbranch_execz .LBB223_41
; %bb.38:
	s_mov_b64 s[8:9], 0
	v_mov_b32_e32 v1, 0
.LBB223_39:                             ; =>This Inner Loop Header: Depth=1
	v_div_scale_f32 v8, s[20:21], v6, v6, 1.0
	v_rcp_f32_e32 v9, v8
	v_div_scale_f32 v10, vcc, 1.0, v6, 1.0
	v_fma_f32 v11, -v8, v9, 1.0
	v_fmac_f32_e32 v9, v11, v9
	v_mul_f32_e32 v11, v10, v9
	v_fma_f32 v12, -v8, v11, v10
	v_fmac_f32_e32 v11, v12, v9
	v_fma_f32 v8, -v8, v11, v10
	v_div_fmas_f32 v8, v8, v9, v11
	v_div_fixup_f32 v8, v8, v6, 1.0
	v_add_f32_e32 v6, 1.0, v6
	v_cmp_ngt_f32_e32 vcc, s18, v6
	s_or_b64 s[8:9], vcc, s[8:9]
	v_sub_f32_e32 v1, v1, v8
	s_andn2_b64 exec, exec, s[8:9]
	s_cbranch_execnz .LBB223_39
; %bb.40:
	s_or_b64 exec, exec, s[8:9]
.LBB223_41:
	s_or_b64 exec, exec, s[4:5]
	s_mov_b32 s4, 0x41200000
	v_cmp_neq_f32_e32 vcc, s4, v6
                                        ; implicit-def: $vgpr8
	s_and_saveexec_b64 s[4:5], vcc
	s_xor_b64 s[8:9], exec, s[4:5]
	s_cbranch_execz .LBB223_45
; %bb.42:
	s_mov_b32 s4, 0x5bb1a2bc
	v_cmp_gt_f32_e32 vcc, s4, v6
	v_mov_b32_e32 v8, 0
	s_and_saveexec_b64 s[4:5], vcc
	s_cbranch_execz .LBB223_44
; %bb.43:
	v_mul_f32_e32 v8, v6, v6
	v_div_scale_f32 v9, s[18:19], v8, v8, 1.0
	v_rcp_f32_e32 v10, v9
	v_div_scale_f32 v11, vcc, 1.0, v8, 1.0
	v_fma_f32 v12, -v9, v10, 1.0
	v_fmac_f32_e32 v10, v12, v10
	v_mul_f32_e32 v12, v11, v10
	v_fma_f32 v13, -v9, v12, v11
	v_fmac_f32_e32 v12, v13, v10
	v_fma_f32 v9, -v9, v12, v11
	v_div_fmas_f32 v9, v9, v10, v12
	v_div_fixup_f32 v8, v9, v8, 1.0
	v_mov_b32_e32 v9, 0x3daaaaab
	v_fma_f32 v10, 0, v8, v9
	v_mov_b32_e32 v11, 0xbcaccacd
	v_fmac_f32_e32 v11, v8, v10
	v_mov_b32_e32 v10, 0x3bf83e10
	v_fmac_f32_e32 v10, v8, v11
	;; [unrolled: 2-line block ×5, first 2 shown]
	v_fmac_f32_e32 v9, v8, v11
	v_mul_f32_e32 v8, v8, v9
.LBB223_44:
	s_or_b64 exec, exec, s[4:5]
	s_mov_b32 s4, 0x800000
	v_mov_b32_e32 v9, 0x4f800000
	v_cmp_gt_f32_e32 vcc, s4, v6
	v_cndmask_b32_e32 v9, 1.0, v9, vcc
	v_mul_f32_e32 v9, v6, v9
	v_log_f32_e32 v9, v9
	s_mov_b32 s4, 0x3f317217
	v_mul_f32_e32 v10, 0x3f317217, v9
	v_fma_f32 v11, v9, s4, -v10
	v_fmac_f32_e32 v11, 0x3377d1cf, v9
	s_mov_b32 s4, 0x7f800000
	v_add_f32_e32 v10, v10, v11
	v_cmp_lt_f32_e64 s[4:5], |v9|, s4
	v_cndmask_b32_e64 v9, v9, v10, s[4:5]
	v_div_scale_f32 v11, s[4:5], v6, v6, -0.5
	v_rcp_f32_e32 v12, v11
	v_mov_b32_e32 v10, 0x41b17218
	v_cndmask_b32_e32 v10, 0, v10, vcc
	v_sub_f32_e32 v9, v9, v10
	v_add_f32_e32 v1, v1, v9
	v_fma_f32 v9, -v11, v12, 1.0
	v_fmac_f32_e32 v12, v9, v12
	v_div_scale_f32 v9, vcc, -0.5, v6, -0.5
	v_mul_f32_e32 v10, v9, v12
	v_fma_f32 v13, -v11, v10, v9
	v_fmac_f32_e32 v10, v13, v12
	v_fma_f32 v9, -v11, v10, v9
	v_div_fmas_f32 v9, v9, v12, v10
	v_div_fixup_f32 v6, v9, v6, -0.5
	v_add_f32_e32 v1, v1, v6
	v_sub_f32_e32 v8, v1, v8
                                        ; implicit-def: $vgpr1
.LBB223_45:
	s_andn2_saveexec_b64 s[4:5], s[8:9]
; %bb.46:
	v_add_f32_e32 v8, 0x40101cb7, v1
; %bb.47:
	s_or_b64 exec, exec, s[4:5]
	v_add_f32_e32 v1, v5, v8
.LBB223_48:
	s_or_b64 exec, exec, s[6:7]
.LBB223_49:
	s_or_b64 exec, exec, s[16:17]
	s_mov_b32 s6, 0x800000
	v_mov_b32_e32 v5, 0x4f800000
	v_cmp_gt_f32_e32 vcc, s6, v0
	v_cndmask_b32_e32 v6, 1.0, v5, vcc
	v_mul_f32_e32 v6, v0, v6
	v_log_f32_e32 v6, v6
	s_mov_b32 s7, 0x3f317217
	s_mov_b32 s8, 0x7f800000
	v_mov_b32_e32 v11, 0xbcef892f
	v_mul_f32_e32 v8, 0x3f317217, v6
	v_fma_f32 v9, v6, s7, -v8
	v_fmac_f32_e32 v9, 0x3377d1cf, v6
	v_add_f32_e32 v8, v8, v9
	v_cmp_lt_f32_e64 s[4:5], |v6|, s8
	v_cndmask_b32_e64 v6, v6, v8, s[4:5]
	v_cmp_gt_f32_e64 s[4:5], s6, v4
	v_cndmask_b32_e64 v8, 1.0, v5, s[4:5]
	v_mul_f32_e32 v4, v4, v8
	v_log_f32_e32 v4, v4
	v_mov_b32_e32 v8, 0x41b17218
	v_cndmask_b32_e32 v9, 0, v8, vcc
	v_sub_f32_e32 v6, v6, v9
	v_mul_f32_e32 v9, 0x3f317217, v4
	v_fma_f32 v10, v4, s7, -v9
	v_fmac_f32_e32 v10, 0x3377d1cf, v4
	v_add_f32_e32 v9, v9, v10
	v_cmp_lt_f32_e64 vcc, |v4|, s8
	v_cndmask_b32_e32 v4, v4, v9, vcc
	v_cmp_gt_f32_e32 vcc, s6, v7
	v_cndmask_b32_e32 v5, 1.0, v5, vcc
	v_mul_f32_e32 v5, v7, v5
	v_log_f32_e32 v5, v5
	v_cndmask_b32_e64 v7, 0, v8, s[4:5]
	v_sub_f32_e32 v4, v4, v7
	v_sub_f32_e32 v4, v4, v6
	v_mul_f32_e32 v7, 0x3f317217, v5
	v_fma_f32 v9, v5, s7, -v7
	v_fmac_f32_e32 v9, 0x3377d1cf, v5
	v_add_f32_e32 v7, v7, v9
	v_cmp_lt_f32_e64 s[4:5], |v5|, s8
	v_cndmask_b32_e64 v5, v5, v7, s[4:5]
	v_cndmask_b32_e32 v7, 0, v8, vcc
	v_sub_f32_e32 v5, v5, v7
	v_sub_f32_e32 v5, v5, v4
	v_mov_b32_e32 v9, 0xbd86bc4c
	v_fmac_f32_e32 v9, 0x3c44e08e, v5
	v_mov_b32_e32 v10, 0xbc2dda13
	v_fmac_f32_e32 v10, v5, v9
	;; [unrolled: 2-line block ×4, first 2 shown]
	v_fmac_f32_e32 v11, v5, v10
	v_fma_f32 v10, v5, v11, 1.0
	v_mov_b32_e32 v11, 0x3d60b785
	v_fmac_f32_e32 v11, 0xbac00eac, v5
	v_mov_b32_e32 v12, 0xbeb623fb
	v_fmac_f32_e32 v12, v5, v11
	;; [unrolled: 2-line block ×3, first 2 shown]
	v_fmac_f32_e32 v9, v4, v11
	v_mov_b32_e32 v11, 0x3d5f6c38
	v_fmac_f32_e32 v11, 0xbb1dc6c5, v5
	v_mov_b32_e32 v12, 0xbeb1d74b
	;; [unrolled: 2-line block ×3, first 2 shown]
	v_fmac_f32_e32 v11, v5, v12
	v_fmac_f32_e32 v10, v4, v11
	v_mov_b32_e32 v11, 0x3b1f35cf
	v_fmac_f32_e32 v11, 0xb92352ad, v5
	v_mov_b32_e32 v12, 0x3b929b89
	;; [unrolled: 2-line block ×3, first 2 shown]
	v_mul_f32_e32 v8, v4, v4
	v_fmac_f32_e32 v11, v5, v12
	v_fmac_f32_e32 v9, v8, v11
	v_mov_b32_e32 v11, 0x3b17b3ff
	v_fmac_f32_e32 v11, 0xb971eeb9, v5
	v_mov_b32_e32 v12, 0x3b9ec4a5
	v_fmac_f32_e32 v12, v5, v11
	v_mov_b32_e32 v11, 0xbd0738e0
	v_fmac_f32_e32 v11, v5, v12
	v_fmac_f32_e32 v10, v8, v11
	v_mov_b32_e32 v11, 0x3c9372f8
	v_fmac_f32_e32 v11, 0x3c301961, v5
	v_mov_b32_e32 v12, 0xbea33583
	v_fmac_f32_e32 v12, v5, v11
	v_mov_b32_e32 v11, 0x3e6346f6
	;; [unrolled: 7-line block ×3, first 2 shown]
	v_fmac_f32_e32 v11, v5, v12
	v_mov_b32_e32 v12, 0x3c7b95e9
	v_fmac_f32_e32 v12, 0x3acb2bf5, v5
	v_mov_b32_e32 v13, 0x3d7ec4f3
	;; [unrolled: 2-line block ×3, first 2 shown]
	v_fmac_f32_e32 v10, v6, v11
	v_mul_f32_e32 v11, v6, v4
	v_fmac_f32_e32 v12, v5, v13
	v_fmac_f32_e32 v9, v11, v12
	v_mov_b32_e32 v12, 0x3c508cb7
	v_fmac_f32_e32 v12, 0xba3fcd30, v5
	v_mov_b32_e32 v13, 0xbd86f251
	;; [unrolled: 2-line block ×3, first 2 shown]
	v_fmac_f32_e32 v12, v5, v13
	v_fmac_f32_e32 v10, v11, v12
	v_mov_b32_e32 v11, 0x3aa967d8
	v_fmac_f32_e32 v11, 0x38924f58, v5
	v_mov_b32_e32 v12, 0x3b88ab79
	;; [unrolled: 2-line block ×3, first 2 shown]
	v_mul_f32_e32 v7, v6, v6
	v_mul_f32_e32 v6, v6, v8
	v_fmac_f32_e32 v11, v5, v12
	v_fmac_f32_e32 v9, v6, v11
	v_mov_b32_e32 v11, 0x39ce4e99
	v_fmac_f32_e32 v11, 0xb82d1988, v5
	v_mov_b32_e32 v12, 0x3a8fae38
	v_fmac_f32_e32 v12, v5, v11
	v_mov_b32_e32 v11, 0xbbedd88f
	v_fmac_f32_e32 v11, v5, v12
	v_fmac_f32_e32 v10, v6, v11
	v_mov_b32_e32 v6, 0x3c31de20
	v_fmac_f32_e32 v6, 0x3b1800f3, v5
	v_mov_b32_e32 v11, 0x3c0a4ff7
	v_fmac_f32_e32 v11, v5, v6
	v_mov_b32_e32 v6, 0xbd74f9ab
	v_fmac_f32_e32 v6, v5, v11
	v_fmac_f32_e32 v9, v7, v6
	v_mov_b32_e32 v6, 0x3b3e3119
	v_fmac_f32_e32 v6, 0xb8775629, v5
	v_mov_b32_e32 v11, 0xbcc1e7e4
	v_fmac_f32_e32 v11, v5, v6
	v_mov_b32_e32 v6, 0x3d847f98
	v_fmac_f32_e32 v6, v5, v11
	v_fmac_f32_e32 v10, v7, v6
	v_mov_b32_e32 v6, 0xbb3260b4
	v_fmac_f32_e32 v6, 0x3a44e185, v5
	v_mov_b32_e32 v11, 0x3c656a7b
	v_fmac_f32_e32 v11, v5, v6
	v_mov_b32_e32 v6, 0x3cee80c4
	v_mul_f32_e32 v4, v7, v4
	v_fmac_f32_e32 v6, v5, v11
	v_fmac_f32_e32 v9, v4, v6
	v_mov_b32_e32 v6, 0x3a51bb0b
	v_fmac_f32_e32 v6, 0xb87e54a0, v5
	v_mov_b32_e32 v11, 0xbb3c1369
	;; [unrolled: 2-line block ×3, first 2 shown]
	v_fmac_f32_e32 v6, v5, v11
	v_fmac_f32_e32 v10, v4, v6
	v_mov_b32_e32 v6, 0xb71f4ea2
	v_mul_f32_e32 v4, v7, v8
	v_fmac_f32_e32 v6, 0x3861e2ff, v5
	v_mov_b32_e32 v7, 0xbafdd420
	v_sub_f32_e32 v1, v2, v1
	v_fmac_f32_e32 v7, v5, v6
	v_mov_b32_e32 v6, 0x3bc1591b
	v_mul_f32_e32 v0, v1, v0
	v_fmac_f32_e32 v6, v5, v7
	v_div_scale_f32 v1, s[4:5], v3, v3, v0
	v_fmac_f32_e32 v9, v4, v6
	v_mov_b32_e32 v6, 0x37381824
	v_rcp_f32_e32 v2, v1
	v_fmac_f32_e32 v6, 0xb5dd96b7, v5
	v_mov_b32_e32 v7, 0x3891f4e8
	v_fmac_f32_e32 v7, v5, v6
	v_mov_b32_e32 v6, 0xb9b650f9
	v_fmac_f32_e32 v6, v5, v7
	v_fmac_f32_e32 v10, v4, v6
	v_fma_f32 v4, -v1, v2, 1.0
	v_fmac_f32_e32 v2, v4, v2
	v_div_scale_f32 v4, vcc, v0, v3, v0
	v_mul_f32_e32 v5, v4, v2
	v_fma_f32 v6, -v1, v5, v4
	v_fmac_f32_e32 v5, v6, v2
	v_fma_f32 v1, -v1, v5, v4
	v_div_scale_f32 v4, s[4:5], v10, v10, v9
	v_rcp_f32_e32 v6, v4
	v_div_fmas_f32 v1, v1, v2, v5
	v_div_fixup_f32 v0, v1, v3, v0
	v_fma_f32 v1, -v4, v6, 1.0
	v_fmac_f32_e32 v6, v1, v6
	v_div_scale_f32 v1, vcc, v9, v10, v9
	v_mul_f32_e32 v2, v1, v6
	v_fma_f32 v3, -v4, v2, v1
	v_fmac_f32_e32 v2, v3, v6
	v_fma_f32 v1, -v4, v2, v1
	v_div_fmas_f32 v1, v1, v6, v2
	v_div_fixup_f32 v1, v1, v10, v9
	v_mul_f32_e32 v1, v1, v0
                                        ; implicit-def: $vgpr4
                                        ; implicit-def: $vgpr2_vgpr3
                                        ; implicit-def: $vgpr0
.LBB223_50:
	s_andn2_saveexec_b64 s[8:9], s[14:15]
	s_cbranch_execz .LBB223_150
; %bb.51:
	v_add_f32_e32 v7, v3, v4
	v_div_scale_f32 v1, s[4:5], v7, v7, v4
	v_rcp_f32_e32 v5, v1
	v_div_scale_f32 v8, vcc, v4, v7, v4
	v_add_f32_e32 v10, 1.0, v7
	v_fma_f32 v6, -v1, v5, 1.0
	v_fmac_f32_e32 v5, v6, v5
	v_mul_f32_e32 v9, v8, v5
	v_fma_f32 v6, -v1, v9, v8
	v_fmac_f32_e32 v9, v6, v5
	v_mul_f32_e32 v6, v3, v4
	v_div_scale_f32 v11, s[4:5], v10, v10, v6
	v_rcp_f32_e32 v12, v11
	v_fma_f32 v1, -v1, v9, v8
	v_div_fmas_f32 v1, v1, v5, v9
	s_mov_b32 s4, 0xf800000
	v_fma_f32 v5, -v11, v12, 1.0
	v_fmac_f32_e32 v12, v5, v12
	v_div_scale_f32 v5, vcc, v6, v10, v6
	v_mul_f32_e32 v8, v5, v12
	v_fma_f32 v9, -v11, v8, v5
	v_fmac_f32_e32 v8, v9, v12
	v_fma_f32 v5, -v11, v8, v5
	v_div_fmas_f32 v5, v5, v12, v8
	v_div_fixup_f32 v5, v5, v10, v6
	v_mul_f32_e32 v8, 0x4f800000, v5
	v_cmp_gt_f32_e32 vcc, s4, v5
	v_cndmask_b32_e32 v5, v5, v8, vcc
	v_sqrt_f32_e32 v8, v5
	v_div_fixup_f32 v12, v1, v7, v4
	v_cvt_f64_f32_e32 v[16:17], v0
	v_add_u32_e32 v9, -1, v8
	v_fma_f32 v10, -v9, v8, v5
	v_cmp_ge_f32_e64 s[4:5], 0, v10
	v_add_u32_e32 v10, 1, v8
	v_cndmask_b32_e64 v9, v8, v9, s[4:5]
	v_fma_f32 v8, -v10, v8, v5
	v_cmp_lt_f32_e64 s[4:5], 0, v8
	v_cndmask_b32_e64 v8, v9, v10, s[4:5]
	v_mul_f32_e32 v9, 0x37800000, v8
	v_cndmask_b32_e32 v8, v8, v9, vcc
	v_mov_b32_e32 v9, 0x260
	v_cmp_class_f32_e32 vcc, v5, v9
	v_cndmask_b32_e32 v5, v8, v5, vcc
	v_div_scale_f32 v8, s[4:5], v7, v7, v5
	v_rcp_f32_e32 v9, v8
	s_mov_b32 s5, 0xbfb99999
	s_mov_b32 s4, 0x9999999a
	v_fma_f32 v1, -v8, v9, 1.0
	v_fmac_f32_e32 v9, v1, v9
	v_div_scale_f32 v1, vcc, v5, v7, v5
	v_mul_f32_e32 v10, v1, v9
	v_fma_f32 v11, -v8, v10, v1
	v_fmac_f32_e32 v10, v11, v9
	v_fma_f32 v1, -v8, v10, v1
	v_div_fmas_f32 v1, v1, v9, v10
	v_div_fixup_f32 v1, v1, v7, v5
	v_cvt_f64_f32_e32 v[8:9], v12
	v_cvt_f64_f32_e32 v[10:11], v1
	v_fma_f64 v[14:15], s[4:5], v[10:11], v[8:9]
	s_mov_b32 s5, 0x3fb99999
	v_fmac_f64_e32 v[8:9], s[4:5], v[10:11]
	v_cmp_le_f64_e32 vcc, v[14:15], v[16:17]
	v_cmp_ge_f64_e64 s[4:5], v[8:9], v[16:17]
	s_and_b64 s[4:5], vcc, s[4:5]
                                        ; implicit-def: $vgpr1
	s_and_saveexec_b64 s[6:7], s[4:5]
	s_xor_b64 s[4:5], exec, s[6:7]
	s_cbranch_execz .LBB223_53
; %bb.52:
	v_mov_b32_e32 v1, v3
	v_mov_b32_e32 v8, 0x423c0000
	;; [unrolled: 1-line block ×3, first 2 shown]
	v_pk_mul_f32 v[8:9], v[0:1], v[8:9]
	v_mul_f32_e32 v1, v8, v9
	v_mul_f32_e32 v5, v9, v1
	;; [unrolled: 1-line block ×3, first 2 shown]
	v_mov_b32_e32 v6, 0x43e28000
	v_fmac_f32_e32 v6, v2, v1
	v_fmac_f32_e32 v6, 0xc3e38000, v0
	v_mov_b32_e32 v8, 0xc1300000
	v_mov_b32_e32 v11, 0x426c0000
	v_mul_f32_e32 v1, v3, v6
	v_mul_f32_e32 v6, 0x41000000, v2
	v_fmac_f32_e32 v8, 0x43070000, v3
	v_mov_b32_e32 v10, 0x41800000
	v_fmac_f32_e32 v11, 0x43340000, v3
	v_mul_f32_e32 v6, v6, v8
	s_mov_b32 s6, 0x41a00000
	v_fmac_f32_e32 v10, 0x41d80000, v3
	v_fmac_f32_e32 v11, 0xc2b40000, v0
	v_fmac_f32_e32 v1, v6, v4
	s_mov_b32 s7, 0x40400000
	v_mul_f32_e32 v13, v1, v4
	v_pk_mul_f32 v[10:11], v[10:11], s[6:7]
	v_mov_b32_e32 v1, v9
	v_mov_b32_e32 v12, 0x422c0000
	s_mov_b32 s14, 0x41400000
	v_pk_fma_f32 v[0:1], v[0:1], v[10:11], v[12:13]
	v_fma_f32 v6, v4, s14, 1.0
	v_fma_f32 v10, v3, s14, 1.0
	v_mov_b32_e32 v11, v7
	v_pk_mul_f32 v[10:11], v[6:7], v[10:11]
	v_div_scale_f32 v6, s[6:7], v11, v11, v10
	v_rcp_f32_e32 v12, v6
	v_mov_b32_e32 v8, v9
	v_mov_b32_e32 v9, v4
	v_pk_mul_f32 v[0:1], v[8:9], v[0:1]
	v_fmac_f32_e32 v1, v3, v0
	v_fma_f32 v0, -v6, v12, 1.0
	v_fmac_f32_e32 v12, v0, v12
	v_div_scale_f32 v0, vcc, v10, v11, v10
	v_fmac_f32_e32 v5, v1, v4
	v_mul_f32_e32 v1, v0, v12
	v_fma_f32 v8, -v6, v1, v0
	v_fmac_f32_e32 v1, v8, v12
	v_fma_f32 v0, -v6, v1, v0
	v_div_fmas_f32 v0, v0, v12, v1
	v_mul_f32_e32 v1, 0x464a8000, v4
	v_div_fixup_f32 v0, v0, v11, v10
	v_mul_f32_e32 v1, v1, v4
	v_mul_f32_e32 v1, v1, v4
	v_div_scale_f32 v4, s[6:7], v2, v2, v0
	v_rcp_f32_e32 v6, v4
	v_mul_f32_e32 v1, v3, v1
	v_mul_f32_e32 v1, v3, v1
	v_fma_f32 v3, v7, s14, 1.0
	v_mul_f32_e32 v1, v3, v1
	v_fma_f32 v3, -v4, v6, 1.0
	v_fmac_f32_e32 v6, v3, v6
	v_div_scale_f32 v3, vcc, v0, v2, v0
	v_mul_f32_e32 v7, v3, v6
	v_fma_f32 v8, -v4, v7, v3
	v_fmac_f32_e32 v7, v8, v6
	v_fma_f32 v3, -v4, v7, v3
	v_div_fmas_f32 v3, v3, v6, v7
	v_div_fixup_f32 v0, v3, v2, v0
	v_mul_f32_e32 v0, v0, v5
	v_div_scale_f32 v2, s[6:7], v1, v1, v0
	v_rcp_f32_e32 v3, v2
                                        ; implicit-def: $vgpr7
                                        ; implicit-def: $vgpr12
	v_fma_f32 v4, -v2, v3, 1.0
	v_fmac_f32_e32 v3, v4, v3
	v_div_scale_f32 v4, vcc, v0, v1, v0
	v_mul_f32_e32 v5, v4, v3
	v_fma_f32 v6, -v2, v5, v4
	v_fmac_f32_e32 v5, v6, v3
	v_fma_f32 v2, -v2, v5, v4
	v_div_fmas_f32 v2, v2, v3, v5
	v_div_fixup_f32 v1, v2, v1, v0
                                        ; implicit-def: $vgpr4
                                        ; implicit-def: $vgpr2_vgpr3
                                        ; implicit-def: $vgpr0
                                        ; implicit-def: $vgpr6
.LBB223_53:
	s_andn2_saveexec_b64 s[14:15], s[4:5]
	s_cbranch_execz .LBB223_55
; %bb.54:
	v_add_f32_e32 v17, v4, v4
	v_mul_f32_e32 v1, v17, v3
	v_div_scale_f32 v5, s[4:5], v7, v7, v1
	v_rcp_f32_e32 v8, v5
	v_div_scale_f32 v9, vcc, v1, v7, v1
	s_mov_b32 s6, 0xf800000
	v_fma_f32 v10, -v5, v8, 1.0
	v_fmac_f32_e32 v8, v10, v8
	v_mul_f32_e32 v10, v9, v8
	v_fma_f32 v11, -v5, v10, v9
	v_fmac_f32_e32 v10, v11, v8
	v_fma_f32 v5, -v5, v10, v9
	v_div_fmas_f32 v5, v5, v8, v10
	v_div_fixup_f32 v1, v5, v7, v1
	v_mul_f32_e32 v5, 0x4f800000, v1
	v_cmp_gt_f32_e32 vcc, s6, v1
	v_cndmask_b32_e32 v1, v1, v5, vcc
	v_sqrt_f32_e32 v5, v1
	v_mov_b32_e32 v16, 0x260
	s_mov_b32 s19, 0x3f2aaaab
	v_mov_b32_e32 v36, 0x3ecccdef
	v_add_u32_e32 v8, -1, v5
	v_fma_f32 v9, -v8, v5, v1
	v_cmp_ge_f32_e64 s[4:5], 0, v9
	v_add_u32_e32 v9, 1, v5
	v_cndmask_b32_e64 v8, v5, v8, s[4:5]
	v_fma_f32 v5, -v9, v5, v1
	v_cmp_lt_f32_e64 s[4:5], 0, v5
	v_cndmask_b32_e64 v5, v8, v9, s[4:5]
	v_mul_f32_e32 v8, 0x37800000, v5
	v_cndmask_b32_e32 v5, v5, v8, vcc
	v_cmp_class_f32_e32 vcc, v1, v16
	v_cndmask_b32_e32 v1, v5, v1, vcc
	v_div_scale_f32 v5, s[4:5], v1, v1, -v0
	v_rcp_f32_e32 v8, v5
	s_mov_b32 s4, 0x41400000
	s_mov_b32 s20, 0x3f317218
	;; [unrolled: 1-line block ×3, first 2 shown]
	v_fma_f32 v9, -v5, v8, 1.0
	v_fmac_f32_e32 v8, v9, v8
	v_div_scale_f32 v9, vcc, -v0, v1, -v0
	v_mul_f32_e32 v10, v9, v8
	v_fma_f32 v11, -v5, v10, v9
	v_fmac_f32_e32 v10, v11, v8
	v_fma_f32 v5, -v5, v10, v9
	v_div_fmas_f32 v13, v5, v8, v10
	v_mul_f32_e32 v9, 0x43900000, v3
	v_mov_b32_e32 v8, 0x41400000
	v_pk_mul_f32 v[8:9], v[2:3], v[8:9] op_sel:[1,0]
	v_div_scale_f32 v18, s[16:17], v9, v9, 1.0
	v_rcp_f32_e32 v19, v18
	v_mov_b32_e32 v5, v7
	v_pk_mul_f32 v[10:11], v[4:5], s[4:5] op_sel_hi:[1,0]
	s_mov_b32 s4, 0x43900000
	v_fma_f32 v20, -v18, v19, 1.0
	v_fmac_f32_e32 v19, v20, v19
	v_div_scale_f32 v20, vcc, 1.0, v9, 1.0
	v_mul_f32_e32 v21, v20, v19
	v_fma_f32 v22, -v18, v21, v20
	v_fmac_f32_e32 v21, v22, v19
	v_pk_mul_f32 v[14:15], v[4:5], s[4:5] op_sel_hi:[1,0]
	v_fma_f32 v18, -v18, v21, v20
	v_div_scale_f32 v20, s[4:5], v8, v8, 1.0
	v_rcp_f32_e32 v22, v20
	v_div_fmas_f32 v18, v18, v19, v21
	v_div_fixup_f32 v9, v18, v9, 1.0
	v_pk_mul_f32 v[14:15], v[4:5], v[14:15]
	v_fma_f32 v18, -v20, v22, 1.0
	v_fmac_f32_e32 v22, v18, v22
	v_div_scale_f32 v18, vcc, 1.0, v8, 1.0
	v_mul_f32_e32 v19, v18, v22
	v_fma_f32 v21, -v20, v19, v18
	v_fmac_f32_e32 v19, v21, v22
	v_fma_f32 v18, -v20, v19, v18
	v_div_fmas_f32 v18, v18, v22, v19
	v_div_scale_f32 v19, s[4:5], v11, v11, 1.0
	v_rcp_f32_e32 v20, v19
	v_div_fixup_f32 v8, v18, v8, 1.0
	v_add_f32_e32 v8, 1.0, v8
	v_add_f32_e32 v18, v8, v9
	v_fma_f32 v8, -v19, v20, 1.0
	v_fmac_f32_e32 v20, v8, v20
	v_div_scale_f32 v8, vcc, 1.0, v11, 1.0
	v_mul_f32_e32 v9, v8, v20
	v_fma_f32 v21, -v19, v9, v8
	v_fmac_f32_e32 v9, v21, v20
	v_fma_f32 v8, -v19, v9, v8
	v_div_scale_f32 v19, s[4:5], v10, v10, 1.0
	v_rcp_f32_e32 v21, v19
	v_div_fmas_f32 v8, v8, v20, v9
	v_div_fixup_f32 v9, v8, v11, 1.0
	v_div_scale_f32 v5, s[4:5], v15, v15, 1.0
	v_fma_f32 v8, -v19, v21, 1.0
	v_fmac_f32_e32 v21, v8, v21
	v_div_scale_f32 v8, vcc, 1.0, v10, 1.0
	v_mul_f32_e32 v11, v8, v21
	v_fma_f32 v20, -v19, v11, v8
	v_fmac_f32_e32 v11, v20, v21
	v_fma_f32 v8, -v19, v11, v8
	v_rcp_f32_e32 v19, v5
	v_div_fmas_f32 v8, v8, v21, v11
	v_div_fixup_f32 v8, v8, v10, 1.0
	v_pk_add_f32 v[8:9], v[8:9], 1.0 op_sel_hi:[1,0]
	v_fma_f32 v10, -v5, v19, 1.0
	v_fmac_f32_e32 v19, v10, v19
	v_div_scale_f32 v10, vcc, 1.0, v15, 1.0
	v_mul_f32_e32 v11, v10, v19
	v_fma_f32 v20, -v5, v11, v10
	v_fmac_f32_e32 v11, v20, v19
	v_fma_f32 v5, -v5, v11, v10
	v_div_scale_f32 v10, s[4:5], v14, v14, 1.0
	v_rcp_f32_e32 v20, v10
	v_div_fmas_f32 v5, v5, v19, v11
	v_div_fixup_f32 v11, v5, v15, 1.0
	s_movk_i32 s16, 0x204
	v_fma_f32 v5, -v10, v20, 1.0
	v_fmac_f32_e32 v20, v5, v20
	v_div_scale_f32 v5, vcc, 1.0, v14, 1.0
	v_mul_f32_e32 v15, v5, v20
	v_fma_f32 v19, -v10, v15, v5
	v_fmac_f32_e32 v15, v19, v20
	v_fma_f32 v5, -v10, v15, v5
	v_div_fmas_f32 v5, v5, v20, v15
	v_div_fixup_f32 v10, v5, v14, 1.0
	v_pk_add_f32 v[8:9], v[8:9], v[10:11]
	v_mul_f32_e32 v5, v8, v18
	v_div_scale_f32 v8, s[4:5], v9, v9, v5
	v_rcp_f32_e32 v10, v8
	s_mov_b32 s17, 0x42b17218
	s_mov_b32 s18, 0x7f800000
	;; [unrolled: 1-line block ×3, first 2 shown]
	v_fma_f32 v11, -v8, v10, 1.0
	v_fmac_f32_e32 v10, v11, v10
	v_div_scale_f32 v11, vcc, v5, v9, v5
	v_mul_f32_e32 v14, v11, v10
	v_fma_f32 v15, -v8, v14, v11
	v_fmac_f32_e32 v14, v15, v10
	v_fma_f32 v8, -v8, v14, v11
	v_div_scale_f32 v11, s[4:5], v3, v3, v17
	v_div_fmas_f32 v8, v8, v10, v14
	v_rcp_f32_e32 v14, v11
	v_mul_f32_e32 v10, v4, v4
	v_add_f32_e32 v15, -1.0, v0
	v_add_f32_e32 v10, v10, v10
	v_mul_f32_e32 v6, v15, v6
	v_fmac_f32_e32 v6, v15, v10
	v_fma_f32 v10, -v11, v14, 1.0
	v_fmac_f32_e32 v14, v10, v14
	v_div_scale_f32 v10, vcc, v17, v3, v17
	v_mul_f32_e32 v18, v10, v14
	v_fma_f32 v19, -v11, v18, v10
	v_fmac_f32_e32 v18, v19, v14
	v_fma_f32 v10, -v11, v18, v10
	v_div_fmas_f32 v10, v10, v14, v18
	v_div_fixup_f32 v10, v10, v3, v17
	v_mul_f32_e32 v11, 0x4f800000, v10
	v_cmp_gt_f32_e32 vcc, s6, v10
	v_cndmask_b32_e32 v11, v10, v11, vcc
	v_sqrt_f32_e32 v17, v11
	v_mul_f32_e32 v10, v3, v3
	v_fma_f32 v14, -v10, v0, v6
	v_mul_f32_e32 v10, v3, v0
	v_add_u32_e32 v6, -1, v17
	v_fma_f32 v18, -v6, v17, v11
	v_cmp_ge_f32_e64 s[4:5], 0, v18
	v_add_u32_e32 v18, 1, v17
	v_cndmask_b32_e64 v6, v17, v6, s[4:5]
	v_fma_f32 v17, -v18, v17, v11
	v_cmp_lt_f32_e64 s[4:5], 0, v17
	v_cndmask_b32_e64 v6, v6, v18, s[4:5]
	v_mul_f32_e32 v17, 0x37800000, v6
	v_cndmask_b32_e32 v6, v6, v17, vcc
	v_cmp_class_f32_e32 vcc, v11, v16
	v_cndmask_b32_e32 v17, v6, v11, vcc
	v_mov_b32_e32 v6, 0x3fc00000
	v_cmp_eq_f32_e32 vcc, 1.0, v7
	v_cndmask_b32_e64 v34, v6, 1.0, vcc
	v_frexp_mant_f32_e64 v6, |v7|
	v_cmp_gt_f32_e32 vcc, s19, v6
	v_cndmask_b32_e64 v11, 1.0, 2.0, vcc
	v_mul_f32_e32 v6, v6, v11
	v_add_f32_e32 v11, 1.0, v6
	v_rcp_f32_e32 v26, v11
	v_add_f32_e32 v18, -1.0, v11
	v_add_f32_e32 v19, -1.0, v6
	v_sub_f32_e32 v18, v6, v18
	v_mul_f32_e32 v6, v19, v26
	v_mul_f32_e32 v20, v11, v6
	v_fma_f32 v22, v6, v11, -v20
	v_fmac_f32_e32 v22, v6, v18
	v_add_f32_e32 v18, v20, v22
	v_sub_f32_e32 v21, v19, v18
	v_pk_add_f32 v[24:25], v[18:19], v[20:21] neg_lo:[0,1] neg_hi:[0,1]
	v_mov_b32_e32 v23, v18
	v_pk_add_f32 v[18:19], v[24:25], v[22:23] neg_lo:[0,1] neg_hi:[0,1]
	v_add_f32_e32 v11, v18, v19
	v_add_f32_e32 v11, v21, v11
	v_mul_f32_e32 v11, v26, v11
	v_add_f32_e32 v18, v6, v11
	v_sub_f32_e32 v6, v18, v6
	v_sub_f32_e32 v11, v11, v6
	v_mul_f32_e32 v6, v18, v18
	v_fma_f32 v19, v18, v18, -v6
	v_add_f32_e32 v20, v11, v11
	v_fmac_f32_e32 v19, v18, v20
	v_add_f32_e32 v20, v6, v19
	v_mov_b32_e32 v21, 0x3e91f4c4
	v_fmac_f32_e32 v21, 0x3e76c4e1, v20
	v_fma_f32 v21, v20, v21, v36
	v_sub_f32_e32 v6, v20, v6
	v_sub_f32_e32 v6, v19, v6
	v_mul_f32_e32 v19, v20, v21
	v_fma_f32 v22, v20, v21, -v19
	v_fmac_f32_e32 v22, v6, v21
	v_add_f32_e32 v21, v19, v22
	v_add_f32_e32 v23, 0x3f2aaaaa, v21
	v_sub_f32_e32 v19, v21, v19
	v_sub_f32_e32 v19, v22, v19
	v_add_f32_e32 v22, 0xbf2aaaaa, v23
	v_add_f32_e32 v19, 0x31739010, v19
	v_sub_f32_e32 v21, v21, v22
	v_pk_mul_f32 v[24:25], v[18:19], v[20:21]
	v_fma_f32 v22, v20, v18, -v24
	v_pk_add_f32 v[26:27], v[18:19], v[20:21]
	v_fmac_f32_e32 v22, v20, v11
	v_mov_b32_e32 v25, v27
	v_fmac_f32_e32 v22, v6, v18
	v_pk_add_f32 v[20:21], v[24:25], v[22:23]
	v_sub_f32_e32 v6, v20, v24
	v_sub_f32_e32 v19, v22, v6
	;; [unrolled: 1-line block ×3, first 2 shown]
	v_add_f32_e32 v25, v27, v6
	v_mov_b32_e32 v6, v21
	v_cvt_f64_f32_e64 v[26:27], |v7|
	v_pk_mul_f32 v[22:23], v[20:21], v[6:7]
	v_frexp_exp_i32_f64_e32 v6, v[26:27]
	v_subbrev_co_u32_e32 v6, vcc, 0, v6, vcc
	v_cvt_f32_i32_e32 v6, v6
	v_fma_f32 v24, v20, v21, -v22
	v_fmac_f32_e32 v24, v20, v25
	v_fmac_f32_e32 v24, v19, v21
	v_mul_f32_e32 v20, 0x3f317218, v6
	v_fma_f32 v26, v6, s20, -v20
	v_fmac_f32_e32 v26, 0xb102e308, v6
	v_ldexp_f32 v27, v18, 1
	v_add_f32_e32 v21, v22, v24
	v_pk_add_f32 v[18:19], v[20:21], v[26:27]
	v_mov_b32_e32 v28, v21
	v_mov_b32_e32 v29, v19
	;; [unrolled: 1-line block ×3, first 2 shown]
	v_pk_add_f32 v[22:23], v[28:29], v[22:23] neg_lo:[0,1] neg_hi:[0,1]
	v_mov_b32_e32 v25, v21
	v_ldexp_f32 v6, v11, 1
	v_pk_add_f32 v[22:23], v[24:25], v[22:23] neg_lo:[0,1] neg_hi:[0,1]
	v_add_f32_e32 v6, v6, v22
	v_add_f32_e32 v21, v6, v23
	v_pk_add_f32 v[22:23], v[18:19], v[20:21] neg_lo:[0,1] neg_hi:[0,1]
	v_pk_add_f32 v[24:25], v[18:19], v[20:21]
	v_mov_b32_e32 v28, v22
	v_mov_b32_e32 v29, v25
	;; [unrolled: 1-line block ×3, first 2 shown]
	v_pk_add_f32 v[28:29], v[26:27], v[28:29]
	v_mov_b32_e32 v6, v29
	v_pk_add_f32 v[30:31], v[6:7], v[18:19] neg_lo:[0,1] neg_hi:[0,1]
	v_mov_b32_e32 v11, v30
	v_mov_b32_e32 v28, v25
	;; [unrolled: 1-line block ×4, first 2 shown]
	v_pk_add_f32 v[22:23], v[26:27], v[22:23] neg_lo:[0,1] neg_hi:[0,1]
	v_pk_add_f32 v[32:33], v[24:25], v[10:11] neg_lo:[0,1] neg_hi:[0,1]
	;; [unrolled: 1-line block ×3, first 2 shown]
	v_mov_b32_e32 v26, v21
	v_pk_add_f32 v[18:19], v[26:27], v[18:19] neg_lo:[0,1] neg_hi:[0,1]
	v_mov_b32_e32 v32, v22
	v_pk_add_f32 v[20:21], v[32:33], v[18:19]
	v_mov_b32_e32 v24, v21
	v_pk_add_f32 v[24:25], v[20:21], v[24:25]
	v_pk_add_f32 v[26:27], v[6:7], v[24:25]
	v_mov_b32_e32 v23, v29
	v_mov_b32_e32 v21, v26
	v_pk_add_f32 v[28:29], v[20:21], v[22:23] neg_lo:[0,1] neg_hi:[0,1]
	v_mov_b32_e32 v19, v24
	v_sub_f32_e32 v6, v20, v28
	v_pk_add_f32 v[18:19], v[18:19], v[28:29] neg_lo:[0,1] neg_hi:[0,1]
	v_sub_f32_e32 v6, v22, v6
	v_add_f32_e32 v6, v18, v6
	v_add_f32_e32 v6, v6, v19
	v_add_f32_e32 v11, v26, v6
	v_sub_f32_e32 v18, v11, v26
	v_sub_f32_e32 v6, v6, v18
	v_mul_f32_e32 v18, v34, v11
	v_fma_f32 v11, v34, v11, -v18
	v_fmac_f32_e32 v11, v34, v6
	v_add_f32_e32 v6, v18, v11
	v_cmp_class_f32_e64 vcc, v18, s16
	v_sub_f32_e32 v19, v6, v18
	v_cndmask_b32_e32 v6, v6, v18, vcc
	v_mov_b32_e32 v30, 0x37000000
	v_cmp_eq_f32_e32 vcc, s17, v6
	v_cndmask_b32_e32 v18, 0, v30, vcc
	v_sub_f32_e32 v11, v11, v19
	v_sub_f32_e32 v19, v6, v18
	v_mul_f32_e32 v20, 0x3fb8aa3b, v19
	v_fma_f32 v21, v19, s21, -v20
	v_rndne_f32_e32 v22, v20
	v_fmac_f32_e32 v21, 0x32a5705f, v19
	v_sub_f32_e32 v20, v20, v22
	v_add_f32_e32 v20, v20, v21
	v_exp_f32_e32 v20, v20
	v_cvt_i32_f32_e32 v21, v22
	v_cmp_neq_f32_e64 vcc, |v6|, s18
	v_cndmask_b32_e32 v6, 0, v11, vcc
	v_cmp_ngt_f32_e32 vcc, s22, v19
	v_ldexp_f32 v11, v20, v21
	v_cndmask_b32_e32 v11, 0, v11, vcc
	v_mov_b32_e32 v31, 0x7f800000
	v_cmp_nlt_f32_e32 vcc, s17, v19
	v_add_f32_e32 v6, v18, v6
	v_cndmask_b32_e32 v11, v31, v11, vcc
	v_fma_f32 v6, v11, v6, v11
	v_cmp_class_f32_e64 vcc, v11, s16
	v_cndmask_b32_e32 v6, v6, v11, vcc
	v_trunc_f32_e32 v11, v34
	v_cmp_eq_f32_e32 vcc, v11, v34
	v_mul_f32_e32 v11, 0.5, v34
	v_trunc_f32_e32 v18, v11
	v_cmp_neq_f32_e64 s[4:5], v18, v11
	s_and_b64 s[4:5], vcc, s[4:5]
	v_cndmask_b32_e64 v11, 1.0, v7, s[4:5]
	s_brev_b32 s23, -2
	v_mul_f32_e32 v19, v7, v0
	v_mov_b32_e32 v32, 0x7fc00000
	v_bfi_b32 v6, s23, v6, v11
	v_cndmask_b32_e64 v18, 0, v7, s[4:5]
	v_div_scale_f32 v20, s[4:5], v19, v19, v4
	v_cndmask_b32_e32 v11, v32, v6, vcc
	v_cmp_gt_f32_e32 vcc, 0, v7
	v_rcp_f32_e32 v21, v20
	v_cndmask_b32_e32 v6, v6, v11, vcc
	v_cmp_eq_f32_e32 vcc, 0, v7
	v_cmp_class_f32_e64 s[24:25], v7, s16
	v_cndmask_b32_e64 v11, v31, 0, vcc
	v_bfi_b32 v11, s23, v11, v18
	s_or_b64 vcc, vcc, s[24:25]
	v_cndmask_b32_e32 v6, v6, v11, vcc
	v_fma_f32 v11, -v20, v21, 1.0
	v_fmac_f32_e32 v21, v11, v21
	v_div_scale_f32 v11, vcc, v4, v19, v4
	v_mul_f32_e32 v18, v11, v21
	v_fma_f32 v22, -v20, v18, v11
	v_fmac_f32_e32 v18, v22, v21
	v_fma_f32 v11, -v20, v18, v11
	v_div_fmas_f32 v11, v11, v21, v18
	v_div_fixup_f32 v11, v11, v19, v4
	s_mov_b32 s26, 0x800000
	v_mov_b32_e32 v18, 0x4f800000
	v_cmp_gt_f32_e64 s[4:5], s26, v11
	v_cndmask_b32_e64 v19, 1.0, v18, s[4:5]
	v_mul_f32_e32 v11, v11, v19
	v_log_f32_e32 v11, v11
	v_mul_f32_e32 v20, 0x41000000, v4
	v_cmp_o_f32_e32 vcc, v7, v7
	v_mul_f32_e32 v20, v20, v3
	v_cndmask_b32_e32 v6, v32, v6, vcc
	v_div_scale_f32 v21, s[24:25], v7, v7, v20
	v_mul_f32_e32 v6, v17, v6
	s_mov_b32 s27, 0x3f317217
	v_mul_f32_e32 v17, 0x3f317217, v11
	v_rcp_f32_e32 v22, v21
	v_fma_f32 v19, v11, s27, -v17
	v_fmac_f32_e32 v19, 0x3377d1cf, v11
	v_add_f32_e32 v17, v17, v19
	v_cmp_lt_f32_e64 vcc, |v11|, s18
	v_cndmask_b32_e32 v11, v11, v17, vcc
	v_fma_f32 v17, -v21, v22, 1.0
	v_fmac_f32_e32 v22, v17, v22
	v_div_scale_f32 v17, vcc, v20, v7, v20
	v_mul_f32_e32 v19, v17, v22
	v_fma_f32 v23, -v21, v19, v17
	v_fmac_f32_e32 v19, v23, v22
	v_fma_f32 v17, -v21, v19, v17
	v_div_fmas_f32 v17, v17, v22, v19
	v_div_fixup_f32 v17, v17, v7, v20
	v_mul_f32_e32 v19, 0x4f800000, v17
	v_cmp_gt_f32_e64 s[6:7], s6, v17
	v_cndmask_b32_e64 v17, v17, v19, s[6:7]
	v_sqrt_f32_e32 v19, v17
	v_mov_b32_e32 v20, 0x41b17218
	v_cndmask_b32_e64 v21, 0, v20, s[4:5]
	v_mul_f32_e32 v2, v2, v7
	v_sub_f32_e32 v11, v11, v21
	v_add_u32_e32 v21, -1, v19
	v_div_scale_f32 v7, s[4:5], v2, v2, v3
	v_fma_f32 v22, -v21, v19, v17
	v_rcp_f32_e32 v23, v7
	v_cmp_ge_f32_e32 vcc, 0, v22
	v_add_u32_e32 v22, 1, v19
	v_cndmask_b32_e32 v21, v19, v21, vcc
	v_fma_f32 v19, -v22, v19, v17
	v_cmp_lt_f32_e32 vcc, 0, v19
	v_cndmask_b32_e32 v19, v21, v22, vcc
	v_fma_f32 v22, -v7, v23, 1.0
	v_fmac_f32_e32 v23, v22, v23
	v_div_scale_f32 v22, vcc, v3, v2, v3
	v_mul_f32_e32 v24, v22, v23
	v_fma_f32 v25, -v7, v24, v22
	v_fmac_f32_e32 v24, v25, v23
	v_fma_f32 v7, -v7, v24, v22
	v_div_fmas_f32 v7, v7, v23, v24
	v_div_fixup_f32 v2, v7, v2, v3
	v_cmp_gt_f32_e32 vcc, s26, v2
	v_cndmask_b32_e32 v7, 1.0, v18, vcc
	v_mul_f32_e32 v2, v2, v7
	v_log_f32_e32 v2, v2
	v_mul_f32_e32 v21, 0x37800000, v19
	v_cndmask_b32_e64 v7, v19, v21, s[6:7]
	v_cmp_class_f32_e64 s[4:5], v17, v16
	v_cndmask_b32_e64 v33, v7, v17, s[4:5]
	v_mul_f32_e32 v7, 0x3f317217, v2
	v_fma_f32 v16, v2, s27, -v7
	v_fmac_f32_e32 v16, 0x3377d1cf, v2
	v_add_f32_e32 v7, v7, v16
	v_cmp_lt_f32_e64 s[4:5], |v2|, s18
	v_cndmask_b32_e64 v2, v2, v7, s[4:5]
	v_cndmask_b32_e32 v7, 0, v20, vcc
	v_sub_f32_e32 v2, v2, v7
	v_mul_f32_e32 v34, v11, v4
	v_fmac_f32_e32 v34, v3, v2
	v_mov_b32_e32 v2, 0xbfc00000
	v_cmp_eq_f32_e32 vcc, 1.0, v34
	v_cndmask_b32_e64 v37, v2, 1.0, vcc
	v_frexp_mant_f32_e64 v2, |v34|
	v_cmp_gt_f32_e32 vcc, s19, v2
	v_cndmask_b32_e64 v3, 1.0, 2.0, vcc
	v_mul_f32_e32 v2, v2, v3
	v_add_f32_e32 v7, 1.0, v2
	v_rcp_f32_e32 v22, v7
	v_add_f32_e32 v3, -1.0, v7
	v_sub_f32_e32 v17, v2, v3
	v_add_f32_e32 v3, -1.0, v2
	v_mul_f32_e32 v23, v3, v22
	v_mul_f32_e32 v16, v7, v23
	v_fma_f32 v18, v23, v7, -v16
	v_fmac_f32_e32 v18, v23, v17
	v_add_f32_e32 v2, v16, v18
	v_sub_f32_e32 v17, v3, v2
	v_pk_add_f32 v[20:21], v[2:3], v[16:17] neg_lo:[0,1] neg_hi:[0,1]
	v_mov_b32_e32 v19, v2
	v_pk_add_f32 v[2:3], v[20:21], v[18:19] neg_lo:[0,1] neg_hi:[0,1]
	v_add_f32_e32 v2, v2, v3
	v_add_f32_e32 v2, v17, v2
	v_mul_f32_e32 v3, v22, v2
	v_add_f32_e32 v2, v23, v3
	v_sub_f32_e32 v7, v2, v23
	v_sub_f32_e32 v7, v3, v7
	v_mul_f32_e32 v3, v2, v2
	v_fma_f32 v17, v2, v2, -v3
	v_add_f32_e32 v16, v7, v7
	v_fmac_f32_e32 v17, v2, v16
	v_mov_b32_e32 v35, 0x3e91f4c4
	v_add_f32_e32 v16, v3, v17
	v_fmac_f32_e32 v35, 0x3e76c4e1, v16
	v_fmac_f32_e32 v36, v16, v35
	v_sub_f32_e32 v3, v16, v3
	v_sub_f32_e32 v24, v17, v3
	v_mul_f32_e32 v3, v16, v36
	v_fma_f32 v17, v16, v36, -v3
	v_fmac_f32_e32 v17, v24, v36
	v_add_f32_e32 v18, v3, v17
	v_add_f32_e32 v19, 0x3f2aaaaa, v18
	v_sub_f32_e32 v3, v18, v3
	v_sub_f32_e32 v3, v17, v3
	v_add_f32_e32 v17, 0xbf2aaaaa, v19
	v_add_f32_e32 v3, 0x31739010, v3
	v_sub_f32_e32 v17, v18, v17
	v_pk_mul_f32 v[20:21], v[2:3], v[16:17]
	v_fma_f32 v18, v16, v2, -v20
	v_pk_add_f32 v[22:23], v[2:3], v[16:17]
	v_fmac_f32_e32 v18, v16, v7
	v_mov_b32_e32 v21, v23
	v_fmac_f32_e32 v18, v24, v2
	v_pk_add_f32 v[16:17], v[20:21], v[18:19]
	v_sub_f32_e32 v3, v16, v20
	v_sub_f32_e32 v3, v18, v3
	;; [unrolled: 1-line block ×3, first 2 shown]
	v_add_f32_e32 v22, v23, v18
	v_mov_b32_e32 v18, v17
	v_pk_mul_f32 v[18:19], v[16:17], v[18:19]
	v_cvt_f64_f32_e64 v[20:21], |v34|
	v_frexp_exp_i32_f64_e32 v19, v[20:21]
	v_subbrev_co_u32_e32 v19, vcc, 0, v19, vcc
	v_cvt_f32_i32_e32 v19, v19
	v_fma_f32 v20, v16, v17, -v18
	v_fmac_f32_e32 v20, v16, v22
	v_fmac_f32_e32 v20, v3, v17
	v_mul_f32_e32 v16, 0x3f317218, v19
	v_fma_f32 v22, v19, s20, -v16
	v_fmac_f32_e32 v22, 0xb102e308, v19
	v_ldexp_f32 v23, v2, 1
	v_add_f32_e32 v17, v18, v20
	v_pk_add_f32 v[2:3], v[16:17], v[22:23]
	v_mov_b32_e32 v24, v17
	v_mov_b32_e32 v25, v3
	;; [unrolled: 1-line block ×3, first 2 shown]
	v_pk_add_f32 v[18:19], v[24:25], v[18:19] neg_lo:[0,1] neg_hi:[0,1]
	v_mov_b32_e32 v21, v17
	v_ldexp_f32 v7, v7, 1
	v_pk_add_f32 v[18:19], v[20:21], v[18:19] neg_lo:[0,1] neg_hi:[0,1]
	v_add_f32_e32 v7, v7, v18
	v_add_f32_e32 v17, v7, v19
	v_pk_add_f32 v[18:19], v[2:3], v[16:17] neg_lo:[0,1] neg_hi:[0,1]
	v_pk_add_f32 v[20:21], v[2:3], v[16:17]
	v_mov_b32_e32 v24, v18
	v_mov_b32_e32 v25, v21
	;; [unrolled: 1-line block ×3, first 2 shown]
	v_pk_add_f32 v[24:25], v[22:23], v[24:25]
	v_mov_b32_e32 v16, v25
	v_pk_add_f32 v[26:27], v[16:17], v[2:3] neg_lo:[0,1] neg_hi:[0,1]
	v_mov_b32_e32 v7, v26
	v_mov_b32_e32 v24, v21
	v_mov_b32_e32 v2, v3
	v_mov_b32_e32 v3, v26
	v_pk_add_f32 v[18:19], v[22:23], v[18:19] neg_lo:[0,1] neg_hi:[0,1]
	v_pk_add_f32 v[28:29], v[20:21], v[6:7] neg_lo:[0,1] neg_hi:[0,1]
	v_pk_add_f32 v[2:3], v[24:25], v[2:3] neg_lo:[0,1] neg_hi:[0,1]
	v_mov_b32_e32 v22, v17
	v_pk_add_f32 v[2:3], v[22:23], v[2:3] neg_lo:[0,1] neg_hi:[0,1]
	v_mov_b32_e32 v28, v18
	v_pk_add_f32 v[20:21], v[28:29], v[2:3]
	v_mov_b32_e32 v22, v21
	v_pk_add_f32 v[22:23], v[20:21], v[22:23]
	v_pk_add_f32 v[16:17], v[16:17], v[22:23]
	v_mov_b32_e32 v19, v25
	v_mov_b32_e32 v21, v16
	v_pk_add_f32 v[24:25], v[20:21], v[18:19] neg_lo:[0,1] neg_hi:[0,1]
	v_mov_b32_e32 v3, v22
	v_sub_f32_e32 v7, v20, v24
	v_pk_add_f32 v[2:3], v[2:3], v[24:25] neg_lo:[0,1] neg_hi:[0,1]
	v_sub_f32_e32 v7, v18, v7
	v_add_f32_e32 v2, v2, v7
	v_add_f32_e32 v2, v2, v3
	;; [unrolled: 1-line block ×3, first 2 shown]
	v_sub_f32_e32 v7, v3, v16
	v_sub_f32_e32 v2, v2, v7
	v_mul_f32_e32 v7, v37, v3
	v_fma_f32 v3, v37, v3, -v7
	v_fmac_f32_e32 v3, v37, v2
	v_add_f32_e32 v2, v7, v3
	v_cmp_class_f32_e64 vcc, v7, s16
	v_sub_f32_e32 v16, v2, v7
	v_cndmask_b32_e32 v2, v2, v7, vcc
	v_cmp_eq_f32_e32 vcc, s17, v2
	v_cndmask_b32_e32 v7, 0, v30, vcc
	v_sub_f32_e32 v3, v3, v16
	v_sub_f32_e32 v16, v2, v7
	v_mul_f32_e32 v17, 0x3fb8aa3b, v16
	v_fma_f32 v18, v16, s21, -v17
	v_rndne_f32_e32 v19, v17
	v_fmac_f32_e32 v18, 0x32a5705f, v16
	v_sub_f32_e32 v17, v17, v19
	v_add_f32_e32 v17, v17, v18
	v_exp_f32_e32 v17, v17
	v_cvt_i32_f32_e32 v18, v19
	v_cmp_neq_f32_e64 vcc, |v2|, s18
	v_cndmask_b32_e32 v2, 0, v3, vcc
	v_cmp_ngt_f32_e32 vcc, s22, v16
	v_ldexp_f32 v3, v17, v18
	v_cndmask_b32_e32 v3, 0, v3, vcc
	v_cmp_nlt_f32_e32 vcc, s17, v16
	v_add_f32_e32 v2, v7, v2
	v_cndmask_b32_e32 v3, v31, v3, vcc
	v_fma_f32 v2, v3, v2, v3
	v_cmp_class_f32_e64 vcc, v3, s16
	v_cndmask_b32_e32 v2, v2, v3, vcc
	v_trunc_f32_e32 v3, v37
	v_cmp_eq_f32_e32 vcc, v3, v37
	v_mul_f32_e32 v3, 0.5, v37
	v_trunc_f32_e32 v7, v3
	v_cmp_neq_f32_e64 s[4:5], v7, v3
	s_and_b64 s[4:5], vcc, s[4:5]
	v_cndmask_b32_e64 v3, 1.0, v34, s[4:5]
	v_bfi_b32 v2, s23, v2, v3
	v_cndmask_b32_e32 v3, v32, v2, vcc
	v_cmp_gt_f32_e32 vcc, 0, v34
	v_cndmask_b32_e32 v2, v2, v3, vcc
	v_cmp_eq_f32_e32 vcc, 0, v34
	v_cmp_gt_f32_e64 s[6:7], 0, v37
	v_fmac_f32_e32 v10, v15, v4
	s_xor_b64 s[6:7], vcc, s[6:7]
	v_cndmask_b32_e64 v7, 0, v34, s[4:5]
	v_div_scale_f32 v4, s[4:5], v10, v10, v33
	v_cmp_class_f32_e64 s[16:17], v34, s16
	v_cndmask_b32_e64 v3, v31, 0, s[6:7]
	v_rcp_f32_e32 v15, v4
	v_bfi_b32 v3, s23, v3, v7
	s_or_b64 vcc, vcc, s[16:17]
	v_cndmask_b32_e32 v2, v2, v3, vcc
	v_cmp_o_f32_e32 vcc, v34, v34
	v_cndmask_b32_e32 v2, v32, v2, vcc
	v_cmp_gt_f32_e32 vcc, v12, v0
	v_mov_b32_e32 v7, 0.5
	v_cndmask_b32_e64 v12, -v2, v2, vcc
	v_pk_mul_f32 v[2:3], v[10:11], v[6:7]
	v_fma_f32 v6, -v4, v15, 1.0
	v_fmac_f32_e32 v15, v6, v15
	v_div_scale_f32 v6, vcc, v33, v10, v33
	v_mul_f32_e32 v7, v6, v15
	v_fma_f32 v11, -v4, v7, v6
	v_fmac_f32_e32 v7, v11, v15
	v_fma_f32 v4, -v4, v7, v6
	v_div_fmas_f32 v4, v4, v15, v7
	v_div_fixup_f32 v4, v4, v10, v33
	v_add_f32_e32 v11, v4, v12
	v_pk_mul_f32 v[2:3], v[10:11], v[2:3]
	v_div_scale_f32 v4, s[4:5], v2, v2, v14
	v_rcp_f32_e32 v6, v4
	v_div_fixup_f32 v0, v13, v1, -v0
	v_div_fixup_f32 v1, v8, v9, v5
	v_mul_f32_e32 v0, v0, v1
	v_fma_f32 v5, -v4, v6, 1.0
	v_fmac_f32_e32 v6, v5, v6
	v_div_scale_f32 v5, vcc, v14, v2, v14
	v_mul_f32_e32 v7, v5, v6
	v_fma_f32 v8, -v4, v7, v5
	v_fmac_f32_e32 v7, v8, v6
	v_fma_f32 v4, -v4, v7, v5
	v_div_fmas_f32 v4, v4, v6, v7
	v_div_fixup_f32 v2, v4, v2, v14
	v_add_f32_e32 v2, v2, v3
	v_mul_f32_e32 v1, v0, v2
.LBB223_55:
	s_or_b64 exec, exec, s[14:15]
	s_or_b64 exec, exec, s[8:9]
                                        ; implicit-def: $vgpr2_vgpr3
                                        ; implicit-def: $vgpr4
.LBB223_56:
	s_andn2_saveexec_b64 s[12:13], s[12:13]
	s_cbranch_execz .LBB223_102
.LBB223_57:
	v_add_f32_e32 v5, v3, v4
	v_cmp_neq_f32_e32 vcc, 0, v5
	v_mov_b32_e32 v0, 0x7f800000
	v_mov_b32_e32 v1, 0x7f800000
	s_and_saveexec_b64 s[14:15], vcc
	s_cbranch_execz .LBB223_79
; %bb.58:
	v_cmp_gt_f32_e32 vcc, 0, v5
	s_mov_b64 s[4:5], -1
	v_mov_b32_e32 v6, 0
                                        ; implicit-def: $sgpr6
	s_and_saveexec_b64 s[16:17], vcc
	s_cbranch_execz .LBB223_66
; %bb.59:
	v_floor_f32_e32 v1, v5
	v_cmp_neq_f32_e32 vcc, v1, v5
	s_mov_b64 s[4:5], 0
	v_mov_b32_e32 v6, 0
	s_and_saveexec_b64 s[18:19], vcc
	s_cbranch_execz .LBB223_65
; %bb.60:
	v_mul_f32_e32 v1, 0x40490fdb, v5
	s_brev_b32 s4, 18
	v_and_b32_e32 v6, 0x7fffffff, v1
	v_cmp_nlt_f32_e64 s[4:5], |v1|, s4
                                        ; implicit-def: $vgpr8
                                        ; implicit-def: $vgpr7
	s_and_saveexec_b64 s[6:7], s[4:5]
	s_xor_b64 s[20:21], exec, s[6:7]
	s_cbranch_execz .LBB223_62
; %bb.61:
	v_lshrrev_b32_e32 v7, 23, v6
	v_add_u32_e32 v7, 0xffffff88, v7
	v_not_b32_e32 v8, 63
	v_cmp_lt_u32_e32 vcc, 63, v7
	v_cndmask_b32_e32 v8, 0, v8, vcc
	v_add_u32_e32 v7, v8, v7
	v_not_b32_e32 v8, 31
	v_cmp_lt_u32_e64 s[4:5], 31, v7
	v_cndmask_b32_e64 v10, 0, v8, s[4:5]
	v_add_u32_e32 v7, v10, v7
	v_cmp_lt_u32_e64 s[6:7], 31, v7
	v_cndmask_b32_e64 v8, 0, v8, s[6:7]
	v_add_u32_e32 v7, v8, v7
	v_and_b32_e32 v8, 0x7fffff, v6
	v_or_b32_e32 v22, 0x800000, v8
	s_mov_b32 s8, 0xfe5163ab
	v_mad_u64_u32 v[10:11], s[8:9], v22, s8, 0
	v_mov_b32_e32 v9, 0
	v_mov_b32_e32 v8, v11
	s_mov_b32 s8, 0x3c439041
	v_mad_u64_u32 v[12:13], s[8:9], v22, s8, v[8:9]
	v_mov_b32_e32 v8, v13
	s_mov_b32 s8, 0xdb629599
	v_mad_u64_u32 v[14:15], s[8:9], v22, s8, v[8:9]
	v_mov_b32_e32 v8, v15
	s_mov_b32 s8, 0xf534ddc0
	v_mad_u64_u32 v[16:17], s[8:9], v22, s8, v[8:9]
	v_mov_b32_e32 v8, v17
	s_mov_b32 s8, 0xfc2757d1
	v_mad_u64_u32 v[18:19], s[8:9], v22, s8, v[8:9]
	v_mov_b32_e32 v8, v19
	s_mov_b32 s8, 0x4e441529
	v_mad_u64_u32 v[20:21], s[8:9], v22, s8, v[8:9]
	v_mov_b32_e32 v8, v21
	s_mov_b32 s8, 0xa2f9836e
	v_mad_u64_u32 v[8:9], s[8:9], v22, s8, v[8:9]
	v_cndmask_b32_e32 v11, v20, v16, vcc
	v_cndmask_b32_e32 v8, v8, v18, vcc
	;; [unrolled: 1-line block ×3, first 2 shown]
	v_cndmask_b32_e64 v13, v8, v11, s[4:5]
	v_cndmask_b32_e64 v8, v9, v8, s[4:5]
	v_cndmask_b32_e32 v9, v18, v14, vcc
	v_cndmask_b32_e64 v11, v11, v9, s[4:5]
	v_sub_u32_e32 v15, 32, v7
	v_cmp_eq_u32_e64 s[8:9], 0, v7
	v_cndmask_b32_e32 v7, v16, v12, vcc
	v_cndmask_b32_e64 v8, v8, v13, s[6:7]
	v_cndmask_b32_e64 v13, v13, v11, s[6:7]
	;; [unrolled: 1-line block ×3, first 2 shown]
	v_alignbit_b32 v17, v8, v13, v15
	v_cndmask_b32_e64 v11, v11, v9, s[6:7]
	v_cndmask_b32_e64 v8, v17, v8, s[8:9]
	v_alignbit_b32 v12, v13, v11, v15
	v_cndmask_b32_e32 v10, v14, v10, vcc
	v_cndmask_b32_e64 v12, v12, v13, s[8:9]
	v_bfe_u32 v17, v8, 29, 1
	v_cndmask_b32_e64 v7, v7, v10, s[4:5]
	v_alignbit_b32 v13, v8, v12, 30
	v_sub_u32_e32 v18, 0, v17
	v_cndmask_b32_e64 v7, v9, v7, s[6:7]
	v_xor_b32_e32 v19, v13, v18
	v_alignbit_b32 v9, v11, v7, v15
	v_cndmask_b32_e64 v9, v9, v11, s[8:9]
	v_ffbh_u32_e32 v11, v19
	v_add_u32_e32 v11, 1, v11
	v_cmp_ne_u32_e32 vcc, v13, v18
	v_alignbit_b32 v10, v12, v9, 30
	v_cndmask_b32_e32 v11, 33, v11, vcc
	v_alignbit_b32 v7, v9, v7, 30
	v_xor_b32_e32 v10, v10, v18
	v_sub_u32_e32 v12, 32, v11
	v_xor_b32_e32 v7, v7, v18
	v_alignbit_b32 v13, v19, v10, v12
	v_alignbit_b32 v7, v10, v7, v12
	;; [unrolled: 1-line block ×3, first 2 shown]
	v_ffbh_u32_e32 v10, v9
	v_min_u32_e32 v10, 32, v10
	v_lshrrev_b32_e32 v16, 29, v8
	v_sub_u32_e32 v12, 31, v10
	v_alignbit_b32 v7, v9, v7, v12
	v_lshlrev_b32_e32 v9, 31, v16
	v_or_b32_e32 v12, 0x33800000, v9
	v_add_lshl_u32 v10, v10, v11, 23
	v_lshrrev_b32_e32 v7, 9, v7
	v_sub_u32_e32 v10, v12, v10
	v_or_b32_e32 v7, v10, v7
	v_alignbit_b32 v10, v11, v13, 9
	v_or_b32_e32 v9, v10, v9
	v_xor_b32_e32 v9, 1.0, v9
	s_mov_b32 s4, 0x3fc90fda
	v_mul_f32_e32 v10, 0x3fc90fda, v9
	v_fma_f32 v11, v9, s4, -v10
	v_fmac_f32_e32 v11, 0x33a22168, v9
	v_fmac_f32_e32 v11, 0x3fc90fda, v7
	v_lshrrev_b32_e32 v8, 30, v8
	v_add_f32_e32 v7, v10, v11
	v_add_u32_e32 v8, v17, v8
.LBB223_62:
	s_andn2_saveexec_b64 s[4:5], s[20:21]
; %bb.63:
	s_mov_b32 s6, 0x3f22f983
	v_mul_f32_e64 v7, |v1|, s6
	v_rndne_f32_e32 v9, v7
	s_mov_b32 s6, 0xbfc90fda
	v_cvt_i32_f32_e32 v8, v9
	v_fma_f32 v7, v9, s6, |v1|
	v_fmac_f32_e32 v7, 0xb3a22168, v9
	v_fmac_f32_e32 v7, 0xa7c234c4, v9
; %bb.64:
	s_or_b64 exec, exec, s[4:5]
	v_mul_f32_e32 v9, v7, v7
	v_mov_b32_e32 v10, 0xbf039337
	v_fmac_f32_e32 v10, 0x3c971480, v9
	v_mov_b32_e32 v11, 0x3f93f425
	v_fmac_f32_e32 v11, v9, v10
	v_rcp_f32_e32 v10, v11
	v_mov_b32_e32 v11, 0x3ec54587
	v_fmac_f32_e32 v11, 0xbc8cedd3, v9
	v_and_b32_e32 v8, 1, v8
	v_mul_f32_e32 v10, v11, v10
	v_mul_f32_e32 v9, v9, v10
	v_fma_f32 v10, v9, v7, v7
	v_rcp_f32_e32 v11, v10
	v_sub_f32_e32 v12, v10, v7
	v_fma_f32 v7, v9, v7, -v12
	v_cmp_eq_u32_e32 vcc, 0, v8
	v_fma_f32 v9, v10, -v11, 1.0
	v_fma_f32 v7, v7, -v11, v9
	v_fma_f32 v7, v7, -v11, -v11
	v_cndmask_b32_e32 v7, v7, v10, vcc
	v_xor_b32_e32 v6, v6, v1
	v_xor_b32_e32 v6, v6, v7
	s_mov_b32 s8, 0xc0490fdb
	v_div_scale_f32 v7, s[6:7], v6, v6, s8
	v_rcp_f32_e32 v8, v7
	s_movk_i32 s6, 0x1f8
	s_mov_b64 s[4:5], exec
	v_sub_f32_e32 v5, 1.0, v5
	v_fma_f32 v9, -v7, v8, 1.0
	v_fmac_f32_e32 v8, v9, v8
	v_div_scale_f32 v9, vcc, s8, v6, s8
	v_mul_f32_e32 v10, v9, v8
	v_fma_f32 v11, -v7, v10, v9
	v_fmac_f32_e32 v10, v11, v8
	v_fma_f32 v7, -v7, v10, v9
	v_div_fmas_f32 v7, v7, v8, v10
	v_div_fixup_f32 v6, v7, v6, s8
	v_mov_b32_e32 v7, 0x7fc00000
	v_cmp_class_f32_e64 vcc, v1, s6
	v_cndmask_b32_e32 v6, v7, v6, vcc
.LBB223_65:
	s_or_b64 exec, exec, s[18:19]
	s_mov_b32 s6, 0x7f800000
	s_orn2_b64 s[4:5], s[4:5], exec
.LBB223_66:
	s_or_b64 exec, exec, s[16:17]
	v_mov_b32_e32 v1, s6
	s_and_saveexec_b64 s[6:7], s[4:5]
	s_cbranch_execz .LBB223_78
; %bb.67:
	s_mov_b32 s16, 0x41200000
	v_cmp_gt_f32_e32 vcc, s16, v5
	v_mov_b32_e32 v1, 0
	s_and_saveexec_b64 s[4:5], vcc
	s_cbranch_execz .LBB223_71
; %bb.68:
	s_mov_b64 s[8:9], 0
	v_mov_b32_e32 v1, 0
.LBB223_69:                             ; =>This Inner Loop Header: Depth=1
	v_div_scale_f32 v7, s[18:19], v5, v5, 1.0
	v_rcp_f32_e32 v8, v7
	v_div_scale_f32 v9, vcc, 1.0, v5, 1.0
	v_fma_f32 v10, -v7, v8, 1.0
	v_fmac_f32_e32 v8, v10, v8
	v_mul_f32_e32 v10, v9, v8
	v_fma_f32 v11, -v7, v10, v9
	v_fmac_f32_e32 v10, v11, v8
	v_fma_f32 v7, -v7, v10, v9
	v_div_fmas_f32 v7, v7, v8, v10
	v_div_fixup_f32 v7, v7, v5, 1.0
	v_add_f32_e32 v5, 1.0, v5
	v_cmp_ngt_f32_e32 vcc, s16, v5
	s_or_b64 s[8:9], vcc, s[8:9]
	v_sub_f32_e32 v1, v1, v7
	s_andn2_b64 exec, exec, s[8:9]
	s_cbranch_execnz .LBB223_69
; %bb.70:
	s_or_b64 exec, exec, s[8:9]
.LBB223_71:
	s_or_b64 exec, exec, s[4:5]
	s_mov_b32 s4, 0x41200000
	v_cmp_neq_f32_e32 vcc, s4, v5
                                        ; implicit-def: $vgpr7
	s_and_saveexec_b64 s[4:5], vcc
	s_xor_b64 s[8:9], exec, s[4:5]
	s_cbranch_execz .LBB223_75
; %bb.72:
	s_mov_b32 s4, 0x5bb1a2bc
	v_cmp_gt_f32_e32 vcc, s4, v5
	v_mov_b32_e32 v7, 0
	s_and_saveexec_b64 s[4:5], vcc
	s_cbranch_execz .LBB223_74
; %bb.73:
	v_mul_f32_e32 v7, v5, v5
	v_div_scale_f32 v8, s[16:17], v7, v7, 1.0
	v_rcp_f32_e32 v9, v8
	v_div_scale_f32 v10, vcc, 1.0, v7, 1.0
	v_fma_f32 v11, -v8, v9, 1.0
	v_fmac_f32_e32 v9, v11, v9
	v_mul_f32_e32 v11, v10, v9
	v_fma_f32 v12, -v8, v11, v10
	v_fmac_f32_e32 v11, v12, v9
	v_fma_f32 v8, -v8, v11, v10
	v_div_fmas_f32 v8, v8, v9, v11
	v_div_fixup_f32 v7, v8, v7, 1.0
	v_mov_b32_e32 v8, 0x3daaaaab
	v_fma_f32 v9, 0, v7, v8
	v_mov_b32_e32 v10, 0xbcaccacd
	v_fmac_f32_e32 v10, v7, v9
	v_mov_b32_e32 v9, 0x3bf83e10
	v_fmac_f32_e32 v9, v7, v10
	;; [unrolled: 2-line block ×5, first 2 shown]
	v_fmac_f32_e32 v8, v7, v10
	v_mul_f32_e32 v7, v7, v8
.LBB223_74:
	s_or_b64 exec, exec, s[4:5]
	s_mov_b32 s4, 0x800000
	v_mov_b32_e32 v8, 0x4f800000
	v_cmp_gt_f32_e32 vcc, s4, v5
	v_cndmask_b32_e32 v8, 1.0, v8, vcc
	v_mul_f32_e32 v8, v5, v8
	v_log_f32_e32 v8, v8
	s_mov_b32 s4, 0x3f317217
	v_mul_f32_e32 v9, 0x3f317217, v8
	v_fma_f32 v10, v8, s4, -v9
	v_fmac_f32_e32 v10, 0x3377d1cf, v8
	s_mov_b32 s4, 0x7f800000
	v_add_f32_e32 v9, v9, v10
	v_cmp_lt_f32_e64 s[4:5], |v8|, s4
	v_cndmask_b32_e64 v8, v8, v9, s[4:5]
	v_div_scale_f32 v10, s[4:5], v5, v5, -0.5
	v_rcp_f32_e32 v11, v10
	v_mov_b32_e32 v9, 0x41b17218
	v_cndmask_b32_e32 v9, 0, v9, vcc
	v_sub_f32_e32 v8, v8, v9
	v_add_f32_e32 v1, v1, v8
	v_fma_f32 v8, -v10, v11, 1.0
	v_fmac_f32_e32 v11, v8, v11
	v_div_scale_f32 v8, vcc, -0.5, v5, -0.5
	v_mul_f32_e32 v9, v8, v11
	v_fma_f32 v12, -v10, v9, v8
	v_fmac_f32_e32 v9, v12, v11
	v_fma_f32 v8, -v10, v9, v8
	v_div_fmas_f32 v8, v8, v11, v9
	v_div_fixup_f32 v5, v8, v5, -0.5
	v_add_f32_e32 v1, v1, v5
	v_sub_f32_e32 v7, v1, v7
                                        ; implicit-def: $vgpr1
.LBB223_75:
	s_andn2_saveexec_b64 s[4:5], s[8:9]
; %bb.76:
	v_add_f32_e32 v7, 0x40101cb7, v1
; %bb.77:
	s_or_b64 exec, exec, s[4:5]
	v_add_f32_e32 v1, v6, v7
.LBB223_78:
	s_or_b64 exec, exec, s[6:7]
.LBB223_79:
	s_or_b64 exec, exec, s[14:15]
	v_cmp_neq_f32_e32 vcc, 0, v4
	s_and_saveexec_b64 s[14:15], vcc
	s_cbranch_execz .LBB223_101
; %bb.80:
	v_cmp_gt_f32_e32 vcc, 0, v4
	s_mov_b64 s[4:5], -1
	v_mov_b32_e32 v5, 0
	v_mov_b32_e32 v6, v4
                                        ; implicit-def: $sgpr6
	s_and_saveexec_b64 s[16:17], vcc
	s_cbranch_execz .LBB223_88
; %bb.81:
	v_floor_f32_e32 v0, v4
	v_cmp_neq_f32_e32 vcc, v0, v4
	s_mov_b64 s[4:5], 0
	v_mov_b32_e32 v5, 0
                                        ; implicit-def: $vgpr6
	s_and_saveexec_b64 s[18:19], vcc
	s_cbranch_execz .LBB223_87
; %bb.82:
	v_mul_f32_e32 v0, 0x40490fdb, v4
	s_brev_b32 s4, 18
	v_and_b32_e32 v5, 0x7fffffff, v0
	v_cmp_nlt_f32_e64 s[4:5], |v0|, s4
                                        ; implicit-def: $vgpr7
                                        ; implicit-def: $vgpr6
	s_and_saveexec_b64 s[6:7], s[4:5]
	s_xor_b64 s[20:21], exec, s[6:7]
	s_cbranch_execz .LBB223_84
; %bb.83:
	v_lshrrev_b32_e32 v6, 23, v5
	v_add_u32_e32 v6, 0xffffff88, v6
	v_not_b32_e32 v8, 63
	v_cmp_lt_u32_e32 vcc, 63, v6
	v_cndmask_b32_e32 v8, 0, v8, vcc
	v_add_u32_e32 v6, v8, v6
	v_not_b32_e32 v8, 31
	v_cmp_lt_u32_e64 s[4:5], 31, v6
	v_cndmask_b32_e64 v9, 0, v8, s[4:5]
	v_add_u32_e32 v6, v9, v6
	v_cmp_lt_u32_e64 s[6:7], 31, v6
	v_cndmask_b32_e64 v8, 0, v8, s[6:7]
	v_add_u32_e32 v20, v8, v6
	v_and_b32_e32 v6, 0x7fffff, v5
	v_or_b32_e32 v21, 0x800000, v6
	s_mov_b32 s8, 0xfe5163ab
	v_mad_u64_u32 v[8:9], s[8:9], v21, s8, 0
	v_mov_b32_e32 v7, 0
	v_mov_b32_e32 v6, v9
	s_mov_b32 s8, 0x3c439041
	v_mad_u64_u32 v[10:11], s[8:9], v21, s8, v[6:7]
	v_mov_b32_e32 v6, v11
	s_mov_b32 s8, 0xdb629599
	v_mad_u64_u32 v[12:13], s[8:9], v21, s8, v[6:7]
	;; [unrolled: 3-line block ×6, first 2 shown]
	v_cndmask_b32_e32 v9, v18, v14, vcc
	v_cndmask_b32_e32 v6, v6, v16, vcc
	v_cndmask_b32_e32 v7, v7, v18, vcc
	v_cndmask_b32_e64 v11, v6, v9, s[4:5]
	v_cndmask_b32_e64 v6, v7, v6, s[4:5]
	v_cndmask_b32_e32 v7, v16, v12, vcc
	v_cndmask_b32_e64 v9, v9, v7, s[4:5]
	v_cndmask_b32_e64 v6, v6, v11, s[6:7]
	v_cndmask_b32_e64 v11, v11, v9, s[6:7]
	v_sub_u32_e32 v13, 32, v20
	v_alignbit_b32 v15, v6, v11, v13
	v_cmp_eq_u32_e64 s[8:9], 0, v20
	v_cndmask_b32_e64 v15, v15, v6, s[8:9]
	v_cndmask_b32_e32 v6, v14, v10, vcc
	v_cndmask_b32_e64 v7, v7, v6, s[4:5]
	v_cndmask_b32_e64 v9, v9, v7, s[6:7]
	v_alignbit_b32 v10, v11, v9, v13
	v_cndmask_b32_e32 v8, v12, v8, vcc
	v_cndmask_b32_e64 v10, v10, v11, s[8:9]
	v_bfe_u32 v16, v15, 29, 1
	v_cndmask_b32_e64 v6, v6, v8, s[4:5]
	v_alignbit_b32 v11, v15, v10, 30
	v_sub_u32_e32 v17, 0, v16
	v_cndmask_b32_e64 v6, v7, v6, s[6:7]
	v_xor_b32_e32 v18, v11, v17
	v_alignbit_b32 v7, v9, v6, v13
	v_cndmask_b32_e64 v7, v7, v9, s[8:9]
	v_ffbh_u32_e32 v9, v18
	v_add_u32_e32 v9, 1, v9
	v_cmp_ne_u32_e32 vcc, v11, v17
	v_alignbit_b32 v8, v10, v7, 30
	v_cndmask_b32_e32 v9, 33, v9, vcc
	v_alignbit_b32 v6, v7, v6, 30
	v_xor_b32_e32 v8, v8, v17
	v_sub_u32_e32 v10, 32, v9
	v_xor_b32_e32 v6, v6, v17
	v_alignbit_b32 v11, v18, v8, v10
	v_alignbit_b32 v6, v8, v6, v10
	v_alignbit_b32 v7, v11, v6, 9
	v_ffbh_u32_e32 v8, v7
	v_min_u32_e32 v8, 32, v8
	v_lshrrev_b32_e32 v14, 29, v15
	v_sub_u32_e32 v10, 31, v8
	v_alignbit_b32 v6, v7, v6, v10
	v_lshlrev_b32_e32 v7, 31, v14
	v_or_b32_e32 v10, 0x33800000, v7
	v_add_lshl_u32 v8, v8, v9, 23
	v_lshrrev_b32_e32 v6, 9, v6
	v_sub_u32_e32 v8, v10, v8
	v_or_b32_e32 v6, v8, v6
	v_alignbit_b32 v8, v9, v11, 9
	v_or_b32_e32 v7, v8, v7
	v_xor_b32_e32 v7, 1.0, v7
	s_mov_b32 s4, 0x3fc90fda
	v_mul_f32_e32 v8, 0x3fc90fda, v7
	v_fma_f32 v9, v7, s4, -v8
	v_fmac_f32_e32 v9, 0x33a22168, v7
	v_fmac_f32_e32 v9, 0x3fc90fda, v6
	v_lshrrev_b32_e32 v7, 30, v15
	v_add_f32_e32 v6, v8, v9
	v_add_u32_e32 v7, v16, v7
.LBB223_84:
	s_andn2_saveexec_b64 s[4:5], s[20:21]
; %bb.85:
	s_mov_b32 s6, 0x3f22f983
	v_mul_f32_e64 v6, |v0|, s6
	v_rndne_f32_e32 v8, v6
	s_mov_b32 s6, 0xbfc90fda
	v_cvt_i32_f32_e32 v7, v8
	v_fma_f32 v6, v8, s6, |v0|
	v_fmac_f32_e32 v6, 0xb3a22168, v8
	v_fmac_f32_e32 v6, 0xa7c234c4, v8
; %bb.86:
	s_or_b64 exec, exec, s[4:5]
	v_mul_f32_e32 v8, v6, v6
	v_mov_b32_e32 v9, 0xbf039337
	v_fmac_f32_e32 v9, 0x3c971480, v8
	v_mov_b32_e32 v10, 0x3f93f425
	v_fmac_f32_e32 v10, v8, v9
	v_rcp_f32_e32 v9, v10
	v_mov_b32_e32 v10, 0x3ec54587
	v_fmac_f32_e32 v10, 0xbc8cedd3, v8
	v_and_b32_e32 v7, 1, v7
	v_mul_f32_e32 v9, v10, v9
	v_mul_f32_e32 v8, v8, v9
	v_fma_f32 v9, v8, v6, v6
	v_rcp_f32_e32 v10, v9
	v_sub_f32_e32 v11, v9, v6
	v_fma_f32 v6, v8, v6, -v11
	v_cmp_eq_u32_e32 vcc, 0, v7
	v_fma_f32 v8, v9, -v10, 1.0
	v_fma_f32 v6, v6, -v10, v8
	v_fma_f32 v6, v6, -v10, -v10
	v_cndmask_b32_e32 v6, v6, v9, vcc
	v_xor_b32_e32 v5, v5, v0
	v_xor_b32_e32 v5, v5, v6
	s_mov_b32 s8, 0xc0490fdb
	v_div_scale_f32 v6, s[6:7], v5, v5, s8
	v_rcp_f32_e32 v7, v6
	s_movk_i32 s6, 0x1f8
	s_mov_b64 s[4:5], exec
	v_fma_f32 v8, -v6, v7, 1.0
	v_fmac_f32_e32 v7, v8, v7
	v_div_scale_f32 v8, vcc, s8, v5, s8
	v_mul_f32_e32 v9, v8, v7
	v_fma_f32 v10, -v6, v9, v8
	v_fmac_f32_e32 v9, v10, v7
	v_fma_f32 v6, -v6, v9, v8
	v_div_fmas_f32 v6, v6, v7, v9
	v_div_fixup_f32 v5, v6, v5, s8
	v_mov_b32_e32 v6, 0x7fc00000
	v_cmp_class_f32_e64 vcc, v0, s6
	v_cndmask_b32_e32 v5, v6, v5, vcc
	v_sub_f32_e32 v6, 1.0, v4
.LBB223_87:
	s_or_b64 exec, exec, s[18:19]
	s_mov_b32 s6, 0x7f800000
	s_orn2_b64 s[4:5], s[4:5], exec
.LBB223_88:
	s_or_b64 exec, exec, s[16:17]
	v_mov_b32_e32 v0, s6
	s_and_saveexec_b64 s[6:7], s[4:5]
	s_cbranch_execz .LBB223_100
; %bb.89:
	s_mov_b32 s16, 0x41200000
	v_cmp_gt_f32_e32 vcc, s16, v6
	v_mov_b32_e32 v0, 0
	s_and_saveexec_b64 s[4:5], vcc
	s_cbranch_execz .LBB223_93
; %bb.90:
	s_mov_b64 s[8:9], 0
	v_mov_b32_e32 v0, 0
.LBB223_91:                             ; =>This Inner Loop Header: Depth=1
	v_div_scale_f32 v7, s[18:19], v6, v6, 1.0
	v_rcp_f32_e32 v8, v7
	v_div_scale_f32 v9, vcc, 1.0, v6, 1.0
	v_fma_f32 v10, -v7, v8, 1.0
	v_fmac_f32_e32 v8, v10, v8
	v_mul_f32_e32 v10, v9, v8
	v_fma_f32 v11, -v7, v10, v9
	v_fmac_f32_e32 v10, v11, v8
	v_fma_f32 v7, -v7, v10, v9
	v_div_fmas_f32 v7, v7, v8, v10
	v_div_fixup_f32 v7, v7, v6, 1.0
	v_add_f32_e32 v6, 1.0, v6
	v_cmp_ngt_f32_e32 vcc, s16, v6
	s_or_b64 s[8:9], vcc, s[8:9]
	v_sub_f32_e32 v0, v0, v7
	s_andn2_b64 exec, exec, s[8:9]
	s_cbranch_execnz .LBB223_91
; %bb.92:
	s_or_b64 exec, exec, s[8:9]
.LBB223_93:
	s_or_b64 exec, exec, s[4:5]
	s_mov_b32 s4, 0x41200000
	v_cmp_neq_f32_e32 vcc, s4, v6
                                        ; implicit-def: $vgpr7
	s_and_saveexec_b64 s[4:5], vcc
	s_xor_b64 s[8:9], exec, s[4:5]
	s_cbranch_execz .LBB223_97
; %bb.94:
	s_mov_b32 s4, 0x5bb1a2bc
	v_cmp_gt_f32_e32 vcc, s4, v6
	v_mov_b32_e32 v7, 0
	s_and_saveexec_b64 s[4:5], vcc
	s_cbranch_execz .LBB223_96
; %bb.95:
	v_mul_f32_e32 v7, v6, v6
	v_div_scale_f32 v8, s[16:17], v7, v7, 1.0
	v_rcp_f32_e32 v9, v8
	v_div_scale_f32 v10, vcc, 1.0, v7, 1.0
	v_fma_f32 v11, -v8, v9, 1.0
	v_fmac_f32_e32 v9, v11, v9
	v_mul_f32_e32 v11, v10, v9
	v_fma_f32 v12, -v8, v11, v10
	v_fmac_f32_e32 v11, v12, v9
	v_fma_f32 v8, -v8, v11, v10
	v_div_fmas_f32 v8, v8, v9, v11
	v_div_fixup_f32 v7, v8, v7, 1.0
	v_mov_b32_e32 v8, 0x3daaaaab
	v_fma_f32 v9, 0, v7, v8
	v_mov_b32_e32 v10, 0xbcaccacd
	v_fmac_f32_e32 v10, v7, v9
	v_mov_b32_e32 v9, 0x3bf83e10
	v_fmac_f32_e32 v9, v7, v10
	;; [unrolled: 2-line block ×5, first 2 shown]
	v_fmac_f32_e32 v8, v7, v10
	v_mul_f32_e32 v7, v7, v8
.LBB223_96:
	s_or_b64 exec, exec, s[4:5]
	s_mov_b32 s4, 0x800000
	v_mov_b32_e32 v8, 0x4f800000
	v_cmp_gt_f32_e32 vcc, s4, v6
	v_cndmask_b32_e32 v8, 1.0, v8, vcc
	v_mul_f32_e32 v8, v6, v8
	v_log_f32_e32 v8, v8
	s_mov_b32 s4, 0x3f317217
	v_mul_f32_e32 v9, 0x3f317217, v8
	v_fma_f32 v10, v8, s4, -v9
	v_fmac_f32_e32 v10, 0x3377d1cf, v8
	s_mov_b32 s4, 0x7f800000
	v_add_f32_e32 v9, v9, v10
	v_cmp_lt_f32_e64 s[4:5], |v8|, s4
	v_cndmask_b32_e64 v8, v8, v9, s[4:5]
	v_div_scale_f32 v10, s[4:5], v6, v6, -0.5
	v_rcp_f32_e32 v11, v10
	v_mov_b32_e32 v9, 0x41b17218
	v_cndmask_b32_e32 v9, 0, v9, vcc
	v_sub_f32_e32 v8, v8, v9
	v_add_f32_e32 v0, v0, v8
	v_fma_f32 v8, -v10, v11, 1.0
	v_fmac_f32_e32 v11, v8, v11
	v_div_scale_f32 v8, vcc, -0.5, v6, -0.5
	v_mul_f32_e32 v9, v8, v11
	v_fma_f32 v12, -v10, v9, v8
	v_fmac_f32_e32 v9, v12, v11
	v_fma_f32 v8, -v10, v9, v8
	v_div_fmas_f32 v8, v8, v11, v9
	v_div_fixup_f32 v6, v8, v6, -0.5
	v_add_f32_e32 v0, v0, v6
	v_sub_f32_e32 v7, v0, v7
                                        ; implicit-def: $vgpr0
.LBB223_97:
	s_andn2_saveexec_b64 s[4:5], s[8:9]
; %bb.98:
	v_add_f32_e32 v7, 0x40101cb7, v0
; %bb.99:
	s_or_b64 exec, exec, s[4:5]
	v_add_f32_e32 v0, v5, v7
.LBB223_100:
	s_or_b64 exec, exec, s[6:7]
.LBB223_101:
	s_or_b64 exec, exec, s[14:15]
	v_sub_f32_e32 v5, v1, v0
	v_div_scale_f32 v0, s[4:5], v3, v3, v5
	v_rcp_f32_e32 v1, v0
	v_div_scale_f32 v6, vcc, v5, v3, v5
	s_movk_i32 s8, 0x204
	v_fma_f32 v7, -v0, v1, 1.0
	v_fmac_f32_e32 v1, v7, v1
	v_mul_f32_e32 v7, v6, v1
	v_fma_f32 v8, -v0, v7, v6
	v_fmac_f32_e32 v7, v8, v1
	v_fma_f32 v0, -v0, v7, v6
	v_div_fmas_f32 v0, v0, v1, v7
	v_add_f32_e32 v1, 1.0, v3
	v_div_scale_f32 v8, s[4:5], v1, v1, v2
	v_rcp_f32_e32 v9, v8
	s_mov_b32 s4, -1.0
	s_mov_b32 s5, -2.0
	v_pk_add_f32 v[6:7], v[4:5], s[4:5] op_sel_hi:[0,1]
	v_fma_f32 v11, -v8, v9, 1.0
	v_fmac_f32_e32 v9, v11, v9
	v_div_scale_f32 v11, vcc, v2, v1, v2
	v_mul_f32_e32 v12, v11, v9
	v_fma_f32 v13, -v8, v12, v11
	v_fmac_f32_e32 v12, v13, v9
	v_fma_f32 v8, -v8, v12, v11
	v_fma_f32 v10, v6, 0, 1.0
	v_div_fmas_f32 v8, v8, v9, v12
	v_div_fixup_f32 v0, v0, v3, v5
	v_div_fixup_f32 v1, v8, v1, v2
	v_fma_f32 v8, v6, v5, v10
	v_fma_f32 v0, -v1, v8, v0
	v_mul_f32_e32 v1, 0.5, v2
	v_mul_f32_e32 v9, v1, v2
	v_add_f32_e32 v1, 2.0, v3
	v_div_scale_f32 v11, s[4:5], v1, v1, v9
	v_rcp_f32_e32 v12, v11
	v_mov_b32_e32 v8, v7
	v_fma_f32 v13, v7, v10, v6
	v_pk_mul_f32 v[6:7], v[6:7], v[8:9]
	v_fma_f32 v7, -v11, v12, 1.0
	v_fmac_f32_e32 v12, v7, v12
	v_div_scale_f32 v7, vcc, v9, v1, v9
	v_mul_f32_e32 v8, v7, v12
	v_fma_f32 v10, -v11, v8, v7
	s_mov_b32 s4, 0xc0400000
	v_fmac_f32_e32 v8, v10, v12
	s_mov_b32 s5, -4.0
	v_div_scale_f32 v10, s[6:7], s4, s4, v2
	v_fma_f32 v7, -v11, v8, v7
	v_rcp_f32_e32 v11, v10
	v_div_fmas_f32 v7, v7, v12, v8
	v_div_fixup_f32 v1, v7, v1, v9
	v_fma_f32 v7, v6, v5, v13
	v_fma_f32 v8, -v10, v11, 1.0
	v_fmac_f32_e32 v11, v8, v11
	v_div_scale_f32 v8, vcc, v2, s4, v2
	v_mul_f32_e32 v12, v8, v11
	v_fma_f32 v14, -v10, v12, v8
	v_fmac_f32_e32 v12, v14, v11
	v_fma_f32 v8, -v10, v12, v8
	v_div_fmas_f32 v8, v8, v11, v12
	v_div_fixup_f32 v11, v8, s4, v2
	v_mov_b32_e32 v10, v2
	v_mov_b32_e32 v8, 0xbe800000
	v_add_f32_e32 v12, 0x40400000, v3
	v_pk_mul_f32 v[8:9], v[10:11], v[8:9]
	v_div_scale_f32 v14, s[6:7], v12, v12, v9
	v_rcp_f32_e32 v15, v14
	v_fmac_f32_e32 v0, v1, v7
	v_pk_add_f32 v[10:11], v[4:5], s[4:5] op_sel_hi:[0,1]
	v_fma_f32 v7, v10, v13, v6
	v_fma_f32 v1, -v14, v15, 1.0
	v_fmac_f32_e32 v15, v1, v15
	v_div_scale_f32 v1, vcc, v9, v12, v9
	v_mul_f32_e32 v13, v1, v15
	v_fma_f32 v16, -v14, v13, v1
	v_fmac_f32_e32 v13, v16, v15
	v_fma_f32 v1, -v14, v13, v1
	v_div_fmas_f32 v1, v1, v15, v13
	v_mul_f32_e32 v13, v8, v9
	v_add_f32_e32 v14, 4.0, v3
	v_div_scale_f32 v15, s[4:5], v14, v14, v13
	v_rcp_f32_e32 v16, v15
	v_div_fixup_f32 v1, v1, v12, v9
	v_pk_mul_f32 v[8:9], v[10:11], v[6:7]
	v_mov_b32_e32 v12, v7
	v_fmac_f32_e32 v12, v8, v5
	v_fmac_f32_e32 v0, v1, v12
	v_fma_f32 v1, -v15, v16, 1.0
	v_fmac_f32_e32 v16, v1, v16
	v_div_scale_f32 v1, vcc, v13, v14, v13
	v_mul_f32_e32 v17, v1, v16
	v_fma_f32 v18, -v15, v17, v1
	s_mov_b32 s4, 0xc0a00000
	v_fmac_f32_e32 v17, v18, v16
	s_mov_b32 s5, 0xc0c00000
	v_div_scale_f32 v18, s[6:7], s4, s4, v2
	v_rcp_f32_e32 v19, v18
	v_fma_f32 v1, -v15, v17, v1
	v_div_fmas_f32 v1, v1, v16, v17
	v_mov_b32_e32 v12, v9
	v_fma_f32 v15, -v18, v19, 1.0
	v_fmac_f32_e32 v19, v15, v19
	v_div_scale_f32 v15, vcc, v2, s4, v2
	v_mul_f32_e32 v16, v15, v19
	v_fma_f32 v17, -v18, v16, v15
	v_fmac_f32_e32 v16, v17, v19
	v_fma_f32 v15, -v18, v16, v15
	v_div_fmas_f32 v15, v15, v19, v16
	v_div_fixup_f32 v15, v15, s4, v2
	v_mul_f32_e32 v15, v15, v13
	v_add_f32_e32 v16, 0x40a00000, v3
	v_div_scale_f32 v17, s[6:7], v16, v16, v15
	v_rcp_f32_e32 v18, v17
	v_pk_fma_f32 v[6:7], v[10:11], v[6:7], v[12:13]
	v_div_fixup_f32 v1, v1, v14, v13
	v_pk_add_f32 v[12:13], v[4:5], s[4:5] op_sel_hi:[0,1]
	v_fma_f32 v10, -v17, v18, 1.0
	v_fmac_f32_e32 v18, v10, v18
	v_div_scale_f32 v10, vcc, v15, v16, v15
	v_mul_f32_e32 v14, v10, v18
	v_fma_f32 v19, -v17, v14, v10
	v_fmac_f32_e32 v14, v19, v18
	v_fma_f32 v10, -v17, v14, v10
	v_div_scale_f32 v17, s[6:7], s5, s5, v2
	v_rcp_f32_e32 v19, v17
	v_div_fmas_f32 v10, v10, v18, v14
	v_div_fixup_f32 v14, v10, v16, v15
	s_mov_b32 s14, 0x42b17218
	v_fma_f32 v10, -v17, v19, 1.0
	v_fmac_f32_e32 v19, v10, v19
	v_div_scale_f32 v10, vcc, v2, s5, v2
	v_mul_f32_e32 v16, v10, v19
	v_fma_f32 v18, -v17, v16, v10
	v_fmac_f32_e32 v16, v18, v19
	v_fma_f32 v10, -v17, v16, v10
	v_div_fmas_f32 v10, v10, v19, v16
	v_div_fixup_f32 v10, v10, s5, v2
	v_mul_f32_e32 v15, v10, v15
	v_mov_b32_e32 v10, v11
	v_pk_mul_f32 v[8:9], v[10:11], v[8:9]
	v_fma_f32 v10, v8, v5, v6
	v_fmac_f32_e32 v0, v1, v10
	v_pk_fma_f32 v[6:7], v[12:13], v[6:7], v[8:9]
	v_add_f32_e32 v1, 0x40c00000, v3
	v_div_scale_f32 v7, s[4:5], v1, v1, v15
	v_rcp_f32_e32 v16, v7
	v_mov_b32_e32 v9, v6
	v_pk_mul_f32 v[10:11], v[12:13], v[8:9]
	v_fmac_f32_e32 v6, v10, v5
	v_fmac_f32_e32 v0, v14, v6
	v_fma_f32 v14, -v7, v16, 1.0
	v_fmac_f32_e32 v16, v14, v16
	v_div_scale_f32 v14, vcc, v15, v1, v15
	v_mul_f32_e32 v17, v14, v16
	v_fma_f32 v18, -v7, v17, v14
	s_mov_b32 s4, 0xc0e00000
	v_fmac_f32_e32 v17, v18, v16
	s_mov_b32 s5, 0xc1000000
	v_div_scale_f32 v18, s[6:7], s4, s4, v2
	v_rcp_f32_e32 v19, v18
	v_fma_f32 v7, -v7, v17, v14
	v_div_fmas_f32 v14, v7, v16, v17
	v_mov_b32_e32 v6, v11
	v_fma_f32 v7, -v18, v19, 1.0
	v_fmac_f32_e32 v19, v7, v19
	v_div_scale_f32 v7, vcc, v2, s4, v2
	v_mul_f32_e32 v16, v7, v19
	v_fma_f32 v17, -v18, v16, v7
	v_fmac_f32_e32 v16, v17, v19
	v_fma_f32 v7, -v18, v16, v7
	v_div_fmas_f32 v7, v7, v19, v16
	v_div_fixup_f32 v7, v7, s4, v2
	v_mul_f32_e32 v16, v7, v15
	v_add_f32_e32 v17, 0x40e00000, v3
	v_div_scale_f32 v18, s[6:7], v17, v17, v16
	v_rcp_f32_e32 v19, v18
	v_pk_fma_f32 v[6:7], v[12:13], v[8:9], v[6:7]
	v_div_fixup_f32 v1, v14, v1, v15
	v_pk_add_f32 v[8:9], v[4:5], s[4:5] op_sel_hi:[0,1]
	v_fma_f32 v12, -v18, v19, 1.0
	v_fmac_f32_e32 v19, v12, v19
	v_div_scale_f32 v12, vcc, v16, v17, v16
	v_mul_f32_e32 v14, v12, v19
	v_fma_f32 v15, -v18, v14, v12
	v_fmac_f32_e32 v14, v15, v19
	v_fma_f32 v12, -v18, v14, v12
	v_div_fmas_f32 v12, v12, v19, v14
	v_mul_f32_e32 v14, 0xbe000000, v2
	v_div_fixup_f32 v12, v12, v17, v16
	v_mul_f32_e32 v16, v14, v16
	v_mov_b32_e32 v14, v13
	v_pk_mul_f32 v[10:11], v[14:15], v[10:11]
	v_fma_f32 v13, v10, v5, v6
	v_mul_f32_e32 v14, v1, v13
	v_add_f32_e32 v1, 0x41000000, v3
	v_pk_fma_f32 v[6:7], v[8:9], v[6:7], v[10:11]
	v_div_scale_f32 v3, s[4:5], v1, v1, v16
	v_mov_b32_e32 v11, v6
	v_rcp_f32_e32 v7, v3
	v_pk_mul_f32 v[10:11], v[8:9], v[10:11]
	v_mov_b32_e32 v15, v10
	v_pk_mul_f32 v[8:9], v[8:9], v[14:15]
	v_fma_f32 v8, -v3, v7, 1.0
	v_fmac_f32_e32 v7, v8, v7
	v_div_scale_f32 v8, vcc, v16, v1, v16
	v_fmac_f32_e32 v6, v10, v5
	v_mul_f32_e32 v10, v8, v7
	v_fma_f32 v13, -v3, v10, v8
	v_fmac_f32_e32 v10, v13, v7
	v_fma_f32 v3, -v3, v10, v8
	v_sub_f32_e32 v18, 1.0, v2
	v_div_fmas_f32 v3, v3, v7, v10
	v_sub_f32_e32 v19, 1.0, v4
	v_cmp_eq_f32_e32 vcc, 1.0, v18
	v_div_fixup_f32 v3, v3, v1, v16
	v_mov_b32_e32 v1, v11
	v_cndmask_b32_e64 v20, v19, 1.0, vcc
	v_pk_add_f32 v[0:1], v[14:15], v[0:1]
	v_mov_b32_e32 v13, v9
	v_mov_b32_e32 v7, v5
	v_cmp_eq_f32_e64 s[4:5], 0, v20
	v_pk_fma_f32 v[0:1], v[12:13], v[6:7], v[0:1]
	v_cndmask_b32_e64 v21, |v18|, 1.0, s[4:5]
	v_fmac_f32_e32 v0, v3, v1
	v_frexp_mant_f32_e32 v1, v21
	s_mov_b32 s6, 0x3f2aaaab
	v_cmp_gt_f32_e64 s[6:7], s6, v1
	v_cndmask_b32_e64 v2, 1.0, 2.0, s[6:7]
	v_mul_f32_e32 v1, v1, v2
	v_add_f32_e32 v2, 1.0, v1
	v_rcp_f32_e32 v10, v2
	v_add_f32_e32 v3, -1.0, v2
	v_sub_f32_e32 v5, v1, v3
	v_add_f32_e32 v3, -1.0, v1
	v_mul_f32_e32 v1, v3, v10
	v_mul_f32_e32 v4, v2, v1
	v_fma_f32 v6, v1, v2, -v4
	v_fmac_f32_e32 v6, v1, v5
	v_add_f32_e32 v2, v4, v6
	v_sub_f32_e32 v5, v3, v2
	v_pk_add_f32 v[8:9], v[2:3], v[4:5] neg_lo:[0,1] neg_hi:[0,1]
	v_mov_b32_e32 v7, v2
	v_pk_add_f32 v[2:3], v[8:9], v[6:7] neg_lo:[0,1] neg_hi:[0,1]
	v_add_f32_e32 v2, v2, v3
	v_add_f32_e32 v2, v5, v2
	v_mul_f32_e32 v3, v10, v2
	v_add_f32_e32 v2, v1, v3
	v_sub_f32_e32 v1, v2, v1
	v_sub_f32_e32 v1, v3, v1
	v_mul_f32_e32 v3, v2, v2
	v_fma_f32 v5, v2, v2, -v3
	v_add_f32_e32 v4, v1, v1
	v_fmac_f32_e32 v5, v2, v4
	v_add_f32_e32 v4, v3, v5
	v_mov_b32_e32 v6, 0x3e91f4c4
	v_fmac_f32_e32 v6, 0x3e76c4e1, v4
	v_mov_b32_e32 v7, 0x3ecccdef
	v_fmac_f32_e32 v7, v4, v6
	v_sub_f32_e32 v3, v4, v3
	v_sub_f32_e32 v12, v5, v3
	v_mul_f32_e32 v3, v4, v7
	v_fma_f32 v5, v4, v7, -v3
	v_fmac_f32_e32 v5, v12, v7
	v_add_f32_e32 v6, v3, v5
	v_add_f32_e32 v7, 0x3f2aaaaa, v6
	v_sub_f32_e32 v3, v6, v3
	v_sub_f32_e32 v3, v5, v3
	v_add_f32_e32 v5, 0xbf2aaaaa, v7
	v_add_f32_e32 v3, 0x31739010, v3
	v_sub_f32_e32 v5, v6, v5
	v_pk_mul_f32 v[8:9], v[2:3], v[4:5]
	v_fma_f32 v6, v4, v2, -v8
	v_pk_add_f32 v[10:11], v[2:3], v[4:5]
	v_fmac_f32_e32 v6, v4, v1
	v_mov_b32_e32 v9, v11
	v_fmac_f32_e32 v6, v12, v2
	v_pk_add_f32 v[4:5], v[8:9], v[6:7]
	v_sub_f32_e32 v3, v4, v8
	v_sub_f32_e32 v3, v6, v3
	v_sub_f32_e32 v6, v7, v5
	v_add_f32_e32 v9, v11, v6
	v_mov_b32_e32 v6, v5
	v_pk_mul_f32 v[6:7], v[4:5], v[6:7]
	v_cvt_f64_f32_e32 v[10:11], v21
	v_frexp_exp_i32_f64_e32 v7, v[10:11]
	v_subbrev_co_u32_e64 v7, s[6:7], 0, v7, s[6:7]
	v_cvt_f32_i32_e32 v7, v7
	v_fma_f32 v8, v4, v5, -v6
	v_fmac_f32_e32 v8, v4, v9
	s_mov_b32 s6, 0x3f317218
	v_mul_f32_e32 v4, 0x3f317218, v7
	v_fmac_f32_e32 v8, v3, v5
	v_fma_f32 v10, v7, s6, -v4
	v_fmac_f32_e32 v10, 0xb102e308, v7
	v_ldexp_f32 v11, v2, 1
	v_add_f32_e32 v5, v6, v8
	v_pk_add_f32 v[2:3], v[4:5], v[10:11]
	v_mov_b32_e32 v12, v5
	v_mov_b32_e32 v13, v3
	;; [unrolled: 1-line block ×3, first 2 shown]
	v_pk_add_f32 v[6:7], v[12:13], v[6:7] neg_lo:[0,1] neg_hi:[0,1]
	v_mov_b32_e32 v9, v5
	v_ldexp_f32 v1, v1, 1
	v_pk_add_f32 v[6:7], v[8:9], v[6:7] neg_lo:[0,1] neg_hi:[0,1]
	v_add_f32_e32 v1, v1, v6
	v_add_f32_e32 v5, v1, v7
	v_pk_add_f32 v[6:7], v[2:3], v[4:5] neg_lo:[0,1] neg_hi:[0,1]
	v_pk_add_f32 v[8:9], v[2:3], v[4:5]
	v_mov_b32_e32 v12, v6
	v_mov_b32_e32 v13, v9
	;; [unrolled: 1-line block ×3, first 2 shown]
	v_pk_add_f32 v[12:13], v[10:11], v[12:13]
	v_mov_b32_e32 v4, v13
	v_pk_add_f32 v[14:15], v[4:5], v[2:3] neg_lo:[0,1] neg_hi:[0,1]
	v_mov_b32_e32 v1, v14
	v_mov_b32_e32 v12, v9
	;; [unrolled: 1-line block ×4, first 2 shown]
	v_pk_add_f32 v[6:7], v[10:11], v[6:7] neg_lo:[0,1] neg_hi:[0,1]
	v_pk_add_f32 v[16:17], v[8:9], v[0:1] neg_lo:[0,1] neg_hi:[0,1]
	;; [unrolled: 1-line block ×3, first 2 shown]
	v_mov_b32_e32 v10, v5
	v_pk_add_f32 v[2:3], v[10:11], v[2:3] neg_lo:[0,1] neg_hi:[0,1]
	v_mov_b32_e32 v16, v6
	v_pk_add_f32 v[8:9], v[16:17], v[2:3]
	v_mov_b32_e32 v10, v9
	v_pk_add_f32 v[10:11], v[8:9], v[10:11]
	v_pk_add_f32 v[4:5], v[4:5], v[10:11]
	v_mov_b32_e32 v7, v13
	v_mov_b32_e32 v9, v4
	v_pk_add_f32 v[12:13], v[8:9], v[6:7] neg_lo:[0,1] neg_hi:[0,1]
	v_mov_b32_e32 v3, v10
	v_sub_f32_e32 v1, v8, v12
	v_pk_add_f32 v[2:3], v[2:3], v[12:13] neg_lo:[0,1] neg_hi:[0,1]
	v_sub_f32_e32 v1, v6, v1
	v_add_f32_e32 v1, v2, v1
	v_add_f32_e32 v1, v1, v3
	;; [unrolled: 1-line block ×3, first 2 shown]
	v_sub_f32_e32 v3, v2, v4
	v_sub_f32_e32 v1, v1, v3
	v_mul_f32_e32 v3, v20, v2
	v_fma_f32 v2, v20, v2, -v3
	v_fmac_f32_e32 v2, v20, v1
	v_add_f32_e32 v1, v3, v2
	v_cmp_class_f32_e64 s[6:7], v3, s8
	v_sub_f32_e32 v4, v1, v3
	v_cndmask_b32_e64 v1, v1, v3, s[6:7]
	v_mov_b32_e32 v3, 0x37000000
	v_cmp_eq_f32_e64 s[6:7], s14, v1
	v_cndmask_b32_e64 v3, 0, v3, s[6:7]
	v_sub_f32_e32 v2, v2, v4
	v_sub_f32_e32 v4, v1, v3
	s_mov_b32 s6, 0x3fb8aa3b
	v_mul_f32_e32 v5, 0x3fb8aa3b, v4
	v_fma_f32 v6, v4, s6, -v5
	v_rndne_f32_e32 v7, v5
	v_fmac_f32_e32 v6, 0x32a5705f, v4
	v_sub_f32_e32 v5, v5, v7
	v_add_f32_e32 v5, v5, v6
	v_exp_f32_e32 v5, v5
	v_cvt_i32_f32_e32 v6, v7
	s_mov_b32 s9, 0x7f800000
	v_cmp_neq_f32_e64 s[6:7], |v1|, s9
	v_cndmask_b32_e64 v1, 0, v2, s[6:7]
	s_mov_b32 s6, 0xc2ce8ed0
	v_ldexp_f32 v2, v5, v6
	v_cmp_ngt_f32_e64 s[6:7], s6, v4
	v_add_f32_e32 v1, v3, v1
	v_cndmask_b32_e64 v2, 0, v2, s[6:7]
	v_mov_b32_e32 v3, 0x7f800000
	v_cmp_nlt_f32_e64 s[6:7], s14, v4
	v_cndmask_b32_e64 v2, v3, v2, s[6:7]
	v_fma_f32 v1, v2, v1, v2
	v_cmp_class_f32_e64 s[6:7], v2, s8
	v_trunc_f32_e32 v4, v20
	v_cndmask_b32_e64 v1, v1, v2, s[6:7]
	v_cndmask_b32_e64 v2, v18, 1.0, s[4:5]
	v_cmp_eq_f32_e64 s[4:5], v4, v20
	v_mul_f32_e32 v4, 0.5, v20
	v_trunc_f32_e32 v6, v4
	v_cmp_neq_f32_e64 s[6:7], v6, v4
	s_and_b64 s[6:7], s[4:5], s[6:7]
	v_cndmask_b32_e64 v4, 1.0, v2, s[6:7]
	s_brev_b32 s14, -2
	v_mov_b32_e32 v5, 0x7fc00000
	v_bfi_b32 v1, s14, v1, v4
	v_cndmask_b32_e64 v4, v5, v1, s[4:5]
	v_cmp_gt_f32_e64 s[4:5], 0, v2
	v_cndmask_b32_e64 v1, v1, v4, s[4:5]
	v_cndmask_b32_e64 v4, |v19|, 1.0, vcc
	v_cmp_neq_f32_e32 vcc, v20, v4
	v_cmp_gt_f32_e64 s[4:5], 1.0, v21
	s_xor_b64 s[4:5], vcc, s[4:5]
	v_cndmask_b32_e64 v5, v4, 0, s[4:5]
	v_cmp_eq_f32_e32 vcc, 1.0, v21
	v_cndmask_b32_e32 v5, v5, v21, vcc
	v_cmp_eq_f32_e32 vcc, s9, v4
	v_cndmask_b32_e32 v1, v1, v5, vcc
	v_cmp_eq_f32_e32 vcc, s9, v21
	v_cmp_eq_f32_e64 s[4:5], 0, v2
	v_cmp_gt_f32_e64 s[8:9], 0, v20
	s_xor_b64 s[8:9], s[8:9], s[4:5]
	v_cndmask_b32_e64 v3, v3, 0, s[8:9]
	v_cndmask_b32_e64 v4, 0, v2, s[6:7]
	v_bfi_b32 v3, s14, v3, v4
	s_or_b64 vcc, vcc, s[4:5]
	v_cndmask_b32_e32 v1, v1, v3, vcc
	v_mov_b32_e32 v3, 0xffc00000
	v_cmp_o_f32_e32 vcc, v2, v20
	v_cndmask_b32_e64 v1, v3, -v1, vcc
	v_mul_f32_e32 v0, v1, v0
	v_bfrev_b32_e32 v1, 1
	v_cmp_o_f32_e32 vcc, v0, v0
	v_cndmask_b32_e64 v1, v1, -v0, vcc
.LBB223_102:
	s_or_b64 exec, exec, s[12:13]
                                        ; implicit-def: $vgpr2_vgpr3
                                        ; implicit-def: $vgpr0
                                        ; implicit-def: $vgpr4
	s_andn2_saveexec_b64 s[10:11], s[10:11]
	s_cbranch_execz .LBB223_2
.LBB223_103:
	v_cmp_neq_f32_e32 vcc, 0, v4
	v_mov_b32_e32 v1, 0x7f800000
	v_mov_b32_e32 v5, 0x7f800000
	s_and_saveexec_b64 s[12:13], vcc
	s_cbranch_execz .LBB223_125
; %bb.104:
	v_cmp_gt_f32_e32 vcc, 0, v4
	s_mov_b64 s[4:5], -1
	v_mov_b32_e32 v6, 0
	v_mov_b32_e32 v7, v4
                                        ; implicit-def: $sgpr6
	s_and_saveexec_b64 s[14:15], vcc
	s_cbranch_execz .LBB223_112
; %bb.105:
	v_floor_f32_e32 v5, v4
	v_cmp_neq_f32_e32 vcc, v5, v4
	s_mov_b64 s[4:5], 0
	v_mov_b32_e32 v6, 0
                                        ; implicit-def: $vgpr7
	s_and_saveexec_b64 s[16:17], vcc
	s_cbranch_execz .LBB223_111
; %bb.106:
	v_mul_f32_e32 v5, 0x40490fdb, v4
	s_brev_b32 s4, 18
	v_and_b32_e32 v6, 0x7fffffff, v5
	v_cmp_nlt_f32_e64 s[4:5], |v5|, s4
                                        ; implicit-def: $vgpr8
                                        ; implicit-def: $vgpr7
	s_and_saveexec_b64 s[6:7], s[4:5]
	s_xor_b64 s[18:19], exec, s[6:7]
	s_cbranch_execz .LBB223_108
; %bb.107:
	v_lshrrev_b32_e32 v7, 23, v6
	v_add_u32_e32 v7, 0xffffff88, v7
	v_not_b32_e32 v8, 63
	v_cmp_lt_u32_e32 vcc, 63, v7
	v_cndmask_b32_e32 v8, 0, v8, vcc
	v_add_u32_e32 v7, v8, v7
	v_not_b32_e32 v8, 31
	v_cmp_lt_u32_e64 s[4:5], 31, v7
	v_cndmask_b32_e64 v10, 0, v8, s[4:5]
	v_add_u32_e32 v7, v10, v7
	v_cmp_lt_u32_e64 s[6:7], 31, v7
	v_cndmask_b32_e64 v8, 0, v8, s[6:7]
	v_add_u32_e32 v7, v8, v7
	v_and_b32_e32 v8, 0x7fffff, v6
	v_or_b32_e32 v22, 0x800000, v8
	s_mov_b32 s8, 0xfe5163ab
	v_mad_u64_u32 v[10:11], s[8:9], v22, s8, 0
	v_mov_b32_e32 v9, 0
	v_mov_b32_e32 v8, v11
	s_mov_b32 s8, 0x3c439041
	v_mad_u64_u32 v[12:13], s[8:9], v22, s8, v[8:9]
	v_mov_b32_e32 v8, v13
	s_mov_b32 s8, 0xdb629599
	v_mad_u64_u32 v[14:15], s[8:9], v22, s8, v[8:9]
	;; [unrolled: 3-line block ×6, first 2 shown]
	v_cndmask_b32_e32 v11, v20, v16, vcc
	v_cndmask_b32_e32 v8, v8, v18, vcc
	;; [unrolled: 1-line block ×3, first 2 shown]
	v_cndmask_b32_e64 v13, v8, v11, s[4:5]
	v_cndmask_b32_e64 v8, v9, v8, s[4:5]
	v_cndmask_b32_e32 v9, v18, v14, vcc
	v_cndmask_b32_e64 v11, v11, v9, s[4:5]
	v_sub_u32_e32 v15, 32, v7
	v_cmp_eq_u32_e64 s[8:9], 0, v7
	v_cndmask_b32_e32 v7, v16, v12, vcc
	v_cndmask_b32_e64 v8, v8, v13, s[6:7]
	v_cndmask_b32_e64 v13, v13, v11, s[6:7]
	;; [unrolled: 1-line block ×3, first 2 shown]
	v_alignbit_b32 v17, v8, v13, v15
	v_cndmask_b32_e64 v11, v11, v9, s[6:7]
	v_cndmask_b32_e64 v8, v17, v8, s[8:9]
	v_alignbit_b32 v12, v13, v11, v15
	v_cndmask_b32_e32 v10, v14, v10, vcc
	v_cndmask_b32_e64 v12, v12, v13, s[8:9]
	v_bfe_u32 v17, v8, 29, 1
	v_cndmask_b32_e64 v7, v7, v10, s[4:5]
	v_alignbit_b32 v13, v8, v12, 30
	v_sub_u32_e32 v18, 0, v17
	v_cndmask_b32_e64 v7, v9, v7, s[6:7]
	v_xor_b32_e32 v19, v13, v18
	v_alignbit_b32 v9, v11, v7, v15
	v_cndmask_b32_e64 v9, v9, v11, s[8:9]
	v_ffbh_u32_e32 v11, v19
	v_add_u32_e32 v11, 1, v11
	v_cmp_ne_u32_e32 vcc, v13, v18
	v_alignbit_b32 v10, v12, v9, 30
	v_cndmask_b32_e32 v11, 33, v11, vcc
	v_alignbit_b32 v7, v9, v7, 30
	v_xor_b32_e32 v10, v10, v18
	v_sub_u32_e32 v12, 32, v11
	v_xor_b32_e32 v7, v7, v18
	v_alignbit_b32 v13, v19, v10, v12
	v_alignbit_b32 v7, v10, v7, v12
	;; [unrolled: 1-line block ×3, first 2 shown]
	v_ffbh_u32_e32 v10, v9
	v_min_u32_e32 v10, 32, v10
	v_lshrrev_b32_e32 v16, 29, v8
	v_sub_u32_e32 v12, 31, v10
	v_alignbit_b32 v7, v9, v7, v12
	v_lshlrev_b32_e32 v9, 31, v16
	v_or_b32_e32 v12, 0x33800000, v9
	v_add_lshl_u32 v10, v10, v11, 23
	v_lshrrev_b32_e32 v7, 9, v7
	v_sub_u32_e32 v10, v12, v10
	v_or_b32_e32 v7, v10, v7
	v_alignbit_b32 v10, v11, v13, 9
	v_or_b32_e32 v9, v10, v9
	v_xor_b32_e32 v9, 1.0, v9
	s_mov_b32 s4, 0x3fc90fda
	v_mul_f32_e32 v10, 0x3fc90fda, v9
	v_fma_f32 v11, v9, s4, -v10
	v_fmac_f32_e32 v11, 0x33a22168, v9
	v_fmac_f32_e32 v11, 0x3fc90fda, v7
	v_lshrrev_b32_e32 v8, 30, v8
	v_add_f32_e32 v7, v10, v11
	v_add_u32_e32 v8, v17, v8
.LBB223_108:
	s_andn2_saveexec_b64 s[4:5], s[18:19]
; %bb.109:
	s_mov_b32 s6, 0x3f22f983
	v_mul_f32_e64 v7, |v5|, s6
	v_rndne_f32_e32 v9, v7
	s_mov_b32 s6, 0xbfc90fda
	v_cvt_i32_f32_e32 v8, v9
	v_fma_f32 v7, v9, s6, |v5|
	v_fmac_f32_e32 v7, 0xb3a22168, v9
	v_fmac_f32_e32 v7, 0xa7c234c4, v9
; %bb.110:
	s_or_b64 exec, exec, s[4:5]
	v_mul_f32_e32 v9, v7, v7
	v_mov_b32_e32 v10, 0xbf039337
	v_fmac_f32_e32 v10, 0x3c971480, v9
	v_mov_b32_e32 v11, 0x3f93f425
	v_fmac_f32_e32 v11, v9, v10
	v_rcp_f32_e32 v10, v11
	v_mov_b32_e32 v11, 0x3ec54587
	v_fmac_f32_e32 v11, 0xbc8cedd3, v9
	v_and_b32_e32 v8, 1, v8
	v_mul_f32_e32 v10, v11, v10
	v_mul_f32_e32 v9, v9, v10
	v_fma_f32 v10, v9, v7, v7
	v_rcp_f32_e32 v11, v10
	v_sub_f32_e32 v12, v10, v7
	v_fma_f32 v7, v9, v7, -v12
	v_cmp_eq_u32_e32 vcc, 0, v8
	v_fma_f32 v9, v10, -v11, 1.0
	v_fma_f32 v7, v7, -v11, v9
	v_fma_f32 v7, v7, -v11, -v11
	v_cndmask_b32_e32 v7, v7, v10, vcc
	v_xor_b32_e32 v6, v6, v5
	v_xor_b32_e32 v6, v6, v7
	s_mov_b32 s8, 0xc0490fdb
	v_div_scale_f32 v7, s[6:7], v6, v6, s8
	v_rcp_f32_e32 v8, v7
	s_movk_i32 s6, 0x1f8
	s_mov_b64 s[4:5], exec
	v_fma_f32 v9, -v7, v8, 1.0
	v_fmac_f32_e32 v8, v9, v8
	v_div_scale_f32 v9, vcc, s8, v6, s8
	v_mul_f32_e32 v10, v9, v8
	v_fma_f32 v11, -v7, v10, v9
	v_fmac_f32_e32 v10, v11, v8
	v_fma_f32 v7, -v7, v10, v9
	v_div_fmas_f32 v7, v7, v8, v10
	v_div_fixup_f32 v6, v7, v6, s8
	v_mov_b32_e32 v7, 0x7fc00000
	v_cmp_class_f32_e64 vcc, v5, s6
	v_cndmask_b32_e32 v6, v7, v6, vcc
	v_sub_f32_e32 v7, 1.0, v4
.LBB223_111:
	s_or_b64 exec, exec, s[16:17]
	s_mov_b32 s6, 0x7f800000
	s_orn2_b64 s[4:5], s[4:5], exec
.LBB223_112:
	s_or_b64 exec, exec, s[14:15]
	v_mov_b32_e32 v5, s6
	s_and_saveexec_b64 s[6:7], s[4:5]
	s_cbranch_execz .LBB223_124
; %bb.113:
	s_mov_b32 s14, 0x41200000
	v_cmp_gt_f32_e32 vcc, s14, v7
	v_mov_b32_e32 v5, 0
	s_and_saveexec_b64 s[4:5], vcc
	s_cbranch_execz .LBB223_117
; %bb.114:
	s_mov_b64 s[8:9], 0
	v_mov_b32_e32 v5, 0
.LBB223_115:                            ; =>This Inner Loop Header: Depth=1
	v_div_scale_f32 v8, s[16:17], v7, v7, 1.0
	v_rcp_f32_e32 v9, v8
	v_div_scale_f32 v10, vcc, 1.0, v7, 1.0
	v_fma_f32 v11, -v8, v9, 1.0
	v_fmac_f32_e32 v9, v11, v9
	v_mul_f32_e32 v11, v10, v9
	v_fma_f32 v12, -v8, v11, v10
	v_fmac_f32_e32 v11, v12, v9
	v_fma_f32 v8, -v8, v11, v10
	v_div_fmas_f32 v8, v8, v9, v11
	v_div_fixup_f32 v8, v8, v7, 1.0
	v_add_f32_e32 v7, 1.0, v7
	v_cmp_ngt_f32_e32 vcc, s14, v7
	s_or_b64 s[8:9], vcc, s[8:9]
	v_sub_f32_e32 v5, v5, v8
	s_andn2_b64 exec, exec, s[8:9]
	s_cbranch_execnz .LBB223_115
; %bb.116:
	s_or_b64 exec, exec, s[8:9]
.LBB223_117:
	s_or_b64 exec, exec, s[4:5]
	s_mov_b32 s4, 0x41200000
	v_cmp_neq_f32_e32 vcc, s4, v7
                                        ; implicit-def: $vgpr8
	s_and_saveexec_b64 s[4:5], vcc
	s_xor_b64 s[8:9], exec, s[4:5]
	s_cbranch_execz .LBB223_121
; %bb.118:
	s_mov_b32 s4, 0x5bb1a2bc
	v_cmp_gt_f32_e32 vcc, s4, v7
	v_mov_b32_e32 v8, 0
	s_and_saveexec_b64 s[4:5], vcc
	s_cbranch_execz .LBB223_120
; %bb.119:
	v_mul_f32_e32 v8, v7, v7
	v_div_scale_f32 v9, s[14:15], v8, v8, 1.0
	v_rcp_f32_e32 v10, v9
	v_div_scale_f32 v11, vcc, 1.0, v8, 1.0
	v_fma_f32 v12, -v9, v10, 1.0
	v_fmac_f32_e32 v10, v12, v10
	v_mul_f32_e32 v12, v11, v10
	v_fma_f32 v13, -v9, v12, v11
	v_fmac_f32_e32 v12, v13, v10
	v_fma_f32 v9, -v9, v12, v11
	v_div_fmas_f32 v9, v9, v10, v12
	v_div_fixup_f32 v8, v9, v8, 1.0
	v_mov_b32_e32 v9, 0x3daaaaab
	v_fma_f32 v10, 0, v8, v9
	v_mov_b32_e32 v11, 0xbcaccacd
	v_fmac_f32_e32 v11, v8, v10
	v_mov_b32_e32 v10, 0x3bf83e10
	v_fmac_f32_e32 v10, v8, v11
	;; [unrolled: 2-line block ×5, first 2 shown]
	v_fmac_f32_e32 v9, v8, v11
	v_mul_f32_e32 v8, v8, v9
.LBB223_120:
	s_or_b64 exec, exec, s[4:5]
	s_mov_b32 s4, 0x800000
	v_mov_b32_e32 v9, 0x4f800000
	v_cmp_gt_f32_e32 vcc, s4, v7
	v_cndmask_b32_e32 v9, 1.0, v9, vcc
	v_mul_f32_e32 v9, v7, v9
	v_log_f32_e32 v9, v9
	s_mov_b32 s4, 0x3f317217
	v_mul_f32_e32 v10, 0x3f317217, v9
	v_fma_f32 v11, v9, s4, -v10
	v_fmac_f32_e32 v11, 0x3377d1cf, v9
	s_mov_b32 s4, 0x7f800000
	v_add_f32_e32 v10, v10, v11
	v_cmp_lt_f32_e64 s[4:5], |v9|, s4
	v_cndmask_b32_e64 v9, v9, v10, s[4:5]
	v_div_scale_f32 v11, s[4:5], v7, v7, -0.5
	v_rcp_f32_e32 v12, v11
	v_mov_b32_e32 v10, 0x41b17218
	v_cndmask_b32_e32 v10, 0, v10, vcc
	v_sub_f32_e32 v9, v9, v10
	v_add_f32_e32 v5, v5, v9
	v_fma_f32 v9, -v11, v12, 1.0
	v_fmac_f32_e32 v12, v9, v12
	v_div_scale_f32 v9, vcc, -0.5, v7, -0.5
	v_mul_f32_e32 v10, v9, v12
	v_fma_f32 v13, -v11, v10, v9
	v_fmac_f32_e32 v10, v13, v12
	v_fma_f32 v9, -v11, v10, v9
	v_div_fmas_f32 v9, v9, v12, v10
	v_div_fixup_f32 v7, v9, v7, -0.5
	v_add_f32_e32 v5, v5, v7
	v_sub_f32_e32 v8, v5, v8
                                        ; implicit-def: $vgpr5
.LBB223_121:
	s_andn2_saveexec_b64 s[4:5], s[8:9]
; %bb.122:
	v_add_f32_e32 v8, 0x40101cb7, v5
; %bb.123:
	s_or_b64 exec, exec, s[4:5]
	v_add_f32_e32 v5, v6, v8
.LBB223_124:
	s_or_b64 exec, exec, s[6:7]
.LBB223_125:
	s_or_b64 exec, exec, s[12:13]
	v_add_f32_e32 v6, v3, v4
	v_cmp_neq_f32_e32 vcc, 0, v6
	s_and_saveexec_b64 s[12:13], vcc
	s_cbranch_execz .LBB223_147
; %bb.126:
	v_cmp_gt_f32_e32 vcc, 0, v6
	s_mov_b64 s[4:5], -1
	v_mov_b32_e32 v7, 0
                                        ; implicit-def: $sgpr6
	s_and_saveexec_b64 s[14:15], vcc
	s_cbranch_execz .LBB223_134
; %bb.127:
	v_floor_f32_e32 v1, v6
	v_cmp_neq_f32_e32 vcc, v1, v6
	s_mov_b64 s[4:5], 0
	v_mov_b32_e32 v7, 0
	s_and_saveexec_b64 s[16:17], vcc
	s_cbranch_execz .LBB223_133
; %bb.128:
	v_mul_f32_e32 v1, 0x40490fdb, v6
	s_brev_b32 s4, 18
	v_and_b32_e32 v7, 0x7fffffff, v1
	v_cmp_nlt_f32_e64 s[4:5], |v1|, s4
                                        ; implicit-def: $vgpr9
                                        ; implicit-def: $vgpr8
	s_and_saveexec_b64 s[6:7], s[4:5]
	s_xor_b64 s[18:19], exec, s[6:7]
	s_cbranch_execz .LBB223_130
; %bb.129:
	v_lshrrev_b32_e32 v8, 23, v7
	v_add_u32_e32 v8, 0xffffff88, v8
	v_not_b32_e32 v10, 63
	v_cmp_lt_u32_e32 vcc, 63, v8
	v_cndmask_b32_e32 v10, 0, v10, vcc
	v_add_u32_e32 v8, v10, v8
	v_not_b32_e32 v10, 31
	v_cmp_lt_u32_e64 s[4:5], 31, v8
	v_cndmask_b32_e64 v11, 0, v10, s[4:5]
	v_add_u32_e32 v8, v11, v8
	v_cmp_lt_u32_e64 s[6:7], 31, v8
	v_cndmask_b32_e64 v10, 0, v10, s[6:7]
	v_add_u32_e32 v22, v10, v8
	v_and_b32_e32 v8, 0x7fffff, v7
	v_or_b32_e32 v23, 0x800000, v8
	s_mov_b32 s8, 0xfe5163ab
	v_mad_u64_u32 v[10:11], s[8:9], v23, s8, 0
	v_mov_b32_e32 v9, 0
	v_mov_b32_e32 v8, v11
	s_mov_b32 s8, 0x3c439041
	v_mad_u64_u32 v[12:13], s[8:9], v23, s8, v[8:9]
	v_mov_b32_e32 v8, v13
	s_mov_b32 s8, 0xdb629599
	v_mad_u64_u32 v[14:15], s[8:9], v23, s8, v[8:9]
	;; [unrolled: 3-line block ×6, first 2 shown]
	v_cndmask_b32_e32 v11, v20, v16, vcc
	v_cndmask_b32_e32 v8, v8, v18, vcc
	;; [unrolled: 1-line block ×3, first 2 shown]
	v_cndmask_b32_e64 v13, v8, v11, s[4:5]
	v_cndmask_b32_e64 v8, v9, v8, s[4:5]
	v_cndmask_b32_e32 v9, v18, v14, vcc
	v_cndmask_b32_e64 v11, v11, v9, s[4:5]
	v_cndmask_b32_e64 v8, v8, v13, s[6:7]
	;; [unrolled: 1-line block ×3, first 2 shown]
	v_sub_u32_e32 v15, 32, v22
	v_alignbit_b32 v17, v8, v13, v15
	v_cmp_eq_u32_e64 s[8:9], 0, v22
	v_cndmask_b32_e64 v17, v17, v8, s[8:9]
	v_cndmask_b32_e32 v8, v16, v12, vcc
	v_cndmask_b32_e64 v9, v9, v8, s[4:5]
	v_cndmask_b32_e64 v11, v11, v9, s[6:7]
	v_alignbit_b32 v12, v13, v11, v15
	v_cndmask_b32_e32 v10, v14, v10, vcc
	v_cndmask_b32_e64 v12, v12, v13, s[8:9]
	v_bfe_u32 v18, v17, 29, 1
	v_cndmask_b32_e64 v8, v8, v10, s[4:5]
	v_alignbit_b32 v13, v17, v12, 30
	v_sub_u32_e32 v19, 0, v18
	v_cndmask_b32_e64 v8, v9, v8, s[6:7]
	v_xor_b32_e32 v20, v13, v19
	v_alignbit_b32 v9, v11, v8, v15
	v_cndmask_b32_e64 v9, v9, v11, s[8:9]
	v_ffbh_u32_e32 v11, v20
	v_add_u32_e32 v11, 1, v11
	v_cmp_ne_u32_e32 vcc, v13, v19
	v_alignbit_b32 v10, v12, v9, 30
	v_cndmask_b32_e32 v11, 33, v11, vcc
	v_alignbit_b32 v8, v9, v8, 30
	v_xor_b32_e32 v10, v10, v19
	v_sub_u32_e32 v12, 32, v11
	v_xor_b32_e32 v8, v8, v19
	v_alignbit_b32 v13, v20, v10, v12
	v_alignbit_b32 v8, v10, v8, v12
	;; [unrolled: 1-line block ×3, first 2 shown]
	v_ffbh_u32_e32 v10, v9
	v_min_u32_e32 v10, 32, v10
	v_lshrrev_b32_e32 v16, 29, v17
	v_sub_u32_e32 v12, 31, v10
	v_alignbit_b32 v8, v9, v8, v12
	v_lshlrev_b32_e32 v9, 31, v16
	v_or_b32_e32 v12, 0x33800000, v9
	v_add_lshl_u32 v10, v10, v11, 23
	v_lshrrev_b32_e32 v8, 9, v8
	v_sub_u32_e32 v10, v12, v10
	v_or_b32_e32 v8, v10, v8
	v_alignbit_b32 v10, v11, v13, 9
	v_or_b32_e32 v9, v10, v9
	v_xor_b32_e32 v9, 1.0, v9
	s_mov_b32 s4, 0x3fc90fda
	v_mul_f32_e32 v10, 0x3fc90fda, v9
	v_fma_f32 v11, v9, s4, -v10
	v_fmac_f32_e32 v11, 0x33a22168, v9
	v_fmac_f32_e32 v11, 0x3fc90fda, v8
	v_lshrrev_b32_e32 v9, 30, v17
	v_add_f32_e32 v8, v10, v11
	v_add_u32_e32 v9, v18, v9
.LBB223_130:
	s_andn2_saveexec_b64 s[4:5], s[18:19]
; %bb.131:
	s_mov_b32 s6, 0x3f22f983
	v_mul_f32_e64 v8, |v1|, s6
	v_rndne_f32_e32 v10, v8
	s_mov_b32 s6, 0xbfc90fda
	v_cvt_i32_f32_e32 v9, v10
	v_fma_f32 v8, v10, s6, |v1|
	v_fmac_f32_e32 v8, 0xb3a22168, v10
	v_fmac_f32_e32 v8, 0xa7c234c4, v10
; %bb.132:
	s_or_b64 exec, exec, s[4:5]
	v_mul_f32_e32 v10, v8, v8
	v_mov_b32_e32 v11, 0xbf039337
	v_fmac_f32_e32 v11, 0x3c971480, v10
	v_mov_b32_e32 v12, 0x3f93f425
	v_fmac_f32_e32 v12, v10, v11
	v_rcp_f32_e32 v11, v12
	v_mov_b32_e32 v12, 0x3ec54587
	v_fmac_f32_e32 v12, 0xbc8cedd3, v10
	v_and_b32_e32 v9, 1, v9
	v_mul_f32_e32 v11, v12, v11
	v_mul_f32_e32 v10, v10, v11
	v_fma_f32 v11, v10, v8, v8
	v_rcp_f32_e32 v12, v11
	v_sub_f32_e32 v13, v11, v8
	v_fma_f32 v8, v10, v8, -v13
	v_cmp_eq_u32_e32 vcc, 0, v9
	v_fma_f32 v10, v11, -v12, 1.0
	v_fma_f32 v8, v8, -v12, v10
	v_fma_f32 v8, v8, -v12, -v12
	v_cndmask_b32_e32 v8, v8, v11, vcc
	v_xor_b32_e32 v7, v7, v1
	v_xor_b32_e32 v7, v7, v8
	s_mov_b32 s8, 0xc0490fdb
	v_div_scale_f32 v8, s[6:7], v7, v7, s8
	v_rcp_f32_e32 v9, v8
	s_movk_i32 s6, 0x1f8
	s_mov_b64 s[4:5], exec
	v_sub_f32_e32 v6, 1.0, v6
	v_fma_f32 v10, -v8, v9, 1.0
	v_fmac_f32_e32 v9, v10, v9
	v_div_scale_f32 v10, vcc, s8, v7, s8
	v_mul_f32_e32 v11, v10, v9
	v_fma_f32 v12, -v8, v11, v10
	v_fmac_f32_e32 v11, v12, v9
	v_fma_f32 v8, -v8, v11, v10
	v_div_fmas_f32 v8, v8, v9, v11
	v_div_fixup_f32 v7, v8, v7, s8
	v_mov_b32_e32 v8, 0x7fc00000
	v_cmp_class_f32_e64 vcc, v1, s6
	v_cndmask_b32_e32 v7, v8, v7, vcc
.LBB223_133:
	s_or_b64 exec, exec, s[16:17]
	s_mov_b32 s6, 0x7f800000
	s_orn2_b64 s[4:5], s[4:5], exec
.LBB223_134:
	s_or_b64 exec, exec, s[14:15]
	v_mov_b32_e32 v1, s6
	s_and_saveexec_b64 s[6:7], s[4:5]
	s_cbranch_execz .LBB223_146
; %bb.135:
	s_mov_b32 s14, 0x41200000
	v_cmp_gt_f32_e32 vcc, s14, v6
	v_mov_b32_e32 v1, 0
	s_and_saveexec_b64 s[4:5], vcc
	s_cbranch_execz .LBB223_139
; %bb.136:
	s_mov_b64 s[8:9], 0
	v_mov_b32_e32 v1, 0
.LBB223_137:                            ; =>This Inner Loop Header: Depth=1
	v_div_scale_f32 v8, s[16:17], v6, v6, 1.0
	v_rcp_f32_e32 v9, v8
	v_div_scale_f32 v10, vcc, 1.0, v6, 1.0
	v_fma_f32 v11, -v8, v9, 1.0
	v_fmac_f32_e32 v9, v11, v9
	v_mul_f32_e32 v11, v10, v9
	v_fma_f32 v12, -v8, v11, v10
	v_fmac_f32_e32 v11, v12, v9
	v_fma_f32 v8, -v8, v11, v10
	v_div_fmas_f32 v8, v8, v9, v11
	v_div_fixup_f32 v8, v8, v6, 1.0
	v_add_f32_e32 v6, 1.0, v6
	v_cmp_ngt_f32_e32 vcc, s14, v6
	s_or_b64 s[8:9], vcc, s[8:9]
	v_sub_f32_e32 v1, v1, v8
	s_andn2_b64 exec, exec, s[8:9]
	s_cbranch_execnz .LBB223_137
; %bb.138:
	s_or_b64 exec, exec, s[8:9]
.LBB223_139:
	s_or_b64 exec, exec, s[4:5]
	s_mov_b32 s4, 0x41200000
	v_cmp_neq_f32_e32 vcc, s4, v6
                                        ; implicit-def: $vgpr8
	s_and_saveexec_b64 s[4:5], vcc
	s_xor_b64 s[8:9], exec, s[4:5]
	s_cbranch_execz .LBB223_143
; %bb.140:
	s_mov_b32 s4, 0x5bb1a2bc
	v_cmp_gt_f32_e32 vcc, s4, v6
	v_mov_b32_e32 v8, 0
	s_and_saveexec_b64 s[4:5], vcc
	s_cbranch_execz .LBB223_142
; %bb.141:
	v_mul_f32_e32 v8, v6, v6
	v_div_scale_f32 v9, s[14:15], v8, v8, 1.0
	v_rcp_f32_e32 v10, v9
	v_div_scale_f32 v11, vcc, 1.0, v8, 1.0
	v_fma_f32 v12, -v9, v10, 1.0
	v_fmac_f32_e32 v10, v12, v10
	v_mul_f32_e32 v12, v11, v10
	v_fma_f32 v13, -v9, v12, v11
	v_fmac_f32_e32 v12, v13, v10
	v_fma_f32 v9, -v9, v12, v11
	v_div_fmas_f32 v9, v9, v10, v12
	v_div_fixup_f32 v8, v9, v8, 1.0
	v_mov_b32_e32 v9, 0x3daaaaab
	v_fma_f32 v10, 0, v8, v9
	v_mov_b32_e32 v11, 0xbcaccacd
	v_fmac_f32_e32 v11, v8, v10
	v_mov_b32_e32 v10, 0x3bf83e10
	v_fmac_f32_e32 v10, v8, v11
	v_mov_b32_e32 v11, 0xbb888889
	v_fmac_f32_e32 v11, v8, v10
	v_mov_b32_e32 v10, 0x3b820821
	v_fmac_f32_e32 v10, v8, v11
	v_mov_b32_e32 v11, 0xbc088889
	v_fmac_f32_e32 v11, v8, v10
	v_fmac_f32_e32 v9, v8, v11
	v_mul_f32_e32 v8, v8, v9
.LBB223_142:
	s_or_b64 exec, exec, s[4:5]
	s_mov_b32 s4, 0x800000
	v_mov_b32_e32 v9, 0x4f800000
	v_cmp_gt_f32_e32 vcc, s4, v6
	v_cndmask_b32_e32 v9, 1.0, v9, vcc
	v_mul_f32_e32 v9, v6, v9
	v_log_f32_e32 v9, v9
	s_mov_b32 s4, 0x3f317217
	v_mul_f32_e32 v10, 0x3f317217, v9
	v_fma_f32 v11, v9, s4, -v10
	v_fmac_f32_e32 v11, 0x3377d1cf, v9
	s_mov_b32 s4, 0x7f800000
	v_add_f32_e32 v10, v10, v11
	v_cmp_lt_f32_e64 s[4:5], |v9|, s4
	v_cndmask_b32_e64 v9, v9, v10, s[4:5]
	v_div_scale_f32 v11, s[4:5], v6, v6, -0.5
	v_rcp_f32_e32 v12, v11
	v_mov_b32_e32 v10, 0x41b17218
	v_cndmask_b32_e32 v10, 0, v10, vcc
	v_sub_f32_e32 v9, v9, v10
	v_add_f32_e32 v1, v1, v9
	v_fma_f32 v9, -v11, v12, 1.0
	v_fmac_f32_e32 v12, v9, v12
	v_div_scale_f32 v9, vcc, -0.5, v6, -0.5
	v_mul_f32_e32 v10, v9, v12
	v_fma_f32 v13, -v11, v10, v9
	v_fmac_f32_e32 v10, v13, v12
	v_fma_f32 v9, -v11, v10, v9
	v_div_fmas_f32 v9, v9, v12, v10
	v_div_fixup_f32 v6, v9, v6, -0.5
	v_add_f32_e32 v1, v1, v6
	v_sub_f32_e32 v8, v1, v8
                                        ; implicit-def: $vgpr1
.LBB223_143:
	s_andn2_saveexec_b64 s[4:5], s[8:9]
; %bb.144:
	v_add_f32_e32 v8, 0x40101cb7, v1
; %bb.145:
	s_or_b64 exec, exec, s[4:5]
	v_add_f32_e32 v1, v7, v8
.LBB223_146:
	s_or_b64 exec, exec, s[6:7]
.LBB223_147:
	s_or_b64 exec, exec, s[12:13]
	s_mov_b32 s4, 0x800000
	v_mov_b32_e32 v6, 0x4f800000
	v_cmp_gt_f32_e32 vcc, s4, v0
	v_cndmask_b32_e32 v6, 1.0, v6, vcc
	v_mul_f32_e32 v6, v0, v6
	v_log_f32_e32 v7, v6
	v_sub_f32_e32 v1, v5, v1
	s_mov_b32 s4, 0x3f317217
	v_mov_b32_e32 v6, 1.0
	v_mul_f32_e32 v5, 0x3f317217, v7
	v_fma_f32 v8, v7, s4, -v5
	v_fmac_f32_e32 v8, 0x3377d1cf, v7
	s_mov_b32 s4, 0x7f800000
	v_add_f32_e32 v5, v5, v8
	v_cmp_lt_f32_e64 s[4:5], |v7|, s4
	v_cndmask_b32_e64 v5, v7, v5, s[4:5]
	v_div_scale_f32 v8, s[4:5], v4, v4, 1.0
	v_rcp_f32_e32 v9, v8
	v_mov_b32_e32 v7, 0x41b17218
	v_cndmask_b32_e32 v7, 0, v7, vcc
	v_sub_f32_e32 v5, v5, v7
	v_sub_f32_e32 v5, v1, v5
	v_fma_f32 v1, -v8, v9, 1.0
	v_fmac_f32_e32 v9, v1, v9
	v_div_scale_f32 v1, vcc, 1.0, v4, 1.0
	v_mul_f32_e32 v7, v1, v9
	v_fma_f32 v10, -v8, v7, v1
	v_fmac_f32_e32 v7, v10, v9
	v_fma_f32 v1, -v8, v7, v1
	v_div_fmas_f32 v1, v1, v9, v7
	v_div_fixup_f32 v1, v1, v4, 1.0
	v_add_f32_e32 v7, v1, v5
	v_mul_f32_e32 v1, v1, v7
	s_mov_b32 s12, 1
.LBB223_148:                            ; =>This Inner Loop Header: Depth=1
	v_cvt_f32_u32_e32 v7, s12
	s_add_i32 s4, s12, 1
	v_cvt_f32_u32_e32 v8, s4
	s_add_i32 s12, s12, 2
	v_sub_f32_e32 v9, v7, v3
	v_add_f32_e32 v10, v7, v4
	v_mul_f32_e32 v9, v9, v0
	v_div_scale_f32 v11, s[4:5], v10, v10, 1.0
	v_add_f32_e32 v14, v8, v4
	v_div_scale_f32 v15, s[6:7], v7, v7, v9
	v_rcp_f32_e32 v17, v11
	v_div_scale_f32 v18, s[6:7], v14, v14, 1.0
	v_rcp_f32_e32 v20, v15
	v_rcp_f32_e32 v23, v18
	v_fma_f32 v25, -v11, v17, 1.0
	v_div_scale_f32 v16, vcc, v9, v7, v9
	v_fma_f32 v26, -v15, v20, 1.0
	v_fmac_f32_e32 v17, v25, v17
	v_fma_f32 v25, -v18, v23, 1.0
	v_fmac_f32_e32 v20, v26, v20
	v_fmac_f32_e32 v23, v25, v23
	v_mul_f32_e32 v25, v16, v20
	v_sub_f32_e32 v13, v8, v3
	v_fma_f32 v29, -v15, v25, v16
	v_mul_f32_e32 v13, v13, v0
	v_fmac_f32_e32 v25, v29, v20
	v_div_scale_f32 v21, s[8:9], v8, v8, v13
	v_fma_f32 v15, -v15, v25, v16
	v_rcp_f32_e32 v24, v21
	v_div_fmas_f32 v15, v15, v20, v25
	v_div_fixup_f32 v7, v15, v7, v9
	v_mul_f32_e32 v6, v6, v7
	v_div_scale_f32 v12, s[4:5], 1.0, v10, 1.0
	v_div_scale_f32 v7, s[14:15], v10, v10, v6
	v_div_scale_f32 v19, s[6:7], 1.0, v14, 1.0
	v_mul_f32_e32 v26, v12, v17
	v_fma_f32 v27, -v21, v24, 1.0
	v_rcp_f32_e32 v15, v7
	v_div_scale_f32 v22, s[8:9], v13, v8, v13
	v_fma_f32 v28, -v11, v26, v12
	v_fmac_f32_e32 v24, v27, v24
	v_mul_f32_e32 v27, v19, v23
	v_fmac_f32_e32 v26, v28, v17
	v_mul_f32_e32 v28, v22, v24
	v_fma_f32 v30, -v18, v27, v19
	v_fma_f32 v11, -v11, v26, v12
	;; [unrolled: 1-line block ×3, first 2 shown]
	v_fmac_f32_e32 v27, v30, v23
	v_fmac_f32_e32 v28, v12, v24
	v_fma_f32 v12, -v18, v27, v19
	v_fma_f32 v18, -v7, v15, 1.0
	v_div_scale_f32 v9, vcc, v6, v10, v6
	v_fmac_f32_e32 v15, v18, v15
	v_mul_f32_e32 v18, v9, v15
	v_fma_f32 v19, -v7, v18, v9
	v_fmac_f32_e32 v18, v19, v15
	v_fma_f32 v7, -v7, v18, v9
	v_div_fmas_f32 v7, v7, v15, v18
	s_mov_b64 vcc, s[4:5]
	v_fma_f32 v16, -v21, v28, v22
	v_div_fmas_f32 v9, v11, v17, v26
	s_mov_b64 vcc, s[8:9]
	v_div_fixup_f32 v7, v7, v10, v6
	v_div_fixup_f32 v9, v9, v10, 1.0
	v_div_fmas_f32 v10, v16, v24, v28
	v_div_fixup_f32 v8, v10, v8, v13
	v_add_f32_e32 v9, v5, v9
	v_mul_f32_e32 v6, v6, v8
	v_fmac_f32_e32 v1, v9, v7
	v_div_scale_f32 v7, s[4:5], v14, v14, v6
	v_rcp_f32_e32 v9, v7
	v_div_scale_f32 v8, vcc, v6, v14, v6
	s_cmp_lg_u32 s12, 11
	v_fma_f32 v10, -v7, v9, 1.0
	v_fmac_f32_e32 v9, v10, v9
	v_mul_f32_e32 v10, v8, v9
	v_fma_f32 v11, -v7, v10, v8
	v_fmac_f32_e32 v10, v11, v9
	v_fma_f32 v7, -v7, v10, v8
	v_div_fmas_f32 v7, v7, v9, v10
	s_mov_b64 vcc, s[6:7]
	v_div_fmas_f32 v8, v12, v23, v27
	v_div_fixup_f32 v8, v8, v14, 1.0
	v_div_fixup_f32 v7, v7, v14, v6
	v_add_f32_e32 v8, v5, v8
	v_fmac_f32_e32 v1, v8, v7
	s_cbranch_scc1 .LBB223_148
; %bb.149:
	v_cmp_eq_f32_e32 vcc, 1.0, v2
	v_cndmask_b32_e64 v20, -v3, 1.0, vcc
	v_cmp_eq_f32_e64 s[4:5], 0, v20
	v_cndmask_b32_e64 v21, |v2|, 1.0, s[4:5]
	v_frexp_mant_f32_e32 v4, v21
	s_mov_b32 s6, 0x3f2aaaab
	v_cmp_gt_f32_e64 s[6:7], s6, v4
	v_cndmask_b32_e64 v5, 1.0, 2.0, s[6:7]
	v_mul_f32_e32 v4, v4, v5
	v_add_f32_e32 v7, 1.0, v4
	v_rcp_f32_e32 v12, v7
	v_add_f32_e32 v5, -1.0, v7
	v_sub_f32_e32 v9, v4, v5
	v_add_f32_e32 v5, -1.0, v4
	v_mul_f32_e32 v13, v5, v12
	v_mul_f32_e32 v6, v7, v13
	v_fma_f32 v8, v13, v7, -v6
	v_fmac_f32_e32 v8, v13, v9
	v_add_f32_e32 v4, v6, v8
	v_sub_f32_e32 v7, v5, v4
	v_pk_add_f32 v[10:11], v[4:5], v[6:7] neg_lo:[0,1] neg_hi:[0,1]
	v_mov_b32_e32 v9, v4
	v_pk_add_f32 v[4:5], v[10:11], v[8:9] neg_lo:[0,1] neg_hi:[0,1]
	v_add_f32_e32 v4, v4, v5
	v_add_f32_e32 v4, v7, v4
	v_mul_f32_e32 v5, v12, v4
	v_add_f32_e32 v4, v13, v5
	v_sub_f32_e32 v6, v4, v13
	v_sub_f32_e32 v14, v5, v6
	v_mul_f32_e32 v5, v4, v4
	v_fma_f32 v7, v4, v4, -v5
	v_add_f32_e32 v6, v14, v14
	v_fmac_f32_e32 v7, v4, v6
	v_add_f32_e32 v6, v5, v7
	v_mov_b32_e32 v8, 0x3e91f4c4
	v_fmac_f32_e32 v8, 0x3e76c4e1, v6
	v_mov_b32_e32 v9, 0x3ecccdef
	v_fmac_f32_e32 v9, v6, v8
	v_sub_f32_e32 v5, v6, v5
	v_sub_f32_e32 v15, v7, v5
	v_mul_f32_e32 v5, v6, v9
	v_fma_f32 v7, v6, v9, -v5
	v_fmac_f32_e32 v7, v15, v9
	v_add_f32_e32 v8, v5, v7
	v_add_f32_e32 v9, 0x3f2aaaaa, v8
	v_sub_f32_e32 v5, v8, v5
	v_sub_f32_e32 v5, v7, v5
	v_add_f32_e32 v7, 0xbf2aaaaa, v9
	v_add_f32_e32 v5, 0x31739010, v5
	v_sub_f32_e32 v7, v8, v7
	v_pk_mul_f32 v[10:11], v[4:5], v[6:7]
	v_fma_f32 v8, v6, v4, -v10
	v_pk_add_f32 v[12:13], v[4:5], v[6:7]
	v_fmac_f32_e32 v8, v6, v14
	v_mov_b32_e32 v11, v13
	v_fmac_f32_e32 v8, v15, v4
	v_pk_add_f32 v[6:7], v[10:11], v[8:9]
	v_sub_f32_e32 v5, v6, v10
	v_sub_f32_e32 v5, v8, v5
	v_sub_f32_e32 v8, v9, v7
	v_add_f32_e32 v11, v13, v8
	v_mov_b32_e32 v8, v7
	v_pk_mul_f32 v[8:9], v[6:7], v[8:9]
	v_cvt_f64_f32_e32 v[12:13], v21
	v_frexp_exp_i32_f64_e32 v9, v[12:13]
	v_subbrev_co_u32_e64 v9, s[6:7], 0, v9, s[6:7]
	v_cvt_f32_i32_e32 v9, v9
	v_fma_f32 v10, v6, v7, -v8
	v_fmac_f32_e32 v10, v6, v11
	s_mov_b32 s6, 0x3f317218
	v_mul_f32_e32 v6, 0x3f317218, v9
	v_fmac_f32_e32 v10, v5, v7
	v_fma_f32 v12, v9, s6, -v6
	v_fmac_f32_e32 v12, 0xb102e308, v9
	v_ldexp_f32 v13, v4, 1
	v_add_f32_e32 v7, v8, v10
	v_pk_add_f32 v[4:5], v[6:7], v[12:13]
	v_ldexp_f32 v16, v14, 1
	v_mov_b32_e32 v14, v7
	v_mov_b32_e32 v15, v5
	;; [unrolled: 1-line block ×3, first 2 shown]
	v_pk_add_f32 v[8:9], v[14:15], v[8:9] neg_lo:[0,1] neg_hi:[0,1]
	v_mov_b32_e32 v11, v7
	v_pk_add_f32 v[8:9], v[10:11], v[8:9] neg_lo:[0,1] neg_hi:[0,1]
	v_add_f32_e32 v7, v16, v8
	v_add_f32_e32 v7, v7, v9
	v_pk_add_f32 v[8:9], v[4:5], v[6:7] neg_lo:[0,1] neg_hi:[0,1]
	v_pk_add_f32 v[10:11], v[4:5], v[6:7]
	v_mov_b32_e32 v14, v8
	v_mov_b32_e32 v15, v11
	;; [unrolled: 1-line block ×3, first 2 shown]
	v_pk_add_f32 v[14:15], v[12:13], v[14:15]
	v_mov_b32_e32 v6, v15
	v_pk_add_f32 v[16:17], v[6:7], v[4:5] neg_lo:[0,1] neg_hi:[0,1]
	v_mov_b32_e32 v17, v16
	v_mov_b32_e32 v14, v11
	;; [unrolled: 1-line block ×4, first 2 shown]
	v_pk_add_f32 v[8:9], v[12:13], v[8:9] neg_lo:[0,1] neg_hi:[0,1]
	v_pk_add_f32 v[18:19], v[10:11], v[16:17] neg_lo:[0,1] neg_hi:[0,1]
	;; [unrolled: 1-line block ×3, first 2 shown]
	v_mov_b32_e32 v12, v7
	v_pk_add_f32 v[4:5], v[12:13], v[4:5] neg_lo:[0,1] neg_hi:[0,1]
	v_mov_b32_e32 v18, v8
	v_pk_add_f32 v[10:11], v[18:19], v[4:5]
	v_mov_b32_e32 v12, v11
	v_pk_add_f32 v[12:13], v[10:11], v[12:13]
	v_pk_add_f32 v[6:7], v[6:7], v[12:13]
	v_mov_b32_e32 v9, v15
	v_mov_b32_e32 v11, v6
	v_pk_add_f32 v[14:15], v[10:11], v[8:9] neg_lo:[0,1] neg_hi:[0,1]
	v_mov_b32_e32 v5, v12
	v_sub_f32_e32 v7, v10, v14
	v_pk_add_f32 v[4:5], v[4:5], v[14:15] neg_lo:[0,1] neg_hi:[0,1]
	v_sub_f32_e32 v7, v8, v7
	v_add_f32_e32 v4, v4, v7
	v_add_f32_e32 v4, v4, v5
	;; [unrolled: 1-line block ×3, first 2 shown]
	v_sub_f32_e32 v6, v5, v6
	v_sub_f32_e32 v4, v4, v6
	v_mul_f32_e32 v6, v20, v5
	v_fma_f32 v5, v20, v5, -v6
	v_fmac_f32_e32 v5, v20, v4
	s_movk_i32 s8, 0x204
	v_add_f32_e32 v4, v6, v5
	v_cmp_class_f32_e64 s[6:7], v6, s8
	v_sub_f32_e32 v7, v4, v6
	v_cndmask_b32_e64 v4, v4, v6, s[6:7]
	s_mov_b32 s12, 0x42b17218
	v_mov_b32_e32 v6, 0x37000000
	v_cmp_eq_f32_e64 s[6:7], s12, v4
	v_cndmask_b32_e64 v6, 0, v6, s[6:7]
	v_sub_f32_e32 v5, v5, v7
	v_sub_f32_e32 v7, v4, v6
	s_mov_b32 s6, 0x3fb8aa3b
	v_mul_f32_e32 v8, 0x3fb8aa3b, v7
	v_fma_f32 v9, v7, s6, -v8
	v_rndne_f32_e32 v10, v8
	v_fmac_f32_e32 v9, 0x32a5705f, v7
	v_sub_f32_e32 v8, v8, v10
	v_add_f32_e32 v8, v8, v9
	v_exp_f32_e32 v8, v8
	v_cvt_i32_f32_e32 v9, v10
	s_mov_b32 s9, 0x7f800000
	v_cmp_neq_f32_e64 s[6:7], |v4|, s9
	v_cndmask_b32_e64 v4, 0, v5, s[6:7]
	s_mov_b32 s6, 0xc2ce8ed0
	v_ldexp_f32 v5, v8, v9
	v_cmp_ngt_f32_e64 s[6:7], s6, v7
	v_add_f32_e32 v4, v6, v4
	v_cndmask_b32_e64 v5, 0, v5, s[6:7]
	v_mov_b32_e32 v6, 0x7f800000
	v_cmp_nlt_f32_e64 s[6:7], s12, v7
	v_cndmask_b32_e64 v5, v6, v5, s[6:7]
	v_fma_f32 v4, v5, v4, v5
	v_cmp_class_f32_e64 s[6:7], v5, s8
	v_cndmask_b32_e64 v4, v4, v5, s[6:7]
	v_trunc_f32_e32 v5, v20
	v_cndmask_b32_e64 v2, v2, 1.0, s[4:5]
	v_cmp_eq_f32_e64 s[4:5], v5, v20
	v_mul_f32_e32 v5, 0.5, v20
	v_trunc_f32_e32 v8, v5
	v_cmp_neq_f32_e64 s[6:7], v8, v5
	s_and_b64 s[6:7], s[4:5], s[6:7]
	v_cndmask_b32_e64 v5, 1.0, v2, s[6:7]
	s_brev_b32 s12, -2
	v_mov_b32_e32 v7, 0x7fc00000
	v_bfi_b32 v4, s12, v4, v5
	v_cndmask_b32_e64 v5, v7, v4, s[4:5]
	v_cmp_gt_f32_e64 s[4:5], 0, v2
	v_cndmask_b32_e64 v3, |v3|, 1.0, vcc
	v_cndmask_b32_e64 v4, v4, v5, s[4:5]
	v_cmp_neq_f32_e32 vcc, v20, v3
	v_cmp_gt_f32_e64 s[4:5], 1.0, v21
	s_xor_b64 s[4:5], vcc, s[4:5]
	v_cndmask_b32_e64 v5, v3, 0, s[4:5]
	v_cmp_eq_f32_e32 vcc, 1.0, v21
	v_cndmask_b32_e32 v5, v5, v21, vcc
	v_cmp_eq_f32_e32 vcc, s9, v3
	v_cndmask_b32_e32 v3, v4, v5, vcc
	v_cmp_eq_f32_e32 vcc, s9, v21
	v_cmp_eq_f32_e64 s[4:5], 0, v2
	v_cmp_gt_f32_e64 s[8:9], 0, v20
	s_xor_b64 s[8:9], s[8:9], s[4:5]
	v_cndmask_b32_e64 v4, v6, 0, s[8:9]
	v_cndmask_b32_e64 v5, 0, v2, s[6:7]
	v_bfi_b32 v4, s12, v4, v5
	s_or_b64 vcc, vcc, s[4:5]
	v_cndmask_b32_e32 v3, v3, v4, vcc
	v_cmp_o_f32_e32 vcc, v2, v20
	v_cndmask_b32_e32 v2, v7, v3, vcc
	v_mul_f32_e32 v0, v2, v0
	v_mul_f32_e32 v0, v0, v1
	v_cmp_o_f32_e32 vcc, v0, v0
	v_cndmask_b32_e32 v1, 0, v0, vcc
	s_or_b64 exec, exec, s[10:11]
	v_mov_b32_e32 v0, v1
	s_setpc_b64 s[30:31]
.LBB223_150:
	s_or_b64 exec, exec, s[8:9]
                                        ; implicit-def: $vgpr2_vgpr3
                                        ; implicit-def: $vgpr4
	s_andn2_saveexec_b64 s[12:13], s[12:13]
	s_cbranch_execnz .LBB223_57
	s_branch .LBB223_102
.Lfunc_end223:
	.size	_ZZZZN2at6native28launch_dirichlet_grad_kernelERNS_18TensorIteratorBaseEENKUlvE_clEvENKUlvE0_clEvENKUlfffE_clEfff, .Lfunc_end223-_ZZZZN2at6native28launch_dirichlet_grad_kernelERNS_18TensorIteratorBaseEENKUlvE_clEvENKUlvE0_clEvENKUlfffE_clEfff
                                        ; -- End function
	.section	.AMDGPU.csdata,"",@progbits
; Function info:
; codeLenInByte = 20108
; NumSgprs: 36
; NumVgprs: 38
; NumAgprs: 0
; TotalNumVgprs: 38
; ScratchSize: 0
; MemoryBound: 0
	.section	.text._ZN2at6native29vectorized_elementwise_kernelILi16EZZZNS0_28launch_dirichlet_grad_kernelERNS_18TensorIteratorBaseEENKUlvE_clEvENKUlvE0_clEvEUlfffE_St5arrayIPcLm4EEEEviT0_T1_,"axG",@progbits,_ZN2at6native29vectorized_elementwise_kernelILi16EZZZNS0_28launch_dirichlet_grad_kernelERNS_18TensorIteratorBaseEENKUlvE_clEvENKUlvE0_clEvEUlfffE_St5arrayIPcLm4EEEEviT0_T1_,comdat
	.globl	_ZN2at6native29vectorized_elementwise_kernelILi16EZZZNS0_28launch_dirichlet_grad_kernelERNS_18TensorIteratorBaseEENKUlvE_clEvENKUlvE0_clEvEUlfffE_St5arrayIPcLm4EEEEviT0_T1_ ; -- Begin function _ZN2at6native29vectorized_elementwise_kernelILi16EZZZNS0_28launch_dirichlet_grad_kernelERNS_18TensorIteratorBaseEENKUlvE_clEvENKUlvE0_clEvEUlfffE_St5arrayIPcLm4EEEEviT0_T1_
	.p2align	8
	.type	_ZN2at6native29vectorized_elementwise_kernelILi16EZZZNS0_28launch_dirichlet_grad_kernelERNS_18TensorIteratorBaseEENKUlvE_clEvENKUlvE0_clEvEUlfffE_St5arrayIPcLm4EEEEviT0_T1_,@function
_ZN2at6native29vectorized_elementwise_kernelILi16EZZZNS0_28launch_dirichlet_grad_kernelERNS_18TensorIteratorBaseEENKUlvE_clEvENKUlvE0_clEvEUlfffE_St5arrayIPcLm4EEEEviT0_T1_: ; @_ZN2at6native29vectorized_elementwise_kernelILi16EZZZNS0_28launch_dirichlet_grad_kernelERNS_18TensorIteratorBaseEENKUlvE_clEvENKUlvE0_clEvEUlfffE_St5arrayIPcLm4EEEEviT0_T1_
; %bb.0:
	s_add_u32 flat_scratch_lo, s6, s9
	s_load_dword s6, s[4:5], 0x0
	s_load_dwordx8 s[36:43], s[4:5], 0x8
	s_addc_u32 flat_scratch_hi, s7, 0
	s_add_u32 s0, s0, s9
	s_addc_u32 s1, s1, 0
	s_lshl_b32 s34, s8, 10
	s_waitcnt lgkmcnt(0)
	s_sub_i32 s33, s6, s34
	v_mov_b32_e32 v42, v0
	s_cmpk_gt_i32 s33, 0x3ff
	s_mov_b64 s[4:5], -1
	s_mov_b32 s32, 0
	s_cbranch_scc0 .LBB224_2
; %bb.1:
	s_ashr_i32 s35, s34, 31
	s_lshl_b64 s[28:29], s[34:35], 2
	s_add_u32 s4, s38, s28
	s_addc_u32 s5, s39, s29
	s_add_u32 s6, s40, s28
	v_lshlrev_b32_e32 v43, 4, v42
	s_addc_u32 s7, s41, s29
	global_load_dwordx4 v[38:41], v43, s[4:5]
	global_load_dwordx4 v[44:47], v43, s[6:7]
	s_add_u32 s4, s42, s28
	s_addc_u32 s5, s43, s29
	global_load_dwordx4 v[48:51], v43, s[4:5]
	s_getpc_b64 s[44:45]
	s_add_u32 s44, s44, _ZZZZN2at6native28launch_dirichlet_grad_kernelERNS_18TensorIteratorBaseEENKUlvE_clEvENKUlvE0_clEvENKUlfffE_clEfff@rel32@lo+4
	s_addc_u32 s45, s45, _ZZZZN2at6native28launch_dirichlet_grad_kernelERNS_18TensorIteratorBaseEENKUlvE_clEvENKUlvE0_clEvENKUlfffE_clEfff@rel32@hi+12
	s_waitcnt vmcnt(2)
	v_mov_b32_e32 v0, v38
	s_waitcnt vmcnt(1)
	v_mov_b32_e32 v1, v44
	;; [unrolled: 2-line block ×3, first 2 shown]
	s_swappc_b64 s[30:31], s[44:45]
	v_mov_b32_e32 v38, v0
	v_mov_b32_e32 v0, v39
	v_mov_b32_e32 v1, v45
	v_mov_b32_e32 v2, v49
	s_swappc_b64 s[30:31], s[44:45]
	v_mov_b32_e32 v39, v0
	v_mov_b32_e32 v0, v40
	v_mov_b32_e32 v1, v46
	v_mov_b32_e32 v2, v50
	;; [unrolled: 5-line block ×3, first 2 shown]
	s_swappc_b64 s[30:31], s[44:45]
	s_add_u32 s4, s36, s28
	v_mov_b32_e32 v41, v0
	s_addc_u32 s5, s37, s29
	global_store_dwordx4 v43, v[38:41], s[4:5]
	s_mov_b64 s[4:5], 0
.LBB224_2:
	s_andn2_b64 vcc, exec, s[4:5]
	s_cbranch_vccnz .LBB224_23
; %bb.3:
	v_cmp_gt_i32_e64 s[28:29], s33, v42
	v_mov_b32_e32 v43, 0
	v_or_b32_e32 v52, s34, v42
	v_mov_b32_e32 v0, 0
	v_mov_b32_e32 v1, 0
	;; [unrolled: 1-line block ×4, first 2 shown]
	s_and_saveexec_b64 s[4:5], s[28:29]
	s_cbranch_execz .LBB224_5
; %bb.4:
	v_mov_b32_e32 v53, 0
	v_lshlrev_b64 v[0:1], 2, v[52:53]
	v_mov_b32_e32 v2, s39
	v_add_co_u32_e32 v4, vcc, s38, v0
	v_addc_co_u32_e32 v5, vcc, v2, v1, vcc
	v_mov_b32_e32 v2, s41
	v_add_co_u32_e32 v6, vcc, s40, v0
	v_addc_co_u32_e32 v7, vcc, v2, v1, vcc
	;; [unrolled: 3-line block ×3, first 2 shown]
	global_load_dword v0, v[4:5], off
	global_load_dword v1, v[6:7], off
	;; [unrolled: 1-line block ×3, first 2 shown]
	v_or_b32_e32 v3, 0x100, v42
.LBB224_5:
	s_or_b64 exec, exec, s[4:5]
	v_cmp_gt_i32_e32 vcc, s33, v3
	v_mov_b32_e32 v44, 0
	v_mov_b32_e32 v45, 0
	s_and_saveexec_b64 s[4:5], vcc
	s_cbranch_execz .LBB224_7
; %bb.6:
	v_add_u32_e32 v4, s34, v3
	v_mov_b32_e32 v5, 0
	v_lshlrev_b64 v[4:5], 2, v[4:5]
	v_mov_b32_e32 v7, s39
	v_add_co_u32_e32 v6, vcc, s38, v4
	v_addc_co_u32_e32 v7, vcc, v7, v5, vcc
	v_mov_b32_e32 v9, s41
	v_add_co_u32_e32 v8, vcc, s40, v4
	v_addc_co_u32_e32 v9, vcc, v9, v5, vcc
	;; [unrolled: 3-line block ×3, first 2 shown]
	global_load_dword v43, v[6:7], off
	global_load_dword v44, v[8:9], off
	;; [unrolled: 1-line block ×3, first 2 shown]
	v_add_u32_e32 v3, 0x100, v3
.LBB224_7:
	s_or_b64 exec, exec, s[4:5]
	v_cmp_gt_i32_e32 vcc, s33, v3
	v_mov_b32_e32 v46, 0
	v_mov_b32_e32 v47, 0
	;; [unrolled: 1-line block ×4, first 2 shown]
	s_and_saveexec_b64 s[4:5], vcc
	s_cbranch_execz .LBB224_9
; %bb.8:
	v_add_u32_e32 v4, s34, v3
	v_mov_b32_e32 v5, 0
	v_lshlrev_b64 v[4:5], 2, v[4:5]
	v_mov_b32_e32 v7, s39
	v_add_co_u32_e32 v6, vcc, s38, v4
	v_addc_co_u32_e32 v7, vcc, v7, v5, vcc
	v_mov_b32_e32 v9, s41
	v_add_co_u32_e32 v8, vcc, s40, v4
	v_addc_co_u32_e32 v9, vcc, v9, v5, vcc
	;; [unrolled: 3-line block ×3, first 2 shown]
	global_load_dword v47, v[6:7], off
	global_load_dword v48, v[8:9], off
	;; [unrolled: 1-line block ×3, first 2 shown]
	v_add_u32_e32 v3, 0x100, v3
.LBB224_9:
	s_or_b64 exec, exec, s[4:5]
	v_cmp_gt_i32_e32 vcc, s33, v3
	v_mov_b32_e32 v50, 0
	v_mov_b32_e32 v51, 0
	s_and_saveexec_b64 s[4:5], vcc
	s_cbranch_execz .LBB224_11
; %bb.10:
	v_add_u32_e32 v4, s34, v3
	v_mov_b32_e32 v5, 0
	v_lshlrev_b64 v[4:5], 2, v[4:5]
	v_mov_b32_e32 v3, s39
	v_add_co_u32_e32 v6, vcc, s38, v4
	v_addc_co_u32_e32 v7, vcc, v3, v5, vcc
	v_mov_b32_e32 v3, s41
	v_add_co_u32_e32 v8, vcc, s40, v4
	v_addc_co_u32_e32 v9, vcc, v3, v5, vcc
	;; [unrolled: 3-line block ×3, first 2 shown]
	global_load_dword v46, v[6:7], off
	global_load_dword v50, v[8:9], off
	;; [unrolled: 1-line block ×3, first 2 shown]
.LBB224_11:
	s_or_b64 exec, exec, s[4:5]
                                        ; implicit-def: $vgpr38_vgpr39_vgpr40_vgpr41
	s_and_saveexec_b64 s[38:39], s[28:29]
	s_cbranch_execz .LBB224_13
; %bb.12:
	s_getpc_b64 s[4:5]
	s_add_u32 s4, s4, _ZZZZN2at6native28launch_dirichlet_grad_kernelERNS_18TensorIteratorBaseEENKUlvE_clEvENKUlvE0_clEvENKUlfffE_clEfff@rel32@lo+4
	s_addc_u32 s5, s5, _ZZZZN2at6native28launch_dirichlet_grad_kernelERNS_18TensorIteratorBaseEENKUlvE_clEvENKUlvE0_clEvENKUlfffE_clEfff@rel32@hi+12
	s_swappc_b64 s[30:31], s[4:5]
	v_mov_b32_e32 v38, v0
.LBB224_13:
	s_or_b64 exec, exec, s[38:39]
	v_or_b32_e32 v54, 0x100, v42
	v_cmp_gt_i32_e32 vcc, s33, v54
	s_and_saveexec_b64 s[38:39], vcc
	s_cbranch_execz .LBB224_15
; %bb.14:
	s_waitcnt vmcnt(2)
	v_mov_b32_e32 v0, v43
	s_waitcnt vmcnt(1)
	v_mov_b32_e32 v1, v44
	;; [unrolled: 2-line block ×3, first 2 shown]
	s_getpc_b64 s[4:5]
	s_add_u32 s4, s4, _ZZZZN2at6native28launch_dirichlet_grad_kernelERNS_18TensorIteratorBaseEENKUlvE_clEvENKUlvE0_clEvENKUlfffE_clEfff@rel32@lo+4
	s_addc_u32 s5, s5, _ZZZZN2at6native28launch_dirichlet_grad_kernelERNS_18TensorIteratorBaseEENKUlvE_clEvENKUlvE0_clEvENKUlfffE_clEfff@rel32@hi+12
	s_swappc_b64 s[30:31], s[4:5]
	v_mov_b32_e32 v39, v0
.LBB224_15:
	s_or_b64 exec, exec, s[38:39]
	s_waitcnt vmcnt(2)
	v_or_b32_e32 v0, 0x200, v42
	v_cmp_gt_i32_e32 vcc, s33, v0
	s_and_saveexec_b64 s[38:39], vcc
	s_cbranch_execz .LBB224_17
; %bb.16:
	v_mov_b32_e32 v0, v47
	s_waitcnt vmcnt(1)
	v_mov_b32_e32 v1, v48
	s_waitcnt vmcnt(0)
	v_mov_b32_e32 v2, v49
	s_getpc_b64 s[4:5]
	s_add_u32 s4, s4, _ZZZZN2at6native28launch_dirichlet_grad_kernelERNS_18TensorIteratorBaseEENKUlvE_clEvENKUlvE0_clEvENKUlfffE_clEfff@rel32@lo+4
	s_addc_u32 s5, s5, _ZZZZN2at6native28launch_dirichlet_grad_kernelERNS_18TensorIteratorBaseEENKUlvE_clEvENKUlvE0_clEvENKUlfffE_clEfff@rel32@hi+12
	s_swappc_b64 s[30:31], s[4:5]
	v_mov_b32_e32 v40, v0
.LBB224_17:
	s_or_b64 exec, exec, s[38:39]
	v_or_b32_e32 v0, 0x300, v42
	v_cmp_gt_i32_e32 vcc, s33, v0
	s_and_saveexec_b64 s[38:39], vcc
	s_cbranch_execnz .LBB224_24
; %bb.18:
	s_or_b64 exec, exec, s[38:39]
	s_and_saveexec_b64 s[4:5], s[28:29]
	s_xor_b64 s[4:5], exec, s[4:5]
	s_cbranch_execnz .LBB224_25
.LBB224_19:
	s_or_b64 exec, exec, s[4:5]
	v_cmp_gt_i32_e32 vcc, s33, v42
	s_and_saveexec_b64 s[4:5], vcc
	s_cbranch_execnz .LBB224_26
.LBB224_20:
	s_or_b64 exec, exec, s[4:5]
	v_cmp_gt_i32_e32 vcc, s33, v42
	s_and_saveexec_b64 s[4:5], vcc
	s_cbranch_execnz .LBB224_27
.LBB224_21:
	s_or_b64 exec, exec, s[4:5]
	v_cmp_gt_i32_e32 vcc, s33, v42
	s_and_saveexec_b64 s[4:5], vcc
	s_cbranch_execz .LBB224_23
.LBB224_22:
	v_add_u32_e32 v0, s34, v42
	s_waitcnt vmcnt(1)
	v_mov_b32_e32 v1, 0
	v_lshlrev_b64 v[0:1], 2, v[0:1]
	s_waitcnt vmcnt(0)
	v_mov_b32_e32 v2, s37
	v_add_co_u32_e32 v0, vcc, s36, v0
	v_addc_co_u32_e32 v1, vcc, v2, v1, vcc
	global_store_dword v[0:1], v41, off
.LBB224_23:
	s_endpgm
.LBB224_24:
	v_mov_b32_e32 v0, v46
	s_waitcnt vmcnt(1)
	v_mov_b32_e32 v1, v50
	s_waitcnt vmcnt(0)
	v_mov_b32_e32 v2, v51
	s_getpc_b64 s[4:5]
	s_add_u32 s4, s4, _ZZZZN2at6native28launch_dirichlet_grad_kernelERNS_18TensorIteratorBaseEENKUlvE_clEvENKUlvE0_clEvENKUlfffE_clEfff@rel32@lo+4
	s_addc_u32 s5, s5, _ZZZZN2at6native28launch_dirichlet_grad_kernelERNS_18TensorIteratorBaseEENKUlvE_clEvENKUlvE0_clEvENKUlfffE_clEfff@rel32@hi+12
	s_swappc_b64 s[30:31], s[4:5]
	v_mov_b32_e32 v41, v0
	s_or_b64 exec, exec, s[38:39]
	s_and_saveexec_b64 s[4:5], s[28:29]
	s_xor_b64 s[4:5], exec, s[4:5]
	s_cbranch_execz .LBB224_19
.LBB224_25:
	v_mov_b32_e32 v53, 0
	s_waitcnt vmcnt(1)
	v_lshlrev_b64 v[0:1], 2, v[52:53]
	s_waitcnt vmcnt(0)
	v_mov_b32_e32 v2, s37
	v_add_co_u32_e32 v0, vcc, s36, v0
	v_addc_co_u32_e32 v1, vcc, v2, v1, vcc
	v_mov_b32_e32 v42, v54
	global_store_dword v[0:1], v38, off
	s_or_b64 exec, exec, s[4:5]
	v_cmp_gt_i32_e32 vcc, s33, v42
	s_and_saveexec_b64 s[4:5], vcc
	s_cbranch_execz .LBB224_20
.LBB224_26:
	v_add_u32_e32 v0, s34, v42
	s_waitcnt vmcnt(1)
	v_mov_b32_e32 v1, 0
	v_lshlrev_b64 v[0:1], 2, v[0:1]
	s_waitcnt vmcnt(0)
	v_mov_b32_e32 v2, s37
	v_add_co_u32_e32 v0, vcc, s36, v0
	v_addc_co_u32_e32 v1, vcc, v2, v1, vcc
	v_add_u32_e32 v42, 0x100, v42
	global_store_dword v[0:1], v39, off
	s_or_b64 exec, exec, s[4:5]
	v_cmp_gt_i32_e32 vcc, s33, v42
	s_and_saveexec_b64 s[4:5], vcc
	s_cbranch_execz .LBB224_21
.LBB224_27:
	v_add_u32_e32 v0, s34, v42
	s_waitcnt vmcnt(1)
	v_mov_b32_e32 v1, 0
	v_lshlrev_b64 v[0:1], 2, v[0:1]
	s_waitcnt vmcnt(0)
	v_mov_b32_e32 v2, s37
	v_add_co_u32_e32 v0, vcc, s36, v0
	v_addc_co_u32_e32 v1, vcc, v2, v1, vcc
	v_add_u32_e32 v42, 0x100, v42
	global_store_dword v[0:1], v40, off
	s_or_b64 exec, exec, s[4:5]
	v_cmp_gt_i32_e32 vcc, s33, v42
	s_and_saveexec_b64 s[4:5], vcc
	s_cbranch_execnz .LBB224_22
	s_branch .LBB224_23
	.section	.rodata,"a",@progbits
	.p2align	6, 0x0
	.amdhsa_kernel _ZN2at6native29vectorized_elementwise_kernelILi16EZZZNS0_28launch_dirichlet_grad_kernelERNS_18TensorIteratorBaseEENKUlvE_clEvENKUlvE0_clEvEUlfffE_St5arrayIPcLm4EEEEviT0_T1_
		.amdhsa_group_segment_fixed_size 0
		.amdhsa_private_segment_fixed_size 0
		.amdhsa_kernarg_size 40
		.amdhsa_user_sgpr_count 8
		.amdhsa_user_sgpr_private_segment_buffer 1
		.amdhsa_user_sgpr_dispatch_ptr 0
		.amdhsa_user_sgpr_queue_ptr 0
		.amdhsa_user_sgpr_kernarg_segment_ptr 1
		.amdhsa_user_sgpr_dispatch_id 0
		.amdhsa_user_sgpr_flat_scratch_init 1
		.amdhsa_user_sgpr_kernarg_preload_length 0
		.amdhsa_user_sgpr_kernarg_preload_offset 0
		.amdhsa_user_sgpr_private_segment_size 0
		.amdhsa_uses_dynamic_stack 0
		.amdhsa_system_sgpr_private_segment_wavefront_offset 0
		.amdhsa_system_sgpr_workgroup_id_x 1
		.amdhsa_system_sgpr_workgroup_id_y 0
		.amdhsa_system_sgpr_workgroup_id_z 0
		.amdhsa_system_sgpr_workgroup_info 0
		.amdhsa_system_vgpr_workitem_id 0
		.amdhsa_next_free_vgpr 55
		.amdhsa_next_free_sgpr 46
		.amdhsa_accum_offset 56
		.amdhsa_reserve_vcc 1
		.amdhsa_reserve_flat_scratch 1
		.amdhsa_float_round_mode_32 0
		.amdhsa_float_round_mode_16_64 0
		.amdhsa_float_denorm_mode_32 3
		.amdhsa_float_denorm_mode_16_64 3
		.amdhsa_dx10_clamp 1
		.amdhsa_ieee_mode 1
		.amdhsa_fp16_overflow 0
		.amdhsa_tg_split 0
		.amdhsa_exception_fp_ieee_invalid_op 0
		.amdhsa_exception_fp_denorm_src 0
		.amdhsa_exception_fp_ieee_div_zero 0
		.amdhsa_exception_fp_ieee_overflow 0
		.amdhsa_exception_fp_ieee_underflow 0
		.amdhsa_exception_fp_ieee_inexact 0
		.amdhsa_exception_int_div_zero 0
	.end_amdhsa_kernel
	.section	.text._ZN2at6native29vectorized_elementwise_kernelILi16EZZZNS0_28launch_dirichlet_grad_kernelERNS_18TensorIteratorBaseEENKUlvE_clEvENKUlvE0_clEvEUlfffE_St5arrayIPcLm4EEEEviT0_T1_,"axG",@progbits,_ZN2at6native29vectorized_elementwise_kernelILi16EZZZNS0_28launch_dirichlet_grad_kernelERNS_18TensorIteratorBaseEENKUlvE_clEvENKUlvE0_clEvEUlfffE_St5arrayIPcLm4EEEEviT0_T1_,comdat
.Lfunc_end224:
	.size	_ZN2at6native29vectorized_elementwise_kernelILi16EZZZNS0_28launch_dirichlet_grad_kernelERNS_18TensorIteratorBaseEENKUlvE_clEvENKUlvE0_clEvEUlfffE_St5arrayIPcLm4EEEEviT0_T1_, .Lfunc_end224-_ZN2at6native29vectorized_elementwise_kernelILi16EZZZNS0_28launch_dirichlet_grad_kernelERNS_18TensorIteratorBaseEENKUlvE_clEvENKUlvE0_clEvEUlfffE_St5arrayIPcLm4EEEEviT0_T1_
                                        ; -- End function
	.section	.AMDGPU.csdata,"",@progbits
; Kernel info:
; codeLenInByte = 1300
; NumSgprs: 52
; NumVgprs: 55
; NumAgprs: 0
; TotalNumVgprs: 55
; ScratchSize: 0
; MemoryBound: 0
; FloatMode: 240
; IeeeMode: 1
; LDSByteSize: 0 bytes/workgroup (compile time only)
; SGPRBlocks: 6
; VGPRBlocks: 6
; NumSGPRsForWavesPerEU: 52
; NumVGPRsForWavesPerEU: 55
; AccumOffset: 56
; Occupancy: 8
; WaveLimiterHint : 0
; COMPUTE_PGM_RSRC2:SCRATCH_EN: 0
; COMPUTE_PGM_RSRC2:USER_SGPR: 8
; COMPUTE_PGM_RSRC2:TRAP_HANDLER: 0
; COMPUTE_PGM_RSRC2:TGID_X_EN: 1
; COMPUTE_PGM_RSRC2:TGID_Y_EN: 0
; COMPUTE_PGM_RSRC2:TGID_Z_EN: 0
; COMPUTE_PGM_RSRC2:TIDIG_COMP_CNT: 0
; COMPUTE_PGM_RSRC3_GFX90A:ACCUM_OFFSET: 13
; COMPUTE_PGM_RSRC3_GFX90A:TG_SPLIT: 0
	.section	.text._ZN2at6native29vectorized_elementwise_kernelILi8EZZZNS0_28launch_dirichlet_grad_kernelERNS_18TensorIteratorBaseEENKUlvE_clEvENKUlvE0_clEvEUlfffE_St5arrayIPcLm4EEEEviT0_T1_,"axG",@progbits,_ZN2at6native29vectorized_elementwise_kernelILi8EZZZNS0_28launch_dirichlet_grad_kernelERNS_18TensorIteratorBaseEENKUlvE_clEvENKUlvE0_clEvEUlfffE_St5arrayIPcLm4EEEEviT0_T1_,comdat
	.globl	_ZN2at6native29vectorized_elementwise_kernelILi8EZZZNS0_28launch_dirichlet_grad_kernelERNS_18TensorIteratorBaseEENKUlvE_clEvENKUlvE0_clEvEUlfffE_St5arrayIPcLm4EEEEviT0_T1_ ; -- Begin function _ZN2at6native29vectorized_elementwise_kernelILi8EZZZNS0_28launch_dirichlet_grad_kernelERNS_18TensorIteratorBaseEENKUlvE_clEvENKUlvE0_clEvEUlfffE_St5arrayIPcLm4EEEEviT0_T1_
	.p2align	8
	.type	_ZN2at6native29vectorized_elementwise_kernelILi8EZZZNS0_28launch_dirichlet_grad_kernelERNS_18TensorIteratorBaseEENKUlvE_clEvENKUlvE0_clEvEUlfffE_St5arrayIPcLm4EEEEviT0_T1_,@function
_ZN2at6native29vectorized_elementwise_kernelILi8EZZZNS0_28launch_dirichlet_grad_kernelERNS_18TensorIteratorBaseEENKUlvE_clEvENKUlvE0_clEvEUlfffE_St5arrayIPcLm4EEEEviT0_T1_: ; @_ZN2at6native29vectorized_elementwise_kernelILi8EZZZNS0_28launch_dirichlet_grad_kernelERNS_18TensorIteratorBaseEENKUlvE_clEvENKUlvE0_clEvEUlfffE_St5arrayIPcLm4EEEEviT0_T1_
; %bb.0:
	s_add_u32 flat_scratch_lo, s6, s9
	s_load_dword s6, s[4:5], 0x0
	s_load_dwordx8 s[36:43], s[4:5], 0x8
	s_addc_u32 flat_scratch_hi, s7, 0
	s_add_u32 s0, s0, s9
	s_addc_u32 s1, s1, 0
	s_lshl_b32 s34, s8, 10
	s_waitcnt lgkmcnt(0)
	s_sub_i32 s33, s6, s34
	v_mov_b32_e32 v42, v0
	s_cmpk_gt_i32 s33, 0x3ff
	s_mov_b64 s[4:5], -1
	s_mov_b32 s32, 0
	s_cbranch_scc0 .LBB225_2
; %bb.1:
	s_ashr_i32 s35, s34, 31
	s_lshl_b64 s[28:29], s[34:35], 2
	s_add_u32 s4, s38, s28
	s_addc_u32 s5, s39, s29
	s_add_u32 s6, s40, s28
	v_lshlrev_b32_e32 v43, 4, v42
	s_addc_u32 s7, s41, s29
	global_load_dwordx4 v[38:41], v43, s[4:5]
	global_load_dwordx4 v[44:47], v43, s[6:7]
	s_add_u32 s4, s42, s28
	s_addc_u32 s5, s43, s29
	global_load_dwordx4 v[48:51], v43, s[4:5]
	s_getpc_b64 s[44:45]
	s_add_u32 s44, s44, _ZZZZN2at6native28launch_dirichlet_grad_kernelERNS_18TensorIteratorBaseEENKUlvE_clEvENKUlvE0_clEvENKUlfffE_clEfff@rel32@lo+4
	s_addc_u32 s45, s45, _ZZZZN2at6native28launch_dirichlet_grad_kernelERNS_18TensorIteratorBaseEENKUlvE_clEvENKUlvE0_clEvENKUlfffE_clEfff@rel32@hi+12
	s_waitcnt vmcnt(2)
	v_mov_b32_e32 v0, v38
	s_waitcnt vmcnt(1)
	v_mov_b32_e32 v1, v44
	;; [unrolled: 2-line block ×3, first 2 shown]
	s_swappc_b64 s[30:31], s[44:45]
	v_mov_b32_e32 v38, v0
	v_mov_b32_e32 v0, v39
	v_mov_b32_e32 v1, v45
	v_mov_b32_e32 v2, v49
	s_swappc_b64 s[30:31], s[44:45]
	v_mov_b32_e32 v39, v0
	v_mov_b32_e32 v0, v40
	v_mov_b32_e32 v1, v46
	v_mov_b32_e32 v2, v50
	;; [unrolled: 5-line block ×3, first 2 shown]
	s_swappc_b64 s[30:31], s[44:45]
	s_add_u32 s4, s36, s28
	v_mov_b32_e32 v41, v0
	s_addc_u32 s5, s37, s29
	global_store_dwordx4 v43, v[38:41], s[4:5]
	s_mov_b64 s[4:5], 0
.LBB225_2:
	s_andn2_b64 vcc, exec, s[4:5]
	s_cbranch_vccnz .LBB225_23
; %bb.3:
	v_cmp_gt_i32_e64 s[28:29], s33, v42
	v_mov_b32_e32 v43, 0
	v_or_b32_e32 v52, s34, v42
	v_mov_b32_e32 v0, 0
	v_mov_b32_e32 v1, 0
	;; [unrolled: 1-line block ×4, first 2 shown]
	s_and_saveexec_b64 s[4:5], s[28:29]
	s_cbranch_execz .LBB225_5
; %bb.4:
	v_mov_b32_e32 v53, 0
	v_lshlrev_b64 v[0:1], 2, v[52:53]
	v_mov_b32_e32 v2, s39
	v_add_co_u32_e32 v4, vcc, s38, v0
	v_addc_co_u32_e32 v5, vcc, v2, v1, vcc
	v_mov_b32_e32 v2, s41
	v_add_co_u32_e32 v6, vcc, s40, v0
	v_addc_co_u32_e32 v7, vcc, v2, v1, vcc
	;; [unrolled: 3-line block ×3, first 2 shown]
	global_load_dword v0, v[4:5], off
	global_load_dword v1, v[6:7], off
	;; [unrolled: 1-line block ×3, first 2 shown]
	v_or_b32_e32 v3, 0x100, v42
.LBB225_5:
	s_or_b64 exec, exec, s[4:5]
	v_cmp_gt_i32_e32 vcc, s33, v3
	v_mov_b32_e32 v44, 0
	v_mov_b32_e32 v45, 0
	s_and_saveexec_b64 s[4:5], vcc
	s_cbranch_execz .LBB225_7
; %bb.6:
	v_add_u32_e32 v4, s34, v3
	v_mov_b32_e32 v5, 0
	v_lshlrev_b64 v[4:5], 2, v[4:5]
	v_mov_b32_e32 v7, s39
	v_add_co_u32_e32 v6, vcc, s38, v4
	v_addc_co_u32_e32 v7, vcc, v7, v5, vcc
	v_mov_b32_e32 v9, s41
	v_add_co_u32_e32 v8, vcc, s40, v4
	v_addc_co_u32_e32 v9, vcc, v9, v5, vcc
	;; [unrolled: 3-line block ×3, first 2 shown]
	global_load_dword v43, v[6:7], off
	global_load_dword v44, v[8:9], off
	;; [unrolled: 1-line block ×3, first 2 shown]
	v_add_u32_e32 v3, 0x100, v3
.LBB225_7:
	s_or_b64 exec, exec, s[4:5]
	v_cmp_gt_i32_e32 vcc, s33, v3
	v_mov_b32_e32 v46, 0
	v_mov_b32_e32 v47, 0
	;; [unrolled: 1-line block ×4, first 2 shown]
	s_and_saveexec_b64 s[4:5], vcc
	s_cbranch_execz .LBB225_9
; %bb.8:
	v_add_u32_e32 v4, s34, v3
	v_mov_b32_e32 v5, 0
	v_lshlrev_b64 v[4:5], 2, v[4:5]
	v_mov_b32_e32 v7, s39
	v_add_co_u32_e32 v6, vcc, s38, v4
	v_addc_co_u32_e32 v7, vcc, v7, v5, vcc
	v_mov_b32_e32 v9, s41
	v_add_co_u32_e32 v8, vcc, s40, v4
	v_addc_co_u32_e32 v9, vcc, v9, v5, vcc
	v_mov_b32_e32 v10, s43
	v_add_co_u32_e32 v4, vcc, s42, v4
	v_addc_co_u32_e32 v5, vcc, v10, v5, vcc
	global_load_dword v47, v[6:7], off
	global_load_dword v48, v[8:9], off
	;; [unrolled: 1-line block ×3, first 2 shown]
	v_add_u32_e32 v3, 0x100, v3
.LBB225_9:
	s_or_b64 exec, exec, s[4:5]
	v_cmp_gt_i32_e32 vcc, s33, v3
	v_mov_b32_e32 v50, 0
	v_mov_b32_e32 v51, 0
	s_and_saveexec_b64 s[4:5], vcc
	s_cbranch_execz .LBB225_11
; %bb.10:
	v_add_u32_e32 v4, s34, v3
	v_mov_b32_e32 v5, 0
	v_lshlrev_b64 v[4:5], 2, v[4:5]
	v_mov_b32_e32 v3, s39
	v_add_co_u32_e32 v6, vcc, s38, v4
	v_addc_co_u32_e32 v7, vcc, v3, v5, vcc
	v_mov_b32_e32 v3, s41
	v_add_co_u32_e32 v8, vcc, s40, v4
	v_addc_co_u32_e32 v9, vcc, v3, v5, vcc
	;; [unrolled: 3-line block ×3, first 2 shown]
	global_load_dword v46, v[6:7], off
	global_load_dword v50, v[8:9], off
	;; [unrolled: 1-line block ×3, first 2 shown]
.LBB225_11:
	s_or_b64 exec, exec, s[4:5]
                                        ; implicit-def: $vgpr38_vgpr39_vgpr40_vgpr41
	s_and_saveexec_b64 s[38:39], s[28:29]
	s_cbranch_execz .LBB225_13
; %bb.12:
	s_getpc_b64 s[4:5]
	s_add_u32 s4, s4, _ZZZZN2at6native28launch_dirichlet_grad_kernelERNS_18TensorIteratorBaseEENKUlvE_clEvENKUlvE0_clEvENKUlfffE_clEfff@rel32@lo+4
	s_addc_u32 s5, s5, _ZZZZN2at6native28launch_dirichlet_grad_kernelERNS_18TensorIteratorBaseEENKUlvE_clEvENKUlvE0_clEvENKUlfffE_clEfff@rel32@hi+12
	s_swappc_b64 s[30:31], s[4:5]
	v_mov_b32_e32 v38, v0
.LBB225_13:
	s_or_b64 exec, exec, s[38:39]
	v_or_b32_e32 v54, 0x100, v42
	v_cmp_gt_i32_e32 vcc, s33, v54
	s_and_saveexec_b64 s[38:39], vcc
	s_cbranch_execz .LBB225_15
; %bb.14:
	s_waitcnt vmcnt(2)
	v_mov_b32_e32 v0, v43
	s_waitcnt vmcnt(1)
	v_mov_b32_e32 v1, v44
	;; [unrolled: 2-line block ×3, first 2 shown]
	s_getpc_b64 s[4:5]
	s_add_u32 s4, s4, _ZZZZN2at6native28launch_dirichlet_grad_kernelERNS_18TensorIteratorBaseEENKUlvE_clEvENKUlvE0_clEvENKUlfffE_clEfff@rel32@lo+4
	s_addc_u32 s5, s5, _ZZZZN2at6native28launch_dirichlet_grad_kernelERNS_18TensorIteratorBaseEENKUlvE_clEvENKUlvE0_clEvENKUlfffE_clEfff@rel32@hi+12
	s_swappc_b64 s[30:31], s[4:5]
	v_mov_b32_e32 v39, v0
.LBB225_15:
	s_or_b64 exec, exec, s[38:39]
	s_waitcnt vmcnt(2)
	v_or_b32_e32 v0, 0x200, v42
	v_cmp_gt_i32_e32 vcc, s33, v0
	s_and_saveexec_b64 s[38:39], vcc
	s_cbranch_execz .LBB225_17
; %bb.16:
	v_mov_b32_e32 v0, v47
	s_waitcnt vmcnt(1)
	v_mov_b32_e32 v1, v48
	s_waitcnt vmcnt(0)
	v_mov_b32_e32 v2, v49
	s_getpc_b64 s[4:5]
	s_add_u32 s4, s4, _ZZZZN2at6native28launch_dirichlet_grad_kernelERNS_18TensorIteratorBaseEENKUlvE_clEvENKUlvE0_clEvENKUlfffE_clEfff@rel32@lo+4
	s_addc_u32 s5, s5, _ZZZZN2at6native28launch_dirichlet_grad_kernelERNS_18TensorIteratorBaseEENKUlvE_clEvENKUlvE0_clEvENKUlfffE_clEfff@rel32@hi+12
	s_swappc_b64 s[30:31], s[4:5]
	v_mov_b32_e32 v40, v0
.LBB225_17:
	s_or_b64 exec, exec, s[38:39]
	v_or_b32_e32 v0, 0x300, v42
	v_cmp_gt_i32_e32 vcc, s33, v0
	s_and_saveexec_b64 s[38:39], vcc
	s_cbranch_execnz .LBB225_24
; %bb.18:
	s_or_b64 exec, exec, s[38:39]
	s_and_saveexec_b64 s[4:5], s[28:29]
	s_xor_b64 s[4:5], exec, s[4:5]
	s_cbranch_execnz .LBB225_25
.LBB225_19:
	s_or_b64 exec, exec, s[4:5]
	v_cmp_gt_i32_e32 vcc, s33, v42
	s_and_saveexec_b64 s[4:5], vcc
	s_cbranch_execnz .LBB225_26
.LBB225_20:
	s_or_b64 exec, exec, s[4:5]
	v_cmp_gt_i32_e32 vcc, s33, v42
	s_and_saveexec_b64 s[4:5], vcc
	s_cbranch_execnz .LBB225_27
.LBB225_21:
	s_or_b64 exec, exec, s[4:5]
	v_cmp_gt_i32_e32 vcc, s33, v42
	s_and_saveexec_b64 s[4:5], vcc
	s_cbranch_execz .LBB225_23
.LBB225_22:
	v_add_u32_e32 v0, s34, v42
	s_waitcnt vmcnt(1)
	v_mov_b32_e32 v1, 0
	v_lshlrev_b64 v[0:1], 2, v[0:1]
	s_waitcnt vmcnt(0)
	v_mov_b32_e32 v2, s37
	v_add_co_u32_e32 v0, vcc, s36, v0
	v_addc_co_u32_e32 v1, vcc, v2, v1, vcc
	global_store_dword v[0:1], v41, off
.LBB225_23:
	s_endpgm
.LBB225_24:
	v_mov_b32_e32 v0, v46
	s_waitcnt vmcnt(1)
	v_mov_b32_e32 v1, v50
	s_waitcnt vmcnt(0)
	v_mov_b32_e32 v2, v51
	s_getpc_b64 s[4:5]
	s_add_u32 s4, s4, _ZZZZN2at6native28launch_dirichlet_grad_kernelERNS_18TensorIteratorBaseEENKUlvE_clEvENKUlvE0_clEvENKUlfffE_clEfff@rel32@lo+4
	s_addc_u32 s5, s5, _ZZZZN2at6native28launch_dirichlet_grad_kernelERNS_18TensorIteratorBaseEENKUlvE_clEvENKUlvE0_clEvENKUlfffE_clEfff@rel32@hi+12
	s_swappc_b64 s[30:31], s[4:5]
	v_mov_b32_e32 v41, v0
	s_or_b64 exec, exec, s[38:39]
	s_and_saveexec_b64 s[4:5], s[28:29]
	s_xor_b64 s[4:5], exec, s[4:5]
	s_cbranch_execz .LBB225_19
.LBB225_25:
	v_mov_b32_e32 v53, 0
	s_waitcnt vmcnt(1)
	v_lshlrev_b64 v[0:1], 2, v[52:53]
	s_waitcnt vmcnt(0)
	v_mov_b32_e32 v2, s37
	v_add_co_u32_e32 v0, vcc, s36, v0
	v_addc_co_u32_e32 v1, vcc, v2, v1, vcc
	v_mov_b32_e32 v42, v54
	global_store_dword v[0:1], v38, off
	s_or_b64 exec, exec, s[4:5]
	v_cmp_gt_i32_e32 vcc, s33, v42
	s_and_saveexec_b64 s[4:5], vcc
	s_cbranch_execz .LBB225_20
.LBB225_26:
	v_add_u32_e32 v0, s34, v42
	s_waitcnt vmcnt(1)
	v_mov_b32_e32 v1, 0
	v_lshlrev_b64 v[0:1], 2, v[0:1]
	s_waitcnt vmcnt(0)
	v_mov_b32_e32 v2, s37
	v_add_co_u32_e32 v0, vcc, s36, v0
	v_addc_co_u32_e32 v1, vcc, v2, v1, vcc
	v_add_u32_e32 v42, 0x100, v42
	global_store_dword v[0:1], v39, off
	s_or_b64 exec, exec, s[4:5]
	v_cmp_gt_i32_e32 vcc, s33, v42
	s_and_saveexec_b64 s[4:5], vcc
	s_cbranch_execz .LBB225_21
.LBB225_27:
	v_add_u32_e32 v0, s34, v42
	s_waitcnt vmcnt(1)
	v_mov_b32_e32 v1, 0
	v_lshlrev_b64 v[0:1], 2, v[0:1]
	s_waitcnt vmcnt(0)
	v_mov_b32_e32 v2, s37
	v_add_co_u32_e32 v0, vcc, s36, v0
	v_addc_co_u32_e32 v1, vcc, v2, v1, vcc
	v_add_u32_e32 v42, 0x100, v42
	global_store_dword v[0:1], v40, off
	s_or_b64 exec, exec, s[4:5]
	v_cmp_gt_i32_e32 vcc, s33, v42
	s_and_saveexec_b64 s[4:5], vcc
	s_cbranch_execnz .LBB225_22
	s_branch .LBB225_23
	.section	.rodata,"a",@progbits
	.p2align	6, 0x0
	.amdhsa_kernel _ZN2at6native29vectorized_elementwise_kernelILi8EZZZNS0_28launch_dirichlet_grad_kernelERNS_18TensorIteratorBaseEENKUlvE_clEvENKUlvE0_clEvEUlfffE_St5arrayIPcLm4EEEEviT0_T1_
		.amdhsa_group_segment_fixed_size 0
		.amdhsa_private_segment_fixed_size 0
		.amdhsa_kernarg_size 40
		.amdhsa_user_sgpr_count 8
		.amdhsa_user_sgpr_private_segment_buffer 1
		.amdhsa_user_sgpr_dispatch_ptr 0
		.amdhsa_user_sgpr_queue_ptr 0
		.amdhsa_user_sgpr_kernarg_segment_ptr 1
		.amdhsa_user_sgpr_dispatch_id 0
		.amdhsa_user_sgpr_flat_scratch_init 1
		.amdhsa_user_sgpr_kernarg_preload_length 0
		.amdhsa_user_sgpr_kernarg_preload_offset 0
		.amdhsa_user_sgpr_private_segment_size 0
		.amdhsa_uses_dynamic_stack 0
		.amdhsa_system_sgpr_private_segment_wavefront_offset 0
		.amdhsa_system_sgpr_workgroup_id_x 1
		.amdhsa_system_sgpr_workgroup_id_y 0
		.amdhsa_system_sgpr_workgroup_id_z 0
		.amdhsa_system_sgpr_workgroup_info 0
		.amdhsa_system_vgpr_workitem_id 0
		.amdhsa_next_free_vgpr 55
		.amdhsa_next_free_sgpr 46
		.amdhsa_accum_offset 56
		.amdhsa_reserve_vcc 1
		.amdhsa_reserve_flat_scratch 1
		.amdhsa_float_round_mode_32 0
		.amdhsa_float_round_mode_16_64 0
		.amdhsa_float_denorm_mode_32 3
		.amdhsa_float_denorm_mode_16_64 3
		.amdhsa_dx10_clamp 1
		.amdhsa_ieee_mode 1
		.amdhsa_fp16_overflow 0
		.amdhsa_tg_split 0
		.amdhsa_exception_fp_ieee_invalid_op 0
		.amdhsa_exception_fp_denorm_src 0
		.amdhsa_exception_fp_ieee_div_zero 0
		.amdhsa_exception_fp_ieee_overflow 0
		.amdhsa_exception_fp_ieee_underflow 0
		.amdhsa_exception_fp_ieee_inexact 0
		.amdhsa_exception_int_div_zero 0
	.end_amdhsa_kernel
	.section	.text._ZN2at6native29vectorized_elementwise_kernelILi8EZZZNS0_28launch_dirichlet_grad_kernelERNS_18TensorIteratorBaseEENKUlvE_clEvENKUlvE0_clEvEUlfffE_St5arrayIPcLm4EEEEviT0_T1_,"axG",@progbits,_ZN2at6native29vectorized_elementwise_kernelILi8EZZZNS0_28launch_dirichlet_grad_kernelERNS_18TensorIteratorBaseEENKUlvE_clEvENKUlvE0_clEvEUlfffE_St5arrayIPcLm4EEEEviT0_T1_,comdat
.Lfunc_end225:
	.size	_ZN2at6native29vectorized_elementwise_kernelILi8EZZZNS0_28launch_dirichlet_grad_kernelERNS_18TensorIteratorBaseEENKUlvE_clEvENKUlvE0_clEvEUlfffE_St5arrayIPcLm4EEEEviT0_T1_, .Lfunc_end225-_ZN2at6native29vectorized_elementwise_kernelILi8EZZZNS0_28launch_dirichlet_grad_kernelERNS_18TensorIteratorBaseEENKUlvE_clEvENKUlvE0_clEvEUlfffE_St5arrayIPcLm4EEEEviT0_T1_
                                        ; -- End function
	.section	.AMDGPU.csdata,"",@progbits
; Kernel info:
; codeLenInByte = 1300
; NumSgprs: 52
; NumVgprs: 55
; NumAgprs: 0
; TotalNumVgprs: 55
; ScratchSize: 0
; MemoryBound: 0
; FloatMode: 240
; IeeeMode: 1
; LDSByteSize: 0 bytes/workgroup (compile time only)
; SGPRBlocks: 6
; VGPRBlocks: 6
; NumSGPRsForWavesPerEU: 52
; NumVGPRsForWavesPerEU: 55
; AccumOffset: 56
; Occupancy: 8
; WaveLimiterHint : 0
; COMPUTE_PGM_RSRC2:SCRATCH_EN: 0
; COMPUTE_PGM_RSRC2:USER_SGPR: 8
; COMPUTE_PGM_RSRC2:TRAP_HANDLER: 0
; COMPUTE_PGM_RSRC2:TGID_X_EN: 1
; COMPUTE_PGM_RSRC2:TGID_Y_EN: 0
; COMPUTE_PGM_RSRC2:TGID_Z_EN: 0
; COMPUTE_PGM_RSRC2:TIDIG_COMP_CNT: 0
; COMPUTE_PGM_RSRC3_GFX90A:ACCUM_OFFSET: 13
; COMPUTE_PGM_RSRC3_GFX90A:TG_SPLIT: 0
	.section	.text._ZN2at6native29vectorized_elementwise_kernelILi4EZZZNS0_28launch_dirichlet_grad_kernelERNS_18TensorIteratorBaseEENKUlvE_clEvENKUlvE0_clEvEUlfffE_St5arrayIPcLm4EEEEviT0_T1_,"axG",@progbits,_ZN2at6native29vectorized_elementwise_kernelILi4EZZZNS0_28launch_dirichlet_grad_kernelERNS_18TensorIteratorBaseEENKUlvE_clEvENKUlvE0_clEvEUlfffE_St5arrayIPcLm4EEEEviT0_T1_,comdat
	.globl	_ZN2at6native29vectorized_elementwise_kernelILi4EZZZNS0_28launch_dirichlet_grad_kernelERNS_18TensorIteratorBaseEENKUlvE_clEvENKUlvE0_clEvEUlfffE_St5arrayIPcLm4EEEEviT0_T1_ ; -- Begin function _ZN2at6native29vectorized_elementwise_kernelILi4EZZZNS0_28launch_dirichlet_grad_kernelERNS_18TensorIteratorBaseEENKUlvE_clEvENKUlvE0_clEvEUlfffE_St5arrayIPcLm4EEEEviT0_T1_
	.p2align	8
	.type	_ZN2at6native29vectorized_elementwise_kernelILi4EZZZNS0_28launch_dirichlet_grad_kernelERNS_18TensorIteratorBaseEENKUlvE_clEvENKUlvE0_clEvEUlfffE_St5arrayIPcLm4EEEEviT0_T1_,@function
_ZN2at6native29vectorized_elementwise_kernelILi4EZZZNS0_28launch_dirichlet_grad_kernelERNS_18TensorIteratorBaseEENKUlvE_clEvENKUlvE0_clEvEUlfffE_St5arrayIPcLm4EEEEviT0_T1_: ; @_ZN2at6native29vectorized_elementwise_kernelILi4EZZZNS0_28launch_dirichlet_grad_kernelERNS_18TensorIteratorBaseEENKUlvE_clEvENKUlvE0_clEvEUlfffE_St5arrayIPcLm4EEEEviT0_T1_
; %bb.0:
	s_add_u32 flat_scratch_lo, s6, s9
	s_load_dword s6, s[4:5], 0x0
	s_load_dwordx8 s[36:43], s[4:5], 0x8
	s_addc_u32 flat_scratch_hi, s7, 0
	s_add_u32 s0, s0, s9
	s_addc_u32 s1, s1, 0
	s_lshl_b32 s34, s8, 10
	s_waitcnt lgkmcnt(0)
	s_sub_i32 s33, s6, s34
	v_mov_b32_e32 v42, v0
	s_cmpk_gt_i32 s33, 0x3ff
	s_mov_b64 s[4:5], -1
	s_mov_b32 s32, 0
	s_cbranch_scc0 .LBB226_2
; %bb.1:
	s_ashr_i32 s35, s34, 31
	s_lshl_b64 s[28:29], s[34:35], 2
	s_add_u32 s4, s38, s28
	s_addc_u32 s5, s39, s29
	s_add_u32 s6, s40, s28
	v_lshlrev_b32_e32 v43, 4, v42
	s_addc_u32 s7, s41, s29
	global_load_dwordx4 v[38:41], v43, s[4:5]
	global_load_dwordx4 v[44:47], v43, s[6:7]
	s_add_u32 s4, s42, s28
	s_addc_u32 s5, s43, s29
	global_load_dwordx4 v[48:51], v43, s[4:5]
	s_getpc_b64 s[44:45]
	s_add_u32 s44, s44, _ZZZZN2at6native28launch_dirichlet_grad_kernelERNS_18TensorIteratorBaseEENKUlvE_clEvENKUlvE0_clEvENKUlfffE_clEfff@rel32@lo+4
	s_addc_u32 s45, s45, _ZZZZN2at6native28launch_dirichlet_grad_kernelERNS_18TensorIteratorBaseEENKUlvE_clEvENKUlvE0_clEvENKUlfffE_clEfff@rel32@hi+12
	s_waitcnt vmcnt(2)
	v_mov_b32_e32 v0, v38
	s_waitcnt vmcnt(1)
	v_mov_b32_e32 v1, v44
	;; [unrolled: 2-line block ×3, first 2 shown]
	s_swappc_b64 s[30:31], s[44:45]
	v_mov_b32_e32 v38, v0
	v_mov_b32_e32 v0, v39
	v_mov_b32_e32 v1, v45
	v_mov_b32_e32 v2, v49
	s_swappc_b64 s[30:31], s[44:45]
	v_mov_b32_e32 v39, v0
	v_mov_b32_e32 v0, v40
	v_mov_b32_e32 v1, v46
	v_mov_b32_e32 v2, v50
	;; [unrolled: 5-line block ×3, first 2 shown]
	s_swappc_b64 s[30:31], s[44:45]
	s_add_u32 s4, s36, s28
	v_mov_b32_e32 v41, v0
	s_addc_u32 s5, s37, s29
	global_store_dwordx4 v43, v[38:41], s[4:5]
	s_mov_b64 s[4:5], 0
.LBB226_2:
	s_andn2_b64 vcc, exec, s[4:5]
	s_cbranch_vccnz .LBB226_23
; %bb.3:
	v_cmp_gt_i32_e64 s[28:29], s33, v42
	v_mov_b32_e32 v43, 0
	v_or_b32_e32 v52, s34, v42
	v_mov_b32_e32 v0, 0
	v_mov_b32_e32 v1, 0
	v_mov_b32_e32 v2, 0
	v_mov_b32_e32 v3, v42
	s_and_saveexec_b64 s[4:5], s[28:29]
	s_cbranch_execz .LBB226_5
; %bb.4:
	v_mov_b32_e32 v53, 0
	v_lshlrev_b64 v[0:1], 2, v[52:53]
	v_mov_b32_e32 v2, s39
	v_add_co_u32_e32 v4, vcc, s38, v0
	v_addc_co_u32_e32 v5, vcc, v2, v1, vcc
	v_mov_b32_e32 v2, s41
	v_add_co_u32_e32 v6, vcc, s40, v0
	v_addc_co_u32_e32 v7, vcc, v2, v1, vcc
	;; [unrolled: 3-line block ×3, first 2 shown]
	global_load_dword v0, v[4:5], off
	global_load_dword v1, v[6:7], off
	;; [unrolled: 1-line block ×3, first 2 shown]
	v_or_b32_e32 v3, 0x100, v42
.LBB226_5:
	s_or_b64 exec, exec, s[4:5]
	v_cmp_gt_i32_e32 vcc, s33, v3
	v_mov_b32_e32 v44, 0
	v_mov_b32_e32 v45, 0
	s_and_saveexec_b64 s[4:5], vcc
	s_cbranch_execz .LBB226_7
; %bb.6:
	v_add_u32_e32 v4, s34, v3
	v_mov_b32_e32 v5, 0
	v_lshlrev_b64 v[4:5], 2, v[4:5]
	v_mov_b32_e32 v7, s39
	v_add_co_u32_e32 v6, vcc, s38, v4
	v_addc_co_u32_e32 v7, vcc, v7, v5, vcc
	v_mov_b32_e32 v9, s41
	v_add_co_u32_e32 v8, vcc, s40, v4
	v_addc_co_u32_e32 v9, vcc, v9, v5, vcc
	;; [unrolled: 3-line block ×3, first 2 shown]
	global_load_dword v43, v[6:7], off
	global_load_dword v44, v[8:9], off
	;; [unrolled: 1-line block ×3, first 2 shown]
	v_add_u32_e32 v3, 0x100, v3
.LBB226_7:
	s_or_b64 exec, exec, s[4:5]
	v_cmp_gt_i32_e32 vcc, s33, v3
	v_mov_b32_e32 v46, 0
	v_mov_b32_e32 v47, 0
	;; [unrolled: 1-line block ×4, first 2 shown]
	s_and_saveexec_b64 s[4:5], vcc
	s_cbranch_execz .LBB226_9
; %bb.8:
	v_add_u32_e32 v4, s34, v3
	v_mov_b32_e32 v5, 0
	v_lshlrev_b64 v[4:5], 2, v[4:5]
	v_mov_b32_e32 v7, s39
	v_add_co_u32_e32 v6, vcc, s38, v4
	v_addc_co_u32_e32 v7, vcc, v7, v5, vcc
	v_mov_b32_e32 v9, s41
	v_add_co_u32_e32 v8, vcc, s40, v4
	v_addc_co_u32_e32 v9, vcc, v9, v5, vcc
	;; [unrolled: 3-line block ×3, first 2 shown]
	global_load_dword v47, v[6:7], off
	global_load_dword v48, v[8:9], off
	;; [unrolled: 1-line block ×3, first 2 shown]
	v_add_u32_e32 v3, 0x100, v3
.LBB226_9:
	s_or_b64 exec, exec, s[4:5]
	v_cmp_gt_i32_e32 vcc, s33, v3
	v_mov_b32_e32 v50, 0
	v_mov_b32_e32 v51, 0
	s_and_saveexec_b64 s[4:5], vcc
	s_cbranch_execz .LBB226_11
; %bb.10:
	v_add_u32_e32 v4, s34, v3
	v_mov_b32_e32 v5, 0
	v_lshlrev_b64 v[4:5], 2, v[4:5]
	v_mov_b32_e32 v3, s39
	v_add_co_u32_e32 v6, vcc, s38, v4
	v_addc_co_u32_e32 v7, vcc, v3, v5, vcc
	v_mov_b32_e32 v3, s41
	v_add_co_u32_e32 v8, vcc, s40, v4
	v_addc_co_u32_e32 v9, vcc, v3, v5, vcc
	;; [unrolled: 3-line block ×3, first 2 shown]
	global_load_dword v46, v[6:7], off
	global_load_dword v50, v[8:9], off
	;; [unrolled: 1-line block ×3, first 2 shown]
.LBB226_11:
	s_or_b64 exec, exec, s[4:5]
                                        ; implicit-def: $vgpr38_vgpr39_vgpr40_vgpr41
	s_and_saveexec_b64 s[38:39], s[28:29]
	s_cbranch_execz .LBB226_13
; %bb.12:
	s_getpc_b64 s[4:5]
	s_add_u32 s4, s4, _ZZZZN2at6native28launch_dirichlet_grad_kernelERNS_18TensorIteratorBaseEENKUlvE_clEvENKUlvE0_clEvENKUlfffE_clEfff@rel32@lo+4
	s_addc_u32 s5, s5, _ZZZZN2at6native28launch_dirichlet_grad_kernelERNS_18TensorIteratorBaseEENKUlvE_clEvENKUlvE0_clEvENKUlfffE_clEfff@rel32@hi+12
	s_swappc_b64 s[30:31], s[4:5]
	v_mov_b32_e32 v38, v0
.LBB226_13:
	s_or_b64 exec, exec, s[38:39]
	v_or_b32_e32 v54, 0x100, v42
	v_cmp_gt_i32_e32 vcc, s33, v54
	s_and_saveexec_b64 s[38:39], vcc
	s_cbranch_execz .LBB226_15
; %bb.14:
	s_waitcnt vmcnt(2)
	v_mov_b32_e32 v0, v43
	s_waitcnt vmcnt(1)
	v_mov_b32_e32 v1, v44
	;; [unrolled: 2-line block ×3, first 2 shown]
	s_getpc_b64 s[4:5]
	s_add_u32 s4, s4, _ZZZZN2at6native28launch_dirichlet_grad_kernelERNS_18TensorIteratorBaseEENKUlvE_clEvENKUlvE0_clEvENKUlfffE_clEfff@rel32@lo+4
	s_addc_u32 s5, s5, _ZZZZN2at6native28launch_dirichlet_grad_kernelERNS_18TensorIteratorBaseEENKUlvE_clEvENKUlvE0_clEvENKUlfffE_clEfff@rel32@hi+12
	s_swappc_b64 s[30:31], s[4:5]
	v_mov_b32_e32 v39, v0
.LBB226_15:
	s_or_b64 exec, exec, s[38:39]
	s_waitcnt vmcnt(2)
	v_or_b32_e32 v0, 0x200, v42
	v_cmp_gt_i32_e32 vcc, s33, v0
	s_and_saveexec_b64 s[38:39], vcc
	s_cbranch_execz .LBB226_17
; %bb.16:
	v_mov_b32_e32 v0, v47
	s_waitcnt vmcnt(1)
	v_mov_b32_e32 v1, v48
	s_waitcnt vmcnt(0)
	v_mov_b32_e32 v2, v49
	s_getpc_b64 s[4:5]
	s_add_u32 s4, s4, _ZZZZN2at6native28launch_dirichlet_grad_kernelERNS_18TensorIteratorBaseEENKUlvE_clEvENKUlvE0_clEvENKUlfffE_clEfff@rel32@lo+4
	s_addc_u32 s5, s5, _ZZZZN2at6native28launch_dirichlet_grad_kernelERNS_18TensorIteratorBaseEENKUlvE_clEvENKUlvE0_clEvENKUlfffE_clEfff@rel32@hi+12
	s_swappc_b64 s[30:31], s[4:5]
	v_mov_b32_e32 v40, v0
.LBB226_17:
	s_or_b64 exec, exec, s[38:39]
	v_or_b32_e32 v0, 0x300, v42
	v_cmp_gt_i32_e32 vcc, s33, v0
	s_and_saveexec_b64 s[38:39], vcc
	s_cbranch_execnz .LBB226_24
; %bb.18:
	s_or_b64 exec, exec, s[38:39]
	s_and_saveexec_b64 s[4:5], s[28:29]
	s_xor_b64 s[4:5], exec, s[4:5]
	s_cbranch_execnz .LBB226_25
.LBB226_19:
	s_or_b64 exec, exec, s[4:5]
	v_cmp_gt_i32_e32 vcc, s33, v42
	s_and_saveexec_b64 s[4:5], vcc
	s_cbranch_execnz .LBB226_26
.LBB226_20:
	s_or_b64 exec, exec, s[4:5]
	v_cmp_gt_i32_e32 vcc, s33, v42
	s_and_saveexec_b64 s[4:5], vcc
	s_cbranch_execnz .LBB226_27
.LBB226_21:
	s_or_b64 exec, exec, s[4:5]
	v_cmp_gt_i32_e32 vcc, s33, v42
	s_and_saveexec_b64 s[4:5], vcc
	s_cbranch_execz .LBB226_23
.LBB226_22:
	v_add_u32_e32 v0, s34, v42
	s_waitcnt vmcnt(1)
	v_mov_b32_e32 v1, 0
	v_lshlrev_b64 v[0:1], 2, v[0:1]
	s_waitcnt vmcnt(0)
	v_mov_b32_e32 v2, s37
	v_add_co_u32_e32 v0, vcc, s36, v0
	v_addc_co_u32_e32 v1, vcc, v2, v1, vcc
	global_store_dword v[0:1], v41, off
.LBB226_23:
	s_endpgm
.LBB226_24:
	v_mov_b32_e32 v0, v46
	s_waitcnt vmcnt(1)
	v_mov_b32_e32 v1, v50
	s_waitcnt vmcnt(0)
	v_mov_b32_e32 v2, v51
	s_getpc_b64 s[4:5]
	s_add_u32 s4, s4, _ZZZZN2at6native28launch_dirichlet_grad_kernelERNS_18TensorIteratorBaseEENKUlvE_clEvENKUlvE0_clEvENKUlfffE_clEfff@rel32@lo+4
	s_addc_u32 s5, s5, _ZZZZN2at6native28launch_dirichlet_grad_kernelERNS_18TensorIteratorBaseEENKUlvE_clEvENKUlvE0_clEvENKUlfffE_clEfff@rel32@hi+12
	s_swappc_b64 s[30:31], s[4:5]
	v_mov_b32_e32 v41, v0
	s_or_b64 exec, exec, s[38:39]
	s_and_saveexec_b64 s[4:5], s[28:29]
	s_xor_b64 s[4:5], exec, s[4:5]
	s_cbranch_execz .LBB226_19
.LBB226_25:
	v_mov_b32_e32 v53, 0
	s_waitcnt vmcnt(1)
	v_lshlrev_b64 v[0:1], 2, v[52:53]
	s_waitcnt vmcnt(0)
	v_mov_b32_e32 v2, s37
	v_add_co_u32_e32 v0, vcc, s36, v0
	v_addc_co_u32_e32 v1, vcc, v2, v1, vcc
	v_mov_b32_e32 v42, v54
	global_store_dword v[0:1], v38, off
	s_or_b64 exec, exec, s[4:5]
	v_cmp_gt_i32_e32 vcc, s33, v42
	s_and_saveexec_b64 s[4:5], vcc
	s_cbranch_execz .LBB226_20
.LBB226_26:
	v_add_u32_e32 v0, s34, v42
	s_waitcnt vmcnt(1)
	v_mov_b32_e32 v1, 0
	v_lshlrev_b64 v[0:1], 2, v[0:1]
	s_waitcnt vmcnt(0)
	v_mov_b32_e32 v2, s37
	v_add_co_u32_e32 v0, vcc, s36, v0
	v_addc_co_u32_e32 v1, vcc, v2, v1, vcc
	v_add_u32_e32 v42, 0x100, v42
	global_store_dword v[0:1], v39, off
	s_or_b64 exec, exec, s[4:5]
	v_cmp_gt_i32_e32 vcc, s33, v42
	s_and_saveexec_b64 s[4:5], vcc
	s_cbranch_execz .LBB226_21
.LBB226_27:
	v_add_u32_e32 v0, s34, v42
	s_waitcnt vmcnt(1)
	v_mov_b32_e32 v1, 0
	v_lshlrev_b64 v[0:1], 2, v[0:1]
	s_waitcnt vmcnt(0)
	v_mov_b32_e32 v2, s37
	v_add_co_u32_e32 v0, vcc, s36, v0
	v_addc_co_u32_e32 v1, vcc, v2, v1, vcc
	v_add_u32_e32 v42, 0x100, v42
	global_store_dword v[0:1], v40, off
	s_or_b64 exec, exec, s[4:5]
	v_cmp_gt_i32_e32 vcc, s33, v42
	s_and_saveexec_b64 s[4:5], vcc
	s_cbranch_execnz .LBB226_22
	s_branch .LBB226_23
	.section	.rodata,"a",@progbits
	.p2align	6, 0x0
	.amdhsa_kernel _ZN2at6native29vectorized_elementwise_kernelILi4EZZZNS0_28launch_dirichlet_grad_kernelERNS_18TensorIteratorBaseEENKUlvE_clEvENKUlvE0_clEvEUlfffE_St5arrayIPcLm4EEEEviT0_T1_
		.amdhsa_group_segment_fixed_size 0
		.amdhsa_private_segment_fixed_size 0
		.amdhsa_kernarg_size 40
		.amdhsa_user_sgpr_count 8
		.amdhsa_user_sgpr_private_segment_buffer 1
		.amdhsa_user_sgpr_dispatch_ptr 0
		.amdhsa_user_sgpr_queue_ptr 0
		.amdhsa_user_sgpr_kernarg_segment_ptr 1
		.amdhsa_user_sgpr_dispatch_id 0
		.amdhsa_user_sgpr_flat_scratch_init 1
		.amdhsa_user_sgpr_kernarg_preload_length 0
		.amdhsa_user_sgpr_kernarg_preload_offset 0
		.amdhsa_user_sgpr_private_segment_size 0
		.amdhsa_uses_dynamic_stack 0
		.amdhsa_system_sgpr_private_segment_wavefront_offset 0
		.amdhsa_system_sgpr_workgroup_id_x 1
		.amdhsa_system_sgpr_workgroup_id_y 0
		.amdhsa_system_sgpr_workgroup_id_z 0
		.amdhsa_system_sgpr_workgroup_info 0
		.amdhsa_system_vgpr_workitem_id 0
		.amdhsa_next_free_vgpr 55
		.amdhsa_next_free_sgpr 46
		.amdhsa_accum_offset 56
		.amdhsa_reserve_vcc 1
		.amdhsa_reserve_flat_scratch 1
		.amdhsa_float_round_mode_32 0
		.amdhsa_float_round_mode_16_64 0
		.amdhsa_float_denorm_mode_32 3
		.amdhsa_float_denorm_mode_16_64 3
		.amdhsa_dx10_clamp 1
		.amdhsa_ieee_mode 1
		.amdhsa_fp16_overflow 0
		.amdhsa_tg_split 0
		.amdhsa_exception_fp_ieee_invalid_op 0
		.amdhsa_exception_fp_denorm_src 0
		.amdhsa_exception_fp_ieee_div_zero 0
		.amdhsa_exception_fp_ieee_overflow 0
		.amdhsa_exception_fp_ieee_underflow 0
		.amdhsa_exception_fp_ieee_inexact 0
		.amdhsa_exception_int_div_zero 0
	.end_amdhsa_kernel
	.section	.text._ZN2at6native29vectorized_elementwise_kernelILi4EZZZNS0_28launch_dirichlet_grad_kernelERNS_18TensorIteratorBaseEENKUlvE_clEvENKUlvE0_clEvEUlfffE_St5arrayIPcLm4EEEEviT0_T1_,"axG",@progbits,_ZN2at6native29vectorized_elementwise_kernelILi4EZZZNS0_28launch_dirichlet_grad_kernelERNS_18TensorIteratorBaseEENKUlvE_clEvENKUlvE0_clEvEUlfffE_St5arrayIPcLm4EEEEviT0_T1_,comdat
.Lfunc_end226:
	.size	_ZN2at6native29vectorized_elementwise_kernelILi4EZZZNS0_28launch_dirichlet_grad_kernelERNS_18TensorIteratorBaseEENKUlvE_clEvENKUlvE0_clEvEUlfffE_St5arrayIPcLm4EEEEviT0_T1_, .Lfunc_end226-_ZN2at6native29vectorized_elementwise_kernelILi4EZZZNS0_28launch_dirichlet_grad_kernelERNS_18TensorIteratorBaseEENKUlvE_clEvENKUlvE0_clEvEUlfffE_St5arrayIPcLm4EEEEviT0_T1_
                                        ; -- End function
	.section	.AMDGPU.csdata,"",@progbits
; Kernel info:
; codeLenInByte = 1300
; NumSgprs: 52
; NumVgprs: 55
; NumAgprs: 0
; TotalNumVgprs: 55
; ScratchSize: 0
; MemoryBound: 0
; FloatMode: 240
; IeeeMode: 1
; LDSByteSize: 0 bytes/workgroup (compile time only)
; SGPRBlocks: 6
; VGPRBlocks: 6
; NumSGPRsForWavesPerEU: 52
; NumVGPRsForWavesPerEU: 55
; AccumOffset: 56
; Occupancy: 8
; WaveLimiterHint : 0
; COMPUTE_PGM_RSRC2:SCRATCH_EN: 0
; COMPUTE_PGM_RSRC2:USER_SGPR: 8
; COMPUTE_PGM_RSRC2:TRAP_HANDLER: 0
; COMPUTE_PGM_RSRC2:TGID_X_EN: 1
; COMPUTE_PGM_RSRC2:TGID_Y_EN: 0
; COMPUTE_PGM_RSRC2:TGID_Z_EN: 0
; COMPUTE_PGM_RSRC2:TIDIG_COMP_CNT: 0
; COMPUTE_PGM_RSRC3_GFX90A:ACCUM_OFFSET: 13
; COMPUTE_PGM_RSRC3_GFX90A:TG_SPLIT: 0
	.section	.text._ZN2at6native29vectorized_elementwise_kernelILi2EZZZNS0_28launch_dirichlet_grad_kernelERNS_18TensorIteratorBaseEENKUlvE_clEvENKUlvE0_clEvEUlfffE_St5arrayIPcLm4EEEEviT0_T1_,"axG",@progbits,_ZN2at6native29vectorized_elementwise_kernelILi2EZZZNS0_28launch_dirichlet_grad_kernelERNS_18TensorIteratorBaseEENKUlvE_clEvENKUlvE0_clEvEUlfffE_St5arrayIPcLm4EEEEviT0_T1_,comdat
	.globl	_ZN2at6native29vectorized_elementwise_kernelILi2EZZZNS0_28launch_dirichlet_grad_kernelERNS_18TensorIteratorBaseEENKUlvE_clEvENKUlvE0_clEvEUlfffE_St5arrayIPcLm4EEEEviT0_T1_ ; -- Begin function _ZN2at6native29vectorized_elementwise_kernelILi2EZZZNS0_28launch_dirichlet_grad_kernelERNS_18TensorIteratorBaseEENKUlvE_clEvENKUlvE0_clEvEUlfffE_St5arrayIPcLm4EEEEviT0_T1_
	.p2align	8
	.type	_ZN2at6native29vectorized_elementwise_kernelILi2EZZZNS0_28launch_dirichlet_grad_kernelERNS_18TensorIteratorBaseEENKUlvE_clEvENKUlvE0_clEvEUlfffE_St5arrayIPcLm4EEEEviT0_T1_,@function
_ZN2at6native29vectorized_elementwise_kernelILi2EZZZNS0_28launch_dirichlet_grad_kernelERNS_18TensorIteratorBaseEENKUlvE_clEvENKUlvE0_clEvEUlfffE_St5arrayIPcLm4EEEEviT0_T1_: ; @_ZN2at6native29vectorized_elementwise_kernelILi2EZZZNS0_28launch_dirichlet_grad_kernelERNS_18TensorIteratorBaseEENKUlvE_clEvENKUlvE0_clEvEUlfffE_St5arrayIPcLm4EEEEviT0_T1_
; %bb.0:
	s_add_u32 flat_scratch_lo, s6, s9
	s_load_dword s6, s[4:5], 0x0
	s_load_dwordx8 s[36:43], s[4:5], 0x8
	s_addc_u32 flat_scratch_hi, s7, 0
	s_add_u32 s0, s0, s9
	s_addc_u32 s1, s1, 0
	s_lshl_b32 s34, s8, 10
	s_waitcnt lgkmcnt(0)
	s_sub_i32 s33, s6, s34
	v_mov_b32_e32 v42, v0
	s_cmpk_gt_i32 s33, 0x3ff
	s_mov_b64 s[4:5], -1
	s_mov_b32 s32, 0
	s_cbranch_scc0 .LBB227_2
; %bb.1:
	s_ashr_i32 s35, s34, 31
	s_lshl_b64 s[28:29], s[34:35], 2
	s_add_u32 s4, s38, s28
	s_addc_u32 s5, s39, s29
	s_add_u32 s6, s40, s28
	s_addc_u32 s7, s41, s29
	v_lshlrev_b32_e32 v43, 3, v42
	s_add_u32 s8, s42, s28
	s_addc_u32 s9, s43, s29
	global_load_dwordx2 v[38:39], v43, s[4:5]
	global_load_dwordx2 v[40:41], v43, s[4:5] offset:2048
	global_load_dwordx2 v[44:45], v43, s[6:7]
	global_load_dwordx2 v[46:47], v43, s[8:9]
	global_load_dwordx2 v[48:49], v43, s[6:7] offset:2048
	global_load_dwordx2 v[50:51], v43, s[8:9] offset:2048
	s_getpc_b64 s[44:45]
	s_add_u32 s44, s44, _ZZZZN2at6native28launch_dirichlet_grad_kernelERNS_18TensorIteratorBaseEENKUlvE_clEvENKUlvE0_clEvENKUlfffE_clEfff@rel32@lo+4
	s_addc_u32 s45, s45, _ZZZZN2at6native28launch_dirichlet_grad_kernelERNS_18TensorIteratorBaseEENKUlvE_clEvENKUlvE0_clEvENKUlfffE_clEfff@rel32@hi+12
	s_waitcnt vmcnt(5)
	v_mov_b32_e32 v0, v38
	s_waitcnt vmcnt(3)
	v_mov_b32_e32 v1, v44
	;; [unrolled: 2-line block ×3, first 2 shown]
	s_swappc_b64 s[30:31], s[44:45]
	v_mov_b32_e32 v38, v0
	v_mov_b32_e32 v0, v39
	v_mov_b32_e32 v1, v45
	v_mov_b32_e32 v2, v47
	s_swappc_b64 s[30:31], s[44:45]
	v_mov_b32_e32 v39, v0
	v_mov_b32_e32 v0, v40
	v_mov_b32_e32 v1, v48
	v_mov_b32_e32 v2, v50
	;; [unrolled: 5-line block ×3, first 2 shown]
	s_swappc_b64 s[30:31], s[44:45]
	s_add_u32 s4, s36, s28
	s_addc_u32 s5, s37, s29
	v_mov_b32_e32 v41, v0
	global_store_dwordx2 v43, v[38:39], s[4:5]
	global_store_dwordx2 v43, v[40:41], s[4:5] offset:2048
	s_mov_b64 s[4:5], 0
.LBB227_2:
	s_andn2_b64 vcc, exec, s[4:5]
	s_cbranch_vccnz .LBB227_23
; %bb.3:
	v_cmp_gt_i32_e64 s[28:29], s33, v42
	v_mov_b32_e32 v43, 0
	v_or_b32_e32 v52, s34, v42
	v_mov_b32_e32 v0, 0
	v_mov_b32_e32 v1, 0
	;; [unrolled: 1-line block ×4, first 2 shown]
	s_and_saveexec_b64 s[4:5], s[28:29]
	s_cbranch_execz .LBB227_5
; %bb.4:
	v_mov_b32_e32 v53, 0
	v_lshlrev_b64 v[0:1], 2, v[52:53]
	v_mov_b32_e32 v2, s39
	v_add_co_u32_e32 v4, vcc, s38, v0
	v_addc_co_u32_e32 v5, vcc, v2, v1, vcc
	v_mov_b32_e32 v2, s41
	v_add_co_u32_e32 v6, vcc, s40, v0
	v_addc_co_u32_e32 v7, vcc, v2, v1, vcc
	;; [unrolled: 3-line block ×3, first 2 shown]
	global_load_dword v0, v[4:5], off
	global_load_dword v1, v[6:7], off
	;; [unrolled: 1-line block ×3, first 2 shown]
	v_or_b32_e32 v3, 0x100, v42
.LBB227_5:
	s_or_b64 exec, exec, s[4:5]
	v_cmp_gt_i32_e32 vcc, s33, v3
	v_mov_b32_e32 v44, 0
	v_mov_b32_e32 v45, 0
	s_and_saveexec_b64 s[4:5], vcc
	s_cbranch_execz .LBB227_7
; %bb.6:
	v_add_u32_e32 v4, s34, v3
	v_mov_b32_e32 v5, 0
	v_lshlrev_b64 v[4:5], 2, v[4:5]
	v_mov_b32_e32 v7, s39
	v_add_co_u32_e32 v6, vcc, s38, v4
	v_addc_co_u32_e32 v7, vcc, v7, v5, vcc
	v_mov_b32_e32 v9, s41
	v_add_co_u32_e32 v8, vcc, s40, v4
	v_addc_co_u32_e32 v9, vcc, v9, v5, vcc
	;; [unrolled: 3-line block ×3, first 2 shown]
	global_load_dword v43, v[6:7], off
	global_load_dword v44, v[8:9], off
	;; [unrolled: 1-line block ×3, first 2 shown]
	v_add_u32_e32 v3, 0x100, v3
.LBB227_7:
	s_or_b64 exec, exec, s[4:5]
	v_cmp_gt_i32_e32 vcc, s33, v3
	v_mov_b32_e32 v46, 0
	v_mov_b32_e32 v47, 0
	;; [unrolled: 1-line block ×4, first 2 shown]
	s_and_saveexec_b64 s[4:5], vcc
	s_cbranch_execz .LBB227_9
; %bb.8:
	v_add_u32_e32 v4, s34, v3
	v_mov_b32_e32 v5, 0
	v_lshlrev_b64 v[4:5], 2, v[4:5]
	v_mov_b32_e32 v7, s39
	v_add_co_u32_e32 v6, vcc, s38, v4
	v_addc_co_u32_e32 v7, vcc, v7, v5, vcc
	v_mov_b32_e32 v9, s41
	v_add_co_u32_e32 v8, vcc, s40, v4
	v_addc_co_u32_e32 v9, vcc, v9, v5, vcc
	;; [unrolled: 3-line block ×3, first 2 shown]
	global_load_dword v47, v[6:7], off
	global_load_dword v48, v[8:9], off
	;; [unrolled: 1-line block ×3, first 2 shown]
	v_add_u32_e32 v3, 0x100, v3
.LBB227_9:
	s_or_b64 exec, exec, s[4:5]
	v_cmp_gt_i32_e32 vcc, s33, v3
	v_mov_b32_e32 v50, 0
	v_mov_b32_e32 v51, 0
	s_and_saveexec_b64 s[4:5], vcc
	s_cbranch_execz .LBB227_11
; %bb.10:
	v_add_u32_e32 v4, s34, v3
	v_mov_b32_e32 v5, 0
	v_lshlrev_b64 v[4:5], 2, v[4:5]
	v_mov_b32_e32 v3, s39
	v_add_co_u32_e32 v6, vcc, s38, v4
	v_addc_co_u32_e32 v7, vcc, v3, v5, vcc
	v_mov_b32_e32 v3, s41
	v_add_co_u32_e32 v8, vcc, s40, v4
	v_addc_co_u32_e32 v9, vcc, v3, v5, vcc
	;; [unrolled: 3-line block ×3, first 2 shown]
	global_load_dword v46, v[6:7], off
	global_load_dword v50, v[8:9], off
	;; [unrolled: 1-line block ×3, first 2 shown]
.LBB227_11:
	s_or_b64 exec, exec, s[4:5]
                                        ; implicit-def: $vgpr38_vgpr39_vgpr40_vgpr41
	s_and_saveexec_b64 s[38:39], s[28:29]
	s_cbranch_execz .LBB227_13
; %bb.12:
	s_getpc_b64 s[4:5]
	s_add_u32 s4, s4, _ZZZZN2at6native28launch_dirichlet_grad_kernelERNS_18TensorIteratorBaseEENKUlvE_clEvENKUlvE0_clEvENKUlfffE_clEfff@rel32@lo+4
	s_addc_u32 s5, s5, _ZZZZN2at6native28launch_dirichlet_grad_kernelERNS_18TensorIteratorBaseEENKUlvE_clEvENKUlvE0_clEvENKUlfffE_clEfff@rel32@hi+12
	s_swappc_b64 s[30:31], s[4:5]
	v_mov_b32_e32 v38, v0
.LBB227_13:
	s_or_b64 exec, exec, s[38:39]
	v_or_b32_e32 v54, 0x100, v42
	v_cmp_gt_i32_e32 vcc, s33, v54
	s_and_saveexec_b64 s[38:39], vcc
	s_cbranch_execz .LBB227_15
; %bb.14:
	s_waitcnt vmcnt(2)
	v_mov_b32_e32 v0, v43
	s_waitcnt vmcnt(1)
	v_mov_b32_e32 v1, v44
	;; [unrolled: 2-line block ×3, first 2 shown]
	s_getpc_b64 s[4:5]
	s_add_u32 s4, s4, _ZZZZN2at6native28launch_dirichlet_grad_kernelERNS_18TensorIteratorBaseEENKUlvE_clEvENKUlvE0_clEvENKUlfffE_clEfff@rel32@lo+4
	s_addc_u32 s5, s5, _ZZZZN2at6native28launch_dirichlet_grad_kernelERNS_18TensorIteratorBaseEENKUlvE_clEvENKUlvE0_clEvENKUlfffE_clEfff@rel32@hi+12
	s_swappc_b64 s[30:31], s[4:5]
	v_mov_b32_e32 v39, v0
.LBB227_15:
	s_or_b64 exec, exec, s[38:39]
	s_waitcnt vmcnt(2)
	v_or_b32_e32 v0, 0x200, v42
	v_cmp_gt_i32_e32 vcc, s33, v0
	s_and_saveexec_b64 s[38:39], vcc
	s_cbranch_execz .LBB227_17
; %bb.16:
	v_mov_b32_e32 v0, v47
	s_waitcnt vmcnt(1)
	v_mov_b32_e32 v1, v48
	s_waitcnt vmcnt(0)
	v_mov_b32_e32 v2, v49
	s_getpc_b64 s[4:5]
	s_add_u32 s4, s4, _ZZZZN2at6native28launch_dirichlet_grad_kernelERNS_18TensorIteratorBaseEENKUlvE_clEvENKUlvE0_clEvENKUlfffE_clEfff@rel32@lo+4
	s_addc_u32 s5, s5, _ZZZZN2at6native28launch_dirichlet_grad_kernelERNS_18TensorIteratorBaseEENKUlvE_clEvENKUlvE0_clEvENKUlfffE_clEfff@rel32@hi+12
	s_swappc_b64 s[30:31], s[4:5]
	v_mov_b32_e32 v40, v0
.LBB227_17:
	s_or_b64 exec, exec, s[38:39]
	v_or_b32_e32 v0, 0x300, v42
	v_cmp_gt_i32_e32 vcc, s33, v0
	s_and_saveexec_b64 s[38:39], vcc
	s_cbranch_execnz .LBB227_24
; %bb.18:
	s_or_b64 exec, exec, s[38:39]
	s_and_saveexec_b64 s[4:5], s[28:29]
	s_xor_b64 s[4:5], exec, s[4:5]
	s_cbranch_execnz .LBB227_25
.LBB227_19:
	s_or_b64 exec, exec, s[4:5]
	v_cmp_gt_i32_e32 vcc, s33, v42
	s_and_saveexec_b64 s[4:5], vcc
	s_cbranch_execnz .LBB227_26
.LBB227_20:
	s_or_b64 exec, exec, s[4:5]
	v_cmp_gt_i32_e32 vcc, s33, v42
	s_and_saveexec_b64 s[4:5], vcc
	s_cbranch_execnz .LBB227_27
.LBB227_21:
	s_or_b64 exec, exec, s[4:5]
	v_cmp_gt_i32_e32 vcc, s33, v42
	s_and_saveexec_b64 s[4:5], vcc
	s_cbranch_execz .LBB227_23
.LBB227_22:
	v_add_u32_e32 v0, s34, v42
	s_waitcnt vmcnt(1)
	v_mov_b32_e32 v1, 0
	v_lshlrev_b64 v[0:1], 2, v[0:1]
	s_waitcnt vmcnt(0)
	v_mov_b32_e32 v2, s37
	v_add_co_u32_e32 v0, vcc, s36, v0
	v_addc_co_u32_e32 v1, vcc, v2, v1, vcc
	global_store_dword v[0:1], v41, off
.LBB227_23:
	s_endpgm
.LBB227_24:
	v_mov_b32_e32 v0, v46
	s_waitcnt vmcnt(1)
	v_mov_b32_e32 v1, v50
	s_waitcnt vmcnt(0)
	v_mov_b32_e32 v2, v51
	s_getpc_b64 s[4:5]
	s_add_u32 s4, s4, _ZZZZN2at6native28launch_dirichlet_grad_kernelERNS_18TensorIteratorBaseEENKUlvE_clEvENKUlvE0_clEvENKUlfffE_clEfff@rel32@lo+4
	s_addc_u32 s5, s5, _ZZZZN2at6native28launch_dirichlet_grad_kernelERNS_18TensorIteratorBaseEENKUlvE_clEvENKUlvE0_clEvENKUlfffE_clEfff@rel32@hi+12
	s_swappc_b64 s[30:31], s[4:5]
	v_mov_b32_e32 v41, v0
	s_or_b64 exec, exec, s[38:39]
	s_and_saveexec_b64 s[4:5], s[28:29]
	s_xor_b64 s[4:5], exec, s[4:5]
	s_cbranch_execz .LBB227_19
.LBB227_25:
	v_mov_b32_e32 v53, 0
	s_waitcnt vmcnt(1)
	v_lshlrev_b64 v[0:1], 2, v[52:53]
	s_waitcnt vmcnt(0)
	v_mov_b32_e32 v2, s37
	v_add_co_u32_e32 v0, vcc, s36, v0
	v_addc_co_u32_e32 v1, vcc, v2, v1, vcc
	v_mov_b32_e32 v42, v54
	global_store_dword v[0:1], v38, off
	s_or_b64 exec, exec, s[4:5]
	v_cmp_gt_i32_e32 vcc, s33, v42
	s_and_saveexec_b64 s[4:5], vcc
	s_cbranch_execz .LBB227_20
.LBB227_26:
	v_add_u32_e32 v0, s34, v42
	s_waitcnt vmcnt(1)
	v_mov_b32_e32 v1, 0
	v_lshlrev_b64 v[0:1], 2, v[0:1]
	s_waitcnt vmcnt(0)
	v_mov_b32_e32 v2, s37
	v_add_co_u32_e32 v0, vcc, s36, v0
	v_addc_co_u32_e32 v1, vcc, v2, v1, vcc
	v_add_u32_e32 v42, 0x100, v42
	global_store_dword v[0:1], v39, off
	s_or_b64 exec, exec, s[4:5]
	v_cmp_gt_i32_e32 vcc, s33, v42
	s_and_saveexec_b64 s[4:5], vcc
	s_cbranch_execz .LBB227_21
.LBB227_27:
	v_add_u32_e32 v0, s34, v42
	s_waitcnt vmcnt(1)
	v_mov_b32_e32 v1, 0
	v_lshlrev_b64 v[0:1], 2, v[0:1]
	s_waitcnt vmcnt(0)
	v_mov_b32_e32 v2, s37
	v_add_co_u32_e32 v0, vcc, s36, v0
	v_addc_co_u32_e32 v1, vcc, v2, v1, vcc
	v_add_u32_e32 v42, 0x100, v42
	global_store_dword v[0:1], v40, off
	s_or_b64 exec, exec, s[4:5]
	v_cmp_gt_i32_e32 vcc, s33, v42
	s_and_saveexec_b64 s[4:5], vcc
	s_cbranch_execnz .LBB227_22
	s_branch .LBB227_23
	.section	.rodata,"a",@progbits
	.p2align	6, 0x0
	.amdhsa_kernel _ZN2at6native29vectorized_elementwise_kernelILi2EZZZNS0_28launch_dirichlet_grad_kernelERNS_18TensorIteratorBaseEENKUlvE_clEvENKUlvE0_clEvEUlfffE_St5arrayIPcLm4EEEEviT0_T1_
		.amdhsa_group_segment_fixed_size 0
		.amdhsa_private_segment_fixed_size 0
		.amdhsa_kernarg_size 40
		.amdhsa_user_sgpr_count 8
		.amdhsa_user_sgpr_private_segment_buffer 1
		.amdhsa_user_sgpr_dispatch_ptr 0
		.amdhsa_user_sgpr_queue_ptr 0
		.amdhsa_user_sgpr_kernarg_segment_ptr 1
		.amdhsa_user_sgpr_dispatch_id 0
		.amdhsa_user_sgpr_flat_scratch_init 1
		.amdhsa_user_sgpr_kernarg_preload_length 0
		.amdhsa_user_sgpr_kernarg_preload_offset 0
		.amdhsa_user_sgpr_private_segment_size 0
		.amdhsa_uses_dynamic_stack 0
		.amdhsa_system_sgpr_private_segment_wavefront_offset 0
		.amdhsa_system_sgpr_workgroup_id_x 1
		.amdhsa_system_sgpr_workgroup_id_y 0
		.amdhsa_system_sgpr_workgroup_id_z 0
		.amdhsa_system_sgpr_workgroup_info 0
		.amdhsa_system_vgpr_workitem_id 0
		.amdhsa_next_free_vgpr 55
		.amdhsa_next_free_sgpr 46
		.amdhsa_accum_offset 56
		.amdhsa_reserve_vcc 1
		.amdhsa_reserve_flat_scratch 1
		.amdhsa_float_round_mode_32 0
		.amdhsa_float_round_mode_16_64 0
		.amdhsa_float_denorm_mode_32 3
		.amdhsa_float_denorm_mode_16_64 3
		.amdhsa_dx10_clamp 1
		.amdhsa_ieee_mode 1
		.amdhsa_fp16_overflow 0
		.amdhsa_tg_split 0
		.amdhsa_exception_fp_ieee_invalid_op 0
		.amdhsa_exception_fp_denorm_src 0
		.amdhsa_exception_fp_ieee_div_zero 0
		.amdhsa_exception_fp_ieee_overflow 0
		.amdhsa_exception_fp_ieee_underflow 0
		.amdhsa_exception_fp_ieee_inexact 0
		.amdhsa_exception_int_div_zero 0
	.end_amdhsa_kernel
	.section	.text._ZN2at6native29vectorized_elementwise_kernelILi2EZZZNS0_28launch_dirichlet_grad_kernelERNS_18TensorIteratorBaseEENKUlvE_clEvENKUlvE0_clEvEUlfffE_St5arrayIPcLm4EEEEviT0_T1_,"axG",@progbits,_ZN2at6native29vectorized_elementwise_kernelILi2EZZZNS0_28launch_dirichlet_grad_kernelERNS_18TensorIteratorBaseEENKUlvE_clEvENKUlvE0_clEvEUlfffE_St5arrayIPcLm4EEEEviT0_T1_,comdat
.Lfunc_end227:
	.size	_ZN2at6native29vectorized_elementwise_kernelILi2EZZZNS0_28launch_dirichlet_grad_kernelERNS_18TensorIteratorBaseEENKUlvE_clEvENKUlvE0_clEvEUlfffE_St5arrayIPcLm4EEEEviT0_T1_, .Lfunc_end227-_ZN2at6native29vectorized_elementwise_kernelILi2EZZZNS0_28launch_dirichlet_grad_kernelERNS_18TensorIteratorBaseEENKUlvE_clEvENKUlvE0_clEvEUlfffE_St5arrayIPcLm4EEEEviT0_T1_
                                        ; -- End function
	.section	.AMDGPU.csdata,"",@progbits
; Kernel info:
; codeLenInByte = 1332
; NumSgprs: 52
; NumVgprs: 55
; NumAgprs: 0
; TotalNumVgprs: 55
; ScratchSize: 0
; MemoryBound: 0
; FloatMode: 240
; IeeeMode: 1
; LDSByteSize: 0 bytes/workgroup (compile time only)
; SGPRBlocks: 6
; VGPRBlocks: 6
; NumSGPRsForWavesPerEU: 52
; NumVGPRsForWavesPerEU: 55
; AccumOffset: 56
; Occupancy: 8
; WaveLimiterHint : 0
; COMPUTE_PGM_RSRC2:SCRATCH_EN: 0
; COMPUTE_PGM_RSRC2:USER_SGPR: 8
; COMPUTE_PGM_RSRC2:TRAP_HANDLER: 0
; COMPUTE_PGM_RSRC2:TGID_X_EN: 1
; COMPUTE_PGM_RSRC2:TGID_Y_EN: 0
; COMPUTE_PGM_RSRC2:TGID_Z_EN: 0
; COMPUTE_PGM_RSRC2:TIDIG_COMP_CNT: 0
; COMPUTE_PGM_RSRC3_GFX90A:ACCUM_OFFSET: 13
; COMPUTE_PGM_RSRC3_GFX90A:TG_SPLIT: 0
	.section	.text._ZN2at6native27unrolled_elementwise_kernelIZZZNS0_28launch_dirichlet_grad_kernelERNS_18TensorIteratorBaseEENKUlvE_clEvENKUlvE0_clEvEUlfffE_St5arrayIPcLm4EELi4E23TrivialOffsetCalculatorILi3EjESA_ILi1EjENS0_6memory15LoadWithoutCastENSD_16StoreWithoutCastEEEviT_T0_T2_T3_T4_T5_,"axG",@progbits,_ZN2at6native27unrolled_elementwise_kernelIZZZNS0_28launch_dirichlet_grad_kernelERNS_18TensorIteratorBaseEENKUlvE_clEvENKUlvE0_clEvEUlfffE_St5arrayIPcLm4EELi4E23TrivialOffsetCalculatorILi3EjESA_ILi1EjENS0_6memory15LoadWithoutCastENSD_16StoreWithoutCastEEEviT_T0_T2_T3_T4_T5_,comdat
	.globl	_ZN2at6native27unrolled_elementwise_kernelIZZZNS0_28launch_dirichlet_grad_kernelERNS_18TensorIteratorBaseEENKUlvE_clEvENKUlvE0_clEvEUlfffE_St5arrayIPcLm4EELi4E23TrivialOffsetCalculatorILi3EjESA_ILi1EjENS0_6memory15LoadWithoutCastENSD_16StoreWithoutCastEEEviT_T0_T2_T3_T4_T5_ ; -- Begin function _ZN2at6native27unrolled_elementwise_kernelIZZZNS0_28launch_dirichlet_grad_kernelERNS_18TensorIteratorBaseEENKUlvE_clEvENKUlvE0_clEvEUlfffE_St5arrayIPcLm4EELi4E23TrivialOffsetCalculatorILi3EjESA_ILi1EjENS0_6memory15LoadWithoutCastENSD_16StoreWithoutCastEEEviT_T0_T2_T3_T4_T5_
	.p2align	8
	.type	_ZN2at6native27unrolled_elementwise_kernelIZZZNS0_28launch_dirichlet_grad_kernelERNS_18TensorIteratorBaseEENKUlvE_clEvENKUlvE0_clEvEUlfffE_St5arrayIPcLm4EELi4E23TrivialOffsetCalculatorILi3EjESA_ILi1EjENS0_6memory15LoadWithoutCastENSD_16StoreWithoutCastEEEviT_T0_T2_T3_T4_T5_,@function
_ZN2at6native27unrolled_elementwise_kernelIZZZNS0_28launch_dirichlet_grad_kernelERNS_18TensorIteratorBaseEENKUlvE_clEvENKUlvE0_clEvEUlfffE_St5arrayIPcLm4EELi4E23TrivialOffsetCalculatorILi3EjESA_ILi1EjENS0_6memory15LoadWithoutCastENSD_16StoreWithoutCastEEEviT_T0_T2_T3_T4_T5_: ; @_ZN2at6native27unrolled_elementwise_kernelIZZZNS0_28launch_dirichlet_grad_kernelERNS_18TensorIteratorBaseEENKUlvE_clEvENKUlvE0_clEvEUlfffE_St5arrayIPcLm4EELi4E23TrivialOffsetCalculatorILi3EjESA_ILi1EjENS0_6memory15LoadWithoutCastENSD_16StoreWithoutCastEEEviT_T0_T2_T3_T4_T5_
; %bb.0:
	s_add_u32 flat_scratch_lo, s6, s9
	s_load_dword s6, s[4:5], 0x0
	s_load_dwordx8 s[36:43], s[4:5], 0x8
	s_addc_u32 flat_scratch_hi, s7, 0
	s_add_u32 s0, s0, s9
	s_addc_u32 s1, s1, 0
	s_lshl_b32 s33, s8, 10
	v_mov_b32_e32 v42, v0
	s_waitcnt lgkmcnt(0)
	s_sub_i32 s44, s6, s33
	v_cmp_gt_i32_e64 s[28:29], s44, v42
	v_mov_b32_e32 v43, 0
	v_or_b32_e32 v52, s33, v42
	v_mov_b32_e32 v0, 0
	v_mov_b32_e32 v1, 0
	;; [unrolled: 1-line block ×4, first 2 shown]
	s_mov_b32 s32, 0
	s_and_saveexec_b64 s[4:5], s[28:29]
	s_cbranch_execz .LBB228_2
; %bb.1:
	v_mov_b32_e32 v53, 0
	v_lshlrev_b64 v[0:1], 2, v[52:53]
	v_mov_b32_e32 v2, s43
	v_add_co_u32_e32 v4, vcc, s42, v0
	v_addc_co_u32_e32 v5, vcc, v2, v1, vcc
	v_mov_b32_e32 v2, s41
	v_add_co_u32_e32 v6, vcc, s40, v0
	v_addc_co_u32_e32 v7, vcc, v2, v1, vcc
	;; [unrolled: 3-line block ×3, first 2 shown]
	global_load_dword v0, v[8:9], off
	global_load_dword v1, v[6:7], off
	;; [unrolled: 1-line block ×3, first 2 shown]
	v_or_b32_e32 v3, 0x100, v42
.LBB228_2:
	s_or_b64 exec, exec, s[4:5]
	v_cmp_gt_i32_e32 vcc, s44, v3
	v_mov_b32_e32 v44, 0
	v_mov_b32_e32 v45, 0
	s_and_saveexec_b64 s[4:5], vcc
	s_cbranch_execz .LBB228_4
; %bb.3:
	v_add_u32_e32 v4, s33, v3
	v_mov_b32_e32 v5, 0
	v_lshlrev_b64 v[4:5], 2, v[4:5]
	v_mov_b32_e32 v7, s43
	v_add_co_u32_e32 v6, vcc, s42, v4
	v_addc_co_u32_e32 v7, vcc, v7, v5, vcc
	v_mov_b32_e32 v9, s41
	v_add_co_u32_e32 v8, vcc, s40, v4
	v_addc_co_u32_e32 v9, vcc, v9, v5, vcc
	;; [unrolled: 3-line block ×3, first 2 shown]
	global_load_dword v43, v[4:5], off
	global_load_dword v44, v[8:9], off
	;; [unrolled: 1-line block ×3, first 2 shown]
	v_add_u32_e32 v3, 0x100, v3
.LBB228_4:
	s_or_b64 exec, exec, s[4:5]
	v_cmp_gt_i32_e32 vcc, s44, v3
	v_mov_b32_e32 v46, 0
	v_mov_b32_e32 v47, 0
	;; [unrolled: 1-line block ×4, first 2 shown]
	s_and_saveexec_b64 s[4:5], vcc
	s_cbranch_execz .LBB228_6
; %bb.5:
	v_add_u32_e32 v4, s33, v3
	v_mov_b32_e32 v5, 0
	v_lshlrev_b64 v[4:5], 2, v[4:5]
	v_mov_b32_e32 v7, s43
	v_add_co_u32_e32 v6, vcc, s42, v4
	v_addc_co_u32_e32 v7, vcc, v7, v5, vcc
	v_mov_b32_e32 v9, s41
	v_add_co_u32_e32 v8, vcc, s40, v4
	v_addc_co_u32_e32 v9, vcc, v9, v5, vcc
	v_mov_b32_e32 v10, s39
	v_add_co_u32_e32 v4, vcc, s38, v4
	v_addc_co_u32_e32 v5, vcc, v10, v5, vcc
	global_load_dword v47, v[4:5], off
	global_load_dword v48, v[8:9], off
	;; [unrolled: 1-line block ×3, first 2 shown]
	v_add_u32_e32 v3, 0x100, v3
.LBB228_6:
	s_or_b64 exec, exec, s[4:5]
	v_cmp_gt_i32_e32 vcc, s44, v3
	v_mov_b32_e32 v50, 0
	v_mov_b32_e32 v51, 0
	s_and_saveexec_b64 s[4:5], vcc
	s_cbranch_execz .LBB228_8
; %bb.7:
	v_add_u32_e32 v4, s33, v3
	v_mov_b32_e32 v5, 0
	v_lshlrev_b64 v[4:5], 2, v[4:5]
	v_mov_b32_e32 v3, s43
	v_add_co_u32_e32 v6, vcc, s42, v4
	v_addc_co_u32_e32 v7, vcc, v3, v5, vcc
	v_mov_b32_e32 v3, s41
	v_add_co_u32_e32 v8, vcc, s40, v4
	v_addc_co_u32_e32 v9, vcc, v3, v5, vcc
	;; [unrolled: 3-line block ×3, first 2 shown]
	global_load_dword v46, v[4:5], off
	global_load_dword v50, v[8:9], off
	;; [unrolled: 1-line block ×3, first 2 shown]
.LBB228_8:
	s_or_b64 exec, exec, s[4:5]
                                        ; implicit-def: $vgpr38_vgpr39_vgpr40_vgpr41
	s_and_saveexec_b64 s[34:35], s[28:29]
	s_cbranch_execz .LBB228_10
; %bb.9:
	s_getpc_b64 s[4:5]
	s_add_u32 s4, s4, _ZZZZN2at6native28launch_dirichlet_grad_kernelERNS_18TensorIteratorBaseEENKUlvE_clEvENKUlvE0_clEvENKUlfffE_clEfff@rel32@lo+4
	s_addc_u32 s5, s5, _ZZZZN2at6native28launch_dirichlet_grad_kernelERNS_18TensorIteratorBaseEENKUlvE_clEvENKUlvE0_clEvENKUlfffE_clEfff@rel32@hi+12
	s_swappc_b64 s[30:31], s[4:5]
	v_mov_b32_e32 v38, v0
.LBB228_10:
	s_or_b64 exec, exec, s[34:35]
	v_or_b32_e32 v54, 0x100, v42
	v_cmp_gt_i32_e32 vcc, s44, v54
	s_and_saveexec_b64 s[34:35], vcc
	s_cbranch_execz .LBB228_12
; %bb.11:
	s_waitcnt vmcnt(2)
	v_mov_b32_e32 v0, v43
	s_waitcnt vmcnt(1)
	v_mov_b32_e32 v1, v44
	;; [unrolled: 2-line block ×3, first 2 shown]
	s_getpc_b64 s[4:5]
	s_add_u32 s4, s4, _ZZZZN2at6native28launch_dirichlet_grad_kernelERNS_18TensorIteratorBaseEENKUlvE_clEvENKUlvE0_clEvENKUlfffE_clEfff@rel32@lo+4
	s_addc_u32 s5, s5, _ZZZZN2at6native28launch_dirichlet_grad_kernelERNS_18TensorIteratorBaseEENKUlvE_clEvENKUlvE0_clEvENKUlfffE_clEfff@rel32@hi+12
	s_swappc_b64 s[30:31], s[4:5]
	v_mov_b32_e32 v39, v0
.LBB228_12:
	s_or_b64 exec, exec, s[34:35]
	s_waitcnt vmcnt(2)
	v_or_b32_e32 v0, 0x200, v42
	v_cmp_gt_i32_e32 vcc, s44, v0
	s_and_saveexec_b64 s[34:35], vcc
	s_cbranch_execz .LBB228_14
; %bb.13:
	v_mov_b32_e32 v0, v47
	s_waitcnt vmcnt(1)
	v_mov_b32_e32 v1, v48
	s_waitcnt vmcnt(0)
	v_mov_b32_e32 v2, v49
	s_getpc_b64 s[4:5]
	s_add_u32 s4, s4, _ZZZZN2at6native28launch_dirichlet_grad_kernelERNS_18TensorIteratorBaseEENKUlvE_clEvENKUlvE0_clEvENKUlfffE_clEfff@rel32@lo+4
	s_addc_u32 s5, s5, _ZZZZN2at6native28launch_dirichlet_grad_kernelERNS_18TensorIteratorBaseEENKUlvE_clEvENKUlvE0_clEvENKUlfffE_clEfff@rel32@hi+12
	s_swappc_b64 s[30:31], s[4:5]
	v_mov_b32_e32 v40, v0
.LBB228_14:
	s_or_b64 exec, exec, s[34:35]
	v_or_b32_e32 v0, 0x300, v42
	v_cmp_gt_i32_e32 vcc, s44, v0
	s_and_saveexec_b64 s[34:35], vcc
	s_cbranch_execnz .LBB228_20
; %bb.15:
	s_or_b64 exec, exec, s[34:35]
	s_and_saveexec_b64 s[4:5], s[28:29]
	s_xor_b64 s[4:5], exec, s[4:5]
	s_cbranch_execnz .LBB228_21
.LBB228_16:
	s_or_b64 exec, exec, s[4:5]
	v_cmp_gt_i32_e32 vcc, s44, v42
	s_and_saveexec_b64 s[4:5], vcc
	s_cbranch_execnz .LBB228_22
.LBB228_17:
	s_or_b64 exec, exec, s[4:5]
	v_cmp_gt_i32_e32 vcc, s44, v42
	s_and_saveexec_b64 s[4:5], vcc
	s_cbranch_execnz .LBB228_23
.LBB228_18:
	s_or_b64 exec, exec, s[4:5]
	v_cmp_gt_i32_e32 vcc, s44, v42
	s_and_saveexec_b64 s[4:5], vcc
	s_cbranch_execnz .LBB228_24
.LBB228_19:
	s_endpgm
.LBB228_20:
	v_mov_b32_e32 v0, v46
	s_waitcnt vmcnt(1)
	v_mov_b32_e32 v1, v50
	s_waitcnt vmcnt(0)
	v_mov_b32_e32 v2, v51
	s_getpc_b64 s[4:5]
	s_add_u32 s4, s4, _ZZZZN2at6native28launch_dirichlet_grad_kernelERNS_18TensorIteratorBaseEENKUlvE_clEvENKUlvE0_clEvENKUlfffE_clEfff@rel32@lo+4
	s_addc_u32 s5, s5, _ZZZZN2at6native28launch_dirichlet_grad_kernelERNS_18TensorIteratorBaseEENKUlvE_clEvENKUlvE0_clEvENKUlfffE_clEfff@rel32@hi+12
	s_swappc_b64 s[30:31], s[4:5]
	v_mov_b32_e32 v41, v0
	s_or_b64 exec, exec, s[34:35]
	s_and_saveexec_b64 s[4:5], s[28:29]
	s_xor_b64 s[4:5], exec, s[4:5]
	s_cbranch_execz .LBB228_16
.LBB228_21:
	v_mov_b32_e32 v53, 0
	s_waitcnt vmcnt(1)
	v_lshlrev_b64 v[0:1], 2, v[52:53]
	s_waitcnt vmcnt(0)
	v_mov_b32_e32 v2, s37
	v_add_co_u32_e32 v0, vcc, s36, v0
	v_addc_co_u32_e32 v1, vcc, v2, v1, vcc
	v_mov_b32_e32 v42, v54
	global_store_dword v[0:1], v38, off
	s_or_b64 exec, exec, s[4:5]
	v_cmp_gt_i32_e32 vcc, s44, v42
	s_and_saveexec_b64 s[4:5], vcc
	s_cbranch_execz .LBB228_17
.LBB228_22:
	v_add_u32_e32 v0, s33, v42
	s_waitcnt vmcnt(1)
	v_mov_b32_e32 v1, 0
	v_lshlrev_b64 v[0:1], 2, v[0:1]
	s_waitcnt vmcnt(0)
	v_add_u32_e32 v2, 0x100, v42
	v_mov_b32_e32 v3, s37
	v_add_co_u32_e32 v0, vcc, s36, v0
	v_addc_co_u32_e32 v1, vcc, v3, v1, vcc
	v_mov_b32_e32 v42, v2
	global_store_dword v[0:1], v39, off
	s_or_b64 exec, exec, s[4:5]
	v_cmp_gt_i32_e32 vcc, s44, v42
	s_and_saveexec_b64 s[4:5], vcc
	s_cbranch_execz .LBB228_18
.LBB228_23:
	v_add_u32_e32 v0, s33, v42
	s_waitcnt vmcnt(1)
	v_mov_b32_e32 v1, 0
	v_lshlrev_b64 v[0:1], 2, v[0:1]
	s_waitcnt vmcnt(0)
	v_add_u32_e32 v2, 0x100, v42
	v_mov_b32_e32 v3, s37
	v_add_co_u32_e32 v0, vcc, s36, v0
	v_addc_co_u32_e32 v1, vcc, v3, v1, vcc
	v_mov_b32_e32 v42, v2
	global_store_dword v[0:1], v40, off
	s_or_b64 exec, exec, s[4:5]
	v_cmp_gt_i32_e32 vcc, s44, v42
	s_and_saveexec_b64 s[4:5], vcc
	s_cbranch_execz .LBB228_19
.LBB228_24:
	v_add_u32_e32 v0, s33, v42
	s_waitcnt vmcnt(1)
	v_mov_b32_e32 v1, 0
	v_lshlrev_b64 v[0:1], 2, v[0:1]
	s_waitcnt vmcnt(0)
	v_mov_b32_e32 v2, s37
	v_add_co_u32_e32 v0, vcc, s36, v0
	v_addc_co_u32_e32 v1, vcc, v2, v1, vcc
	global_store_dword v[0:1], v41, off
	s_endpgm
	.section	.rodata,"a",@progbits
	.p2align	6, 0x0
	.amdhsa_kernel _ZN2at6native27unrolled_elementwise_kernelIZZZNS0_28launch_dirichlet_grad_kernelERNS_18TensorIteratorBaseEENKUlvE_clEvENKUlvE0_clEvEUlfffE_St5arrayIPcLm4EELi4E23TrivialOffsetCalculatorILi3EjESA_ILi1EjENS0_6memory15LoadWithoutCastENSD_16StoreWithoutCastEEEviT_T0_T2_T3_T4_T5_
		.amdhsa_group_segment_fixed_size 0
		.amdhsa_private_segment_fixed_size 0
		.amdhsa_kernarg_size 44
		.amdhsa_user_sgpr_count 8
		.amdhsa_user_sgpr_private_segment_buffer 1
		.amdhsa_user_sgpr_dispatch_ptr 0
		.amdhsa_user_sgpr_queue_ptr 0
		.amdhsa_user_sgpr_kernarg_segment_ptr 1
		.amdhsa_user_sgpr_dispatch_id 0
		.amdhsa_user_sgpr_flat_scratch_init 1
		.amdhsa_user_sgpr_kernarg_preload_length 0
		.amdhsa_user_sgpr_kernarg_preload_offset 0
		.amdhsa_user_sgpr_private_segment_size 0
		.amdhsa_uses_dynamic_stack 0
		.amdhsa_system_sgpr_private_segment_wavefront_offset 0
		.amdhsa_system_sgpr_workgroup_id_x 1
		.amdhsa_system_sgpr_workgroup_id_y 0
		.amdhsa_system_sgpr_workgroup_id_z 0
		.amdhsa_system_sgpr_workgroup_info 0
		.amdhsa_system_vgpr_workitem_id 0
		.amdhsa_next_free_vgpr 55
		.amdhsa_next_free_sgpr 45
		.amdhsa_accum_offset 56
		.amdhsa_reserve_vcc 1
		.amdhsa_reserve_flat_scratch 1
		.amdhsa_float_round_mode_32 0
		.amdhsa_float_round_mode_16_64 0
		.amdhsa_float_denorm_mode_32 3
		.amdhsa_float_denorm_mode_16_64 3
		.amdhsa_dx10_clamp 1
		.amdhsa_ieee_mode 1
		.amdhsa_fp16_overflow 0
		.amdhsa_tg_split 0
		.amdhsa_exception_fp_ieee_invalid_op 0
		.amdhsa_exception_fp_denorm_src 0
		.amdhsa_exception_fp_ieee_div_zero 0
		.amdhsa_exception_fp_ieee_overflow 0
		.amdhsa_exception_fp_ieee_underflow 0
		.amdhsa_exception_fp_ieee_inexact 0
		.amdhsa_exception_int_div_zero 0
	.end_amdhsa_kernel
	.section	.text._ZN2at6native27unrolled_elementwise_kernelIZZZNS0_28launch_dirichlet_grad_kernelERNS_18TensorIteratorBaseEENKUlvE_clEvENKUlvE0_clEvEUlfffE_St5arrayIPcLm4EELi4E23TrivialOffsetCalculatorILi3EjESA_ILi1EjENS0_6memory15LoadWithoutCastENSD_16StoreWithoutCastEEEviT_T0_T2_T3_T4_T5_,"axG",@progbits,_ZN2at6native27unrolled_elementwise_kernelIZZZNS0_28launch_dirichlet_grad_kernelERNS_18TensorIteratorBaseEENKUlvE_clEvENKUlvE0_clEvEUlfffE_St5arrayIPcLm4EELi4E23TrivialOffsetCalculatorILi3EjESA_ILi1EjENS0_6memory15LoadWithoutCastENSD_16StoreWithoutCastEEEviT_T0_T2_T3_T4_T5_,comdat
.Lfunc_end228:
	.size	_ZN2at6native27unrolled_elementwise_kernelIZZZNS0_28launch_dirichlet_grad_kernelERNS_18TensorIteratorBaseEENKUlvE_clEvENKUlvE0_clEvEUlfffE_St5arrayIPcLm4EELi4E23TrivialOffsetCalculatorILi3EjESA_ILi1EjENS0_6memory15LoadWithoutCastENSD_16StoreWithoutCastEEEviT_T0_T2_T3_T4_T5_, .Lfunc_end228-_ZN2at6native27unrolled_elementwise_kernelIZZZNS0_28launch_dirichlet_grad_kernelERNS_18TensorIteratorBaseEENKUlvE_clEvENKUlvE0_clEvEUlfffE_St5arrayIPcLm4EELi4E23TrivialOffsetCalculatorILi3EjESA_ILi1EjENS0_6memory15LoadWithoutCastENSD_16StoreWithoutCastEEEviT_T0_T2_T3_T4_T5_
                                        ; -- End function
	.section	.AMDGPU.csdata,"",@progbits
; Kernel info:
; codeLenInByte = 1096
; NumSgprs: 51
; NumVgprs: 55
; NumAgprs: 0
; TotalNumVgprs: 55
; ScratchSize: 0
; MemoryBound: 0
; FloatMode: 240
; IeeeMode: 1
; LDSByteSize: 0 bytes/workgroup (compile time only)
; SGPRBlocks: 6
; VGPRBlocks: 6
; NumSGPRsForWavesPerEU: 51
; NumVGPRsForWavesPerEU: 55
; AccumOffset: 56
; Occupancy: 8
; WaveLimiterHint : 0
; COMPUTE_PGM_RSRC2:SCRATCH_EN: 0
; COMPUTE_PGM_RSRC2:USER_SGPR: 8
; COMPUTE_PGM_RSRC2:TRAP_HANDLER: 0
; COMPUTE_PGM_RSRC2:TGID_X_EN: 1
; COMPUTE_PGM_RSRC2:TGID_Y_EN: 0
; COMPUTE_PGM_RSRC2:TGID_Z_EN: 0
; COMPUTE_PGM_RSRC2:TIDIG_COMP_CNT: 0
; COMPUTE_PGM_RSRC3_GFX90A:ACCUM_OFFSET: 13
; COMPUTE_PGM_RSRC3_GFX90A:TG_SPLIT: 0
	.section	.text._ZN2at6native32elementwise_kernel_manual_unrollILi128ELi4EZNS0_22gpu_kernel_impl_nocastIZZZNS0_28launch_dirichlet_grad_kernelERNS_18TensorIteratorBaseEENKUlvE_clEvENKUlvE0_clEvEUlfffE_EEvS4_RKT_EUlibE_EEviT1_,"axG",@progbits,_ZN2at6native32elementwise_kernel_manual_unrollILi128ELi4EZNS0_22gpu_kernel_impl_nocastIZZZNS0_28launch_dirichlet_grad_kernelERNS_18TensorIteratorBaseEENKUlvE_clEvENKUlvE0_clEvEUlfffE_EEvS4_RKT_EUlibE_EEviT1_,comdat
	.globl	_ZN2at6native32elementwise_kernel_manual_unrollILi128ELi4EZNS0_22gpu_kernel_impl_nocastIZZZNS0_28launch_dirichlet_grad_kernelERNS_18TensorIteratorBaseEENKUlvE_clEvENKUlvE0_clEvEUlfffE_EEvS4_RKT_EUlibE_EEviT1_ ; -- Begin function _ZN2at6native32elementwise_kernel_manual_unrollILi128ELi4EZNS0_22gpu_kernel_impl_nocastIZZZNS0_28launch_dirichlet_grad_kernelERNS_18TensorIteratorBaseEENKUlvE_clEvENKUlvE0_clEvEUlfffE_EEvS4_RKT_EUlibE_EEviT1_
	.p2align	8
	.type	_ZN2at6native32elementwise_kernel_manual_unrollILi128ELi4EZNS0_22gpu_kernel_impl_nocastIZZZNS0_28launch_dirichlet_grad_kernelERNS_18TensorIteratorBaseEENKUlvE_clEvENKUlvE0_clEvEUlfffE_EEvS4_RKT_EUlibE_EEviT1_,@function
_ZN2at6native32elementwise_kernel_manual_unrollILi128ELi4EZNS0_22gpu_kernel_impl_nocastIZZZNS0_28launch_dirichlet_grad_kernelERNS_18TensorIteratorBaseEENKUlvE_clEvENKUlvE0_clEvEUlfffE_EEvS4_RKT_EUlibE_EEviT1_: ; @_ZN2at6native32elementwise_kernel_manual_unrollILi128ELi4EZNS0_22gpu_kernel_impl_nocastIZZZNS0_28launch_dirichlet_grad_kernelERNS_18TensorIteratorBaseEENKUlvE_clEvENKUlvE0_clEvEUlfffE_EEvS4_RKT_EUlibE_EEviT1_
; %bb.0:
	s_load_dword s68, s[4:5], 0x0
	s_load_dword s33, s[4:5], 0x8
	s_add_u32 flat_scratch_lo, s6, s9
	s_addc_u32 flat_scratch_hi, s7, 0
	s_add_u32 s0, s0, s9
	s_mov_b64 s[28:29], s[4:5]
	s_addc_u32 s1, s1, 0
	s_or_b32 s28, s28, 8
	v_lshl_or_b32 v50, s8, 9, v0
	s_waitcnt lgkmcnt(0)
	s_add_i32 s66, s33, -1
	v_or_b32_e32 v0, 0x180, v50
	s_cmp_gt_u32 s66, 1
	v_cmp_le_i32_e32 vcc, s68, v0
	s_cselect_b64 s[34:35], -1, 0
	s_mov_b32 s32, 0
	s_and_saveexec_b64 s[4:5], vcc
	s_xor_b64 s[56:57], exec, s[4:5]
	s_cbranch_execz .LBB229_50
; %bb.1:
	s_load_dwordx4 s[52:55], s[28:29], 0x4
	s_load_dwordx2 s[58:59], s[28:29], 0x14
	s_load_dwordx8 s[44:51], s[28:29], 0xc4
	s_load_dwordx8 s[36:43], s[28:29], 0x1c8
	s_cmp_lg_u32 s33, 0
	s_cselect_b64 s[62:63], -1, 0
	s_min_u32 s67, s66, 15
	s_cmp_gt_u32 s33, 1
	s_cselect_b64 s[60:61], -1, 0
	v_cmp_gt_i32_e32 vcc, s68, v50
	s_and_saveexec_b64 s[64:65], vcc
	s_cbranch_execnz .LBB229_5
; %bb.2:
	s_or_b64 exec, exec, s[64:65]
	v_cmp_gt_i32_e32 vcc, s68, v50
	s_and_saveexec_b64 s[64:65], vcc
	s_cbranch_execnz .LBB229_16
.LBB229_3:
	s_or_b64 exec, exec, s[64:65]
	v_cmp_gt_i32_e32 vcc, s68, v50
	s_and_saveexec_b64 s[64:65], vcc
	s_cbranch_execnz .LBB229_27
.LBB229_4:
	s_or_b64 exec, exec, s[64:65]
	v_cmp_gt_i32_e32 vcc, s68, v50
	s_and_saveexec_b64 s[64:65], vcc
	s_cbranch_execnz .LBB229_38
	s_branch .LBB229_49
.LBB229_5:
	s_andn2_b64 vcc, exec, s[34:35]
	s_cbranch_vccnz .LBB229_12
; %bb.6:
	s_andn2_b64 vcc, exec, s[62:63]
	v_mov_b32_e32 v4, 0
	v_mov_b32_e32 v38, 0
	;; [unrolled: 1-line block ×4, first 2 shown]
	s_cbranch_vccnz .LBB229_11
; %bb.7:
	s_add_i32 s4, s67, 1
	s_and_b32 s20, s4, 30
	s_add_u32 s16, s28, 0xa4
	s_addc_u32 s17, s29, 0
	v_mov_b32_e32 v6, 0
	s_mov_b64 s[18:19], s[28:29]
	v_mov_b32_e32 v0, v50
	v_mov_b32_e32 v8, 0
	;; [unrolled: 1-line block ×4, first 2 shown]
.LBB229_8:                              ; =>This Inner Loop Header: Depth=1
	s_load_dwordx4 s[12:15], s[18:19], 0x4
	s_load_dwordx2 s[24:25], s[18:19], 0x14
	s_mov_b64 s[22:23], s[16:17]
	s_load_dwordx8 s[4:11], s[22:23], 0x20
	s_add_u32 s16, s22, 32
	s_waitcnt lgkmcnt(0)
	v_mul_hi_u32 v1, s13, v0
	v_add_u32_e32 v1, v0, v1
	v_lshrrev_b32_e32 v1, s14, v1
	v_mul_lo_u32 v2, v1, s12
	v_mul_hi_u32 v3, s24, v1
	v_sub_u32_e32 v0, v0, v2
	v_add_u32_e32 v2, v1, v3
	v_mul_lo_u32 v3, v0, s4
	v_mul_lo_u32 v5, v0, s5
	;; [unrolled: 1-line block ×4, first 2 shown]
	v_lshrrev_b32_e32 v0, s25, v2
	s_addc_u32 s17, s23, 0
	v_mul_lo_u32 v2, v0, s15
	s_add_u32 s18, s18, 24
	v_sub_u32_e32 v1, v1, v2
	s_addc_u32 s19, s19, 0
	s_add_i32 s20, s20, -2
	v_mul_lo_u32 v2, v1, s8
	v_mul_lo_u32 v10, v1, s9
	;; [unrolled: 1-line block ×4, first 2 shown]
	s_cmp_lg_u32 s20, 0
	v_add3_u32 v4, v5, v4, v10
	v_add3_u32 v38, v3, v38, v2
	;; [unrolled: 1-line block ×4, first 2 shown]
	s_cbranch_scc1 .LBB229_8
; %bb.9:
	s_bitcmp1_b32 s67, 0
	s_cselect_b64 s[4:5], -1, 0
	s_and_b64 vcc, exec, s[4:5]
	s_cbranch_vccnz .LBB229_11
; %bb.10:
	s_load_dwordx2 s[8:9], s[18:19], 0x4
	s_load_dword s10, s[18:19], 0xc
                                        ; kill: killed $sgpr18 killed $sgpr19
	s_load_dwordx4 s[4:7], s[16:17], 0x20
	s_waitcnt lgkmcnt(0)
	v_mul_hi_u32 v1, s9, v0
	v_add_u32_e32 v1, v0, v1
	v_lshrrev_b32_e32 v1, s10, v1
	v_mul_lo_u32 v1, v1, s8
	v_sub_u32_e32 v0, v0, v1
	v_mad_u64_u32 v[38:39], s[8:9], v0, s4, v[38:39]
	v_mad_u64_u32 v[4:5], s[4:5], v0, s5, v[4:5]
	;; [unrolled: 1-line block ×4, first 2 shown]
.LBB229_11:
	s_cbranch_execz .LBB229_13
	s_branch .LBB229_15
.LBB229_12:
                                        ; implicit-def: $vgpr4
                                        ; implicit-def: $vgpr38
                                        ; implicit-def: $vgpr8
                                        ; implicit-def: $vgpr6
.LBB229_13:
	s_waitcnt lgkmcnt(0)
	v_mul_hi_u32 v0, s53, v50
	v_add_u32_e32 v0, v50, v0
	v_lshrrev_b32_e32 v0, s54, v0
	v_mul_lo_u32 v1, v0, s52
	v_sub_u32_e32 v1, v50, v1
	v_mul_lo_u32 v4, v1, s45
	v_mul_lo_u32 v38, v1, s44
	;; [unrolled: 1-line block ×3, first 2 shown]
	s_andn2_b64 vcc, exec, s[60:61]
	v_mul_lo_u32 v6, v1, s46
	s_cbranch_vccnz .LBB229_15
; %bb.14:
	v_mul_hi_u32 v1, s58, v0
	v_add_u32_e32 v1, v0, v1
	v_lshrrev_b32_e32 v1, s59, v1
	v_mul_lo_u32 v1, v1, s55
	v_sub_u32_e32 v0, v0, v1
	v_mad_u64_u32 v[38:39], s[4:5], v0, s48, v[38:39]
	v_mad_u64_u32 v[4:5], s[4:5], v0, s49, v[4:5]
	;; [unrolled: 1-line block ×4, first 2 shown]
.LBB229_15:
	s_waitcnt lgkmcnt(0)
	global_load_dword v0, v4, s[38:39]
	global_load_dword v1, v6, s[40:41]
	global_load_dword v2, v8, s[42:43]
	s_getpc_b64 s[4:5]
	s_add_u32 s4, s4, _ZZZZN2at6native28launch_dirichlet_grad_kernelERNS_18TensorIteratorBaseEENKUlvE_clEvENKUlvE0_clEvENKUlfffE_clEfff@rel32@lo+4
	s_addc_u32 s5, s5, _ZZZZN2at6native28launch_dirichlet_grad_kernelERNS_18TensorIteratorBaseEENKUlvE_clEvENKUlvE0_clEvENKUlfffE_clEfff@rel32@hi+12
	s_swappc_b64 s[30:31], s[4:5]
	v_add_u32_e32 v50, 0x80, v50
	global_store_dword v38, v0, s[36:37]
	s_or_b64 exec, exec, s[64:65]
	v_cmp_gt_i32_e32 vcc, s68, v50
	s_and_saveexec_b64 s[64:65], vcc
	s_cbranch_execz .LBB229_3
.LBB229_16:
	s_andn2_b64 vcc, exec, s[34:35]
	s_cbranch_vccnz .LBB229_23
; %bb.17:
	s_andn2_b64 vcc, exec, s[62:63]
	v_mov_b32_e32 v4, 0
	v_mov_b32_e32 v38, 0
	;; [unrolled: 1-line block ×4, first 2 shown]
	s_cbranch_vccnz .LBB229_22
; %bb.18:
	s_add_i32 s4, s67, 1
	s_and_b32 s20, s4, 30
	s_add_u32 s16, s28, 0xa4
	s_addc_u32 s17, s29, 0
	v_mov_b32_e32 v8, 0
	s_mov_b64 s[18:19], s[28:29]
	v_mov_b32_e32 v0, v50
	v_mov_b32_e32 v6, 0
	;; [unrolled: 1-line block ×4, first 2 shown]
.LBB229_19:                             ; =>This Inner Loop Header: Depth=1
	s_load_dwordx4 s[12:15], s[18:19], 0x4
	s_load_dwordx2 s[24:25], s[18:19], 0x14
	s_mov_b64 s[22:23], s[16:17]
	s_load_dwordx8 s[4:11], s[22:23], 0x20
	s_add_u32 s16, s22, 32
	s_waitcnt lgkmcnt(0)
	v_mul_hi_u32 v1, s13, v0
	v_add_u32_e32 v1, v0, v1
	v_lshrrev_b32_e32 v1, s14, v1
	v_mul_lo_u32 v2, v1, s12
	v_mul_hi_u32 v3, s24, v1
	v_sub_u32_e32 v0, v0, v2
	v_add_u32_e32 v2, v1, v3
	v_mul_lo_u32 v3, v0, s4
	v_mul_lo_u32 v5, v0, s5
	;; [unrolled: 1-line block ×4, first 2 shown]
	v_lshrrev_b32_e32 v0, s25, v2
	s_addc_u32 s17, s23, 0
	v_mul_lo_u32 v2, v0, s15
	s_add_u32 s18, s18, 24
	v_sub_u32_e32 v1, v1, v2
	s_addc_u32 s19, s19, 0
	s_add_i32 s20, s20, -2
	v_mul_lo_u32 v2, v1, s8
	v_mul_lo_u32 v10, v1, s9
	;; [unrolled: 1-line block ×4, first 2 shown]
	s_cmp_eq_u32 s20, 0
	v_add3_u32 v4, v5, v4, v10
	v_add3_u32 v38, v3, v38, v2
	;; [unrolled: 1-line block ×4, first 2 shown]
	s_cbranch_scc0 .LBB229_19
; %bb.20:
	s_bitcmp1_b32 s67, 0
	s_cselect_b64 s[4:5], -1, 0
	s_and_b64 vcc, exec, s[4:5]
	s_cbranch_vccnz .LBB229_22
; %bb.21:
	s_load_dwordx2 s[8:9], s[18:19], 0x4
	s_load_dword s10, s[18:19], 0xc
                                        ; kill: killed $sgpr18 killed $sgpr19
	s_load_dwordx4 s[4:7], s[16:17], 0x20
	s_waitcnt lgkmcnt(0)
	v_mul_hi_u32 v1, s9, v0
	v_add_u32_e32 v1, v0, v1
	v_lshrrev_b32_e32 v1, s10, v1
	v_mul_lo_u32 v1, v1, s8
	v_sub_u32_e32 v0, v0, v1
	v_mad_u64_u32 v[38:39], s[8:9], v0, s4, v[38:39]
	v_mad_u64_u32 v[4:5], s[4:5], v0, s5, v[4:5]
	v_mad_u64_u32 v[8:9], s[4:5], v0, s6, v[8:9]
	v_mad_u64_u32 v[6:7], s[4:5], v0, s7, v[6:7]
.LBB229_22:
	s_cbranch_execz .LBB229_24
	s_branch .LBB229_26
.LBB229_23:
                                        ; implicit-def: $vgpr4
                                        ; implicit-def: $vgpr38
                                        ; implicit-def: $vgpr6
                                        ; implicit-def: $vgpr8
.LBB229_24:
	s_waitcnt lgkmcnt(0)
	v_mul_hi_u32 v0, s53, v50
	v_add_u32_e32 v0, v50, v0
	v_lshrrev_b32_e32 v0, s54, v0
	v_mul_lo_u32 v1, v0, s52
	v_sub_u32_e32 v1, v50, v1
	v_mul_lo_u32 v4, v1, s45
	v_mul_lo_u32 v38, v1, s44
	;; [unrolled: 1-line block ×3, first 2 shown]
	s_andn2_b64 vcc, exec, s[60:61]
	v_mul_lo_u32 v8, v1, s46
	s_cbranch_vccnz .LBB229_26
; %bb.25:
	v_mul_hi_u32 v1, s58, v0
	v_add_u32_e32 v1, v0, v1
	v_lshrrev_b32_e32 v1, s59, v1
	v_mul_lo_u32 v1, v1, s55
	v_sub_u32_e32 v0, v0, v1
	v_mad_u64_u32 v[38:39], s[4:5], v0, s48, v[38:39]
	v_mad_u64_u32 v[4:5], s[4:5], v0, s49, v[4:5]
	;; [unrolled: 1-line block ×4, first 2 shown]
.LBB229_26:
	s_waitcnt lgkmcnt(0)
	global_load_dword v0, v4, s[38:39]
	global_load_dword v1, v8, s[40:41]
	;; [unrolled: 1-line block ×3, first 2 shown]
	s_getpc_b64 s[4:5]
	s_add_u32 s4, s4, _ZZZZN2at6native28launch_dirichlet_grad_kernelERNS_18TensorIteratorBaseEENKUlvE_clEvENKUlvE0_clEvENKUlfffE_clEfff@rel32@lo+4
	s_addc_u32 s5, s5, _ZZZZN2at6native28launch_dirichlet_grad_kernelERNS_18TensorIteratorBaseEENKUlvE_clEvENKUlvE0_clEvENKUlfffE_clEfff@rel32@hi+12
	s_swappc_b64 s[30:31], s[4:5]
	v_add_u32_e32 v50, 0x80, v50
	global_store_dword v38, v0, s[36:37]
	s_or_b64 exec, exec, s[64:65]
	v_cmp_gt_i32_e32 vcc, s68, v50
	s_and_saveexec_b64 s[64:65], vcc
	s_cbranch_execz .LBB229_4
.LBB229_27:
	s_andn2_b64 vcc, exec, s[34:35]
	s_cbranch_vccnz .LBB229_34
; %bb.28:
	s_andn2_b64 vcc, exec, s[62:63]
	v_mov_b32_e32 v4, 0
	v_mov_b32_e32 v38, 0
	;; [unrolled: 1-line block ×4, first 2 shown]
	s_cbranch_vccnz .LBB229_33
; %bb.29:
	s_add_i32 s4, s67, 1
	s_and_b32 s20, s4, 30
	s_add_u32 s16, s28, 0xa4
	s_addc_u32 s17, s29, 0
	v_mov_b32_e32 v8, 0
	s_mov_b64 s[18:19], s[28:29]
	v_mov_b32_e32 v0, v50
	v_mov_b32_e32 v6, 0
	;; [unrolled: 1-line block ×4, first 2 shown]
.LBB229_30:                             ; =>This Inner Loop Header: Depth=1
	s_load_dwordx4 s[12:15], s[18:19], 0x4
	s_load_dwordx2 s[24:25], s[18:19], 0x14
	s_mov_b64 s[22:23], s[16:17]
	s_load_dwordx8 s[4:11], s[22:23], 0x20
	s_add_u32 s16, s22, 32
	s_waitcnt lgkmcnt(0)
	v_mul_hi_u32 v1, s13, v0
	v_add_u32_e32 v1, v0, v1
	v_lshrrev_b32_e32 v1, s14, v1
	v_mul_lo_u32 v2, v1, s12
	v_mul_hi_u32 v3, s24, v1
	v_sub_u32_e32 v0, v0, v2
	v_add_u32_e32 v2, v1, v3
	v_mul_lo_u32 v3, v0, s4
	v_mul_lo_u32 v5, v0, s5
	;; [unrolled: 1-line block ×4, first 2 shown]
	v_lshrrev_b32_e32 v0, s25, v2
	s_addc_u32 s17, s23, 0
	v_mul_lo_u32 v2, v0, s15
	s_add_u32 s18, s18, 24
	v_sub_u32_e32 v1, v1, v2
	s_addc_u32 s19, s19, 0
	s_add_i32 s20, s20, -2
	v_mul_lo_u32 v2, v1, s8
	v_mul_lo_u32 v10, v1, s9
	;; [unrolled: 1-line block ×4, first 2 shown]
	s_cmp_eq_u32 s20, 0
	v_add3_u32 v4, v5, v4, v10
	v_add3_u32 v38, v3, v38, v2
	;; [unrolled: 1-line block ×4, first 2 shown]
	s_cbranch_scc0 .LBB229_30
; %bb.31:
	s_bitcmp1_b32 s67, 0
	s_cselect_b64 s[4:5], -1, 0
	s_and_b64 vcc, exec, s[4:5]
	s_cbranch_vccnz .LBB229_33
; %bb.32:
	s_load_dwordx2 s[8:9], s[18:19], 0x4
	s_load_dword s10, s[18:19], 0xc
                                        ; kill: killed $sgpr18 killed $sgpr19
	s_load_dwordx4 s[4:7], s[16:17], 0x20
	s_waitcnt lgkmcnt(0)
	v_mul_hi_u32 v1, s9, v0
	v_add_u32_e32 v1, v0, v1
	v_lshrrev_b32_e32 v1, s10, v1
	v_mul_lo_u32 v1, v1, s8
	v_sub_u32_e32 v0, v0, v1
	v_mad_u64_u32 v[38:39], s[8:9], v0, s4, v[38:39]
	v_mad_u64_u32 v[4:5], s[4:5], v0, s5, v[4:5]
	;; [unrolled: 1-line block ×4, first 2 shown]
.LBB229_33:
	s_cbranch_execz .LBB229_35
	s_branch .LBB229_37
.LBB229_34:
                                        ; implicit-def: $vgpr4
                                        ; implicit-def: $vgpr38
                                        ; implicit-def: $vgpr6
                                        ; implicit-def: $vgpr8
.LBB229_35:
	s_waitcnt lgkmcnt(0)
	v_mul_hi_u32 v0, s53, v50
	v_add_u32_e32 v0, v50, v0
	v_lshrrev_b32_e32 v0, s54, v0
	v_mul_lo_u32 v1, v0, s52
	v_sub_u32_e32 v1, v50, v1
	v_mul_lo_u32 v4, v1, s45
	v_mul_lo_u32 v38, v1, s44
	;; [unrolled: 1-line block ×3, first 2 shown]
	s_andn2_b64 vcc, exec, s[60:61]
	v_mul_lo_u32 v8, v1, s46
	s_cbranch_vccnz .LBB229_37
; %bb.36:
	v_mul_hi_u32 v1, s58, v0
	v_add_u32_e32 v1, v0, v1
	v_lshrrev_b32_e32 v1, s59, v1
	v_mul_lo_u32 v1, v1, s55
	v_sub_u32_e32 v0, v0, v1
	v_mad_u64_u32 v[38:39], s[4:5], v0, s48, v[38:39]
	v_mad_u64_u32 v[4:5], s[4:5], v0, s49, v[4:5]
	;; [unrolled: 1-line block ×4, first 2 shown]
.LBB229_37:
	s_waitcnt lgkmcnt(0)
	global_load_dword v0, v4, s[38:39]
	global_load_dword v1, v8, s[40:41]
	;; [unrolled: 1-line block ×3, first 2 shown]
	s_getpc_b64 s[4:5]
	s_add_u32 s4, s4, _ZZZZN2at6native28launch_dirichlet_grad_kernelERNS_18TensorIteratorBaseEENKUlvE_clEvENKUlvE0_clEvENKUlfffE_clEfff@rel32@lo+4
	s_addc_u32 s5, s5, _ZZZZN2at6native28launch_dirichlet_grad_kernelERNS_18TensorIteratorBaseEENKUlvE_clEvENKUlvE0_clEvENKUlfffE_clEfff@rel32@hi+12
	s_swappc_b64 s[30:31], s[4:5]
	v_add_u32_e32 v50, 0x80, v50
	global_store_dword v38, v0, s[36:37]
	s_or_b64 exec, exec, s[64:65]
	v_cmp_gt_i32_e32 vcc, s68, v50
	s_and_saveexec_b64 s[64:65], vcc
	s_cbranch_execz .LBB229_49
.LBB229_38:
	s_andn2_b64 vcc, exec, s[34:35]
	s_cbranch_vccnz .LBB229_45
; %bb.39:
	s_andn2_b64 vcc, exec, s[62:63]
	v_mov_b32_e32 v4, 0
	v_mov_b32_e32 v38, 0
	;; [unrolled: 1-line block ×4, first 2 shown]
	s_cbranch_vccnz .LBB229_44
; %bb.40:
	s_add_i32 s4, s67, 1
	s_and_b32 s20, s4, 30
	s_add_u32 s18, s28, 0xa4
	s_addc_u32 s19, s29, 0
	v_mov_b32_e32 v8, 0
	s_mov_b64 s[16:17], s[28:29]
	v_mov_b32_e32 v0, v50
	v_mov_b32_e32 v6, 0
	;; [unrolled: 1-line block ×4, first 2 shown]
.LBB229_41:                             ; =>This Inner Loop Header: Depth=1
	s_load_dwordx4 s[12:15], s[16:17], 0x4
	s_load_dwordx2 s[24:25], s[16:17], 0x14
	s_mov_b64 s[22:23], s[18:19]
	s_load_dwordx8 s[4:11], s[22:23], 0x20
	s_add_u32 s18, s22, 32
	s_waitcnt lgkmcnt(0)
	v_mul_hi_u32 v1, s13, v0
	v_add_u32_e32 v1, v0, v1
	v_lshrrev_b32_e32 v1, s14, v1
	v_mul_lo_u32 v2, v1, s12
	v_mul_hi_u32 v3, s24, v1
	v_sub_u32_e32 v0, v0, v2
	v_add_u32_e32 v2, v1, v3
	v_mul_lo_u32 v3, v0, s4
	v_mul_lo_u32 v5, v0, s5
	;; [unrolled: 1-line block ×4, first 2 shown]
	v_lshrrev_b32_e32 v0, s25, v2
	s_addc_u32 s19, s23, 0
	v_mul_lo_u32 v2, v0, s15
	s_add_u32 s16, s16, 24
	v_sub_u32_e32 v1, v1, v2
	s_addc_u32 s17, s17, 0
	s_add_i32 s20, s20, -2
	v_mul_lo_u32 v2, v1, s8
	v_mul_lo_u32 v10, v1, s9
	;; [unrolled: 1-line block ×4, first 2 shown]
	s_cmp_eq_u32 s20, 0
	v_add3_u32 v4, v5, v4, v10
	v_add3_u32 v38, v3, v38, v2
	;; [unrolled: 1-line block ×4, first 2 shown]
	s_cbranch_scc0 .LBB229_41
; %bb.42:
	s_bitcmp1_b32 s67, 0
	s_cselect_b64 s[4:5], -1, 0
	s_and_b64 vcc, exec, s[4:5]
	s_cbranch_vccnz .LBB229_44
; %bb.43:
	s_load_dwordx2 s[8:9], s[16:17], 0x4
	s_load_dword s10, s[16:17], 0xc
	s_load_dwordx4 s[4:7], s[18:19], 0x20
	s_waitcnt lgkmcnt(0)
	v_mul_hi_u32 v1, s9, v0
	v_add_u32_e32 v1, v0, v1
	v_lshrrev_b32_e32 v1, s10, v1
	v_mul_lo_u32 v1, v1, s8
	v_sub_u32_e32 v0, v0, v1
	v_mad_u64_u32 v[38:39], s[8:9], v0, s4, v[38:39]
	v_mad_u64_u32 v[4:5], s[4:5], v0, s5, v[4:5]
	;; [unrolled: 1-line block ×4, first 2 shown]
.LBB229_44:
	s_cbranch_execz .LBB229_46
	s_branch .LBB229_48
.LBB229_45:
                                        ; implicit-def: $vgpr4
                                        ; implicit-def: $vgpr38
                                        ; implicit-def: $vgpr6
                                        ; implicit-def: $vgpr8
.LBB229_46:
	s_waitcnt lgkmcnt(0)
	v_mul_hi_u32 v0, s53, v50
	v_add_u32_e32 v0, v50, v0
	v_lshrrev_b32_e32 v0, s54, v0
	v_mul_lo_u32 v1, v0, s52
	v_sub_u32_e32 v1, v50, v1
	v_mul_lo_u32 v4, v1, s45
	v_mul_lo_u32 v38, v1, s44
	;; [unrolled: 1-line block ×3, first 2 shown]
	s_andn2_b64 vcc, exec, s[60:61]
	v_mul_lo_u32 v8, v1, s46
	s_cbranch_vccnz .LBB229_48
; %bb.47:
	v_mul_hi_u32 v1, s58, v0
	v_add_u32_e32 v1, v0, v1
	v_lshrrev_b32_e32 v1, s59, v1
	v_mul_lo_u32 v1, v1, s55
	v_sub_u32_e32 v0, v0, v1
	v_mad_u64_u32 v[38:39], s[4:5], v0, s48, v[38:39]
	v_mad_u64_u32 v[4:5], s[4:5], v0, s49, v[4:5]
	;; [unrolled: 1-line block ×4, first 2 shown]
.LBB229_48:
	s_waitcnt lgkmcnt(0)
	global_load_dword v0, v4, s[38:39]
	global_load_dword v1, v8, s[40:41]
	;; [unrolled: 1-line block ×3, first 2 shown]
	s_getpc_b64 s[4:5]
	s_add_u32 s4, s4, _ZZZZN2at6native28launch_dirichlet_grad_kernelERNS_18TensorIteratorBaseEENKUlvE_clEvENKUlvE0_clEvENKUlfffE_clEfff@rel32@lo+4
	s_addc_u32 s5, s5, _ZZZZN2at6native28launch_dirichlet_grad_kernelERNS_18TensorIteratorBaseEENKUlvE_clEvENKUlvE0_clEvENKUlfffE_clEfff@rel32@hi+12
	s_swappc_b64 s[30:31], s[4:5]
	global_store_dword v38, v0, s[36:37]
.LBB229_49:
	s_or_b64 exec, exec, s[64:65]
                                        ; implicit-def: $vgpr0
                                        ; implicit-def: $vgpr50
.LBB229_50:
	s_andn2_saveexec_b64 s[4:5], s[56:57]
	s_cbranch_execz .LBB229_57
; %bb.51:
	v_cndmask_b32_e64 v1, 0, 1, s[34:35]
	v_cmp_ne_u32_e64 s[4:5], 1, v1
	s_andn2_b64 vcc, exec, s[34:35]
	s_cbranch_vccnz .LBB229_58
; %bb.52:
	s_cmp_lg_u32 s33, 0
	v_mov_b32_e32 v4, 0
	v_mov_b32_e32 v42, 0
	;; [unrolled: 1-line block ×4, first 2 shown]
	s_cbranch_scc0 .LBB229_59
; %bb.53:
	s_min_u32 s22, s66, 15
	s_add_i32 s6, s22, 1
	s_and_b32 s23, s6, 30
	s_add_u32 s20, s28, 0xa4
	s_addc_u32 s21, s29, 0
	v_mov_b32_e32 v6, 0
	s_mov_b64 s[6:7], s[28:29]
	v_mov_b32_e32 v1, v50
	v_mov_b32_e32 v8, 0
	;; [unrolled: 1-line block ×4, first 2 shown]
.LBB229_54:                             ; =>This Inner Loop Header: Depth=1
	s_load_dwordx4 s[16:19], s[6:7], 0x4
	s_load_dwordx2 s[26:27], s[6:7], 0x14
	s_mov_b64 s[24:25], s[20:21]
	s_load_dwordx8 s[8:15], s[24:25], 0x20
	s_add_u32 s20, s24, 32
	s_waitcnt lgkmcnt(0)
	v_mul_hi_u32 v2, s17, v1
	v_add_u32_e32 v2, v1, v2
	v_lshrrev_b32_e32 v2, s18, v2
	v_mul_lo_u32 v3, v2, s16
	v_mul_hi_u32 v5, s26, v2
	v_sub_u32_e32 v1, v1, v3
	v_add_u32_e32 v3, v2, v5
	v_mul_lo_u32 v5, v1, s8
	v_mul_lo_u32 v7, v1, s9
	;; [unrolled: 1-line block ×4, first 2 shown]
	v_lshrrev_b32_e32 v1, s27, v3
	s_addc_u32 s21, s25, 0
	v_mul_lo_u32 v3, v1, s19
	s_add_u32 s6, s6, 24
	v_sub_u32_e32 v2, v2, v3
	s_addc_u32 s7, s7, 0
	s_add_i32 s23, s23, -2
	v_mul_lo_u32 v3, v2, s12
	v_mul_lo_u32 v11, v2, s13
	;; [unrolled: 1-line block ×4, first 2 shown]
	s_cmp_lg_u32 s23, 0
	v_add3_u32 v4, v7, v4, v11
	v_add3_u32 v42, v5, v42, v3
	;; [unrolled: 1-line block ×4, first 2 shown]
	s_cbranch_scc1 .LBB229_54
; %bb.55:
	s_bitcmp1_b32 s22, 0
	s_cselect_b64 s[8:9], -1, 0
	s_and_b64 vcc, exec, s[8:9]
	s_cbranch_vccnz .LBB229_59
; %bb.56:
	s_load_dwordx2 s[12:13], s[6:7], 0x4
	s_load_dword s14, s[6:7], 0xc
	s_load_dwordx4 s[8:11], s[20:21], 0x20
	s_waitcnt lgkmcnt(0)
	v_mul_hi_u32 v2, s13, v1
	v_add_u32_e32 v2, v1, v2
	v_lshrrev_b32_e32 v2, s14, v2
	v_mul_lo_u32 v2, v2, s12
	v_sub_u32_e32 v1, v1, v2
	v_mad_u64_u32 v[42:43], s[6:7], v1, s8, v[42:43]
	v_mad_u64_u32 v[4:5], s[6:7], v1, s9, v[4:5]
	;; [unrolled: 1-line block ×4, first 2 shown]
	s_cbranch_execz .LBB229_60
	s_branch .LBB229_62
.LBB229_57:
	s_endpgm
.LBB229_58:
                                        ; implicit-def: $vgpr4
                                        ; implicit-def: $vgpr42
                                        ; implicit-def: $vgpr8
                                        ; implicit-def: $vgpr6
	s_branch .LBB229_60
.LBB229_59:
	s_cbranch_execnz .LBB229_62
.LBB229_60:
	s_load_dwordx4 s[8:11], s[28:29], 0x4
	s_load_dwordx4 s[12:15], s[28:29], 0xc4
	s_cmp_lt_u32 s33, 2
	s_waitcnt lgkmcnt(0)
	v_mul_hi_u32 v1, s9, v50
	v_add_u32_e32 v1, v50, v1
	v_lshrrev_b32_e32 v1, s10, v1
	v_mul_lo_u32 v2, v1, s8
	v_sub_u32_e32 v2, v50, v2
	v_mul_lo_u32 v4, v2, s13
	v_mul_lo_u32 v42, v2, s12
	v_mul_lo_u32 v8, v2, s15
	v_mul_lo_u32 v6, v2, s14
	s_cbranch_scc1 .LBB229_62
; %bb.61:
	s_load_dwordx4 s[8:11], s[28:29], 0x10
	s_load_dwordx4 s[12:15], s[28:29], 0xd4
	s_waitcnt lgkmcnt(0)
	v_mul_hi_u32 v2, s9, v1
	v_add_u32_e32 v2, v1, v2
	v_lshrrev_b32_e32 v2, s10, v2
	v_mul_lo_u32 v2, v2, s8
	v_sub_u32_e32 v1, v1, v2
	v_mad_u64_u32 v[42:43], s[6:7], v1, s12, v[42:43]
	v_mad_u64_u32 v[4:5], s[6:7], v1, s13, v[4:5]
	;; [unrolled: 1-line block ×4, first 2 shown]
.LBB229_62:
	s_and_b64 vcc, exec, s[4:5]
	v_add_u32_e32 v1, 0x80, v50
	s_cbranch_vccnz .LBB229_68
; %bb.63:
	s_cmp_lg_u32 s33, 0
	v_mov_b32_e32 v40, 0
	v_mov_b32_e32 v44, 0
	;; [unrolled: 1-line block ×4, first 2 shown]
	s_cbranch_scc0 .LBB229_69
; %bb.64:
	s_min_u32 s22, s66, 15
	s_add_i32 s6, s22, 1
	s_and_b32 s23, s6, 30
	s_add_u32 s20, s28, 0xa4
	s_addc_u32 s21, s29, 0
	v_mov_b32_e32 v46, 0
	s_mov_b64 s[6:7], s[28:29]
	v_mov_b32_e32 v2, v1
	v_mov_b32_e32 v48, 0
	;; [unrolled: 1-line block ×4, first 2 shown]
.LBB229_65:                             ; =>This Inner Loop Header: Depth=1
	s_load_dwordx4 s[16:19], s[6:7], 0x4
	s_load_dwordx2 s[26:27], s[6:7], 0x14
	s_mov_b64 s[24:25], s[20:21]
	s_load_dwordx8 s[8:15], s[24:25], 0x20
	s_add_u32 s20, s24, 32
	s_waitcnt lgkmcnt(0)
	v_mul_hi_u32 v3, s17, v2
	v_add_u32_e32 v3, v2, v3
	v_lshrrev_b32_e32 v3, s18, v3
	v_mul_lo_u32 v5, v3, s16
	v_mul_hi_u32 v7, s26, v3
	v_sub_u32_e32 v2, v2, v5
	v_add_u32_e32 v5, v3, v7
	v_mul_lo_u32 v7, v2, s8
	v_mul_lo_u32 v9, v2, s9
	;; [unrolled: 1-line block ×4, first 2 shown]
	v_lshrrev_b32_e32 v2, s27, v5
	s_addc_u32 s21, s25, 0
	v_mul_lo_u32 v5, v2, s19
	s_add_u32 s6, s6, 24
	v_sub_u32_e32 v3, v3, v5
	s_addc_u32 s7, s7, 0
	s_add_i32 s23, s23, -2
	v_mul_lo_u32 v5, v3, s12
	v_mul_lo_u32 v12, v3, s13
	;; [unrolled: 1-line block ×4, first 2 shown]
	s_cmp_lg_u32 s23, 0
	v_add3_u32 v40, v9, v40, v12
	v_add3_u32 v44, v7, v44, v5
	;; [unrolled: 1-line block ×4, first 2 shown]
	s_cbranch_scc1 .LBB229_65
; %bb.66:
	s_bitcmp1_b32 s22, 0
	s_cselect_b64 s[8:9], -1, 0
	s_and_b64 vcc, exec, s[8:9]
	s_cbranch_vccnz .LBB229_69
; %bb.67:
	s_load_dwordx2 s[12:13], s[6:7], 0x4
	s_load_dword s14, s[6:7], 0xc
	s_load_dwordx4 s[8:11], s[20:21], 0x20
	s_waitcnt lgkmcnt(0)
	v_mul_hi_u32 v3, s13, v2
	v_add_u32_e32 v3, v2, v3
	v_lshrrev_b32_e32 v3, s14, v3
	v_mul_lo_u32 v3, v3, s12
	v_sub_u32_e32 v2, v2, v3
	v_mad_u64_u32 v[44:45], s[6:7], v2, s8, v[44:45]
	v_mad_u64_u32 v[40:41], s[6:7], v2, s9, v[40:41]
	;; [unrolled: 1-line block ×4, first 2 shown]
	s_cbranch_execz .LBB229_70
	s_branch .LBB229_72
.LBB229_68:
                                        ; implicit-def: $vgpr40
                                        ; implicit-def: $vgpr44
                                        ; implicit-def: $vgpr48
                                        ; implicit-def: $vgpr46
	s_branch .LBB229_70
.LBB229_69:
	s_cbranch_execnz .LBB229_72
.LBB229_70:
	s_load_dwordx4 s[8:11], s[28:29], 0x4
	s_load_dwordx4 s[12:15], s[28:29], 0xc4
	s_cmp_lt_u32 s33, 2
	s_waitcnt lgkmcnt(0)
	v_mul_hi_u32 v2, s9, v1
	v_add_u32_e32 v2, v1, v2
	v_lshrrev_b32_e32 v2, s10, v2
	v_mul_lo_u32 v3, v2, s8
	v_sub_u32_e32 v1, v1, v3
	v_mul_lo_u32 v40, v1, s13
	v_mul_lo_u32 v44, v1, s12
	;; [unrolled: 1-line block ×4, first 2 shown]
	s_cbranch_scc1 .LBB229_72
; %bb.71:
	s_load_dwordx4 s[8:11], s[28:29], 0x10
	s_load_dwordx4 s[12:15], s[28:29], 0xd4
	s_waitcnt lgkmcnt(0)
	v_mul_hi_u32 v1, s9, v2
	v_add_u32_e32 v1, v2, v1
	v_lshrrev_b32_e32 v1, s10, v1
	v_mul_lo_u32 v1, v1, s8
	v_sub_u32_e32 v1, v2, v1
	v_mad_u64_u32 v[44:45], s[6:7], v1, s12, v[44:45]
	v_mad_u64_u32 v[40:41], s[6:7], v1, s13, v[40:41]
	v_mad_u64_u32 v[46:47], s[6:7], v1, s14, v[46:47]
	v_mad_u64_u32 v[48:49], s[6:7], v1, s15, v[48:49]
.LBB229_72:
	s_and_b64 vcc, exec, s[4:5]
	v_add_u32_e32 v1, 0x100, v50
	s_cbranch_vccnz .LBB229_78
; %bb.73:
	s_cmp_lg_u32 s33, 0
	v_mov_b32_e32 v52, 0
	v_mov_b32_e32 v50, 0
	;; [unrolled: 1-line block ×4, first 2 shown]
	s_cbranch_scc0 .LBB229_79
; %bb.74:
	s_min_u32 s22, s66, 15
	s_add_i32 s6, s22, 1
	s_and_b32 s23, s6, 30
	s_add_u32 s20, s28, 0xa4
	s_addc_u32 s21, s29, 0
	v_mov_b32_e32 v54, 0
	s_mov_b64 s[6:7], s[28:29]
	v_mov_b32_e32 v2, v1
	v_mov_b32_e32 v56, 0
	;; [unrolled: 1-line block ×4, first 2 shown]
.LBB229_75:                             ; =>This Inner Loop Header: Depth=1
	s_load_dwordx4 s[16:19], s[6:7], 0x4
	s_load_dwordx2 s[26:27], s[6:7], 0x14
	s_mov_b64 s[24:25], s[20:21]
	s_load_dwordx8 s[8:15], s[24:25], 0x20
	s_add_u32 s20, s24, 32
	s_waitcnt lgkmcnt(0)
	v_mul_hi_u32 v3, s17, v2
	v_add_u32_e32 v3, v2, v3
	v_lshrrev_b32_e32 v3, s18, v3
	v_mul_lo_u32 v5, v3, s16
	v_mul_hi_u32 v7, s26, v3
	v_sub_u32_e32 v2, v2, v5
	v_add_u32_e32 v5, v3, v7
	v_mul_lo_u32 v7, v2, s8
	v_mul_lo_u32 v9, v2, s9
	;; [unrolled: 1-line block ×4, first 2 shown]
	v_lshrrev_b32_e32 v2, s27, v5
	s_addc_u32 s21, s25, 0
	v_mul_lo_u32 v5, v2, s19
	s_add_u32 s6, s6, 24
	v_sub_u32_e32 v3, v3, v5
	s_addc_u32 s7, s7, 0
	s_add_i32 s23, s23, -2
	v_mul_lo_u32 v5, v3, s12
	v_mul_lo_u32 v12, v3, s13
	;; [unrolled: 1-line block ×4, first 2 shown]
	s_cmp_lg_u32 s23, 0
	v_add3_u32 v52, v9, v52, v12
	v_add3_u32 v50, v7, v50, v5
	v_add3_u32 v56, v11, v56, v3
	v_add3_u32 v54, v10, v54, v13
	s_cbranch_scc1 .LBB229_75
; %bb.76:
	s_bitcmp1_b32 s22, 0
	s_cselect_b64 s[8:9], -1, 0
	s_and_b64 vcc, exec, s[8:9]
	s_cbranch_vccnz .LBB229_79
; %bb.77:
	s_load_dwordx2 s[12:13], s[6:7], 0x4
	s_load_dword s14, s[6:7], 0xc
	s_load_dwordx4 s[8:11], s[20:21], 0x20
	s_waitcnt lgkmcnt(0)
	v_mul_hi_u32 v3, s13, v2
	v_add_u32_e32 v3, v2, v3
	v_lshrrev_b32_e32 v3, s14, v3
	v_mul_lo_u32 v3, v3, s12
	v_sub_u32_e32 v2, v2, v3
	v_mad_u64_u32 v[50:51], s[6:7], v2, s8, v[50:51]
	v_mad_u64_u32 v[52:53], s[6:7], v2, s9, v[52:53]
	;; [unrolled: 1-line block ×4, first 2 shown]
	s_cbranch_execz .LBB229_80
	s_branch .LBB229_82
.LBB229_78:
                                        ; implicit-def: $vgpr52
                                        ; implicit-def: $vgpr50
                                        ; implicit-def: $vgpr56
                                        ; implicit-def: $vgpr54
	s_branch .LBB229_80
.LBB229_79:
	s_cbranch_execnz .LBB229_82
.LBB229_80:
	s_load_dwordx4 s[8:11], s[28:29], 0x4
	s_load_dwordx4 s[12:15], s[28:29], 0xc4
	s_cmp_lt_u32 s33, 2
	s_waitcnt lgkmcnt(0)
	v_mul_hi_u32 v2, s9, v1
	v_add_u32_e32 v2, v1, v2
	v_lshrrev_b32_e32 v2, s10, v2
	v_mul_lo_u32 v3, v2, s8
	v_sub_u32_e32 v1, v1, v3
	v_mul_lo_u32 v52, v1, s13
	v_mul_lo_u32 v50, v1, s12
	;; [unrolled: 1-line block ×4, first 2 shown]
	s_cbranch_scc1 .LBB229_82
; %bb.81:
	s_load_dwordx4 s[8:11], s[28:29], 0x10
	s_load_dwordx4 s[12:15], s[28:29], 0xd4
	s_waitcnt lgkmcnt(0)
	v_mul_hi_u32 v1, s9, v2
	v_add_u32_e32 v1, v2, v1
	v_lshrrev_b32_e32 v1, s10, v1
	v_mul_lo_u32 v1, v1, s8
	v_sub_u32_e32 v1, v2, v1
	v_mad_u64_u32 v[50:51], s[6:7], v1, s12, v[50:51]
	v_mad_u64_u32 v[52:53], s[6:7], v1, s13, v[52:53]
	;; [unrolled: 1-line block ×4, first 2 shown]
.LBB229_82:
	s_and_b64 vcc, exec, s[4:5]
	s_cbranch_vccnz .LBB229_88
; %bb.83:
	s_cmp_lg_u32 s33, 0
	v_mov_b32_e32 v60, 0
	v_mov_b32_e32 v58, 0
	;; [unrolled: 1-line block ×4, first 2 shown]
	s_cbranch_scc0 .LBB229_89
; %bb.84:
	s_min_u32 s20, s66, 15
	s_add_i32 s4, s20, 1
	s_and_b32 s21, s4, 30
	s_add_u32 s18, s28, 0xa4
	s_addc_u32 s19, s29, 0
	v_mov_b32_e32 v62, 0
	s_mov_b64 s[16:17], s[28:29]
	v_mov_b32_e32 v1, v0
	v_mov_b32_e32 v64, 0
	;; [unrolled: 1-line block ×4, first 2 shown]
.LBB229_85:                             ; =>This Inner Loop Header: Depth=1
	s_load_dwordx4 s[12:15], s[16:17], 0x4
	s_load_dwordx2 s[24:25], s[16:17], 0x14
	s_mov_b64 s[22:23], s[18:19]
	s_load_dwordx8 s[4:11], s[22:23], 0x20
	s_add_u32 s18, s22, 32
	s_waitcnt lgkmcnt(0)
	v_mul_hi_u32 v2, s13, v1
	v_add_u32_e32 v2, v1, v2
	v_lshrrev_b32_e32 v2, s14, v2
	v_mul_lo_u32 v3, v2, s12
	v_mul_hi_u32 v5, s24, v2
	v_sub_u32_e32 v1, v1, v3
	v_add_u32_e32 v3, v2, v5
	v_mul_lo_u32 v5, v1, s4
	v_mul_lo_u32 v7, v1, s5
	v_mul_lo_u32 v9, v1, s6
	v_mul_lo_u32 v10, v1, s7
	v_lshrrev_b32_e32 v1, s25, v3
	s_addc_u32 s19, s23, 0
	v_mul_lo_u32 v3, v1, s15
	s_add_u32 s16, s16, 24
	v_sub_u32_e32 v2, v2, v3
	s_addc_u32 s17, s17, 0
	s_add_i32 s21, s21, -2
	v_mul_lo_u32 v3, v2, s8
	v_mul_lo_u32 v11, v2, s9
	v_mul_lo_u32 v12, v2, s10
	v_mul_lo_u32 v2, v2, s11
	s_cmp_lg_u32 s21, 0
	v_add3_u32 v60, v7, v60, v11
	v_add3_u32 v58, v5, v58, v3
	;; [unrolled: 1-line block ×4, first 2 shown]
	s_cbranch_scc1 .LBB229_85
; %bb.86:
	s_bitcmp1_b32 s20, 0
	s_cselect_b64 s[4:5], -1, 0
	s_and_b64 vcc, exec, s[4:5]
	s_cbranch_vccnz .LBB229_89
; %bb.87:
	s_load_dwordx2 s[8:9], s[16:17], 0x4
	s_load_dword s10, s[16:17], 0xc
	s_load_dwordx4 s[4:7], s[18:19], 0x20
	s_waitcnt lgkmcnt(0)
	v_mul_hi_u32 v2, s9, v1
	v_add_u32_e32 v2, v1, v2
	v_lshrrev_b32_e32 v2, s10, v2
	v_mul_lo_u32 v2, v2, s8
	v_sub_u32_e32 v1, v1, v2
	v_mad_u64_u32 v[58:59], s[8:9], v1, s4, v[58:59]
	v_mad_u64_u32 v[60:61], s[4:5], v1, s5, v[60:61]
	;; [unrolled: 1-line block ×4, first 2 shown]
	s_cbranch_execz .LBB229_90
	s_branch .LBB229_92
.LBB229_88:
                                        ; implicit-def: $vgpr60
                                        ; implicit-def: $vgpr58
                                        ; implicit-def: $vgpr64
                                        ; implicit-def: $vgpr62
	s_branch .LBB229_90
.LBB229_89:
	s_cbranch_execnz .LBB229_92
.LBB229_90:
	s_load_dwordx4 s[4:7], s[28:29], 0x4
	s_load_dwordx4 s[8:11], s[28:29], 0xc4
	s_cmp_lt_u32 s33, 2
	s_waitcnt lgkmcnt(0)
	v_mul_hi_u32 v1, s5, v0
	v_add_u32_e32 v1, v0, v1
	v_lshrrev_b32_e32 v1, s6, v1
	v_mul_lo_u32 v2, v1, s4
	v_sub_u32_e32 v0, v0, v2
	v_mul_lo_u32 v60, v0, s9
	v_mul_lo_u32 v58, v0, s8
	;; [unrolled: 1-line block ×4, first 2 shown]
	s_cbranch_scc1 .LBB229_92
; %bb.91:
	s_load_dwordx4 s[4:7], s[28:29], 0x10
	s_load_dwordx4 s[8:11], s[28:29], 0xd4
	s_waitcnt lgkmcnt(0)
	v_mul_hi_u32 v0, s5, v1
	v_add_u32_e32 v0, v1, v0
	v_lshrrev_b32_e32 v0, s6, v0
	v_mul_lo_u32 v0, v0, s4
	v_sub_u32_e32 v0, v1, v0
	v_mad_u64_u32 v[58:59], s[4:5], v0, s8, v[58:59]
	v_mad_u64_u32 v[60:61], s[4:5], v0, s9, v[60:61]
	;; [unrolled: 1-line block ×4, first 2 shown]
.LBB229_92:
	s_waitcnt lgkmcnt(0)
	s_load_dwordx8 s[36:43], s[28:29], 0x1c8
	s_getpc_b64 s[28:29]
	s_add_u32 s28, s28, _ZZZZN2at6native28launch_dirichlet_grad_kernelERNS_18TensorIteratorBaseEENKUlvE_clEvENKUlvE0_clEvENKUlfffE_clEfff@rel32@lo+4
	s_addc_u32 s29, s29, _ZZZZN2at6native28launch_dirichlet_grad_kernelERNS_18TensorIteratorBaseEENKUlvE_clEvENKUlvE0_clEvENKUlfffE_clEfff@rel32@hi+12
	s_waitcnt lgkmcnt(0)
	global_load_dword v0, v4, s[38:39]
	global_load_dword v1, v6, s[40:41]
	global_load_dword v2, v8, s[42:43]
	s_swappc_b64 s[30:31], s[28:29]
	v_mov_b32_e32 v38, v0
	global_load_dword v0, v40, s[38:39]
	global_load_dword v1, v46, s[40:41]
	global_load_dword v2, v48, s[42:43]
	s_swappc_b64 s[30:31], s[28:29]
	v_mov_b32_e32 v39, v0
	;; [unrolled: 5-line block ×3, first 2 shown]
	global_load_dword v0, v60, s[38:39]
	global_load_dword v1, v62, s[40:41]
	;; [unrolled: 1-line block ×3, first 2 shown]
	s_swappc_b64 s[30:31], s[28:29]
	global_store_dword v42, v38, s[36:37]
	global_store_dword v44, v39, s[36:37]
	;; [unrolled: 1-line block ×4, first 2 shown]
	s_endpgm
	.section	.rodata,"a",@progbits
	.p2align	6, 0x0
	.amdhsa_kernel _ZN2at6native32elementwise_kernel_manual_unrollILi128ELi4EZNS0_22gpu_kernel_impl_nocastIZZZNS0_28launch_dirichlet_grad_kernelERNS_18TensorIteratorBaseEENKUlvE_clEvENKUlvE0_clEvEUlfffE_EEvS4_RKT_EUlibE_EEviT1_
		.amdhsa_group_segment_fixed_size 0
		.amdhsa_private_segment_fixed_size 0
		.amdhsa_kernarg_size 504
		.amdhsa_user_sgpr_count 8
		.amdhsa_user_sgpr_private_segment_buffer 1
		.amdhsa_user_sgpr_dispatch_ptr 0
		.amdhsa_user_sgpr_queue_ptr 0
		.amdhsa_user_sgpr_kernarg_segment_ptr 1
		.amdhsa_user_sgpr_dispatch_id 0
		.amdhsa_user_sgpr_flat_scratch_init 1
		.amdhsa_user_sgpr_kernarg_preload_length 0
		.amdhsa_user_sgpr_kernarg_preload_offset 0
		.amdhsa_user_sgpr_private_segment_size 0
		.amdhsa_uses_dynamic_stack 0
		.amdhsa_system_sgpr_private_segment_wavefront_offset 0
		.amdhsa_system_sgpr_workgroup_id_x 1
		.amdhsa_system_sgpr_workgroup_id_y 0
		.amdhsa_system_sgpr_workgroup_id_z 0
		.amdhsa_system_sgpr_workgroup_info 0
		.amdhsa_system_vgpr_workitem_id 0
		.amdhsa_next_free_vgpr 66
		.amdhsa_next_free_sgpr 69
		.amdhsa_accum_offset 68
		.amdhsa_reserve_vcc 1
		.amdhsa_reserve_flat_scratch 1
		.amdhsa_float_round_mode_32 0
		.amdhsa_float_round_mode_16_64 0
		.amdhsa_float_denorm_mode_32 3
		.amdhsa_float_denorm_mode_16_64 3
		.amdhsa_dx10_clamp 1
		.amdhsa_ieee_mode 1
		.amdhsa_fp16_overflow 0
		.amdhsa_tg_split 0
		.amdhsa_exception_fp_ieee_invalid_op 0
		.amdhsa_exception_fp_denorm_src 0
		.amdhsa_exception_fp_ieee_div_zero 0
		.amdhsa_exception_fp_ieee_overflow 0
		.amdhsa_exception_fp_ieee_underflow 0
		.amdhsa_exception_fp_ieee_inexact 0
		.amdhsa_exception_int_div_zero 0
	.end_amdhsa_kernel
	.section	.text._ZN2at6native32elementwise_kernel_manual_unrollILi128ELi4EZNS0_22gpu_kernel_impl_nocastIZZZNS0_28launch_dirichlet_grad_kernelERNS_18TensorIteratorBaseEENKUlvE_clEvENKUlvE0_clEvEUlfffE_EEvS4_RKT_EUlibE_EEviT1_,"axG",@progbits,_ZN2at6native32elementwise_kernel_manual_unrollILi128ELi4EZNS0_22gpu_kernel_impl_nocastIZZZNS0_28launch_dirichlet_grad_kernelERNS_18TensorIteratorBaseEENKUlvE_clEvENKUlvE0_clEvEUlfffE_EEvS4_RKT_EUlibE_EEviT1_,comdat
.Lfunc_end229:
	.size	_ZN2at6native32elementwise_kernel_manual_unrollILi128ELi4EZNS0_22gpu_kernel_impl_nocastIZZZNS0_28launch_dirichlet_grad_kernelERNS_18TensorIteratorBaseEENKUlvE_clEvENKUlvE0_clEvEUlfffE_EEvS4_RKT_EUlibE_EEviT1_, .Lfunc_end229-_ZN2at6native32elementwise_kernel_manual_unrollILi128ELi4EZNS0_22gpu_kernel_impl_nocastIZZZNS0_28launch_dirichlet_grad_kernelERNS_18TensorIteratorBaseEENKUlvE_clEvENKUlvE0_clEvEUlfffE_EEvS4_RKT_EUlibE_EEviT1_
                                        ; -- End function
	.section	.AMDGPU.csdata,"",@progbits
; Kernel info:
; codeLenInByte = 5212
; NumSgprs: 75
; NumVgprs: 66
; NumAgprs: 0
; TotalNumVgprs: 66
; ScratchSize: 0
; MemoryBound: 0
; FloatMode: 240
; IeeeMode: 1
; LDSByteSize: 0 bytes/workgroup (compile time only)
; SGPRBlocks: 9
; VGPRBlocks: 8
; NumSGPRsForWavesPerEU: 75
; NumVGPRsForWavesPerEU: 66
; AccumOffset: 68
; Occupancy: 7
; WaveLimiterHint : 1
; COMPUTE_PGM_RSRC2:SCRATCH_EN: 0
; COMPUTE_PGM_RSRC2:USER_SGPR: 8
; COMPUTE_PGM_RSRC2:TRAP_HANDLER: 0
; COMPUTE_PGM_RSRC2:TGID_X_EN: 1
; COMPUTE_PGM_RSRC2:TGID_Y_EN: 0
; COMPUTE_PGM_RSRC2:TGID_Z_EN: 0
; COMPUTE_PGM_RSRC2:TIDIG_COMP_CNT: 0
; COMPUTE_PGM_RSRC3_GFX90A:ACCUM_OFFSET: 16
; COMPUTE_PGM_RSRC3_GFX90A:TG_SPLIT: 0
	.section	.text._ZN2at6native32elementwise_kernel_manual_unrollILi128ELi4EZNS0_15gpu_kernel_implIZZZNS0_28launch_dirichlet_grad_kernelERNS_18TensorIteratorBaseEENKUlvE_clEvENKUlvE0_clEvEUlfffE_EEvS4_RKT_EUlibE_EEviT1_,"axG",@progbits,_ZN2at6native32elementwise_kernel_manual_unrollILi128ELi4EZNS0_15gpu_kernel_implIZZZNS0_28launch_dirichlet_grad_kernelERNS_18TensorIteratorBaseEENKUlvE_clEvENKUlvE0_clEvEUlfffE_EEvS4_RKT_EUlibE_EEviT1_,comdat
	.globl	_ZN2at6native32elementwise_kernel_manual_unrollILi128ELi4EZNS0_15gpu_kernel_implIZZZNS0_28launch_dirichlet_grad_kernelERNS_18TensorIteratorBaseEENKUlvE_clEvENKUlvE0_clEvEUlfffE_EEvS4_RKT_EUlibE_EEviT1_ ; -- Begin function _ZN2at6native32elementwise_kernel_manual_unrollILi128ELi4EZNS0_15gpu_kernel_implIZZZNS0_28launch_dirichlet_grad_kernelERNS_18TensorIteratorBaseEENKUlvE_clEvENKUlvE0_clEvEUlfffE_EEvS4_RKT_EUlibE_EEviT1_
	.p2align	8
	.type	_ZN2at6native32elementwise_kernel_manual_unrollILi128ELi4EZNS0_15gpu_kernel_implIZZZNS0_28launch_dirichlet_grad_kernelERNS_18TensorIteratorBaseEENKUlvE_clEvENKUlvE0_clEvEUlfffE_EEvS4_RKT_EUlibE_EEviT1_,@function
_ZN2at6native32elementwise_kernel_manual_unrollILi128ELi4EZNS0_15gpu_kernel_implIZZZNS0_28launch_dirichlet_grad_kernelERNS_18TensorIteratorBaseEENKUlvE_clEvENKUlvE0_clEvEUlfffE_EEvS4_RKT_EUlibE_EEviT1_: ; @_ZN2at6native32elementwise_kernel_manual_unrollILi128ELi4EZNS0_15gpu_kernel_implIZZZNS0_28launch_dirichlet_grad_kernelERNS_18TensorIteratorBaseEENKUlvE_clEvENKUlvE0_clEvEUlfffE_EEvS4_RKT_EUlibE_EEviT1_
; %bb.0:
	v_mov_b32_e32 v1, 0
	global_load_dword v47, v1, s[4:5] offset:57
	s_load_dwordx4 s[44:47], s[4:5], 0x28
	s_load_dword s33, s[4:5], 0x0
	s_load_dwordx8 s[36:43], s[4:5], 0x8
	s_add_u32 flat_scratch_lo, s6, s9
	s_addc_u32 flat_scratch_hi, s7, 0
	v_lshl_or_b32 v48, s8, 9, v0
	s_add_u32 s0, s0, s9
	v_or_b32_e32 v0, 0x180, v48
	s_addc_u32 s1, s1, 0
	s_mov_b64 s[28:29], 0
	s_waitcnt lgkmcnt(0)
	v_cmp_le_i32_e32 vcc, s33, v0
	s_mov_b64 s[48:49], 0
	s_mov_b32 s32, 0
	s_waitcnt vmcnt(0)
	v_lshrrev_b32_e32 v45, 8, v47
	v_lshrrev_b32_e32 v49, 24, v47
	s_and_saveexec_b64 s[4:5], vcc
	s_xor_b64 s[34:35], exec, s[4:5]
	s_cbranch_execz .LBB230_2054
; %bb.1:
	v_cmp_gt_i32_e32 vcc, s33, v48
	s_mov_b64 s[4:5], -1
	s_mov_b64 s[60:61], 0
	s_mov_b64 s[54:55], 0
	;; [unrolled: 1-line block ×4, first 2 shown]
	s_and_saveexec_b64 s[56:57], vcc
	s_cbranch_execz .LBB230_395
; %bb.2:
	v_mul_lo_u32 v0, v48, s45
	v_ashrrev_i32_e32 v1, 31, v0
	v_mov_b32_e32 v3, s39
	v_add_co_u32_e32 v2, vcc, s38, v0
	v_mov_b32_e32 v0, 11
	v_addc_co_u32_e32 v3, vcc, v3, v1, vcc
	v_cmp_lt_i16_sdwa s[4:5], v45, v0 src0_sel:BYTE_0 src1_sel:DWORD
	s_and_b64 vcc, exec, s[4:5]
	s_cbranch_vccnz .LBB230_9
; %bb.3:
	v_mov_b32_e32 v0, 25
	v_cmp_gt_i16_sdwa s[4:5], v45, v0 src0_sel:BYTE_0 src1_sel:DWORD
	s_and_b64 vcc, exec, s[4:5]
	s_cbranch_vccz .LBB230_11
; %bb.4:
	v_mov_b32_e32 v0, 28
	v_cmp_gt_i16_sdwa s[4:5], v45, v0 src0_sel:BYTE_0 src1_sel:DWORD
	s_and_b64 vcc, exec, s[4:5]
	s_cbranch_vccz .LBB230_12
	;; [unrolled: 5-line block ×4, first 2 shown]
; %bb.7:
	v_mov_b32_e32 v0, 46
	v_cmp_eq_u16_sdwa s[4:5], v45, v0 src0_sel:BYTE_0 src1_sel:DWORD
	s_mov_b64 s[6:7], 0
	s_and_b64 vcc, exec, s[4:5]
	s_cbranch_vccz .LBB230_15
; %bb.8:
	global_load_dword v0, v[2:3], off
	s_mov_b64 s[4:5], -1
	s_waitcnt vmcnt(0)
	v_lshlrev_b32_e32 v0, 16, v0
	s_branch .LBB230_17
.LBB230_9:
                                        ; implicit-def: $vgpr0
	s_mov_b64 s[4:5], 0
	s_cbranch_execnz .LBB230_81
.LBB230_10:
	s_andn2_b64 vcc, exec, s[4:5]
	s_cbranch_vccz .LBB230_128
	s_branch .LBB230_392
.LBB230_11:
	s_mov_b64 s[4:5], 0
                                        ; implicit-def: $vgpr0
	s_cbranch_execnz .LBB230_46
	s_branch .LBB230_80
.LBB230_12:
	s_mov_b64 s[6:7], -1
	s_mov_b64 s[4:5], 0
                                        ; implicit-def: $vgpr0
	s_branch .LBB230_27
.LBB230_13:
	s_mov_b64 s[6:7], -1
	s_mov_b64 s[4:5], 0
                                        ; implicit-def: $vgpr0
	s_branch .LBB230_22
.LBB230_14:
	s_mov_b64 s[6:7], -1
	s_branch .LBB230_16
.LBB230_15:
	s_mov_b64 s[54:55], -1
.LBB230_16:
	s_mov_b64 s[4:5], 0
                                        ; implicit-def: $vgpr0
.LBB230_17:
	s_and_b64 vcc, exec, s[6:7]
	s_cbranch_vccz .LBB230_21
; %bb.18:
	v_mov_b32_e32 v0, 44
	v_cmp_eq_u16_sdwa s[6:7], v45, v0 src0_sel:BYTE_0 src1_sel:DWORD
	s_and_b64 vcc, exec, s[6:7]
	s_cbranch_vccz .LBB230_20
; %bb.19:
	global_load_ubyte v0, v[2:3], off
	s_movk_i32 s6, 0xff
	v_mov_b32_e32 v1, 0x7f800001
	v_mov_b32_e32 v4, 0x400000
	s_mov_b64 s[4:5], -1
	s_mov_b64 s[54:55], 0
	s_waitcnt vmcnt(0)
	v_lshlrev_b32_e32 v5, 23, v0
	v_cmp_ne_u32_e32 vcc, s6, v0
	v_cndmask_b32_e32 v1, v1, v5, vcc
	v_cmp_ne_u32_e32 vcc, 0, v0
	v_cndmask_b32_e32 v0, v4, v1, vcc
	s_branch .LBB230_21
.LBB230_20:
	s_mov_b64 s[54:55], -1
                                        ; implicit-def: $vgpr0
.LBB230_21:
	s_mov_b64 s[6:7], 0
.LBB230_22:
	s_and_b64 vcc, exec, s[6:7]
	s_cbranch_vccz .LBB230_26
; %bb.23:
	v_mov_b32_e32 v0, 29
	v_cmp_eq_u16_sdwa s[6:7], v45, v0 src0_sel:BYTE_0 src1_sel:DWORD
	s_and_b64 vcc, exec, s[6:7]
	s_cbranch_vccz .LBB230_25
; %bb.24:
	global_load_dwordx2 v[0:1], v[2:3], off
	s_mov_b64 s[4:5], -1
	s_mov_b64 s[54:55], 0
	s_mov_b64 s[6:7], 0
	s_waitcnt vmcnt(0)
	v_ffbh_u32_e32 v4, v1
	v_min_u32_e32 v4, 32, v4
	v_lshlrev_b64 v[0:1], v4, v[0:1]
	v_min_u32_e32 v0, 1, v0
	v_or_b32_e32 v0, v1, v0
	v_cvt_f32_u32_e32 v0, v0
	v_sub_u32_e32 v1, 32, v4
	v_ldexp_f32 v0, v0, v1
	s_branch .LBB230_27
.LBB230_25:
	s_mov_b64 s[54:55], -1
                                        ; implicit-def: $vgpr0
.LBB230_26:
	s_mov_b64 s[6:7], 0
.LBB230_27:
	s_and_b64 vcc, exec, s[6:7]
	s_cbranch_vccz .LBB230_45
; %bb.28:
	v_mov_b32_e32 v0, 27
	v_cmp_lt_i16_sdwa s[4:5], v45, v0 src0_sel:BYTE_0 src1_sel:DWORD
	s_and_b64 vcc, exec, s[4:5]
	s_cbranch_vccnz .LBB230_31
; %bb.29:
	v_cmp_gt_i16_sdwa s[4:5], v45, v0 src0_sel:BYTE_0 src1_sel:DWORD
	s_and_b64 vcc, exec, s[4:5]
	s_cbranch_vccz .LBB230_32
; %bb.30:
	global_load_dword v0, v[2:3], off
	s_mov_b64 s[4:5], 0
	s_waitcnt vmcnt(0)
	v_cvt_f32_u32_e32 v0, v0
	s_branch .LBB230_33
.LBB230_31:
	s_mov_b64 s[4:5], -1
                                        ; implicit-def: $vgpr0
	s_branch .LBB230_36
.LBB230_32:
	s_mov_b64 s[4:5], -1
                                        ; implicit-def: $vgpr0
.LBB230_33:
	s_andn2_b64 vcc, exec, s[4:5]
	s_cbranch_vccnz .LBB230_35
; %bb.34:
	global_load_ushort v0, v[2:3], off
	s_waitcnt vmcnt(0)
	v_cvt_f32_u32_e32 v0, v0
.LBB230_35:
	s_mov_b64 s[4:5], 0
.LBB230_36:
	s_andn2_b64 vcc, exec, s[4:5]
	s_cbranch_vccnz .LBB230_44
; %bb.37:
	global_load_ubyte v1, v[2:3], off
	s_movk_i32 s4, 0x7f
                                        ; implicit-def: $sgpr10
	s_waitcnt vmcnt(0)
	v_cmp_lt_i16_e32 vcc, s4, v1
	s_mov_b64 s[4:5], 0
	s_and_saveexec_b64 s[6:7], vcc
	s_xor_b64 s[6:7], exec, s[6:7]
	s_cbranch_execz .LBB230_57
; %bb.38:
	s_movk_i32 s4, 0x80
	v_cmp_eq_u16_e32 vcc, s4, v1
	s_mov_b64 s[4:5], -1
                                        ; implicit-def: $sgpr10
	s_and_saveexec_b64 s[8:9], vcc
; %bb.39:
	s_mov_b32 s10, 0x7f800001
	s_xor_b64 s[4:5], exec, -1
; %bb.40:
	s_or_b64 exec, exec, s[8:9]
	s_and_b64 s[4:5], s[4:5], exec
	s_or_saveexec_b64 s[6:7], s[6:7]
	v_mov_b32_e32 v0, s10
	s_xor_b64 exec, exec, s[6:7]
	s_cbranch_execnz .LBB230_58
.LBB230_41:
	s_or_b64 exec, exec, s[6:7]
	s_and_saveexec_b64 s[6:7], s[4:5]
	s_cbranch_execz .LBB230_43
.LBB230_42:
	v_lshlrev_b32_e32 v0, 24, v1
	v_and_b32_e32 v1, 0xffff, v1
	v_and_b32_e32 v4, 7, v1
	v_ffbh_u32_e32 v6, v4
	v_min_u32_e32 v6, 32, v6
	v_subrev_u32_e32 v7, 28, v6
	v_bfe_u32 v5, v1, 3, 4
	v_lshlrev_b32_e32 v1, v7, v1
	v_sub_u32_e32 v6, 29, v6
	v_and_b32_e32 v1, 7, v1
	v_cmp_eq_u32_e32 vcc, 0, v5
	v_cndmask_b32_e32 v5, v5, v6, vcc
	v_cndmask_b32_e32 v1, v4, v1, vcc
	v_mov_b32_e32 v4, 0x3b800000
	v_lshlrev_b32_e32 v1, 20, v1
	v_and_b32_e32 v0, 0x80000000, v0
	v_lshl_add_u32 v4, v5, 23, v4
	v_or3_b32 v0, v0, v4, v1
.LBB230_43:
	s_or_b64 exec, exec, s[6:7]
.LBB230_44:
	s_mov_b64 s[4:5], -1
.LBB230_45:
	s_branch .LBB230_80
.LBB230_46:
	v_mov_b32_e32 v0, 22
	v_cmp_gt_i16_sdwa s[6:7], v45, v0 src0_sel:BYTE_0 src1_sel:DWORD
	s_and_b64 vcc, exec, s[6:7]
	s_cbranch_vccz .LBB230_56
; %bb.47:
	v_mov_b32_e32 v0, 24
	v_cmp_lt_i16_sdwa s[4:5], v45, v0 src0_sel:BYTE_0 src1_sel:DWORD
	s_and_b64 vcc, exec, s[4:5]
	s_cbranch_vccnz .LBB230_59
; %bb.48:
	v_cmp_gt_i16_sdwa s[4:5], v45, v0 src0_sel:BYTE_0 src1_sel:DWORD
	s_and_b64 vcc, exec, s[4:5]
	s_cbranch_vccz .LBB230_60
; %bb.49:
	global_load_ubyte v1, v[2:3], off
	s_movk_i32 s4, 0x7f
                                        ; implicit-def: $sgpr10
	s_waitcnt vmcnt(0)
	v_cmp_lt_i16_e32 vcc, s4, v1
	s_mov_b64 s[4:5], 0
	s_and_saveexec_b64 s[6:7], vcc
	s_xor_b64 s[6:7], exec, s[6:7]
	s_cbranch_execz .LBB230_72
; %bb.50:
	s_movk_i32 s4, 0x80
	v_cmp_eq_u16_e32 vcc, s4, v1
	s_mov_b64 s[4:5], -1
                                        ; implicit-def: $sgpr10
	s_and_saveexec_b64 s[8:9], vcc
; %bb.51:
	s_mov_b32 s10, 0x7f800001
	s_xor_b64 s[4:5], exec, -1
; %bb.52:
	s_or_b64 exec, exec, s[8:9]
	s_and_b64 s[4:5], s[4:5], exec
	s_or_saveexec_b64 s[6:7], s[6:7]
	v_mov_b32_e32 v0, s10
	s_xor_b64 exec, exec, s[6:7]
	s_cbranch_execnz .LBB230_73
.LBB230_53:
	s_or_b64 exec, exec, s[6:7]
	s_and_saveexec_b64 s[6:7], s[4:5]
	s_cbranch_execz .LBB230_55
.LBB230_54:
	v_lshlrev_b32_e32 v0, 24, v1
	v_and_b32_e32 v1, 0xffff, v1
	v_and_b32_e32 v4, 3, v1
	v_ffbh_u32_e32 v6, v4
	v_min_u32_e32 v6, 32, v6
	v_subrev_u32_e32 v7, 29, v6
	v_bfe_u32 v5, v1, 2, 5
	v_lshlrev_b32_e32 v1, v7, v1
	v_sub_u32_e32 v6, 30, v6
	v_and_b32_e32 v1, 3, v1
	v_cmp_eq_u32_e32 vcc, 0, v5
	v_cndmask_b32_e32 v5, v5, v6, vcc
	v_cndmask_b32_e32 v1, v4, v1, vcc
	v_mov_b32_e32 v4, 0x37800000
	v_lshlrev_b32_e32 v1, 21, v1
	v_and_b32_e32 v0, 0x80000000, v0
	v_lshl_add_u32 v4, v5, 23, v4
	v_or3_b32 v0, v0, v4, v1
.LBB230_55:
	s_or_b64 exec, exec, s[6:7]
	s_mov_b64 s[4:5], 0
	s_branch .LBB230_61
.LBB230_56:
	s_mov_b64 s[6:7], -1
                                        ; implicit-def: $vgpr0
	s_branch .LBB230_67
.LBB230_57:
	s_or_saveexec_b64 s[6:7], s[6:7]
	v_mov_b32_e32 v0, s10
	s_xor_b64 exec, exec, s[6:7]
	s_cbranch_execz .LBB230_41
.LBB230_58:
	v_cmp_ne_u16_e32 vcc, 0, v1
	s_andn2_b64 s[4:5], s[4:5], exec
	s_and_b64 s[8:9], vcc, exec
	v_mov_b32_e32 v0, 0
	s_or_b64 s[4:5], s[4:5], s[8:9]
	s_or_b64 exec, exec, s[6:7]
	s_and_saveexec_b64 s[6:7], s[4:5]
	s_cbranch_execnz .LBB230_42
	s_branch .LBB230_43
.LBB230_59:
	s_mov_b64 s[4:5], -1
                                        ; implicit-def: $vgpr0
	s_branch .LBB230_64
.LBB230_60:
	s_mov_b64 s[4:5], -1
                                        ; implicit-def: $vgpr0
.LBB230_61:
	s_and_b64 vcc, exec, s[4:5]
	s_cbranch_vccz .LBB230_63
; %bb.62:
	global_load_ubyte v0, v[2:3], off
	s_mov_b32 s4, 0x7f800000
	s_waitcnt vmcnt(0)
	v_lshlrev_b32_e32 v0, 24, v0
	v_and_b32_e32 v1, 0x7f000000, v0
	v_ffbh_u32_e32 v4, v1
	v_min_u32_e32 v4, 32, v4
	v_sub_u32_e64 v4, v4, 4 clamp
	v_lshlrev_b32_e32 v6, v4, v1
	v_lshlrev_b32_e32 v4, 23, v4
	v_lshrrev_b32_e32 v6, 4, v6
	v_add_u32_e32 v5, 0x1000000, v1
	v_sub_u32_e32 v4, v6, v4
	v_ashrrev_i32_e32 v5, 8, v5
	v_add_u32_e32 v4, 0x3c000000, v4
	v_and_or_b32 v4, v5, s4, v4
	v_cmp_ne_u32_e32 vcc, 0, v1
	v_cndmask_b32_e32 v1, 0, v4, vcc
	s_brev_b32 s4, 1
	v_and_or_b32 v0, v0, s4, v1
.LBB230_63:
	s_mov_b64 s[4:5], 0
.LBB230_64:
	s_andn2_b64 vcc, exec, s[4:5]
	s_cbranch_vccnz .LBB230_66
; %bb.65:
	global_load_ubyte v0, v[2:3], off
	s_movk_i32 s4, 0x7f00
	s_brev_b32 s5, 16
	s_waitcnt vmcnt(0)
	v_lshlrev_b16_e32 v1, 8, v0
	v_lshlrev_b32_e32 v0, 25, v0
	v_lshrrev_b32_e32 v4, 4, v0
	v_and_or_b32 v5, v1, s4, 0.5
	v_or_b32_e32 v4, 0x70000000, v4
	v_add_f32_e32 v5, -0.5, v5
	v_mul_f32_e32 v4, 0x7800000, v4
	v_cmp_gt_u32_e32 vcc, s5, v0
	v_bfe_i32 v1, v1, 0, 16
	v_cndmask_b32_e32 v0, v4, v5, vcc
	s_brev_b32 s4, 1
	v_and_or_b32 v0, v1, s4, v0
.LBB230_66:
	s_mov_b64 s[6:7], 0
	s_mov_b64 s[4:5], -1
.LBB230_67:
	s_andn2_b64 vcc, exec, s[6:7]
	s_cbranch_vccnz .LBB230_80
; %bb.68:
	v_mov_b32_e32 v0, 14
	v_cmp_gt_i16_sdwa s[6:7], v45, v0 src0_sel:BYTE_0 src1_sel:DWORD
	s_and_b64 vcc, exec, s[6:7]
	s_cbranch_vccz .LBB230_71
; %bb.69:
	v_mov_b32_e32 v0, 15
	v_cmp_eq_u16_sdwa s[6:7], v45, v0 src0_sel:BYTE_0 src1_sel:DWORD
	s_and_b64 vcc, exec, s[6:7]
	s_cbranch_vccz .LBB230_74
; %bb.70:
	global_load_ushort v0, v[2:3], off
	s_mov_b64 s[4:5], -1
	s_mov_b64 s[54:55], 0
	s_waitcnt vmcnt(0)
	v_lshlrev_b32_e32 v0, 16, v0
	s_branch .LBB230_75
.LBB230_71:
	s_mov_b64 s[6:7], -1
                                        ; implicit-def: $vgpr0
	s_branch .LBB230_76
.LBB230_72:
	s_or_saveexec_b64 s[6:7], s[6:7]
	v_mov_b32_e32 v0, s10
	s_xor_b64 exec, exec, s[6:7]
	s_cbranch_execz .LBB230_53
.LBB230_73:
	v_cmp_ne_u16_e32 vcc, 0, v1
	s_andn2_b64 s[4:5], s[4:5], exec
	s_and_b64 s[8:9], vcc, exec
	v_mov_b32_e32 v0, 0
	s_or_b64 s[4:5], s[4:5], s[8:9]
	s_or_b64 exec, exec, s[6:7]
	s_and_saveexec_b64 s[6:7], s[4:5]
	s_cbranch_execnz .LBB230_54
	s_branch .LBB230_55
.LBB230_74:
	s_mov_b64 s[54:55], -1
                                        ; implicit-def: $vgpr0
.LBB230_75:
	s_mov_b64 s[6:7], 0
.LBB230_76:
	s_and_b64 vcc, exec, s[6:7]
	s_cbranch_vccz .LBB230_80
; %bb.77:
	v_mov_b32_e32 v0, 11
	v_cmp_eq_u16_sdwa s[6:7], v45, v0 src0_sel:BYTE_0 src1_sel:DWORD
	s_and_b64 vcc, exec, s[6:7]
	s_cbranch_vccz .LBB230_79
; %bb.78:
	global_load_ubyte v0, v[2:3], off
	s_mov_b64 s[4:5], -1
	s_mov_b64 s[54:55], 0
	s_waitcnt vmcnt(0)
	v_cmp_ne_u16_e32 vcc, 0, v0
	v_cndmask_b32_e64 v0, 0, 1.0, vcc
	s_branch .LBB230_80
.LBB230_79:
	s_mov_b64 s[54:55], -1
                                        ; implicit-def: $vgpr0
.LBB230_80:
	s_branch .LBB230_10
.LBB230_81:
	v_mov_b32_e32 v0, 5
	v_cmp_lt_i16_sdwa s[4:5], v45, v0 src0_sel:BYTE_0 src1_sel:DWORD
	s_and_b64 vcc, exec, s[4:5]
	s_cbranch_vccnz .LBB230_86
; %bb.82:
	v_mov_b32_e32 v0, 8
	v_cmp_lt_i16_sdwa s[4:5], v45, v0 src0_sel:BYTE_0 src1_sel:DWORD
	s_and_b64 vcc, exec, s[4:5]
	s_cbranch_vccnz .LBB230_87
; %bb.83:
	v_mov_b32_e32 v0, 9
	v_cmp_lt_i16_sdwa s[4:5], v45, v0 src0_sel:BYTE_0 src1_sel:DWORD
	s_and_b64 vcc, exec, s[4:5]
	s_cbranch_vccnz .LBB230_88
; %bb.84:
	v_cmp_gt_i16_sdwa s[4:5], v45, v0 src0_sel:BYTE_0 src1_sel:DWORD
	s_and_b64 vcc, exec, s[4:5]
	s_cbranch_vccz .LBB230_89
; %bb.85:
	global_load_dwordx2 v[0:1], v[2:3], off
	s_mov_b64 s[4:5], 0
	s_waitcnt vmcnt(0)
	v_cvt_f32_f64_e32 v0, v[0:1]
	s_branch .LBB230_90
.LBB230_86:
                                        ; implicit-def: $vgpr0
	s_branch .LBB230_108
.LBB230_87:
	s_mov_b64 s[4:5], -1
                                        ; implicit-def: $vgpr0
	s_branch .LBB230_96
.LBB230_88:
	s_mov_b64 s[4:5], -1
                                        ; implicit-def: $vgpr0
	s_branch .LBB230_93
.LBB230_89:
	s_mov_b64 s[4:5], -1
                                        ; implicit-def: $vgpr0
.LBB230_90:
	s_andn2_b64 vcc, exec, s[4:5]
	s_cbranch_vccnz .LBB230_92
; %bb.91:
	global_load_dword v0, v[2:3], off
.LBB230_92:
	s_mov_b64 s[4:5], 0
.LBB230_93:
	s_andn2_b64 vcc, exec, s[4:5]
	s_cbranch_vccnz .LBB230_95
; %bb.94:
	global_load_dword v0, v[2:3], off
	s_waitcnt vmcnt(0)
	v_cvt_f32_f16_e32 v0, v0
.LBB230_95:
	s_mov_b64 s[4:5], 0
.LBB230_96:
	s_andn2_b64 vcc, exec, s[4:5]
	s_cbranch_vccnz .LBB230_107
; %bb.97:
	s_waitcnt vmcnt(0)
	v_mov_b32_e32 v0, 6
	v_cmp_lt_i16_sdwa s[4:5], v45, v0 src0_sel:BYTE_0 src1_sel:DWORD
	s_and_b64 vcc, exec, s[4:5]
	s_cbranch_vccnz .LBB230_100
; %bb.98:
	v_cmp_gt_i16_sdwa s[4:5], v45, v0 src0_sel:BYTE_0 src1_sel:DWORD
	s_and_b64 vcc, exec, s[4:5]
	s_cbranch_vccz .LBB230_101
; %bb.99:
	global_load_dwordx2 v[0:1], v[2:3], off
	s_mov_b64 s[4:5], 0
	s_waitcnt vmcnt(0)
	v_cvt_f32_f64_e32 v0, v[0:1]
	s_branch .LBB230_102
.LBB230_100:
	s_mov_b64 s[4:5], -1
                                        ; implicit-def: $vgpr0
	s_branch .LBB230_105
.LBB230_101:
	s_mov_b64 s[4:5], -1
                                        ; implicit-def: $vgpr0
.LBB230_102:
	s_andn2_b64 vcc, exec, s[4:5]
	s_cbranch_vccnz .LBB230_104
; %bb.103:
	global_load_dword v0, v[2:3], off
.LBB230_104:
	s_mov_b64 s[4:5], 0
.LBB230_105:
	s_andn2_b64 vcc, exec, s[4:5]
	s_cbranch_vccnz .LBB230_107
; %bb.106:
	global_load_ushort v0, v[2:3], off
	s_waitcnt vmcnt(0)
	v_cvt_f32_f16_e32 v0, v0
.LBB230_107:
	s_cbranch_execnz .LBB230_127
.LBB230_108:
	s_waitcnt vmcnt(0)
	v_mov_b32_e32 v0, 2
	v_cmp_lt_i16_sdwa s[4:5], v45, v0 src0_sel:BYTE_0 src1_sel:DWORD
	s_and_b64 vcc, exec, s[4:5]
	s_cbranch_vccnz .LBB230_112
; %bb.109:
	v_mov_b32_e32 v0, 3
	v_cmp_lt_i16_sdwa s[4:5], v45, v0 src0_sel:BYTE_0 src1_sel:DWORD
	s_and_b64 vcc, exec, s[4:5]
	s_cbranch_vccnz .LBB230_113
; %bb.110:
	v_cmp_gt_i16_sdwa s[4:5], v45, v0 src0_sel:BYTE_0 src1_sel:DWORD
	s_and_b64 vcc, exec, s[4:5]
	s_cbranch_vccz .LBB230_114
; %bb.111:
	global_load_dwordx2 v[0:1], v[2:3], off
	s_mov_b64 s[4:5], 0
	s_waitcnt vmcnt(0)
	v_xor_b32_e32 v5, v0, v1
	v_ffbh_i32_e32 v4, v1
	v_ashrrev_i32_e32 v5, 31, v5
	v_add_u32_e32 v4, -1, v4
	v_add_u32_e32 v5, 32, v5
	v_min_u32_e32 v4, v4, v5
	v_lshlrev_b64 v[0:1], v4, v[0:1]
	v_min_u32_e32 v0, 1, v0
	v_or_b32_e32 v0, v1, v0
	v_cvt_f32_i32_e32 v0, v0
	v_sub_u32_e32 v1, 32, v4
	v_ldexp_f32 v0, v0, v1
	s_branch .LBB230_115
.LBB230_112:
	s_mov_b64 s[4:5], -1
                                        ; implicit-def: $vgpr0
	s_branch .LBB230_121
.LBB230_113:
	s_mov_b64 s[4:5], -1
                                        ; implicit-def: $vgpr0
	s_branch .LBB230_118
.LBB230_114:
	s_mov_b64 s[4:5], -1
                                        ; implicit-def: $vgpr0
.LBB230_115:
	s_andn2_b64 vcc, exec, s[4:5]
	s_cbranch_vccnz .LBB230_117
; %bb.116:
	global_load_dword v0, v[2:3], off
	s_waitcnt vmcnt(0)
	v_cvt_f32_i32_e32 v0, v0
.LBB230_117:
	s_mov_b64 s[4:5], 0
.LBB230_118:
	s_andn2_b64 vcc, exec, s[4:5]
	s_cbranch_vccnz .LBB230_120
; %bb.119:
	global_load_sshort v0, v[2:3], off
	s_waitcnt vmcnt(0)
	v_cvt_f32_i32_e32 v0, v0
.LBB230_120:
	s_mov_b64 s[4:5], 0
.LBB230_121:
	s_andn2_b64 vcc, exec, s[4:5]
	s_cbranch_vccnz .LBB230_127
; %bb.122:
	v_mov_b32_e32 v0, 0
	v_cmp_gt_i16_sdwa s[4:5], v45, v0 src0_sel:BYTE_0 src1_sel:DWORD
	s_and_b64 vcc, exec, s[4:5]
	s_cbranch_vccz .LBB230_124
; %bb.123:
	global_load_sbyte v0, v[2:3], off
	s_mov_b64 s[4:5], 0
	s_waitcnt vmcnt(0)
	v_cvt_f32_i32_e32 v0, v0
	s_branch .LBB230_125
.LBB230_124:
	s_mov_b64 s[4:5], -1
                                        ; implicit-def: $vgpr0
.LBB230_125:
	s_andn2_b64 vcc, exec, s[4:5]
	s_cbranch_vccnz .LBB230_127
; %bb.126:
	global_load_ubyte v0, v[2:3], off
	s_waitcnt vmcnt(0)
	v_cvt_f32_ubyte0_e32 v0, v0
.LBB230_127:
.LBB230_128:
	v_mul_lo_u32 v1, v48, s46
	v_ashrrev_i32_e32 v3, 31, v1
	v_mov_b32_e32 v4, s41
	v_add_co_u32_e32 v2, vcc, s40, v1
	s_movk_i32 s4, 0xff
	v_addc_co_u32_e32 v3, vcc, v4, v3, vcc
	v_and_b32_sdwa v4, v47, s4 dst_sel:DWORD dst_unused:UNUSED_PAD src0_sel:WORD_1 src1_sel:DWORD
	v_cmp_gt_i16_e32 vcc, 11, v4
	s_cbranch_vccnz .LBB230_135
; %bb.129:
	v_cmp_lt_i16_e32 vcc, 25, v4
	s_cbranch_vccz .LBB230_137
; %bb.130:
	v_cmp_lt_i16_e32 vcc, 28, v4
	s_cbranch_vccz .LBB230_138
	;; [unrolled: 3-line block ×4, first 2 shown]
; %bb.133:
	v_cmp_eq_u16_e32 vcc, 46, v4
	s_mov_b64 s[6:7], 0
	s_cbranch_vccz .LBB230_141
; %bb.134:
	global_load_dword v1, v[2:3], off
	s_mov_b64 s[4:5], -1
	s_waitcnt vmcnt(0)
	v_lshlrev_b32_e32 v1, 16, v1
	s_branch .LBB230_143
.LBB230_135:
                                        ; implicit-def: $vgpr1
	s_mov_b64 s[4:5], 0
	s_cbranch_execnz .LBB230_208
.LBB230_136:
	s_andn2_b64 vcc, exec, s[4:5]
	s_cbranch_vccnz .LBB230_392
	s_branch .LBB230_256
.LBB230_137:
	s_mov_b64 s[6:7], -1
	s_mov_b64 s[4:5], 0
                                        ; implicit-def: $vgpr1
	s_branch .LBB230_172
.LBB230_138:
	s_mov_b64 s[6:7], -1
	s_mov_b64 s[4:5], 0
                                        ; implicit-def: $vgpr1
	s_branch .LBB230_153
.LBB230_139:
	s_mov_b64 s[6:7], -1
	s_mov_b64 s[4:5], 0
                                        ; implicit-def: $vgpr1
	s_branch .LBB230_148
.LBB230_140:
	s_mov_b64 s[6:7], -1
	s_branch .LBB230_142
.LBB230_141:
	s_mov_b64 s[52:53], -1
.LBB230_142:
	s_mov_b64 s[4:5], 0
                                        ; implicit-def: $vgpr1
.LBB230_143:
	s_and_b64 vcc, exec, s[6:7]
	s_cbranch_vccz .LBB230_147
; %bb.144:
	v_cmp_eq_u16_e32 vcc, 44, v4
	s_cbranch_vccz .LBB230_146
; %bb.145:
	global_load_ubyte v1, v[2:3], off
	s_movk_i32 s6, 0xff
	v_mov_b32_e32 v5, 0x7f800001
	v_mov_b32_e32 v6, 0x400000
	s_mov_b64 s[4:5], -1
	s_mov_b64 s[52:53], 0
	s_waitcnt vmcnt(0)
	v_lshlrev_b32_e32 v7, 23, v1
	v_cmp_ne_u32_e32 vcc, s6, v1
	v_cndmask_b32_e32 v5, v5, v7, vcc
	v_cmp_ne_u32_e32 vcc, 0, v1
	v_cndmask_b32_e32 v1, v6, v5, vcc
	s_branch .LBB230_147
.LBB230_146:
	s_mov_b64 s[52:53], -1
                                        ; implicit-def: $vgpr1
.LBB230_147:
	s_mov_b64 s[6:7], 0
.LBB230_148:
	s_and_b64 vcc, exec, s[6:7]
	s_cbranch_vccz .LBB230_152
; %bb.149:
	v_cmp_eq_u16_e32 vcc, 29, v4
	s_cbranch_vccz .LBB230_151
; %bb.150:
	global_load_dwordx2 v[6:7], v[2:3], off
	s_mov_b64 s[4:5], -1
	s_mov_b64 s[52:53], 0
	s_mov_b64 s[6:7], 0
	s_waitcnt vmcnt(0)
	v_ffbh_u32_e32 v1, v7
	v_min_u32_e32 v1, 32, v1
	v_lshlrev_b64 v[6:7], v1, v[6:7]
	v_min_u32_e32 v5, 1, v6
	v_or_b32_e32 v5, v7, v5
	v_cvt_f32_u32_e32 v5, v5
	v_sub_u32_e32 v1, 32, v1
	v_ldexp_f32 v1, v5, v1
	s_branch .LBB230_153
.LBB230_151:
	s_mov_b64 s[52:53], -1
                                        ; implicit-def: $vgpr1
.LBB230_152:
	s_mov_b64 s[6:7], 0
.LBB230_153:
	s_and_b64 vcc, exec, s[6:7]
	s_cbranch_vccz .LBB230_171
; %bb.154:
	v_cmp_gt_i16_e32 vcc, 27, v4
	s_cbranch_vccnz .LBB230_157
; %bb.155:
	v_cmp_lt_i16_e32 vcc, 27, v4
	s_cbranch_vccz .LBB230_158
; %bb.156:
	global_load_dword v1, v[2:3], off
	s_mov_b64 s[4:5], 0
	s_waitcnt vmcnt(0)
	v_cvt_f32_u32_e32 v1, v1
	s_branch .LBB230_159
.LBB230_157:
	s_mov_b64 s[4:5], -1
                                        ; implicit-def: $vgpr1
	s_branch .LBB230_162
.LBB230_158:
	s_mov_b64 s[4:5], -1
                                        ; implicit-def: $vgpr1
.LBB230_159:
	s_andn2_b64 vcc, exec, s[4:5]
	s_cbranch_vccnz .LBB230_161
; %bb.160:
	global_load_ushort v1, v[2:3], off
	s_waitcnt vmcnt(0)
	v_cvt_f32_u32_e32 v1, v1
.LBB230_161:
	s_mov_b64 s[4:5], 0
.LBB230_162:
	s_andn2_b64 vcc, exec, s[4:5]
	s_cbranch_vccnz .LBB230_170
; %bb.163:
	global_load_ubyte v5, v[2:3], off
	s_movk_i32 s4, 0x7f
                                        ; implicit-def: $sgpr10
	s_waitcnt vmcnt(0)
	v_cmp_lt_i16_e32 vcc, s4, v5
	s_mov_b64 s[4:5], 0
	s_and_saveexec_b64 s[6:7], vcc
	s_xor_b64 s[6:7], exec, s[6:7]
	s_cbranch_execz .LBB230_184
; %bb.164:
	s_movk_i32 s4, 0x80
	v_cmp_eq_u16_e32 vcc, s4, v5
	s_mov_b64 s[4:5], -1
                                        ; implicit-def: $sgpr10
	s_and_saveexec_b64 s[8:9], vcc
; %bb.165:
	s_mov_b32 s10, 0x7f800001
	s_xor_b64 s[4:5], exec, -1
; %bb.166:
	s_or_b64 exec, exec, s[8:9]
	s_and_b64 s[4:5], s[4:5], exec
	s_or_saveexec_b64 s[6:7], s[6:7]
	v_mov_b32_e32 v1, s10
	s_xor_b64 exec, exec, s[6:7]
	s_cbranch_execnz .LBB230_185
.LBB230_167:
	s_or_b64 exec, exec, s[6:7]
	s_and_saveexec_b64 s[6:7], s[4:5]
	s_cbranch_execz .LBB230_169
.LBB230_168:
	v_lshlrev_b32_e32 v1, 24, v5
	v_and_b32_e32 v5, 0xffff, v5
	v_and_b32_e32 v6, 7, v5
	v_ffbh_u32_e32 v8, v6
	v_min_u32_e32 v8, 32, v8
	v_subrev_u32_e32 v9, 28, v8
	v_bfe_u32 v7, v5, 3, 4
	v_lshlrev_b32_e32 v5, v9, v5
	v_sub_u32_e32 v8, 29, v8
	v_and_b32_e32 v5, 7, v5
	v_cmp_eq_u32_e32 vcc, 0, v7
	v_cndmask_b32_e32 v7, v7, v8, vcc
	v_cndmask_b32_e32 v5, v6, v5, vcc
	v_mov_b32_e32 v6, 0x3b800000
	v_lshlrev_b32_e32 v5, 20, v5
	v_and_b32_e32 v1, 0x80000000, v1
	v_lshl_add_u32 v6, v7, 23, v6
	v_or3_b32 v1, v1, v6, v5
.LBB230_169:
	s_or_b64 exec, exec, s[6:7]
.LBB230_170:
	s_mov_b64 s[4:5], -1
.LBB230_171:
	s_mov_b64 s[6:7], 0
.LBB230_172:
	s_and_b64 vcc, exec, s[6:7]
	s_cbranch_vccz .LBB230_207
; %bb.173:
	v_cmp_lt_i16_e32 vcc, 22, v4
	s_cbranch_vccz .LBB230_183
; %bb.174:
	v_cmp_gt_i16_e32 vcc, 24, v4
	s_cbranch_vccnz .LBB230_186
; %bb.175:
	v_cmp_lt_i16_e32 vcc, 24, v4
	s_cbranch_vccz .LBB230_187
; %bb.176:
	global_load_ubyte v5, v[2:3], off
	s_movk_i32 s4, 0x7f
                                        ; implicit-def: $sgpr10
	s_waitcnt vmcnt(0)
	v_cmp_lt_i16_e32 vcc, s4, v5
	s_mov_b64 s[4:5], 0
	s_and_saveexec_b64 s[6:7], vcc
	s_xor_b64 s[6:7], exec, s[6:7]
	s_cbranch_execz .LBB230_199
; %bb.177:
	s_movk_i32 s4, 0x80
	v_cmp_eq_u16_e32 vcc, s4, v5
	s_mov_b64 s[4:5], -1
                                        ; implicit-def: $sgpr10
	s_and_saveexec_b64 s[8:9], vcc
; %bb.178:
	s_mov_b32 s10, 0x7f800001
	s_xor_b64 s[4:5], exec, -1
; %bb.179:
	s_or_b64 exec, exec, s[8:9]
	s_and_b64 s[4:5], s[4:5], exec
	s_or_saveexec_b64 s[6:7], s[6:7]
	v_mov_b32_e32 v1, s10
	s_xor_b64 exec, exec, s[6:7]
	s_cbranch_execnz .LBB230_200
.LBB230_180:
	s_or_b64 exec, exec, s[6:7]
	s_and_saveexec_b64 s[6:7], s[4:5]
	s_cbranch_execz .LBB230_182
.LBB230_181:
	v_lshlrev_b32_e32 v1, 24, v5
	v_and_b32_e32 v5, 0xffff, v5
	v_and_b32_e32 v6, 3, v5
	v_ffbh_u32_e32 v8, v6
	v_min_u32_e32 v8, 32, v8
	v_subrev_u32_e32 v9, 29, v8
	v_bfe_u32 v7, v5, 2, 5
	v_lshlrev_b32_e32 v5, v9, v5
	v_sub_u32_e32 v8, 30, v8
	v_and_b32_e32 v5, 3, v5
	v_cmp_eq_u32_e32 vcc, 0, v7
	v_cndmask_b32_e32 v7, v7, v8, vcc
	v_cndmask_b32_e32 v5, v6, v5, vcc
	v_mov_b32_e32 v6, 0x37800000
	v_lshlrev_b32_e32 v5, 21, v5
	v_and_b32_e32 v1, 0x80000000, v1
	v_lshl_add_u32 v6, v7, 23, v6
	v_or3_b32 v1, v1, v6, v5
.LBB230_182:
	s_or_b64 exec, exec, s[6:7]
	s_mov_b64 s[4:5], 0
	s_branch .LBB230_188
.LBB230_183:
	s_mov_b64 s[6:7], -1
                                        ; implicit-def: $vgpr1
	s_branch .LBB230_194
.LBB230_184:
	s_or_saveexec_b64 s[6:7], s[6:7]
	v_mov_b32_e32 v1, s10
	s_xor_b64 exec, exec, s[6:7]
	s_cbranch_execz .LBB230_167
.LBB230_185:
	v_cmp_ne_u16_e32 vcc, 0, v5
	s_andn2_b64 s[4:5], s[4:5], exec
	s_and_b64 s[8:9], vcc, exec
	v_mov_b32_e32 v1, 0
	s_or_b64 s[4:5], s[4:5], s[8:9]
	s_or_b64 exec, exec, s[6:7]
	s_and_saveexec_b64 s[6:7], s[4:5]
	s_cbranch_execnz .LBB230_168
	s_branch .LBB230_169
.LBB230_186:
	s_mov_b64 s[4:5], -1
                                        ; implicit-def: $vgpr1
	s_branch .LBB230_191
.LBB230_187:
	s_mov_b64 s[4:5], -1
                                        ; implicit-def: $vgpr1
.LBB230_188:
	s_and_b64 vcc, exec, s[4:5]
	s_cbranch_vccz .LBB230_190
; %bb.189:
	global_load_ubyte v1, v[2:3], off
	s_mov_b32 s4, 0x7f800000
	s_waitcnt vmcnt(0)
	v_lshlrev_b32_e32 v1, 24, v1
	v_and_b32_e32 v5, 0x7f000000, v1
	v_ffbh_u32_e32 v6, v5
	v_min_u32_e32 v6, 32, v6
	v_sub_u32_e64 v6, v6, 4 clamp
	v_lshlrev_b32_e32 v8, v6, v5
	v_lshlrev_b32_e32 v6, 23, v6
	v_lshrrev_b32_e32 v8, 4, v8
	v_add_u32_e32 v7, 0x1000000, v5
	v_sub_u32_e32 v6, v8, v6
	v_ashrrev_i32_e32 v7, 8, v7
	v_add_u32_e32 v6, 0x3c000000, v6
	v_and_or_b32 v6, v7, s4, v6
	v_cmp_ne_u32_e32 vcc, 0, v5
	v_cndmask_b32_e32 v5, 0, v6, vcc
	s_brev_b32 s4, 1
	v_and_or_b32 v1, v1, s4, v5
.LBB230_190:
	s_mov_b64 s[4:5], 0
.LBB230_191:
	s_andn2_b64 vcc, exec, s[4:5]
	s_cbranch_vccnz .LBB230_193
; %bb.192:
	global_load_ubyte v1, v[2:3], off
	s_movk_i32 s4, 0x7f00
	s_brev_b32 s5, 16
	s_waitcnt vmcnt(0)
	v_lshlrev_b16_e32 v5, 8, v1
	v_lshlrev_b32_e32 v1, 25, v1
	v_lshrrev_b32_e32 v6, 4, v1
	v_and_or_b32 v7, v5, s4, 0.5
	v_or_b32_e32 v6, 0x70000000, v6
	v_add_f32_e32 v7, -0.5, v7
	v_mul_f32_e32 v6, 0x7800000, v6
	v_cmp_gt_u32_e32 vcc, s5, v1
	v_bfe_i32 v5, v5, 0, 16
	v_cndmask_b32_e32 v1, v6, v7, vcc
	s_brev_b32 s4, 1
	v_and_or_b32 v1, v5, s4, v1
.LBB230_193:
	s_mov_b64 s[6:7], 0
	s_mov_b64 s[4:5], -1
.LBB230_194:
	s_andn2_b64 vcc, exec, s[6:7]
	s_cbranch_vccnz .LBB230_207
; %bb.195:
	v_cmp_lt_i16_e32 vcc, 14, v4
	s_cbranch_vccz .LBB230_198
; %bb.196:
	v_cmp_eq_u16_e32 vcc, 15, v4
	s_cbranch_vccz .LBB230_201
; %bb.197:
	global_load_ushort v1, v[2:3], off
	s_mov_b64 s[4:5], -1
	s_mov_b64 s[52:53], 0
	s_waitcnt vmcnt(0)
	v_lshlrev_b32_e32 v1, 16, v1
	s_branch .LBB230_202
.LBB230_198:
	s_mov_b64 s[6:7], -1
                                        ; implicit-def: $vgpr1
	s_branch .LBB230_203
.LBB230_199:
	s_or_saveexec_b64 s[6:7], s[6:7]
	v_mov_b32_e32 v1, s10
	s_xor_b64 exec, exec, s[6:7]
	s_cbranch_execz .LBB230_180
.LBB230_200:
	v_cmp_ne_u16_e32 vcc, 0, v5
	s_andn2_b64 s[4:5], s[4:5], exec
	s_and_b64 s[8:9], vcc, exec
	v_mov_b32_e32 v1, 0
	s_or_b64 s[4:5], s[4:5], s[8:9]
	s_or_b64 exec, exec, s[6:7]
	s_and_saveexec_b64 s[6:7], s[4:5]
	s_cbranch_execnz .LBB230_181
	s_branch .LBB230_182
.LBB230_201:
	s_mov_b64 s[52:53], -1
                                        ; implicit-def: $vgpr1
.LBB230_202:
	s_mov_b64 s[6:7], 0
.LBB230_203:
	s_and_b64 vcc, exec, s[6:7]
	s_cbranch_vccz .LBB230_207
; %bb.204:
	v_cmp_eq_u16_e32 vcc, 11, v4
	s_cbranch_vccz .LBB230_206
; %bb.205:
	global_load_ubyte v1, v[2:3], off
	s_mov_b64 s[4:5], -1
	s_mov_b64 s[52:53], 0
	s_waitcnt vmcnt(0)
	v_cmp_ne_u16_e32 vcc, 0, v1
	v_cndmask_b32_e64 v1, 0, 1.0, vcc
	s_branch .LBB230_207
.LBB230_206:
	s_mov_b64 s[52:53], -1
                                        ; implicit-def: $vgpr1
.LBB230_207:
	s_branch .LBB230_136
.LBB230_208:
	v_cmp_gt_i16_e32 vcc, 5, v4
	s_cbranch_vccnz .LBB230_213
; %bb.209:
	v_cmp_gt_i16_e32 vcc, 8, v4
	s_cbranch_vccnz .LBB230_214
; %bb.210:
	;; [unrolled: 3-line block ×3, first 2 shown]
	v_cmp_lt_i16_e32 vcc, 9, v4
	s_cbranch_vccz .LBB230_216
; %bb.212:
	global_load_dwordx2 v[6:7], v[2:3], off
	s_mov_b64 s[4:5], 0
	s_waitcnt vmcnt(0)
	v_cvt_f32_f64_e32 v1, v[6:7]
	s_branch .LBB230_217
.LBB230_213:
	s_mov_b64 s[4:5], -1
                                        ; implicit-def: $vgpr1
	s_branch .LBB230_235
.LBB230_214:
	s_mov_b64 s[4:5], -1
                                        ; implicit-def: $vgpr1
	s_branch .LBB230_223
.LBB230_215:
	s_mov_b64 s[4:5], -1
                                        ; implicit-def: $vgpr1
	s_branch .LBB230_220
.LBB230_216:
	s_mov_b64 s[4:5], -1
                                        ; implicit-def: $vgpr1
.LBB230_217:
	s_andn2_b64 vcc, exec, s[4:5]
	s_cbranch_vccnz .LBB230_219
; %bb.218:
	global_load_dword v1, v[2:3], off
.LBB230_219:
	s_mov_b64 s[4:5], 0
.LBB230_220:
	s_andn2_b64 vcc, exec, s[4:5]
	s_cbranch_vccnz .LBB230_222
; %bb.221:
	global_load_dword v1, v[2:3], off
	s_waitcnt vmcnt(0)
	v_cvt_f32_f16_e32 v1, v1
.LBB230_222:
	s_mov_b64 s[4:5], 0
.LBB230_223:
	s_andn2_b64 vcc, exec, s[4:5]
	s_cbranch_vccnz .LBB230_234
; %bb.224:
	v_cmp_gt_i16_e32 vcc, 6, v4
	s_cbranch_vccnz .LBB230_227
; %bb.225:
	v_cmp_lt_i16_e32 vcc, 6, v4
	s_cbranch_vccz .LBB230_228
; %bb.226:
	global_load_dwordx2 v[6:7], v[2:3], off
	s_mov_b64 s[4:5], 0
	s_waitcnt vmcnt(0)
	v_cvt_f32_f64_e32 v1, v[6:7]
	s_branch .LBB230_229
.LBB230_227:
	s_mov_b64 s[4:5], -1
                                        ; implicit-def: $vgpr1
	s_branch .LBB230_232
.LBB230_228:
	s_mov_b64 s[4:5], -1
                                        ; implicit-def: $vgpr1
.LBB230_229:
	s_andn2_b64 vcc, exec, s[4:5]
	s_cbranch_vccnz .LBB230_231
; %bb.230:
	global_load_dword v1, v[2:3], off
.LBB230_231:
	s_mov_b64 s[4:5], 0
.LBB230_232:
	s_andn2_b64 vcc, exec, s[4:5]
	s_cbranch_vccnz .LBB230_234
; %bb.233:
	global_load_ushort v1, v[2:3], off
	s_waitcnt vmcnt(0)
	v_cvt_f32_f16_e32 v1, v1
.LBB230_234:
	s_mov_b64 s[4:5], 0
.LBB230_235:
	s_andn2_b64 vcc, exec, s[4:5]
	s_cbranch_vccnz .LBB230_255
; %bb.236:
	v_cmp_gt_i16_e32 vcc, 2, v4
	s_cbranch_vccnz .LBB230_240
; %bb.237:
	v_cmp_gt_i16_e32 vcc, 3, v4
	s_cbranch_vccnz .LBB230_241
; %bb.238:
	v_cmp_lt_i16_e32 vcc, 3, v4
	s_cbranch_vccz .LBB230_242
; %bb.239:
	global_load_dwordx2 v[6:7], v[2:3], off
	s_mov_b64 s[4:5], 0
	s_waitcnt vmcnt(0)
	v_xor_b32_e32 v5, v6, v7
	v_ffbh_i32_e32 v1, v7
	v_ashrrev_i32_e32 v5, 31, v5
	v_add_u32_e32 v1, -1, v1
	v_add_u32_e32 v5, 32, v5
	v_min_u32_e32 v1, v1, v5
	v_lshlrev_b64 v[6:7], v1, v[6:7]
	v_min_u32_e32 v5, 1, v6
	v_or_b32_e32 v5, v7, v5
	v_cvt_f32_i32_e32 v5, v5
	v_sub_u32_e32 v1, 32, v1
	v_ldexp_f32 v1, v5, v1
	s_branch .LBB230_243
.LBB230_240:
	s_mov_b64 s[4:5], -1
                                        ; implicit-def: $vgpr1
	s_branch .LBB230_249
.LBB230_241:
	s_mov_b64 s[4:5], -1
                                        ; implicit-def: $vgpr1
	s_branch .LBB230_246
.LBB230_242:
	s_mov_b64 s[4:5], -1
                                        ; implicit-def: $vgpr1
.LBB230_243:
	s_andn2_b64 vcc, exec, s[4:5]
	s_cbranch_vccnz .LBB230_245
; %bb.244:
	global_load_dword v1, v[2:3], off
	s_waitcnt vmcnt(0)
	v_cvt_f32_i32_e32 v1, v1
.LBB230_245:
	s_mov_b64 s[4:5], 0
.LBB230_246:
	s_andn2_b64 vcc, exec, s[4:5]
	s_cbranch_vccnz .LBB230_248
; %bb.247:
	global_load_sshort v1, v[2:3], off
	s_waitcnt vmcnt(0)
	v_cvt_f32_i32_e32 v1, v1
.LBB230_248:
	s_mov_b64 s[4:5], 0
.LBB230_249:
	s_andn2_b64 vcc, exec, s[4:5]
	s_cbranch_vccnz .LBB230_255
; %bb.250:
	v_cmp_lt_i16_e32 vcc, 0, v4
	s_cbranch_vccz .LBB230_252
; %bb.251:
	global_load_sbyte v1, v[2:3], off
	s_mov_b64 s[4:5], 0
	s_waitcnt vmcnt(0)
	v_cvt_f32_i32_e32 v1, v1
	s_branch .LBB230_253
.LBB230_252:
	s_mov_b64 s[4:5], -1
                                        ; implicit-def: $vgpr1
.LBB230_253:
	s_andn2_b64 vcc, exec, s[4:5]
	s_cbranch_vccnz .LBB230_255
; %bb.254:
	global_load_ubyte v1, v[2:3], off
	s_waitcnt vmcnt(0)
	v_cvt_f32_ubyte0_e32 v1, v1
.LBB230_255:
.LBB230_256:
	v_mul_lo_u32 v2, v48, s47
	v_ashrrev_i32_e32 v3, 31, v2
	v_mov_b32_e32 v5, s43
	v_add_co_u32_e32 v4, vcc, s42, v2
	v_addc_co_u32_e32 v5, vcc, v5, v3, vcc
	v_cmp_gt_i16_e32 vcc, 11, v49
	s_cbranch_vccnz .LBB230_263
; %bb.257:
	v_cmp_lt_i16_e32 vcc, 25, v49
	s_cbranch_vccz .LBB230_264
; %bb.258:
	v_cmp_lt_i16_e32 vcc, 28, v49
	s_cbranch_vccz .LBB230_265
	;; [unrolled: 3-line block ×4, first 2 shown]
; %bb.261:
	v_cmp_eq_u16_e32 vcc, 46, v49
	s_mov_b64 s[6:7], 0
	s_cbranch_vccz .LBB230_268
; %bb.262:
	global_load_dword v2, v[4:5], off
	s_mov_b64 s[4:5], -1
	s_waitcnt vmcnt(0)
	v_lshlrev_b32_e32 v2, 16, v2
	s_branch .LBB230_270
.LBB230_263:
	s_mov_b64 s[6:7], -1
                                        ; implicit-def: $vgpr2
	s_mov_b64 s[4:5], 0
	s_branch .LBB230_335
.LBB230_264:
	s_mov_b64 s[6:7], -1
	s_mov_b64 s[4:5], 0
                                        ; implicit-def: $vgpr2
	s_branch .LBB230_299
.LBB230_265:
	s_mov_b64 s[6:7], -1
	s_mov_b64 s[4:5], 0
                                        ; implicit-def: $vgpr2
	s_branch .LBB230_280
.LBB230_266:
	s_mov_b64 s[6:7], -1
	s_mov_b64 s[4:5], 0
                                        ; implicit-def: $vgpr2
	s_branch .LBB230_275
.LBB230_267:
	s_mov_b64 s[6:7], -1
	s_branch .LBB230_269
.LBB230_268:
	s_mov_b64 s[50:51], -1
.LBB230_269:
	s_mov_b64 s[4:5], 0
                                        ; implicit-def: $vgpr2
.LBB230_270:
	s_and_b64 vcc, exec, s[6:7]
	s_cbranch_vccz .LBB230_274
; %bb.271:
	v_cmp_eq_u16_e32 vcc, 44, v49
	s_cbranch_vccz .LBB230_273
; %bb.272:
	global_load_ubyte v2, v[4:5], off
	s_movk_i32 s6, 0xff
	v_mov_b32_e32 v3, 0x7f800001
	v_mov_b32_e32 v6, 0x400000
	s_mov_b64 s[4:5], -1
	s_mov_b64 s[50:51], 0
	s_waitcnt vmcnt(0)
	v_lshlrev_b32_e32 v7, 23, v2
	v_cmp_ne_u32_e32 vcc, s6, v2
	v_cndmask_b32_e32 v3, v3, v7, vcc
	v_cmp_ne_u32_e32 vcc, 0, v2
	v_cndmask_b32_e32 v2, v6, v3, vcc
	s_branch .LBB230_274
.LBB230_273:
	s_mov_b64 s[50:51], -1
                                        ; implicit-def: $vgpr2
.LBB230_274:
	s_mov_b64 s[6:7], 0
.LBB230_275:
	s_and_b64 vcc, exec, s[6:7]
	s_cbranch_vccz .LBB230_279
; %bb.276:
	v_cmp_eq_u16_e32 vcc, 29, v49
	s_cbranch_vccz .LBB230_278
; %bb.277:
	global_load_dwordx2 v[2:3], v[4:5], off
	s_mov_b64 s[4:5], -1
	s_mov_b64 s[50:51], 0
	s_mov_b64 s[6:7], 0
	s_waitcnt vmcnt(0)
	v_ffbh_u32_e32 v6, v3
	v_min_u32_e32 v6, 32, v6
	v_lshlrev_b64 v[2:3], v6, v[2:3]
	v_min_u32_e32 v2, 1, v2
	v_or_b32_e32 v2, v3, v2
	v_cvt_f32_u32_e32 v2, v2
	v_sub_u32_e32 v3, 32, v6
	v_ldexp_f32 v2, v2, v3
	s_branch .LBB230_280
.LBB230_278:
	s_mov_b64 s[50:51], -1
                                        ; implicit-def: $vgpr2
.LBB230_279:
	s_mov_b64 s[6:7], 0
.LBB230_280:
	s_and_b64 vcc, exec, s[6:7]
	s_cbranch_vccz .LBB230_298
; %bb.281:
	v_cmp_gt_i16_e32 vcc, 27, v49
	s_cbranch_vccnz .LBB230_284
; %bb.282:
	v_cmp_lt_i16_e32 vcc, 27, v49
	s_cbranch_vccz .LBB230_285
; %bb.283:
	global_load_dword v2, v[4:5], off
	s_mov_b64 s[4:5], 0
	s_waitcnt vmcnt(0)
	v_cvt_f32_u32_e32 v2, v2
	s_branch .LBB230_286
.LBB230_284:
	s_mov_b64 s[4:5], -1
                                        ; implicit-def: $vgpr2
	s_branch .LBB230_289
.LBB230_285:
	s_mov_b64 s[4:5], -1
                                        ; implicit-def: $vgpr2
.LBB230_286:
	s_andn2_b64 vcc, exec, s[4:5]
	s_cbranch_vccnz .LBB230_288
; %bb.287:
	global_load_ushort v2, v[4:5], off
	s_waitcnt vmcnt(0)
	v_cvt_f32_u32_e32 v2, v2
.LBB230_288:
	s_mov_b64 s[4:5], 0
.LBB230_289:
	s_andn2_b64 vcc, exec, s[4:5]
	s_cbranch_vccnz .LBB230_297
; %bb.290:
	global_load_ubyte v3, v[4:5], off
	s_movk_i32 s4, 0x7f
                                        ; implicit-def: $sgpr10
	s_waitcnt vmcnt(0)
	v_cmp_lt_i16_e32 vcc, s4, v3
	s_mov_b64 s[4:5], 0
	s_and_saveexec_b64 s[6:7], vcc
	s_xor_b64 s[6:7], exec, s[6:7]
	s_cbranch_execz .LBB230_311
; %bb.291:
	s_movk_i32 s4, 0x80
	v_cmp_eq_u16_e32 vcc, s4, v3
	s_mov_b64 s[4:5], -1
                                        ; implicit-def: $sgpr10
	s_and_saveexec_b64 s[8:9], vcc
; %bb.292:
	s_mov_b32 s10, 0x7f800001
	s_xor_b64 s[4:5], exec, -1
; %bb.293:
	s_or_b64 exec, exec, s[8:9]
	s_and_b64 s[4:5], s[4:5], exec
	s_or_saveexec_b64 s[6:7], s[6:7]
	v_mov_b32_e32 v2, s10
	s_xor_b64 exec, exec, s[6:7]
	s_cbranch_execnz .LBB230_312
.LBB230_294:
	s_or_b64 exec, exec, s[6:7]
	s_and_saveexec_b64 s[6:7], s[4:5]
	s_cbranch_execz .LBB230_296
.LBB230_295:
	v_lshlrev_b32_e32 v2, 24, v3
	v_and_b32_e32 v3, 0xffff, v3
	v_and_b32_e32 v6, 7, v3
	v_ffbh_u32_e32 v8, v6
	v_min_u32_e32 v8, 32, v8
	v_subrev_u32_e32 v9, 28, v8
	v_bfe_u32 v7, v3, 3, 4
	v_lshlrev_b32_e32 v3, v9, v3
	v_sub_u32_e32 v8, 29, v8
	v_and_b32_e32 v3, 7, v3
	v_cmp_eq_u32_e32 vcc, 0, v7
	v_cndmask_b32_e32 v7, v7, v8, vcc
	v_cndmask_b32_e32 v3, v6, v3, vcc
	v_mov_b32_e32 v6, 0x3b800000
	v_lshlrev_b32_e32 v3, 20, v3
	v_and_b32_e32 v2, 0x80000000, v2
	v_lshl_add_u32 v6, v7, 23, v6
	v_or3_b32 v2, v2, v6, v3
.LBB230_296:
	s_or_b64 exec, exec, s[6:7]
.LBB230_297:
	s_mov_b64 s[4:5], -1
.LBB230_298:
	s_mov_b64 s[6:7], 0
.LBB230_299:
	s_and_b64 vcc, exec, s[6:7]
	s_cbranch_vccz .LBB230_334
; %bb.300:
	v_cmp_lt_i16_e32 vcc, 22, v49
	s_cbranch_vccz .LBB230_310
; %bb.301:
	v_cmp_gt_i16_e32 vcc, 24, v49
	s_cbranch_vccnz .LBB230_313
; %bb.302:
	v_cmp_lt_i16_e32 vcc, 24, v49
	s_cbranch_vccz .LBB230_314
; %bb.303:
	global_load_ubyte v3, v[4:5], off
	s_movk_i32 s4, 0x7f
                                        ; implicit-def: $sgpr10
	s_waitcnt vmcnt(0)
	v_cmp_lt_i16_e32 vcc, s4, v3
	s_mov_b64 s[4:5], 0
	s_and_saveexec_b64 s[6:7], vcc
	s_xor_b64 s[6:7], exec, s[6:7]
	s_cbranch_execz .LBB230_326
; %bb.304:
	s_movk_i32 s4, 0x80
	v_cmp_eq_u16_e32 vcc, s4, v3
	s_mov_b64 s[4:5], -1
                                        ; implicit-def: $sgpr10
	s_and_saveexec_b64 s[8:9], vcc
; %bb.305:
	s_mov_b32 s10, 0x7f800001
	s_xor_b64 s[4:5], exec, -1
; %bb.306:
	s_or_b64 exec, exec, s[8:9]
	s_and_b64 s[4:5], s[4:5], exec
	s_or_saveexec_b64 s[6:7], s[6:7]
	v_mov_b32_e32 v2, s10
	s_xor_b64 exec, exec, s[6:7]
	s_cbranch_execnz .LBB230_327
.LBB230_307:
	s_or_b64 exec, exec, s[6:7]
	s_and_saveexec_b64 s[6:7], s[4:5]
	s_cbranch_execz .LBB230_309
.LBB230_308:
	v_lshlrev_b32_e32 v2, 24, v3
	v_and_b32_e32 v3, 0xffff, v3
	v_and_b32_e32 v6, 3, v3
	v_ffbh_u32_e32 v8, v6
	v_min_u32_e32 v8, 32, v8
	v_subrev_u32_e32 v9, 29, v8
	v_bfe_u32 v7, v3, 2, 5
	v_lshlrev_b32_e32 v3, v9, v3
	v_sub_u32_e32 v8, 30, v8
	v_and_b32_e32 v3, 3, v3
	v_cmp_eq_u32_e32 vcc, 0, v7
	v_cndmask_b32_e32 v7, v7, v8, vcc
	v_cndmask_b32_e32 v3, v6, v3, vcc
	v_mov_b32_e32 v6, 0x37800000
	v_lshlrev_b32_e32 v3, 21, v3
	v_and_b32_e32 v2, 0x80000000, v2
	v_lshl_add_u32 v6, v7, 23, v6
	v_or3_b32 v2, v2, v6, v3
.LBB230_309:
	s_or_b64 exec, exec, s[6:7]
	s_mov_b64 s[4:5], 0
	s_branch .LBB230_315
.LBB230_310:
	s_mov_b64 s[6:7], -1
                                        ; implicit-def: $vgpr2
	s_branch .LBB230_321
.LBB230_311:
	s_or_saveexec_b64 s[6:7], s[6:7]
	v_mov_b32_e32 v2, s10
	s_xor_b64 exec, exec, s[6:7]
	s_cbranch_execz .LBB230_294
.LBB230_312:
	v_cmp_ne_u16_e32 vcc, 0, v3
	s_andn2_b64 s[4:5], s[4:5], exec
	s_and_b64 s[8:9], vcc, exec
	v_mov_b32_e32 v2, 0
	s_or_b64 s[4:5], s[4:5], s[8:9]
	s_or_b64 exec, exec, s[6:7]
	s_and_saveexec_b64 s[6:7], s[4:5]
	s_cbranch_execnz .LBB230_295
	s_branch .LBB230_296
.LBB230_313:
	s_mov_b64 s[4:5], -1
                                        ; implicit-def: $vgpr2
	s_branch .LBB230_318
.LBB230_314:
	s_mov_b64 s[4:5], -1
                                        ; implicit-def: $vgpr2
.LBB230_315:
	s_and_b64 vcc, exec, s[4:5]
	s_cbranch_vccz .LBB230_317
; %bb.316:
	global_load_ubyte v2, v[4:5], off
	s_mov_b32 s4, 0x7f800000
	s_waitcnt vmcnt(0)
	v_lshlrev_b32_e32 v2, 24, v2
	v_and_b32_e32 v3, 0x7f000000, v2
	v_ffbh_u32_e32 v6, v3
	v_min_u32_e32 v6, 32, v6
	v_sub_u32_e64 v6, v6, 4 clamp
	v_lshlrev_b32_e32 v8, v6, v3
	v_lshlrev_b32_e32 v6, 23, v6
	v_lshrrev_b32_e32 v8, 4, v8
	v_add_u32_e32 v7, 0x1000000, v3
	v_sub_u32_e32 v6, v8, v6
	v_ashrrev_i32_e32 v7, 8, v7
	v_add_u32_e32 v6, 0x3c000000, v6
	v_and_or_b32 v6, v7, s4, v6
	v_cmp_ne_u32_e32 vcc, 0, v3
	v_cndmask_b32_e32 v3, 0, v6, vcc
	s_brev_b32 s4, 1
	v_and_or_b32 v2, v2, s4, v3
.LBB230_317:
	s_mov_b64 s[4:5], 0
.LBB230_318:
	s_andn2_b64 vcc, exec, s[4:5]
	s_cbranch_vccnz .LBB230_320
; %bb.319:
	global_load_ubyte v2, v[4:5], off
	s_movk_i32 s4, 0x7f00
	s_brev_b32 s5, 16
	s_waitcnt vmcnt(0)
	v_lshlrev_b16_e32 v3, 8, v2
	v_lshlrev_b32_e32 v2, 25, v2
	v_lshrrev_b32_e32 v6, 4, v2
	v_and_or_b32 v7, v3, s4, 0.5
	v_or_b32_e32 v6, 0x70000000, v6
	v_add_f32_e32 v7, -0.5, v7
	v_mul_f32_e32 v6, 0x7800000, v6
	v_cmp_gt_u32_e32 vcc, s5, v2
	v_bfe_i32 v3, v3, 0, 16
	v_cndmask_b32_e32 v2, v6, v7, vcc
	s_brev_b32 s4, 1
	v_and_or_b32 v2, v3, s4, v2
.LBB230_320:
	s_mov_b64 s[6:7], 0
	s_mov_b64 s[4:5], -1
.LBB230_321:
	s_andn2_b64 vcc, exec, s[6:7]
	s_cbranch_vccnz .LBB230_334
; %bb.322:
	v_cmp_lt_i16_e32 vcc, 14, v49
	s_cbranch_vccz .LBB230_325
; %bb.323:
	v_cmp_eq_u16_e32 vcc, 15, v49
	s_cbranch_vccz .LBB230_328
; %bb.324:
	global_load_ushort v2, v[4:5], off
	s_mov_b64 s[4:5], -1
	s_mov_b64 s[50:51], 0
	s_waitcnt vmcnt(0)
	v_lshlrev_b32_e32 v2, 16, v2
	s_branch .LBB230_329
.LBB230_325:
	s_mov_b64 s[6:7], -1
                                        ; implicit-def: $vgpr2
	s_branch .LBB230_330
.LBB230_326:
	s_or_saveexec_b64 s[6:7], s[6:7]
	v_mov_b32_e32 v2, s10
	s_xor_b64 exec, exec, s[6:7]
	s_cbranch_execz .LBB230_307
.LBB230_327:
	v_cmp_ne_u16_e32 vcc, 0, v3
	s_andn2_b64 s[4:5], s[4:5], exec
	s_and_b64 s[8:9], vcc, exec
	v_mov_b32_e32 v2, 0
	s_or_b64 s[4:5], s[4:5], s[8:9]
	s_or_b64 exec, exec, s[6:7]
	s_and_saveexec_b64 s[6:7], s[4:5]
	s_cbranch_execnz .LBB230_308
	s_branch .LBB230_309
.LBB230_328:
	s_mov_b64 s[50:51], -1
                                        ; implicit-def: $vgpr2
.LBB230_329:
	s_mov_b64 s[6:7], 0
.LBB230_330:
	s_and_b64 vcc, exec, s[6:7]
	s_cbranch_vccz .LBB230_334
; %bb.331:
	v_cmp_eq_u16_e32 vcc, 11, v49
	s_cbranch_vccz .LBB230_333
; %bb.332:
	global_load_ubyte v2, v[4:5], off
	s_mov_b64 s[4:5], -1
	s_mov_b64 s[50:51], 0
	s_waitcnt vmcnt(0)
	v_cmp_ne_u16_e32 vcc, 0, v2
	v_cndmask_b32_e64 v2, 0, 1.0, vcc
	s_branch .LBB230_334
.LBB230_333:
	s_mov_b64 s[50:51], -1
                                        ; implicit-def: $vgpr2
.LBB230_334:
	s_mov_b64 s[6:7], 0
.LBB230_335:
	s_and_b64 vcc, exec, s[6:7]
	s_cbranch_vccz .LBB230_384
; %bb.336:
	v_cmp_gt_i16_e32 vcc, 5, v49
	s_cbranch_vccnz .LBB230_341
; %bb.337:
	v_cmp_gt_i16_e32 vcc, 8, v49
	s_cbranch_vccnz .LBB230_342
	;; [unrolled: 3-line block ×3, first 2 shown]
; %bb.339:
	v_cmp_lt_i16_e32 vcc, 9, v49
	s_cbranch_vccz .LBB230_344
; %bb.340:
	global_load_dwordx2 v[2:3], v[4:5], off
	s_mov_b64 s[4:5], 0
	s_waitcnt vmcnt(0)
	v_cvt_f32_f64_e32 v2, v[2:3]
	s_branch .LBB230_345
.LBB230_341:
	s_mov_b64 s[4:5], -1
                                        ; implicit-def: $vgpr2
	s_branch .LBB230_363
.LBB230_342:
	s_mov_b64 s[4:5], -1
                                        ; implicit-def: $vgpr2
	s_branch .LBB230_351
.LBB230_343:
	s_mov_b64 s[4:5], -1
                                        ; implicit-def: $vgpr2
	s_branch .LBB230_348
.LBB230_344:
	s_mov_b64 s[4:5], -1
                                        ; implicit-def: $vgpr2
.LBB230_345:
	s_andn2_b64 vcc, exec, s[4:5]
	s_cbranch_vccnz .LBB230_347
; %bb.346:
	global_load_dword v2, v[4:5], off
.LBB230_347:
	s_mov_b64 s[4:5], 0
.LBB230_348:
	s_andn2_b64 vcc, exec, s[4:5]
	s_cbranch_vccnz .LBB230_350
; %bb.349:
	global_load_dword v2, v[4:5], off
	s_waitcnt vmcnt(0)
	v_cvt_f32_f16_e32 v2, v2
.LBB230_350:
	s_mov_b64 s[4:5], 0
.LBB230_351:
	s_andn2_b64 vcc, exec, s[4:5]
	s_cbranch_vccnz .LBB230_362
; %bb.352:
	v_cmp_gt_i16_e32 vcc, 6, v49
	s_cbranch_vccnz .LBB230_355
; %bb.353:
	v_cmp_lt_i16_e32 vcc, 6, v49
	s_cbranch_vccz .LBB230_356
; %bb.354:
	global_load_dwordx2 v[2:3], v[4:5], off
	s_mov_b64 s[4:5], 0
	s_waitcnt vmcnt(0)
	v_cvt_f32_f64_e32 v2, v[2:3]
	s_branch .LBB230_357
.LBB230_355:
	s_mov_b64 s[4:5], -1
                                        ; implicit-def: $vgpr2
	s_branch .LBB230_360
.LBB230_356:
	s_mov_b64 s[4:5], -1
                                        ; implicit-def: $vgpr2
.LBB230_357:
	s_andn2_b64 vcc, exec, s[4:5]
	s_cbranch_vccnz .LBB230_359
; %bb.358:
	global_load_dword v2, v[4:5], off
.LBB230_359:
	s_mov_b64 s[4:5], 0
.LBB230_360:
	s_andn2_b64 vcc, exec, s[4:5]
	s_cbranch_vccnz .LBB230_362
; %bb.361:
	global_load_ushort v2, v[4:5], off
	s_waitcnt vmcnt(0)
	v_cvt_f32_f16_e32 v2, v2
.LBB230_362:
	s_mov_b64 s[4:5], 0
.LBB230_363:
	s_andn2_b64 vcc, exec, s[4:5]
	s_cbranch_vccnz .LBB230_383
; %bb.364:
	v_cmp_gt_i16_e32 vcc, 2, v49
	s_cbranch_vccnz .LBB230_368
; %bb.365:
	v_cmp_gt_i16_e32 vcc, 3, v49
	s_cbranch_vccnz .LBB230_369
; %bb.366:
	v_cmp_lt_i16_e32 vcc, 3, v49
	s_cbranch_vccz .LBB230_370
; %bb.367:
	global_load_dwordx2 v[2:3], v[4:5], off
	s_mov_b64 s[4:5], 0
	s_waitcnt vmcnt(0)
	v_xor_b32_e32 v7, v2, v3
	v_ffbh_i32_e32 v6, v3
	v_ashrrev_i32_e32 v7, 31, v7
	v_add_u32_e32 v6, -1, v6
	v_add_u32_e32 v7, 32, v7
	v_min_u32_e32 v6, v6, v7
	v_lshlrev_b64 v[2:3], v6, v[2:3]
	v_min_u32_e32 v2, 1, v2
	v_or_b32_e32 v2, v3, v2
	v_cvt_f32_i32_e32 v2, v2
	v_sub_u32_e32 v3, 32, v6
	v_ldexp_f32 v2, v2, v3
	s_branch .LBB230_371
.LBB230_368:
	s_mov_b64 s[4:5], -1
                                        ; implicit-def: $vgpr2
	s_branch .LBB230_377
.LBB230_369:
	s_mov_b64 s[4:5], -1
                                        ; implicit-def: $vgpr2
	s_branch .LBB230_374
.LBB230_370:
	s_mov_b64 s[4:5], -1
                                        ; implicit-def: $vgpr2
.LBB230_371:
	s_andn2_b64 vcc, exec, s[4:5]
	s_cbranch_vccnz .LBB230_373
; %bb.372:
	global_load_dword v2, v[4:5], off
	s_waitcnt vmcnt(0)
	v_cvt_f32_i32_e32 v2, v2
.LBB230_373:
	s_mov_b64 s[4:5], 0
.LBB230_374:
	s_andn2_b64 vcc, exec, s[4:5]
	s_cbranch_vccnz .LBB230_376
; %bb.375:
	global_load_sshort v2, v[4:5], off
	s_waitcnt vmcnt(0)
	v_cvt_f32_i32_e32 v2, v2
.LBB230_376:
	s_mov_b64 s[4:5], 0
.LBB230_377:
	s_andn2_b64 vcc, exec, s[4:5]
	s_cbranch_vccnz .LBB230_383
; %bb.378:
	v_cmp_lt_i16_e32 vcc, 0, v49
	s_cbranch_vccz .LBB230_380
; %bb.379:
	global_load_sbyte v2, v[4:5], off
	s_mov_b64 s[4:5], 0
	s_waitcnt vmcnt(0)
	v_cvt_f32_i32_e32 v2, v2
	s_branch .LBB230_381
.LBB230_380:
	s_mov_b64 s[4:5], -1
                                        ; implicit-def: $vgpr2
.LBB230_381:
	s_andn2_b64 vcc, exec, s[4:5]
	s_cbranch_vccnz .LBB230_383
; %bb.382:
	global_load_ubyte v2, v[4:5], off
	s_waitcnt vmcnt(0)
	v_cvt_f32_ubyte0_e32 v2, v2
.LBB230_383:
	s_mov_b64 s[4:5], -1
.LBB230_384:
	s_andn2_b64 vcc, exec, s[4:5]
	s_cbranch_vccnz .LBB230_392
; %bb.385:
	s_getpc_b64 s[4:5]
	s_add_u32 s4, s4, _ZZZZN2at6native28launch_dirichlet_grad_kernelERNS_18TensorIteratorBaseEENKUlvE_clEvENKUlvE0_clEvENKUlfffE_clEfff@rel32@lo+4
	s_addc_u32 s5, s5, _ZZZZN2at6native28launch_dirichlet_grad_kernelERNS_18TensorIteratorBaseEENKUlvE_clEvENKUlvE0_clEvENKUlfffE_clEfff@rel32@hi+12
	s_swappc_b64 s[30:31], s[4:5]
	v_mul_lo_u32 v1, v48, s44
	v_ashrrev_i32_e32 v3, 31, v1
	v_mov_b32_e32 v4, s37
	v_add_co_u32_e32 v2, vcc, s36, v1
	v_mov_b32_e32 v1, 11
	v_addc_co_u32_e32 v3, vcc, v4, v3, vcc
	v_cmp_lt_i16_sdwa s[4:5], v47, v1 src0_sel:BYTE_0 src1_sel:DWORD
	s_and_b64 vcc, exec, s[4:5]
	s_cbranch_vccnz .LBB230_418
; %bb.386:
	v_mov_b32_e32 v1, 25
	v_cmp_gt_i16_sdwa s[4:5], v47, v1 src0_sel:BYTE_0 src1_sel:DWORD
	s_and_b64 vcc, exec, s[4:5]
	s_cbranch_vccz .LBB230_421
; %bb.387:
	v_mov_b32_e32 v1, 28
	v_cmp_gt_i16_sdwa s[4:5], v47, v1 src0_sel:BYTE_0 src1_sel:DWORD
	s_and_b64 vcc, exec, s[4:5]
	s_cbranch_vccz .LBB230_424
	;; [unrolled: 5-line block ×4, first 2 shown]
; %bb.390:
	v_mov_b32_e32 v1, 46
	v_cmp_eq_u16_sdwa s[6:7], v47, v1 src0_sel:BYTE_0 src1_sel:DWORD
	s_mov_b64 s[8:9], 0
	s_mov_b64 s[4:5], -1
	s_and_b64 vcc, exec, s[6:7]
	s_mov_b64 s[6:7], 0
	s_cbranch_vccz .LBB230_546
; %bb.391:
	v_bfe_u32 v1, v0, 16, 1
	s_movk_i32 s4, 0x7fff
	v_add3_u32 v1, v0, v1, s4
	v_lshrrev_b32_e32 v1, 16, v1
	v_mov_b32_e32 v4, 0x7fc0
	v_cmp_o_f32_e32 vcc, v0, v0
	v_cndmask_b32_e32 v1, v4, v1, vcc
	global_store_dword v[2:3], v1, off
	s_mov_b64 s[6:7], -1
	s_mov_b64 s[4:5], 0
	s_branch .LBB230_546
.LBB230_392:
	s_mov_b64 s[4:5], 0
.LBB230_393:
	s_mov_b64 s[6:7], 0
                                        ; implicit-def: $vgpr48
.LBB230_394:
	s_and_b64 s[48:49], s[4:5], exec
	s_and_b64 s[50:51], s[50:51], exec
	s_and_b64 s[52:53], s[52:53], exec
	s_and_b64 s[54:55], s[54:55], exec
	s_orn2_b64 s[4:5], s[6:7], exec
.LBB230_395:
	s_or_b64 exec, exec, s[56:57]
	s_mov_b64 s[8:9], 0
	s_mov_b64 s[6:7], 0
                                        ; implicit-def: $vgpr2
                                        ; implicit-def: $vgpr0_vgpr1
                                        ; implicit-def: $vgpr3
	s_and_saveexec_b64 s[56:57], s[4:5]
	s_cbranch_execz .LBB230_404
; %bb.396:
	v_cmp_gt_i32_e32 vcc, s33, v48
	s_mov_b64 s[4:5], -1
	s_mov_b64 s[58:59], s[54:55]
	s_mov_b64 s[60:61], s[52:53]
	;; [unrolled: 1-line block ×4, first 2 shown]
	s_and_saveexec_b64 s[66:67], vcc
	s_cbranch_execz .LBB230_1029
; %bb.397:
	s_waitcnt vmcnt(0)
	v_mul_lo_u32 v0, v48, s45
	v_ashrrev_i32_e32 v1, 31, v0
	v_mov_b32_e32 v3, s39
	v_add_co_u32_e32 v2, vcc, s38, v0
	v_mov_b32_e32 v0, 11
	v_addc_co_u32_e32 v3, vcc, v3, v1, vcc
	v_cmp_lt_i16_sdwa s[4:5], v45, v0 src0_sel:BYTE_0 src1_sel:DWORD
	s_and_b64 vcc, exec, s[4:5]
	s_cbranch_vccnz .LBB230_407
; %bb.398:
	v_mov_b32_e32 v0, 25
	v_cmp_gt_i16_sdwa s[4:5], v45, v0 src0_sel:BYTE_0 src1_sel:DWORD
	s_and_b64 vcc, exec, s[4:5]
	s_cbranch_vccz .LBB230_416
; %bb.399:
	v_mov_b32_e32 v0, 28
	v_cmp_gt_i16_sdwa s[4:5], v45, v0 src0_sel:BYTE_0 src1_sel:DWORD
	s_and_b64 vcc, exec, s[4:5]
	s_cbranch_vccz .LBB230_419
	;; [unrolled: 5-line block ×4, first 2 shown]
; %bb.402:
	v_mov_b32_e32 v0, 46
	v_cmp_eq_u16_sdwa s[4:5], v45, v0 src0_sel:BYTE_0 src1_sel:DWORD
	s_and_b64 vcc, exec, s[4:5]
	s_cbranch_vccz .LBB230_428
; %bb.403:
	global_load_dword v0, v[2:3], off
	s_mov_b64 s[4:5], -1
	s_mov_b64 s[58:59], 0
	s_waitcnt vmcnt(0)
	v_lshlrev_b32_e32 v0, 16, v0
	s_branch .LBB230_429
.LBB230_404:
	s_or_b64 exec, exec, s[56:57]
	s_mov_b64 s[56:57], 0
	s_and_saveexec_b64 s[4:5], s[54:55]
	s_cbranch_execnz .LBB230_1631
.LBB230_405:
	s_or_b64 exec, exec, s[4:5]
	s_and_saveexec_b64 s[4:5], s[60:61]
	s_xor_b64 s[4:5], exec, s[4:5]
	s_cbranch_execz .LBB230_1632
.LBB230_406:
	s_waitcnt vmcnt(0)
	global_load_ubyte v3, v[0:1], off
	s_or_b64 s[6:7], s[6:7], exec
	s_waitcnt vmcnt(0)
	v_cmp_ne_u16_e32 vcc, 0, v3
	v_cndmask_b32_e64 v3, 0, 1.0, vcc
	s_or_b64 exec, exec, s[4:5]
	s_and_saveexec_b64 s[4:5], s[8:9]
	s_cbranch_execz .LBB230_1678
	s_branch .LBB230_1633
.LBB230_407:
	s_mov_b64 s[4:5], 0
                                        ; implicit-def: $vgpr0
	s_mov_b64 s[58:59], s[54:55]
	s_cbranch_execnz .LBB230_495
.LBB230_408:
	s_andn2_b64 vcc, exec, s[4:5]
	s_cbranch_vccnz .LBB230_543
.LBB230_409:
	v_mul_lo_u32 v1, v48, s46
	v_ashrrev_i32_e32 v3, 31, v1
	v_mov_b32_e32 v4, s41
	v_add_co_u32_e32 v2, vcc, s40, v1
	s_movk_i32 s4, 0xff
	v_addc_co_u32_e32 v3, vcc, v4, v3, vcc
	v_and_b32_sdwa v4, v47, s4 dst_sel:DWORD dst_unused:UNUSED_PAD src0_sel:WORD_1 src1_sel:DWORD
	v_cmp_gt_i16_e32 vcc, 11, v4
	s_cbranch_vccnz .LBB230_417
; %bb.410:
	v_cmp_lt_i16_e32 vcc, 25, v4
	s_cbranch_vccz .LBB230_420
; %bb.411:
	v_cmp_lt_i16_e32 vcc, 28, v4
	s_cbranch_vccz .LBB230_423
	;; [unrolled: 3-line block ×4, first 2 shown]
; %bb.414:
	v_cmp_eq_u16_e32 vcc, 46, v4
	s_mov_b64 s[6:7], 0
	s_cbranch_vccz .LBB230_656
; %bb.415:
	global_load_dword v1, v[2:3], off
	s_mov_b64 s[4:5], -1
	s_mov_b64 s[60:61], 0
	s_waitcnt vmcnt(0)
	v_lshlrev_b32_e32 v1, 16, v1
	s_branch .LBB230_657
.LBB230_416:
	s_mov_b64 s[6:7], -1
	s_mov_b64 s[4:5], 0
	s_mov_b64 s[58:59], s[54:55]
                                        ; implicit-def: $vgpr0
	s_branch .LBB230_459
.LBB230_417:
	s_mov_b64 s[6:7], -1
	s_mov_b64 s[4:5], 0
                                        ; implicit-def: $vgpr1
	s_mov_b64 s[60:61], s[52:53]
	s_branch .LBB230_724
.LBB230_418:
	s_mov_b64 s[8:9], -1
	s_mov_b64 s[4:5], 0
	s_mov_b64 s[6:7], 0
	s_branch .LBB230_615
.LBB230_419:
	s_mov_b64 s[6:7], -1
	s_mov_b64 s[4:5], 0
	s_mov_b64 s[58:59], s[54:55]
                                        ; implicit-def: $vgpr0
	s_branch .LBB230_440
.LBB230_420:
	s_mov_b64 s[6:7], -1
	s_mov_b64 s[4:5], 0
	s_mov_b64 s[60:61], s[52:53]
                                        ; implicit-def: $vgpr1
	s_branch .LBB230_688
.LBB230_421:
	s_mov_b64 s[8:9], -1
	s_mov_b64 s[4:5], 0
	s_mov_b64 s[6:7], 0
	s_branch .LBB230_573
.LBB230_422:
	s_mov_b64 s[6:7], -1
	s_mov_b64 s[4:5], 0
	s_mov_b64 s[58:59], s[54:55]
                                        ; implicit-def: $vgpr0
	s_branch .LBB230_435
.LBB230_423:
	s_mov_b64 s[6:7], -1
	s_mov_b64 s[4:5], 0
	s_mov_b64 s[60:61], s[52:53]
                                        ; implicit-def: $vgpr1
	s_branch .LBB230_669
.LBB230_424:
	s_mov_b64 s[8:9], -1
	s_mov_b64 s[4:5], 0
	s_mov_b64 s[6:7], 0
	s_branch .LBB230_556
.LBB230_425:
	s_mov_b64 s[6:7], -1
	s_mov_b64 s[4:5], 0
	s_mov_b64 s[58:59], s[54:55]
                                        ; implicit-def: $vgpr0
	s_branch .LBB230_429
.LBB230_426:
	s_mov_b64 s[6:7], -1
	s_mov_b64 s[4:5], 0
	s_mov_b64 s[60:61], s[52:53]
                                        ; implicit-def: $vgpr1
	s_branch .LBB230_664
.LBB230_427:
	s_mov_b64 s[8:9], -1
	s_mov_b64 s[4:5], 0
	s_mov_b64 s[6:7], 0
	s_branch .LBB230_552
.LBB230_428:
	s_mov_b64 s[58:59], -1
                                        ; implicit-def: $vgpr0
	s_mov_b64 s[4:5], 0
.LBB230_429:
	s_and_b64 vcc, exec, s[6:7]
	s_cbranch_vccz .LBB230_434
; %bb.430:
	v_mov_b32_e32 v0, 44
	v_cmp_eq_u16_sdwa s[6:7], v45, v0 src0_sel:BYTE_0 src1_sel:DWORD
	s_and_b64 vcc, exec, s[6:7]
	s_cbranch_vccz .LBB230_433
; %bb.431:
	global_load_ubyte v0, v[2:3], off
	s_movk_i32 s6, 0xff
	v_mov_b32_e32 v1, 0x7f800001
	v_mov_b32_e32 v4, 0x400000
	s_mov_b64 s[4:5], -1
	s_mov_b64 s[58:59], 0
	s_waitcnt vmcnt(0)
	v_lshlrev_b32_e32 v5, 23, v0
	v_cmp_ne_u32_e32 vcc, s6, v0
	v_cndmask_b32_e32 v1, v1, v5, vcc
	v_cmp_ne_u32_e32 vcc, 0, v0
	v_cndmask_b32_e32 v0, v4, v1, vcc
	s_branch .LBB230_434
.LBB230_432:
	s_mov_b64 s[6:7], -1
	s_mov_b64 s[4:5], 0
	s_mov_b64 s[60:61], s[52:53]
                                        ; implicit-def: $vgpr1
	s_branch .LBB230_657
.LBB230_433:
	s_mov_b64 s[58:59], -1
                                        ; implicit-def: $vgpr0
.LBB230_434:
	s_mov_b64 s[6:7], 0
.LBB230_435:
	s_and_b64 vcc, exec, s[6:7]
	s_cbranch_vccz .LBB230_439
; %bb.436:
	v_mov_b32_e32 v0, 29
	v_cmp_eq_u16_sdwa s[6:7], v45, v0 src0_sel:BYTE_0 src1_sel:DWORD
	s_and_b64 vcc, exec, s[6:7]
	s_cbranch_vccz .LBB230_438
; %bb.437:
	global_load_dwordx2 v[0:1], v[2:3], off
	s_mov_b64 s[4:5], -1
	s_mov_b64 s[58:59], 0
	s_mov_b64 s[6:7], 0
	s_waitcnt vmcnt(0)
	v_ffbh_u32_e32 v4, v1
	v_min_u32_e32 v4, 32, v4
	v_lshlrev_b64 v[0:1], v4, v[0:1]
	v_min_u32_e32 v0, 1, v0
	v_or_b32_e32 v0, v1, v0
	v_cvt_f32_u32_e32 v0, v0
	v_sub_u32_e32 v1, 32, v4
	v_ldexp_f32 v0, v0, v1
	s_branch .LBB230_440
.LBB230_438:
	s_mov_b64 s[58:59], -1
                                        ; implicit-def: $vgpr0
.LBB230_439:
	s_mov_b64 s[6:7], 0
.LBB230_440:
	s_and_b64 vcc, exec, s[6:7]
	s_cbranch_vccz .LBB230_458
; %bb.441:
	v_mov_b32_e32 v0, 27
	v_cmp_lt_i16_sdwa s[4:5], v45, v0 src0_sel:BYTE_0 src1_sel:DWORD
	s_and_b64 vcc, exec, s[4:5]
	s_cbranch_vccnz .LBB230_444
; %bb.442:
	v_cmp_gt_i16_sdwa s[4:5], v45, v0 src0_sel:BYTE_0 src1_sel:DWORD
	s_and_b64 vcc, exec, s[4:5]
	s_cbranch_vccz .LBB230_445
; %bb.443:
	global_load_dword v0, v[2:3], off
	s_mov_b64 s[4:5], 0
	s_waitcnt vmcnt(0)
	v_cvt_f32_u32_e32 v0, v0
	s_branch .LBB230_446
.LBB230_444:
	s_mov_b64 s[4:5], -1
                                        ; implicit-def: $vgpr0
	s_branch .LBB230_449
.LBB230_445:
	s_mov_b64 s[4:5], -1
                                        ; implicit-def: $vgpr0
.LBB230_446:
	s_andn2_b64 vcc, exec, s[4:5]
	s_cbranch_vccnz .LBB230_448
; %bb.447:
	global_load_ushort v0, v[2:3], off
	s_waitcnt vmcnt(0)
	v_cvt_f32_u32_e32 v0, v0
.LBB230_448:
	s_mov_b64 s[4:5], 0
.LBB230_449:
	s_andn2_b64 vcc, exec, s[4:5]
	s_cbranch_vccnz .LBB230_457
; %bb.450:
	global_load_ubyte v1, v[2:3], off
	s_movk_i32 s4, 0x7f
                                        ; implicit-def: $sgpr10
	s_waitcnt vmcnt(0)
	v_cmp_lt_i16_e32 vcc, s4, v1
	s_mov_b64 s[4:5], 0
	s_and_saveexec_b64 s[6:7], vcc
	s_xor_b64 s[6:7], exec, s[6:7]
	s_cbranch_execz .LBB230_471
; %bb.451:
	s_movk_i32 s4, 0x80
	v_cmp_eq_u16_e32 vcc, s4, v1
	s_mov_b64 s[4:5], -1
                                        ; implicit-def: $sgpr10
	s_and_saveexec_b64 s[8:9], vcc
; %bb.452:
	s_mov_b32 s10, 0x7f800001
	s_xor_b64 s[4:5], exec, -1
; %bb.453:
	s_or_b64 exec, exec, s[8:9]
	s_and_b64 s[4:5], s[4:5], exec
	s_or_saveexec_b64 s[6:7], s[6:7]
	v_mov_b32_e32 v0, s10
	s_xor_b64 exec, exec, s[6:7]
	s_cbranch_execnz .LBB230_472
.LBB230_454:
	s_or_b64 exec, exec, s[6:7]
	s_and_saveexec_b64 s[6:7], s[4:5]
	s_cbranch_execz .LBB230_456
.LBB230_455:
	v_lshlrev_b32_e32 v0, 24, v1
	v_and_b32_e32 v1, 0xffff, v1
	v_and_b32_e32 v4, 7, v1
	v_ffbh_u32_e32 v6, v4
	v_min_u32_e32 v6, 32, v6
	v_subrev_u32_e32 v7, 28, v6
	v_bfe_u32 v5, v1, 3, 4
	v_lshlrev_b32_e32 v1, v7, v1
	v_sub_u32_e32 v6, 29, v6
	v_and_b32_e32 v1, 7, v1
	v_cmp_eq_u32_e32 vcc, 0, v5
	v_cndmask_b32_e32 v5, v5, v6, vcc
	v_cndmask_b32_e32 v1, v4, v1, vcc
	v_mov_b32_e32 v4, 0x3b800000
	v_lshlrev_b32_e32 v1, 20, v1
	v_and_b32_e32 v0, 0x80000000, v0
	v_lshl_add_u32 v4, v5, 23, v4
	v_or3_b32 v0, v0, v4, v1
.LBB230_456:
	s_or_b64 exec, exec, s[6:7]
.LBB230_457:
	s_mov_b64 s[4:5], -1
.LBB230_458:
	s_mov_b64 s[6:7], 0
.LBB230_459:
	s_and_b64 vcc, exec, s[6:7]
	s_cbranch_vccz .LBB230_494
; %bb.460:
	v_mov_b32_e32 v0, 22
	v_cmp_gt_i16_sdwa s[6:7], v45, v0 src0_sel:BYTE_0 src1_sel:DWORD
	s_and_b64 vcc, exec, s[6:7]
	s_cbranch_vccz .LBB230_470
; %bb.461:
	v_mov_b32_e32 v0, 24
	v_cmp_lt_i16_sdwa s[4:5], v45, v0 src0_sel:BYTE_0 src1_sel:DWORD
	s_and_b64 vcc, exec, s[4:5]
	s_cbranch_vccnz .LBB230_473
; %bb.462:
	v_cmp_gt_i16_sdwa s[4:5], v45, v0 src0_sel:BYTE_0 src1_sel:DWORD
	s_and_b64 vcc, exec, s[4:5]
	s_cbranch_vccz .LBB230_474
; %bb.463:
	global_load_ubyte v1, v[2:3], off
	s_movk_i32 s4, 0x7f
                                        ; implicit-def: $sgpr10
	s_waitcnt vmcnt(0)
	v_cmp_lt_i16_e32 vcc, s4, v1
	s_mov_b64 s[4:5], 0
	s_and_saveexec_b64 s[6:7], vcc
	s_xor_b64 s[6:7], exec, s[6:7]
	s_cbranch_execz .LBB230_486
; %bb.464:
	s_movk_i32 s4, 0x80
	v_cmp_eq_u16_e32 vcc, s4, v1
	s_mov_b64 s[4:5], -1
                                        ; implicit-def: $sgpr10
	s_and_saveexec_b64 s[8:9], vcc
; %bb.465:
	s_mov_b32 s10, 0x7f800001
	s_xor_b64 s[4:5], exec, -1
; %bb.466:
	s_or_b64 exec, exec, s[8:9]
	s_and_b64 s[4:5], s[4:5], exec
	s_or_saveexec_b64 s[6:7], s[6:7]
	v_mov_b32_e32 v0, s10
	s_xor_b64 exec, exec, s[6:7]
	s_cbranch_execnz .LBB230_487
.LBB230_467:
	s_or_b64 exec, exec, s[6:7]
	s_and_saveexec_b64 s[6:7], s[4:5]
	s_cbranch_execz .LBB230_469
.LBB230_468:
	v_lshlrev_b32_e32 v0, 24, v1
	v_and_b32_e32 v1, 0xffff, v1
	v_and_b32_e32 v4, 3, v1
	v_ffbh_u32_e32 v6, v4
	v_min_u32_e32 v6, 32, v6
	v_subrev_u32_e32 v7, 29, v6
	v_bfe_u32 v5, v1, 2, 5
	v_lshlrev_b32_e32 v1, v7, v1
	v_sub_u32_e32 v6, 30, v6
	v_and_b32_e32 v1, 3, v1
	v_cmp_eq_u32_e32 vcc, 0, v5
	v_cndmask_b32_e32 v5, v5, v6, vcc
	v_cndmask_b32_e32 v1, v4, v1, vcc
	v_mov_b32_e32 v4, 0x37800000
	v_lshlrev_b32_e32 v1, 21, v1
	v_and_b32_e32 v0, 0x80000000, v0
	v_lshl_add_u32 v4, v5, 23, v4
	v_or3_b32 v0, v0, v4, v1
.LBB230_469:
	s_or_b64 exec, exec, s[6:7]
	s_mov_b64 s[4:5], 0
	s_branch .LBB230_475
.LBB230_470:
	s_mov_b64 s[6:7], -1
                                        ; implicit-def: $vgpr0
	s_branch .LBB230_481
.LBB230_471:
	s_or_saveexec_b64 s[6:7], s[6:7]
	v_mov_b32_e32 v0, s10
	s_xor_b64 exec, exec, s[6:7]
	s_cbranch_execz .LBB230_454
.LBB230_472:
	v_cmp_ne_u16_e32 vcc, 0, v1
	s_andn2_b64 s[4:5], s[4:5], exec
	s_and_b64 s[8:9], vcc, exec
	v_mov_b32_e32 v0, 0
	s_or_b64 s[4:5], s[4:5], s[8:9]
	s_or_b64 exec, exec, s[6:7]
	s_and_saveexec_b64 s[6:7], s[4:5]
	s_cbranch_execnz .LBB230_455
	s_branch .LBB230_456
.LBB230_473:
	s_mov_b64 s[4:5], -1
                                        ; implicit-def: $vgpr0
	s_branch .LBB230_478
.LBB230_474:
	s_mov_b64 s[4:5], -1
                                        ; implicit-def: $vgpr0
.LBB230_475:
	s_and_b64 vcc, exec, s[4:5]
	s_cbranch_vccz .LBB230_477
; %bb.476:
	global_load_ubyte v0, v[2:3], off
	s_mov_b32 s4, 0x7f800000
	s_waitcnt vmcnt(0)
	v_lshlrev_b32_e32 v0, 24, v0
	v_and_b32_e32 v1, 0x7f000000, v0
	v_ffbh_u32_e32 v4, v1
	v_min_u32_e32 v4, 32, v4
	v_sub_u32_e64 v4, v4, 4 clamp
	v_lshlrev_b32_e32 v6, v4, v1
	v_lshlrev_b32_e32 v4, 23, v4
	v_lshrrev_b32_e32 v6, 4, v6
	v_add_u32_e32 v5, 0x1000000, v1
	v_sub_u32_e32 v4, v6, v4
	v_ashrrev_i32_e32 v5, 8, v5
	v_add_u32_e32 v4, 0x3c000000, v4
	v_and_or_b32 v4, v5, s4, v4
	v_cmp_ne_u32_e32 vcc, 0, v1
	v_cndmask_b32_e32 v1, 0, v4, vcc
	s_brev_b32 s4, 1
	v_and_or_b32 v0, v0, s4, v1
.LBB230_477:
	s_mov_b64 s[4:5], 0
.LBB230_478:
	s_andn2_b64 vcc, exec, s[4:5]
	s_cbranch_vccnz .LBB230_480
; %bb.479:
	global_load_ubyte v0, v[2:3], off
	s_movk_i32 s4, 0x7f00
	s_brev_b32 s5, 16
	s_waitcnt vmcnt(0)
	v_lshlrev_b16_e32 v1, 8, v0
	v_lshlrev_b32_e32 v0, 25, v0
	v_lshrrev_b32_e32 v4, 4, v0
	v_and_or_b32 v5, v1, s4, 0.5
	v_or_b32_e32 v4, 0x70000000, v4
	v_add_f32_e32 v5, -0.5, v5
	v_mul_f32_e32 v4, 0x7800000, v4
	v_cmp_gt_u32_e32 vcc, s5, v0
	v_bfe_i32 v1, v1, 0, 16
	v_cndmask_b32_e32 v0, v4, v5, vcc
	s_brev_b32 s4, 1
	v_and_or_b32 v0, v1, s4, v0
.LBB230_480:
	s_mov_b64 s[6:7], 0
	s_mov_b64 s[4:5], -1
.LBB230_481:
	s_andn2_b64 vcc, exec, s[6:7]
	s_cbranch_vccnz .LBB230_494
; %bb.482:
	v_mov_b32_e32 v0, 14
	v_cmp_gt_i16_sdwa s[6:7], v45, v0 src0_sel:BYTE_0 src1_sel:DWORD
	s_and_b64 vcc, exec, s[6:7]
	s_cbranch_vccz .LBB230_485
; %bb.483:
	v_mov_b32_e32 v0, 15
	v_cmp_eq_u16_sdwa s[6:7], v45, v0 src0_sel:BYTE_0 src1_sel:DWORD
	s_and_b64 vcc, exec, s[6:7]
	s_cbranch_vccz .LBB230_488
; %bb.484:
	global_load_ushort v0, v[2:3], off
	s_mov_b64 s[4:5], -1
	s_mov_b64 s[58:59], 0
	s_waitcnt vmcnt(0)
	v_lshlrev_b32_e32 v0, 16, v0
	s_branch .LBB230_489
.LBB230_485:
	s_mov_b64 s[6:7], -1
                                        ; implicit-def: $vgpr0
	s_branch .LBB230_490
.LBB230_486:
	s_or_saveexec_b64 s[6:7], s[6:7]
	v_mov_b32_e32 v0, s10
	s_xor_b64 exec, exec, s[6:7]
	s_cbranch_execz .LBB230_467
.LBB230_487:
	v_cmp_ne_u16_e32 vcc, 0, v1
	s_andn2_b64 s[4:5], s[4:5], exec
	s_and_b64 s[8:9], vcc, exec
	v_mov_b32_e32 v0, 0
	s_or_b64 s[4:5], s[4:5], s[8:9]
	s_or_b64 exec, exec, s[6:7]
	s_and_saveexec_b64 s[6:7], s[4:5]
	s_cbranch_execnz .LBB230_468
	s_branch .LBB230_469
.LBB230_488:
	s_mov_b64 s[58:59], -1
                                        ; implicit-def: $vgpr0
.LBB230_489:
	s_mov_b64 s[6:7], 0
.LBB230_490:
	s_and_b64 vcc, exec, s[6:7]
	s_cbranch_vccz .LBB230_494
; %bb.491:
	v_mov_b32_e32 v0, 11
	v_cmp_eq_u16_sdwa s[6:7], v45, v0 src0_sel:BYTE_0 src1_sel:DWORD
	s_and_b64 vcc, exec, s[6:7]
	s_cbranch_vccz .LBB230_493
; %bb.492:
	global_load_ubyte v0, v[2:3], off
	s_mov_b64 s[4:5], -1
	s_mov_b64 s[58:59], 0
	s_waitcnt vmcnt(0)
	v_cmp_ne_u16_e32 vcc, 0, v0
	v_cndmask_b32_e64 v0, 0, 1.0, vcc
	s_branch .LBB230_494
.LBB230_493:
	s_mov_b64 s[58:59], -1
                                        ; implicit-def: $vgpr0
.LBB230_494:
	s_branch .LBB230_408
.LBB230_495:
	v_mov_b32_e32 v0, 5
	v_cmp_lt_i16_sdwa s[4:5], v45, v0 src0_sel:BYTE_0 src1_sel:DWORD
	s_and_b64 vcc, exec, s[4:5]
	s_cbranch_vccnz .LBB230_500
; %bb.496:
	v_mov_b32_e32 v0, 8
	v_cmp_lt_i16_sdwa s[4:5], v45, v0 src0_sel:BYTE_0 src1_sel:DWORD
	s_and_b64 vcc, exec, s[4:5]
	s_cbranch_vccnz .LBB230_501
; %bb.497:
	;; [unrolled: 5-line block ×3, first 2 shown]
	v_cmp_gt_i16_sdwa s[4:5], v45, v0 src0_sel:BYTE_0 src1_sel:DWORD
	s_and_b64 vcc, exec, s[4:5]
	s_cbranch_vccz .LBB230_503
; %bb.499:
	global_load_dwordx2 v[0:1], v[2:3], off
	s_mov_b64 s[4:5], 0
	s_waitcnt vmcnt(0)
	v_cvt_f32_f64_e32 v0, v[0:1]
	s_branch .LBB230_504
.LBB230_500:
	s_mov_b64 s[4:5], -1
                                        ; implicit-def: $vgpr0
	s_branch .LBB230_522
.LBB230_501:
	s_mov_b64 s[4:5], -1
                                        ; implicit-def: $vgpr0
	s_branch .LBB230_510
.LBB230_502:
	s_mov_b64 s[4:5], -1
                                        ; implicit-def: $vgpr0
	s_branch .LBB230_507
.LBB230_503:
	s_mov_b64 s[4:5], -1
                                        ; implicit-def: $vgpr0
.LBB230_504:
	s_andn2_b64 vcc, exec, s[4:5]
	s_cbranch_vccnz .LBB230_506
; %bb.505:
	global_load_dword v0, v[2:3], off
.LBB230_506:
	s_mov_b64 s[4:5], 0
.LBB230_507:
	s_andn2_b64 vcc, exec, s[4:5]
	s_cbranch_vccnz .LBB230_509
; %bb.508:
	global_load_dword v0, v[2:3], off
	s_waitcnt vmcnt(0)
	v_cvt_f32_f16_e32 v0, v0
.LBB230_509:
	s_mov_b64 s[4:5], 0
.LBB230_510:
	s_andn2_b64 vcc, exec, s[4:5]
	s_cbranch_vccnz .LBB230_521
; %bb.511:
	s_waitcnt vmcnt(0)
	v_mov_b32_e32 v0, 6
	v_cmp_lt_i16_sdwa s[4:5], v45, v0 src0_sel:BYTE_0 src1_sel:DWORD
	s_and_b64 vcc, exec, s[4:5]
	s_cbranch_vccnz .LBB230_514
; %bb.512:
	v_cmp_gt_i16_sdwa s[4:5], v45, v0 src0_sel:BYTE_0 src1_sel:DWORD
	s_and_b64 vcc, exec, s[4:5]
	s_cbranch_vccz .LBB230_515
; %bb.513:
	global_load_dwordx2 v[0:1], v[2:3], off
	s_mov_b64 s[4:5], 0
	s_waitcnt vmcnt(0)
	v_cvt_f32_f64_e32 v0, v[0:1]
	s_branch .LBB230_516
.LBB230_514:
	s_mov_b64 s[4:5], -1
                                        ; implicit-def: $vgpr0
	s_branch .LBB230_519
.LBB230_515:
	s_mov_b64 s[4:5], -1
                                        ; implicit-def: $vgpr0
.LBB230_516:
	s_andn2_b64 vcc, exec, s[4:5]
	s_cbranch_vccnz .LBB230_518
; %bb.517:
	global_load_dword v0, v[2:3], off
.LBB230_518:
	s_mov_b64 s[4:5], 0
.LBB230_519:
	s_andn2_b64 vcc, exec, s[4:5]
	s_cbranch_vccnz .LBB230_521
; %bb.520:
	global_load_ushort v0, v[2:3], off
	s_waitcnt vmcnt(0)
	v_cvt_f32_f16_e32 v0, v0
.LBB230_521:
	s_mov_b64 s[4:5], 0
.LBB230_522:
	s_andn2_b64 vcc, exec, s[4:5]
	s_cbranch_vccnz .LBB230_542
; %bb.523:
	s_waitcnt vmcnt(0)
	v_mov_b32_e32 v0, 2
	v_cmp_lt_i16_sdwa s[4:5], v45, v0 src0_sel:BYTE_0 src1_sel:DWORD
	s_and_b64 vcc, exec, s[4:5]
	s_cbranch_vccnz .LBB230_527
; %bb.524:
	v_mov_b32_e32 v0, 3
	v_cmp_lt_i16_sdwa s[4:5], v45, v0 src0_sel:BYTE_0 src1_sel:DWORD
	s_and_b64 vcc, exec, s[4:5]
	s_cbranch_vccnz .LBB230_528
; %bb.525:
	v_cmp_gt_i16_sdwa s[4:5], v45, v0 src0_sel:BYTE_0 src1_sel:DWORD
	s_and_b64 vcc, exec, s[4:5]
	s_cbranch_vccz .LBB230_529
; %bb.526:
	global_load_dwordx2 v[0:1], v[2:3], off
	s_mov_b64 s[4:5], 0
	s_waitcnt vmcnt(0)
	v_xor_b32_e32 v5, v0, v1
	v_ffbh_i32_e32 v4, v1
	v_ashrrev_i32_e32 v5, 31, v5
	v_add_u32_e32 v4, -1, v4
	v_add_u32_e32 v5, 32, v5
	v_min_u32_e32 v4, v4, v5
	v_lshlrev_b64 v[0:1], v4, v[0:1]
	v_min_u32_e32 v0, 1, v0
	v_or_b32_e32 v0, v1, v0
	v_cvt_f32_i32_e32 v0, v0
	v_sub_u32_e32 v1, 32, v4
	v_ldexp_f32 v0, v0, v1
	s_branch .LBB230_530
.LBB230_527:
	s_mov_b64 s[4:5], -1
                                        ; implicit-def: $vgpr0
	s_branch .LBB230_536
.LBB230_528:
	s_mov_b64 s[4:5], -1
                                        ; implicit-def: $vgpr0
	s_branch .LBB230_533
.LBB230_529:
	s_mov_b64 s[4:5], -1
                                        ; implicit-def: $vgpr0
.LBB230_530:
	s_andn2_b64 vcc, exec, s[4:5]
	s_cbranch_vccnz .LBB230_532
; %bb.531:
	global_load_dword v0, v[2:3], off
	s_waitcnt vmcnt(0)
	v_cvt_f32_i32_e32 v0, v0
.LBB230_532:
	s_mov_b64 s[4:5], 0
.LBB230_533:
	s_andn2_b64 vcc, exec, s[4:5]
	s_cbranch_vccnz .LBB230_535
; %bb.534:
	global_load_sshort v0, v[2:3], off
	s_waitcnt vmcnt(0)
	v_cvt_f32_i32_e32 v0, v0
.LBB230_535:
	s_mov_b64 s[4:5], 0
.LBB230_536:
	s_andn2_b64 vcc, exec, s[4:5]
	s_cbranch_vccnz .LBB230_542
; %bb.537:
	v_mov_b32_e32 v0, 0
	v_cmp_gt_i16_sdwa s[4:5], v45, v0 src0_sel:BYTE_0 src1_sel:DWORD
	s_and_b64 vcc, exec, s[4:5]
	s_cbranch_vccz .LBB230_539
; %bb.538:
	global_load_sbyte v0, v[2:3], off
	s_mov_b64 s[4:5], 0
	s_waitcnt vmcnt(0)
	v_cvt_f32_i32_e32 v0, v0
	s_branch .LBB230_540
.LBB230_539:
	s_mov_b64 s[4:5], -1
                                        ; implicit-def: $vgpr0
.LBB230_540:
	s_andn2_b64 vcc, exec, s[4:5]
	s_cbranch_vccnz .LBB230_542
; %bb.541:
	global_load_ubyte v0, v[2:3], off
	s_waitcnt vmcnt(0)
	v_cvt_f32_ubyte0_e32 v0, v0
.LBB230_542:
	s_branch .LBB230_409
.LBB230_543:
	s_mov_b64 s[6:7], 0
	s_mov_b64 s[4:5], s[48:49]
	;; [unrolled: 1-line block ×4, first 2 shown]
.LBB230_544:
                                        ; implicit-def: $vgpr48
	s_branch .LBB230_1028
.LBB230_545:
	s_mov_b64 s[8:9], -1
	s_mov_b64 s[4:5], 0
	s_mov_b64 s[6:7], 0
.LBB230_546:
	s_and_b64 vcc, exec, s[8:9]
	s_cbranch_vccz .LBB230_551
; %bb.547:
	v_mov_b32_e32 v1, 44
	v_cmp_eq_u16_sdwa s[8:9], v47, v1 src0_sel:BYTE_0 src1_sel:DWORD
	s_mov_b64 s[4:5], -1
	s_and_b64 vcc, exec, s[8:9]
	s_cbranch_vccz .LBB230_551
; %bb.548:
	v_bfe_u32 v1, v0, 23, 8
	s_movk_i32 s4, 0xff
	v_cmp_ne_u32_e32 vcc, s4, v1
	v_mov_b32_e32 v4, 0xff
	s_and_saveexec_b64 s[6:7], vcc
; %bb.549:
	s_mov_b32 s4, 0x3fffff
	v_and_b32_e32 v5, 0x400000, v0
	v_and_or_b32 v1, v0, s4, v1
	v_cmp_ne_u32_e32 vcc, 0, v5
	v_cmp_ne_u32_e64 s[4:5], 0, v1
	s_and_b64 s[4:5], vcc, s[4:5]
	v_lshrrev_b32_e32 v4, 23, v0
	v_cndmask_b32_e64 v1, 0, 1, s[4:5]
	v_add_u32_e32 v4, v4, v1
; %bb.550:
	s_or_b64 exec, exec, s[6:7]
	s_mov_b64 s[6:7], -1
	s_mov_b64 s[4:5], 0
	global_store_byte v[2:3], v4, off
.LBB230_551:
	s_mov_b64 s[8:9], 0
.LBB230_552:
	s_and_b64 vcc, exec, s[8:9]
	s_cbranch_vccz .LBB230_555
; %bb.553:
	v_mov_b32_e32 v1, 29
	v_cmp_eq_u16_sdwa s[8:9], v47, v1 src0_sel:BYTE_0 src1_sel:DWORD
	s_mov_b64 s[4:5], -1
	s_and_b64 vcc, exec, s[8:9]
	s_cbranch_vccz .LBB230_555
; %bb.554:
	v_trunc_f32_e32 v1, v0
	v_mul_f32_e32 v4, 0x2f800000, v1
	v_floor_f32_e32 v4, v4
	v_fmac_f32_e32 v1, 0xcf800000, v4
	v_cvt_u32_f32_e32 v5, v4
	v_cvt_u32_f32_e32 v4, v1
	s_mov_b64 s[6:7], -1
	s_mov_b64 s[4:5], 0
	s_mov_b64 s[8:9], 0
	global_store_dwordx2 v[2:3], v[4:5], off
	s_branch .LBB230_556
.LBB230_555:
	s_mov_b64 s[8:9], 0
.LBB230_556:
	s_and_b64 vcc, exec, s[8:9]
	s_cbranch_vccz .LBB230_572
; %bb.557:
	v_mov_b32_e32 v1, 27
	v_cmp_lt_i16_sdwa s[8:9], v47, v1 src0_sel:BYTE_0 src1_sel:DWORD
	s_mov_b64 s[6:7], -1
	s_and_b64 vcc, exec, s[8:9]
	s_cbranch_vccnz .LBB230_563
; %bb.558:
	v_cmp_gt_i16_sdwa s[8:9], v47, v1 src0_sel:BYTE_0 src1_sel:DWORD
	v_cvt_u32_f32_e32 v1, v0
	s_and_b64 vcc, exec, s[8:9]
	s_cbranch_vccz .LBB230_560
; %bb.559:
	s_mov_b64 s[6:7], 0
	global_store_dword v[2:3], v1, off
.LBB230_560:
	s_andn2_b64 vcc, exec, s[6:7]
	s_cbranch_vccnz .LBB230_562
; %bb.561:
	global_store_short v[2:3], v1, off
.LBB230_562:
	s_mov_b64 s[6:7], 0
.LBB230_563:
	s_andn2_b64 vcc, exec, s[6:7]
	s_cbranch_vccnz .LBB230_571
; %bb.564:
	v_and_b32_e32 v1, 0x7fffffff, v0
	s_mov_b32 s6, 0x43800000
	v_cmp_gt_u32_e32 vcc, s6, v1
	v_mov_b32_e32 v4, 0x80
	s_and_saveexec_b64 s[6:7], vcc
	s_cbranch_execz .LBB230_570
; %bb.565:
	s_mov_b32 s8, 0x3bffffff
	v_cmp_lt_u32_e32 vcc, s8, v1
	s_mov_b64 s[8:9], 0
                                        ; implicit-def: $vgpr1
	s_and_saveexec_b64 s[10:11], vcc
	s_xor_b64 s[10:11], exec, s[10:11]
	s_cbranch_execz .LBB230_660
; %bb.566:
	v_bfe_u32 v1, v0, 20, 1
	s_mov_b32 s12, 0x487ffff
	v_add3_u32 v1, v0, v1, s12
	s_mov_b64 s[8:9], exec
	v_lshrrev_b32_e32 v1, 20, v1
	s_or_saveexec_b64 s[10:11], s[10:11]
                                        ; implicit-def: $sgpr12
	s_xor_b64 exec, exec, s[10:11]
	s_cbranch_execnz .LBB230_661
.LBB230_567:
	s_or_b64 exec, exec, s[10:11]
	v_mov_b32_e32 v4, s12
	s_and_saveexec_b64 s[10:11], s[8:9]
.LBB230_568:
	v_lshrrev_b32_e32 v4, 24, v0
	s_movk_i32 s8, 0x80
	v_and_or_b32 v4, v4, s8, v1
.LBB230_569:
	s_or_b64 exec, exec, s[10:11]
.LBB230_570:
	s_or_b64 exec, exec, s[6:7]
	global_store_byte v[2:3], v4, off
.LBB230_571:
	s_mov_b64 s[6:7], -1
.LBB230_572:
	s_mov_b64 s[8:9], 0
.LBB230_573:
	s_and_b64 vcc, exec, s[8:9]
	s_cbranch_vccz .LBB230_614
; %bb.574:
	v_mov_b32_e32 v1, 22
	v_cmp_gt_i16_sdwa s[10:11], v47, v1 src0_sel:BYTE_0 src1_sel:DWORD
	s_mov_b64 s[8:9], -1
	s_and_b64 vcc, exec, s[10:11]
	s_cbranch_vccz .LBB230_606
; %bb.575:
	v_mov_b32_e32 v1, 24
	v_cmp_lt_i16_sdwa s[8:9], v47, v1 src0_sel:BYTE_0 src1_sel:DWORD
	s_mov_b64 s[6:7], -1
	s_and_b64 vcc, exec, s[8:9]
	s_cbranch_vccnz .LBB230_595
; %bb.576:
	v_cmp_gt_i16_sdwa s[8:9], v47, v1 src0_sel:BYTE_0 src1_sel:DWORD
	s_and_b64 vcc, exec, s[8:9]
	s_cbranch_vccz .LBB230_584
; %bb.577:
	v_and_b32_e32 v1, 0x7fffffff, v0
	s_mov_b32 s6, 0x47800000
	v_cmp_gt_u32_e32 vcc, s6, v1
	v_mov_b32_e32 v4, 0x80
	s_and_saveexec_b64 s[6:7], vcc
	s_cbranch_execz .LBB230_583
; %bb.578:
	s_mov_b32 s8, 0x37ffffff
	v_cmp_lt_u32_e32 vcc, s8, v1
	s_mov_b64 s[8:9], 0
                                        ; implicit-def: $vgpr1
	s_and_saveexec_b64 s[10:11], vcc
	s_xor_b64 s[10:11], exec, s[10:11]
	s_cbranch_execz .LBB230_787
; %bb.579:
	v_bfe_u32 v1, v0, 21, 1
	s_mov_b32 s12, 0x88fffff
	v_add3_u32 v1, v0, v1, s12
	s_mov_b64 s[8:9], exec
	v_lshrrev_b32_e32 v1, 21, v1
	s_or_saveexec_b64 s[10:11], s[10:11]
                                        ; implicit-def: $sgpr12
	s_xor_b64 exec, exec, s[10:11]
	s_cbranch_execnz .LBB230_788
.LBB230_580:
	s_or_b64 exec, exec, s[10:11]
	v_mov_b32_e32 v4, s12
	s_and_saveexec_b64 s[10:11], s[8:9]
.LBB230_581:
	v_lshrrev_b32_e32 v4, 24, v0
	s_movk_i32 s8, 0x80
	v_and_or_b32 v4, v4, s8, v1
.LBB230_582:
	s_or_b64 exec, exec, s[10:11]
.LBB230_583:
	s_or_b64 exec, exec, s[6:7]
	s_mov_b64 s[6:7], 0
	global_store_byte v[2:3], v4, off
.LBB230_584:
	s_and_b64 vcc, exec, s[6:7]
	s_cbranch_vccz .LBB230_594
; %bb.585:
	v_and_b32_e32 v4, 0x7fffffff, v0
	s_mov_b32 s6, 0x43f00000
	v_cmp_gt_u32_e32 vcc, s6, v4
                                        ; implicit-def: $vgpr1
	s_and_saveexec_b64 s[6:7], vcc
	s_xor_b64 s[6:7], exec, s[6:7]
	s_cbranch_execz .LBB230_591
; %bb.586:
	s_mov_b32 s8, 0x3c7fffff
	v_cmp_lt_u32_e32 vcc, s8, v4
                                        ; implicit-def: $vgpr1
	s_and_saveexec_b64 s[8:9], vcc
	s_xor_b64 s[8:9], exec, s[8:9]
; %bb.587:
	v_bfe_u32 v1, v0, 20, 1
	s_mov_b32 s10, 0x407ffff
	v_add3_u32 v1, v0, v1, s10
	v_lshrrev_b32_e32 v4, 20, v1
	v_and_b32_e32 v1, 0xff00000, v1
	s_mov_b32 s10, 0x7f00000
	v_mov_b32_e32 v5, 0x7e
	v_cmp_ne_u32_e32 vcc, s10, v1
	v_cndmask_b32_e32 v1, v5, v4, vcc
; %bb.588:
	s_andn2_saveexec_b64 s[8:9], s[8:9]
; %bb.589:
	s_mov_b32 s10, 0x46800000
	v_add_f32_e64 v1, |v0|, s10
; %bb.590:
	s_or_b64 exec, exec, s[8:9]
                                        ; implicit-def: $vgpr4
.LBB230_591:
	s_andn2_saveexec_b64 s[6:7], s[6:7]
; %bb.592:
	s_mov_b32 s8, 0x7f800000
	v_mov_b32_e32 v1, 0x7e
	v_mov_b32_e32 v5, 0x7f
	v_cmp_lt_u32_e32 vcc, s8, v4
	v_cndmask_b32_e32 v1, v1, v5, vcc
; %bb.593:
	s_or_b64 exec, exec, s[6:7]
	v_lshrrev_b32_e32 v4, 24, v0
	s_movk_i32 s6, 0x80
	v_and_or_b32 v1, v4, s6, v1
	global_store_byte v[2:3], v1, off
.LBB230_594:
	s_mov_b64 s[6:7], 0
.LBB230_595:
	s_andn2_b64 vcc, exec, s[6:7]
	s_cbranch_vccnz .LBB230_605
; %bb.596:
	v_and_b32_e32 v4, 0x7fffffff, v0
	s_mov_b32 s6, 0x47800000
	v_cmp_gt_u32_e32 vcc, s6, v4
                                        ; implicit-def: $vgpr1
	s_and_saveexec_b64 s[6:7], vcc
	s_xor_b64 s[6:7], exec, s[6:7]
	s_cbranch_execz .LBB230_602
; %bb.597:
	s_mov_b32 s8, 0x387fffff
	v_cmp_lt_u32_e32 vcc, s8, v4
                                        ; implicit-def: $vgpr1
	s_and_saveexec_b64 s[8:9], vcc
	s_xor_b64 s[8:9], exec, s[8:9]
; %bb.598:
	v_bfe_u32 v1, v0, 21, 1
	s_mov_b32 s10, 0x80fffff
	v_add3_u32 v1, v0, v1, s10
	v_lshrrev_b32_e32 v1, 21, v1
; %bb.599:
	s_andn2_saveexec_b64 s[8:9], s[8:9]
; %bb.600:
	s_mov_b32 s10, 0x43000000
	v_add_f32_e64 v1, |v0|, s10
; %bb.601:
	s_or_b64 exec, exec, s[8:9]
                                        ; implicit-def: $vgpr4
.LBB230_602:
	s_andn2_saveexec_b64 s[6:7], s[6:7]
; %bb.603:
	s_mov_b32 s8, 0x7f800000
	v_mov_b32_e32 v1, 0x7c
	v_mov_b32_e32 v5, 0x7f
	v_cmp_lt_u32_e32 vcc, s8, v4
	v_cndmask_b32_e32 v1, v1, v5, vcc
; %bb.604:
	s_or_b64 exec, exec, s[6:7]
	v_lshrrev_b32_e32 v4, 24, v0
	s_movk_i32 s6, 0x80
	v_and_or_b32 v1, v4, s6, v1
	global_store_byte v[2:3], v1, off
.LBB230_605:
	s_mov_b64 s[8:9], 0
	s_mov_b64 s[6:7], -1
.LBB230_606:
	s_andn2_b64 vcc, exec, s[8:9]
	s_cbranch_vccnz .LBB230_614
; %bb.607:
	v_mov_b32_e32 v1, 14
	v_cmp_gt_i16_sdwa s[10:11], v47, v1 src0_sel:BYTE_0 src1_sel:DWORD
	s_mov_b64 s[8:9], -1
	s_and_b64 vcc, exec, s[10:11]
	s_cbranch_vccz .LBB230_611
; %bb.608:
	v_mov_b32_e32 v1, 15
	v_cmp_eq_u16_sdwa s[8:9], v47, v1 src0_sel:BYTE_0 src1_sel:DWORD
	s_mov_b64 s[4:5], -1
	s_and_b64 vcc, exec, s[8:9]
	s_cbranch_vccz .LBB230_610
; %bb.609:
	v_bfe_u32 v1, v0, 16, 1
	s_movk_i32 s4, 0x7fff
	v_add3_u32 v1, v0, v1, s4
	v_lshrrev_b32_e32 v1, 16, v1
	v_mov_b32_e32 v4, 0x7fc0
	v_cmp_o_f32_e32 vcc, v0, v0
	v_cndmask_b32_e32 v1, v4, v1, vcc
	global_store_short v[2:3], v1, off
	s_mov_b64 s[6:7], -1
	s_mov_b64 s[4:5], 0
.LBB230_610:
	s_mov_b64 s[8:9], 0
.LBB230_611:
	s_and_b64 vcc, exec, s[8:9]
	s_cbranch_vccz .LBB230_614
; %bb.612:
	v_mov_b32_e32 v1, 11
	v_cmp_eq_u16_sdwa s[8:9], v47, v1 src0_sel:BYTE_0 src1_sel:DWORD
	s_mov_b64 s[4:5], -1
	s_and_b64 vcc, exec, s[8:9]
	s_cbranch_vccz .LBB230_614
; %bb.613:
	v_cmp_neq_f32_e32 vcc, 0, v0
	v_cndmask_b32_e64 v1, 0, 1, vcc
	s_mov_b64 s[6:7], -1
	s_mov_b64 s[4:5], 0
	global_store_byte v[2:3], v1, off
.LBB230_614:
	s_mov_b64 s[8:9], 0
.LBB230_615:
	s_and_b64 vcc, exec, s[8:9]
	s_cbranch_vccz .LBB230_654
; %bb.616:
	v_mov_b32_e32 v1, 5
	v_cmp_lt_i16_sdwa s[8:9], v47, v1 src0_sel:BYTE_0 src1_sel:DWORD
	s_mov_b64 s[6:7], -1
	s_and_b64 vcc, exec, s[8:9]
	s_cbranch_vccnz .LBB230_637
; %bb.617:
	v_mov_b32_e32 v1, 8
	v_cmp_lt_i16_sdwa s[8:9], v47, v1 src0_sel:BYTE_0 src1_sel:DWORD
	s_and_b64 vcc, exec, s[8:9]
	s_cbranch_vccnz .LBB230_627
; %bb.618:
	v_mov_b32_e32 v1, 9
	v_cmp_lt_i16_sdwa s[8:9], v47, v1 src0_sel:BYTE_0 src1_sel:DWORD
	s_and_b64 vcc, exec, s[8:9]
	s_cbranch_vccnz .LBB230_624
; %bb.619:
	v_cmp_gt_i16_sdwa s[8:9], v47, v1 src0_sel:BYTE_0 src1_sel:DWORD
	s_and_b64 vcc, exec, s[8:9]
	s_cbranch_vccz .LBB230_621
; %bb.620:
	v_mov_b32_e32 v6, 0
	v_cvt_f64_f32_e32 v[4:5], v0
	v_mov_b32_e32 v7, v6
	global_store_dwordx4 v[2:3], v[4:7], off
	s_mov_b64 s[6:7], 0
.LBB230_621:
	s_andn2_b64 vcc, exec, s[6:7]
	s_cbranch_vccnz .LBB230_623
; %bb.622:
	v_mov_b32_e32 v1, 0
	global_store_dwordx2 v[2:3], v[0:1], off
.LBB230_623:
	s_mov_b64 s[6:7], 0
.LBB230_624:
	s_andn2_b64 vcc, exec, s[6:7]
	s_cbranch_vccnz .LBB230_626
; %bb.625:
	v_cvt_f16_f32_e32 v1, v0
	global_store_dword v[2:3], v1, off
.LBB230_626:
	s_mov_b64 s[6:7], 0
.LBB230_627:
	s_andn2_b64 vcc, exec, s[6:7]
	s_cbranch_vccnz .LBB230_636
; %bb.628:
	v_mov_b32_e32 v1, 6
	v_cmp_lt_i16_sdwa s[8:9], v47, v1 src0_sel:BYTE_0 src1_sel:DWORD
	s_mov_b64 s[6:7], -1
	s_and_b64 vcc, exec, s[8:9]
	s_cbranch_vccnz .LBB230_634
; %bb.629:
	v_cmp_gt_i16_sdwa s[8:9], v47, v1 src0_sel:BYTE_0 src1_sel:DWORD
	s_and_b64 vcc, exec, s[8:9]
	s_cbranch_vccz .LBB230_631
; %bb.630:
	v_cvt_f64_f32_e32 v[4:5], v0
	global_store_dwordx2 v[2:3], v[4:5], off
	s_mov_b64 s[6:7], 0
.LBB230_631:
	s_andn2_b64 vcc, exec, s[6:7]
	s_cbranch_vccnz .LBB230_633
; %bb.632:
	global_store_dword v[2:3], v0, off
.LBB230_633:
	s_mov_b64 s[6:7], 0
.LBB230_634:
	s_andn2_b64 vcc, exec, s[6:7]
	s_cbranch_vccnz .LBB230_636
; %bb.635:
	v_cvt_f16_f32_e32 v1, v0
	global_store_short v[2:3], v1, off
.LBB230_636:
	s_mov_b64 s[6:7], 0
.LBB230_637:
	s_andn2_b64 vcc, exec, s[6:7]
	s_cbranch_vccnz .LBB230_653
; %bb.638:
	v_mov_b32_e32 v1, 2
	v_cmp_lt_i16_sdwa s[8:9], v47, v1 src0_sel:BYTE_0 src1_sel:DWORD
	s_mov_b64 s[6:7], -1
	s_and_b64 vcc, exec, s[8:9]
	s_cbranch_vccnz .LBB230_648
; %bb.639:
	v_mov_b32_e32 v1, 3
	v_cmp_lt_i16_sdwa s[8:9], v47, v1 src0_sel:BYTE_0 src1_sel:DWORD
	s_and_b64 vcc, exec, s[8:9]
	s_cbranch_vccnz .LBB230_645
; %bb.640:
	v_cmp_gt_i16_sdwa s[8:9], v47, v1 src0_sel:BYTE_0 src1_sel:DWORD
	s_and_b64 vcc, exec, s[8:9]
	s_cbranch_vccz .LBB230_642
; %bb.641:
	v_trunc_f32_e32 v1, v0
	s_mov_b32 s6, 0x2f800000
	v_mul_f32_e64 v4, |v1|, s6
	v_floor_f32_e32 v4, v4
	s_mov_b32 s6, 0xcf800000
	v_cvt_u32_f32_e32 v5, v4
	v_fma_f32 v4, v4, s6, |v1|
	v_cvt_u32_f32_e32 v4, v4
	v_ashrrev_i32_e32 v1, 31, v1
	v_xor_b32_e32 v5, v5, v1
	s_mov_b64 s[6:7], 0
	v_xor_b32_e32 v4, v4, v1
	v_sub_co_u32_e32 v4, vcc, v4, v1
	v_subb_co_u32_e32 v5, vcc, v5, v1, vcc
	global_store_dwordx2 v[2:3], v[4:5], off
.LBB230_642:
	s_andn2_b64 vcc, exec, s[6:7]
	s_cbranch_vccnz .LBB230_644
; %bb.643:
	v_cvt_i32_f32_e32 v1, v0
	global_store_dword v[2:3], v1, off
.LBB230_644:
	s_mov_b64 s[6:7], 0
.LBB230_645:
	s_andn2_b64 vcc, exec, s[6:7]
	s_cbranch_vccnz .LBB230_647
; %bb.646:
	v_cvt_i32_f32_e32 v1, v0
	global_store_short v[2:3], v1, off
.LBB230_647:
	s_mov_b64 s[6:7], 0
.LBB230_648:
	s_andn2_b64 vcc, exec, s[6:7]
	s_cbranch_vccnz .LBB230_653
; %bb.649:
	v_mov_b32_e32 v1, 0
	v_cmp_gt_i16_sdwa s[8:9], v47, v1 src0_sel:BYTE_0 src1_sel:DWORD
	s_mov_b64 s[6:7], -1
	s_and_b64 vcc, exec, s[8:9]
	s_cbranch_vccz .LBB230_651
; %bb.650:
	v_cvt_i32_f32_e32 v1, v0
	s_mov_b64 s[6:7], 0
	global_store_byte v[2:3], v1, off
.LBB230_651:
	s_andn2_b64 vcc, exec, s[6:7]
	s_cbranch_vccnz .LBB230_653
; %bb.652:
	v_trunc_f32_e32 v0, v0
	s_mov_b32 s6, 0x2f800000
	v_mul_f32_e64 v1, |v0|, s6
	v_floor_f32_e32 v1, v1
	s_mov_b32 s6, 0xcf800000
	v_fma_f32 v1, v1, s6, |v0|
	v_cvt_u32_f32_e32 v1, v1
	v_ashrrev_i32_e32 v0, 31, v0
	v_xor_b32_e32 v1, v1, v0
	v_sub_u32_e32 v0, v1, v0
	global_store_byte v[2:3], v0, off
.LBB230_653:
	s_mov_b64 s[6:7], -1
.LBB230_654:
	s_andn2_b64 vcc, exec, s[6:7]
	s_cbranch_vccnz .LBB230_393
; %bb.655:
	v_add_u32_e32 v48, 0x80, v48
	s_mov_b64 s[6:7], -1
	s_branch .LBB230_394
.LBB230_656:
	s_mov_b64 s[60:61], -1
                                        ; implicit-def: $vgpr1
	s_mov_b64 s[4:5], 0
.LBB230_657:
	s_and_b64 vcc, exec, s[6:7]
	s_cbranch_vccz .LBB230_663
; %bb.658:
	v_cmp_eq_u16_e32 vcc, 44, v4
	s_cbranch_vccz .LBB230_662
; %bb.659:
	global_load_ubyte v1, v[2:3], off
	s_movk_i32 s6, 0xff
	v_mov_b32_e32 v5, 0x7f800001
	v_mov_b32_e32 v6, 0x400000
	s_mov_b64 s[4:5], -1
	s_mov_b64 s[60:61], 0
	s_waitcnt vmcnt(0)
	v_lshlrev_b32_e32 v7, 23, v1
	v_cmp_ne_u32_e32 vcc, s6, v1
	v_cndmask_b32_e32 v5, v5, v7, vcc
	v_cmp_ne_u32_e32 vcc, 0, v1
	v_cndmask_b32_e32 v1, v6, v5, vcc
	s_branch .LBB230_663
.LBB230_660:
	s_or_saveexec_b64 s[10:11], s[10:11]
                                        ; implicit-def: $sgpr12
	s_xor_b64 exec, exec, s[10:11]
	s_cbranch_execz .LBB230_567
.LBB230_661:
	s_mov_b32 s12, 0x46000000
	v_add_f32_e64 v1, |v0|, s12
	v_and_b32_e32 v1, 0xff, v1
	v_cmp_ne_u32_e32 vcc, 0, v1
	s_andn2_b64 s[8:9], s[8:9], exec
	s_and_b64 s[14:15], vcc, exec
	s_mov_b32 s12, 0
	s_or_b64 s[8:9], s[8:9], s[14:15]
	s_or_b64 exec, exec, s[10:11]
	v_mov_b32_e32 v4, s12
	s_and_saveexec_b64 s[10:11], s[8:9]
	s_cbranch_execnz .LBB230_568
	s_branch .LBB230_569
.LBB230_662:
	s_mov_b64 s[60:61], -1
                                        ; implicit-def: $vgpr1
.LBB230_663:
	s_mov_b64 s[6:7], 0
.LBB230_664:
	s_and_b64 vcc, exec, s[6:7]
	s_cbranch_vccz .LBB230_668
; %bb.665:
	v_cmp_eq_u16_e32 vcc, 29, v4
	s_cbranch_vccz .LBB230_667
; %bb.666:
	global_load_dwordx2 v[6:7], v[2:3], off
	s_mov_b64 s[4:5], -1
	s_mov_b64 s[60:61], 0
	s_mov_b64 s[6:7], 0
	s_waitcnt vmcnt(0)
	v_ffbh_u32_e32 v1, v7
	v_min_u32_e32 v1, 32, v1
	v_lshlrev_b64 v[6:7], v1, v[6:7]
	v_min_u32_e32 v5, 1, v6
	v_or_b32_e32 v5, v7, v5
	v_cvt_f32_u32_e32 v5, v5
	v_sub_u32_e32 v1, 32, v1
	v_ldexp_f32 v1, v5, v1
	s_branch .LBB230_669
.LBB230_667:
	s_mov_b64 s[60:61], -1
                                        ; implicit-def: $vgpr1
.LBB230_668:
	s_mov_b64 s[6:7], 0
.LBB230_669:
	s_and_b64 vcc, exec, s[6:7]
	s_cbranch_vccz .LBB230_687
; %bb.670:
	v_cmp_gt_i16_e32 vcc, 27, v4
	s_cbranch_vccnz .LBB230_673
; %bb.671:
	v_cmp_lt_i16_e32 vcc, 27, v4
	s_cbranch_vccz .LBB230_674
; %bb.672:
	global_load_dword v1, v[2:3], off
	s_mov_b64 s[4:5], 0
	s_waitcnt vmcnt(0)
	v_cvt_f32_u32_e32 v1, v1
	s_branch .LBB230_675
.LBB230_673:
	s_mov_b64 s[4:5], -1
                                        ; implicit-def: $vgpr1
	s_branch .LBB230_678
.LBB230_674:
	s_mov_b64 s[4:5], -1
                                        ; implicit-def: $vgpr1
.LBB230_675:
	s_andn2_b64 vcc, exec, s[4:5]
	s_cbranch_vccnz .LBB230_677
; %bb.676:
	global_load_ushort v1, v[2:3], off
	s_waitcnt vmcnt(0)
	v_cvt_f32_u32_e32 v1, v1
.LBB230_677:
	s_mov_b64 s[4:5], 0
.LBB230_678:
	s_andn2_b64 vcc, exec, s[4:5]
	s_cbranch_vccnz .LBB230_686
; %bb.679:
	global_load_ubyte v5, v[2:3], off
	s_movk_i32 s4, 0x7f
                                        ; implicit-def: $sgpr10
	s_waitcnt vmcnt(0)
	v_cmp_lt_i16_e32 vcc, s4, v5
	s_mov_b64 s[4:5], 0
	s_and_saveexec_b64 s[6:7], vcc
	s_xor_b64 s[6:7], exec, s[6:7]
	s_cbranch_execz .LBB230_700
; %bb.680:
	s_movk_i32 s4, 0x80
	v_cmp_eq_u16_e32 vcc, s4, v5
	s_mov_b64 s[4:5], -1
                                        ; implicit-def: $sgpr10
	s_and_saveexec_b64 s[8:9], vcc
; %bb.681:
	s_mov_b32 s10, 0x7f800001
	s_xor_b64 s[4:5], exec, -1
; %bb.682:
	s_or_b64 exec, exec, s[8:9]
	s_and_b64 s[4:5], s[4:5], exec
	s_or_saveexec_b64 s[6:7], s[6:7]
	v_mov_b32_e32 v1, s10
	s_xor_b64 exec, exec, s[6:7]
	s_cbranch_execnz .LBB230_701
.LBB230_683:
	s_or_b64 exec, exec, s[6:7]
	s_and_saveexec_b64 s[6:7], s[4:5]
	s_cbranch_execz .LBB230_685
.LBB230_684:
	v_lshlrev_b32_e32 v1, 24, v5
	v_and_b32_e32 v5, 0xffff, v5
	v_and_b32_e32 v6, 7, v5
	v_ffbh_u32_e32 v8, v6
	v_min_u32_e32 v8, 32, v8
	v_subrev_u32_e32 v9, 28, v8
	v_bfe_u32 v7, v5, 3, 4
	v_lshlrev_b32_e32 v5, v9, v5
	v_sub_u32_e32 v8, 29, v8
	v_and_b32_e32 v5, 7, v5
	v_cmp_eq_u32_e32 vcc, 0, v7
	v_cndmask_b32_e32 v7, v7, v8, vcc
	v_cndmask_b32_e32 v5, v6, v5, vcc
	v_mov_b32_e32 v6, 0x3b800000
	v_lshlrev_b32_e32 v5, 20, v5
	v_and_b32_e32 v1, 0x80000000, v1
	v_lshl_add_u32 v6, v7, 23, v6
	v_or3_b32 v1, v1, v6, v5
.LBB230_685:
	s_or_b64 exec, exec, s[6:7]
.LBB230_686:
	s_mov_b64 s[4:5], -1
.LBB230_687:
	s_mov_b64 s[6:7], 0
.LBB230_688:
	s_and_b64 vcc, exec, s[6:7]
	s_cbranch_vccz .LBB230_723
; %bb.689:
	v_cmp_lt_i16_e32 vcc, 22, v4
	s_cbranch_vccz .LBB230_699
; %bb.690:
	v_cmp_gt_i16_e32 vcc, 24, v4
	s_cbranch_vccnz .LBB230_702
; %bb.691:
	v_cmp_lt_i16_e32 vcc, 24, v4
	s_cbranch_vccz .LBB230_703
; %bb.692:
	global_load_ubyte v5, v[2:3], off
	s_movk_i32 s4, 0x7f
                                        ; implicit-def: $sgpr10
	s_waitcnt vmcnt(0)
	v_cmp_lt_i16_e32 vcc, s4, v5
	s_mov_b64 s[4:5], 0
	s_and_saveexec_b64 s[6:7], vcc
	s_xor_b64 s[6:7], exec, s[6:7]
	s_cbranch_execz .LBB230_715
; %bb.693:
	s_movk_i32 s4, 0x80
	v_cmp_eq_u16_e32 vcc, s4, v5
	s_mov_b64 s[4:5], -1
                                        ; implicit-def: $sgpr10
	s_and_saveexec_b64 s[8:9], vcc
; %bb.694:
	s_mov_b32 s10, 0x7f800001
	s_xor_b64 s[4:5], exec, -1
; %bb.695:
	s_or_b64 exec, exec, s[8:9]
	s_and_b64 s[4:5], s[4:5], exec
	s_or_saveexec_b64 s[6:7], s[6:7]
	v_mov_b32_e32 v1, s10
	s_xor_b64 exec, exec, s[6:7]
	s_cbranch_execnz .LBB230_716
.LBB230_696:
	s_or_b64 exec, exec, s[6:7]
	s_and_saveexec_b64 s[6:7], s[4:5]
	s_cbranch_execz .LBB230_698
.LBB230_697:
	v_lshlrev_b32_e32 v1, 24, v5
	v_and_b32_e32 v5, 0xffff, v5
	v_and_b32_e32 v6, 3, v5
	v_ffbh_u32_e32 v8, v6
	v_min_u32_e32 v8, 32, v8
	v_subrev_u32_e32 v9, 29, v8
	v_bfe_u32 v7, v5, 2, 5
	v_lshlrev_b32_e32 v5, v9, v5
	v_sub_u32_e32 v8, 30, v8
	v_and_b32_e32 v5, 3, v5
	v_cmp_eq_u32_e32 vcc, 0, v7
	v_cndmask_b32_e32 v7, v7, v8, vcc
	v_cndmask_b32_e32 v5, v6, v5, vcc
	v_mov_b32_e32 v6, 0x37800000
	v_lshlrev_b32_e32 v5, 21, v5
	v_and_b32_e32 v1, 0x80000000, v1
	v_lshl_add_u32 v6, v7, 23, v6
	v_or3_b32 v1, v1, v6, v5
.LBB230_698:
	s_or_b64 exec, exec, s[6:7]
	s_mov_b64 s[4:5], 0
	s_branch .LBB230_704
.LBB230_699:
	s_mov_b64 s[6:7], -1
                                        ; implicit-def: $vgpr1
	s_branch .LBB230_710
.LBB230_700:
	s_or_saveexec_b64 s[6:7], s[6:7]
	v_mov_b32_e32 v1, s10
	s_xor_b64 exec, exec, s[6:7]
	s_cbranch_execz .LBB230_683
.LBB230_701:
	v_cmp_ne_u16_e32 vcc, 0, v5
	s_andn2_b64 s[4:5], s[4:5], exec
	s_and_b64 s[8:9], vcc, exec
	v_mov_b32_e32 v1, 0
	s_or_b64 s[4:5], s[4:5], s[8:9]
	s_or_b64 exec, exec, s[6:7]
	s_and_saveexec_b64 s[6:7], s[4:5]
	s_cbranch_execnz .LBB230_684
	s_branch .LBB230_685
.LBB230_702:
	s_mov_b64 s[4:5], -1
                                        ; implicit-def: $vgpr1
	s_branch .LBB230_707
.LBB230_703:
	s_mov_b64 s[4:5], -1
                                        ; implicit-def: $vgpr1
.LBB230_704:
	s_and_b64 vcc, exec, s[4:5]
	s_cbranch_vccz .LBB230_706
; %bb.705:
	global_load_ubyte v1, v[2:3], off
	s_mov_b32 s4, 0x7f800000
	s_waitcnt vmcnt(0)
	v_lshlrev_b32_e32 v1, 24, v1
	v_and_b32_e32 v5, 0x7f000000, v1
	v_ffbh_u32_e32 v6, v5
	v_min_u32_e32 v6, 32, v6
	v_sub_u32_e64 v6, v6, 4 clamp
	v_lshlrev_b32_e32 v8, v6, v5
	v_lshlrev_b32_e32 v6, 23, v6
	v_lshrrev_b32_e32 v8, 4, v8
	v_add_u32_e32 v7, 0x1000000, v5
	v_sub_u32_e32 v6, v8, v6
	v_ashrrev_i32_e32 v7, 8, v7
	v_add_u32_e32 v6, 0x3c000000, v6
	v_and_or_b32 v6, v7, s4, v6
	v_cmp_ne_u32_e32 vcc, 0, v5
	v_cndmask_b32_e32 v5, 0, v6, vcc
	s_brev_b32 s4, 1
	v_and_or_b32 v1, v1, s4, v5
.LBB230_706:
	s_mov_b64 s[4:5], 0
.LBB230_707:
	s_andn2_b64 vcc, exec, s[4:5]
	s_cbranch_vccnz .LBB230_709
; %bb.708:
	global_load_ubyte v1, v[2:3], off
	s_movk_i32 s4, 0x7f00
	s_brev_b32 s5, 16
	s_waitcnt vmcnt(0)
	v_lshlrev_b16_e32 v5, 8, v1
	v_lshlrev_b32_e32 v1, 25, v1
	v_lshrrev_b32_e32 v6, 4, v1
	v_and_or_b32 v7, v5, s4, 0.5
	v_or_b32_e32 v6, 0x70000000, v6
	v_add_f32_e32 v7, -0.5, v7
	v_mul_f32_e32 v6, 0x7800000, v6
	v_cmp_gt_u32_e32 vcc, s5, v1
	v_bfe_i32 v5, v5, 0, 16
	v_cndmask_b32_e32 v1, v6, v7, vcc
	s_brev_b32 s4, 1
	v_and_or_b32 v1, v5, s4, v1
.LBB230_709:
	s_mov_b64 s[6:7], 0
	s_mov_b64 s[4:5], -1
.LBB230_710:
	s_andn2_b64 vcc, exec, s[6:7]
	s_cbranch_vccnz .LBB230_723
; %bb.711:
	v_cmp_lt_i16_e32 vcc, 14, v4
	s_cbranch_vccz .LBB230_714
; %bb.712:
	v_cmp_eq_u16_e32 vcc, 15, v4
	s_cbranch_vccz .LBB230_717
; %bb.713:
	global_load_ushort v1, v[2:3], off
	s_mov_b64 s[4:5], -1
	s_mov_b64 s[60:61], 0
	s_waitcnt vmcnt(0)
	v_lshlrev_b32_e32 v1, 16, v1
	s_branch .LBB230_718
.LBB230_714:
	s_mov_b64 s[6:7], -1
                                        ; implicit-def: $vgpr1
	s_branch .LBB230_719
.LBB230_715:
	s_or_saveexec_b64 s[6:7], s[6:7]
	v_mov_b32_e32 v1, s10
	s_xor_b64 exec, exec, s[6:7]
	s_cbranch_execz .LBB230_696
.LBB230_716:
	v_cmp_ne_u16_e32 vcc, 0, v5
	s_andn2_b64 s[4:5], s[4:5], exec
	s_and_b64 s[8:9], vcc, exec
	v_mov_b32_e32 v1, 0
	s_or_b64 s[4:5], s[4:5], s[8:9]
	s_or_b64 exec, exec, s[6:7]
	s_and_saveexec_b64 s[6:7], s[4:5]
	s_cbranch_execnz .LBB230_697
	s_branch .LBB230_698
.LBB230_717:
	s_mov_b64 s[60:61], -1
                                        ; implicit-def: $vgpr1
.LBB230_718:
	s_mov_b64 s[6:7], 0
.LBB230_719:
	s_and_b64 vcc, exec, s[6:7]
	s_cbranch_vccz .LBB230_723
; %bb.720:
	v_cmp_eq_u16_e32 vcc, 11, v4
	s_cbranch_vccz .LBB230_722
; %bb.721:
	global_load_ubyte v1, v[2:3], off
	s_mov_b64 s[4:5], -1
	s_mov_b64 s[60:61], 0
	s_waitcnt vmcnt(0)
	v_cmp_ne_u16_e32 vcc, 0, v1
	v_cndmask_b32_e64 v1, 0, 1.0, vcc
	s_branch .LBB230_723
.LBB230_722:
	s_mov_b64 s[60:61], -1
                                        ; implicit-def: $vgpr1
.LBB230_723:
	s_mov_b64 s[6:7], 0
.LBB230_724:
	s_and_b64 vcc, exec, s[6:7]
	s_cbranch_vccz .LBB230_773
; %bb.725:
	v_cmp_gt_i16_e32 vcc, 5, v4
	s_cbranch_vccnz .LBB230_730
; %bb.726:
	v_cmp_gt_i16_e32 vcc, 8, v4
	s_cbranch_vccnz .LBB230_731
	;; [unrolled: 3-line block ×3, first 2 shown]
; %bb.728:
	v_cmp_lt_i16_e32 vcc, 9, v4
	s_cbranch_vccz .LBB230_733
; %bb.729:
	global_load_dwordx2 v[6:7], v[2:3], off
	s_mov_b64 s[4:5], 0
	s_waitcnt vmcnt(0)
	v_cvt_f32_f64_e32 v1, v[6:7]
	s_branch .LBB230_734
.LBB230_730:
	s_mov_b64 s[4:5], -1
                                        ; implicit-def: $vgpr1
	s_branch .LBB230_752
.LBB230_731:
	s_mov_b64 s[4:5], -1
                                        ; implicit-def: $vgpr1
	s_branch .LBB230_740
.LBB230_732:
	s_mov_b64 s[4:5], -1
                                        ; implicit-def: $vgpr1
	s_branch .LBB230_737
.LBB230_733:
	s_mov_b64 s[4:5], -1
                                        ; implicit-def: $vgpr1
.LBB230_734:
	s_andn2_b64 vcc, exec, s[4:5]
	s_cbranch_vccnz .LBB230_736
; %bb.735:
	global_load_dword v1, v[2:3], off
.LBB230_736:
	s_mov_b64 s[4:5], 0
.LBB230_737:
	s_andn2_b64 vcc, exec, s[4:5]
	s_cbranch_vccnz .LBB230_739
; %bb.738:
	global_load_dword v1, v[2:3], off
	s_waitcnt vmcnt(0)
	v_cvt_f32_f16_e32 v1, v1
.LBB230_739:
	s_mov_b64 s[4:5], 0
.LBB230_740:
	s_andn2_b64 vcc, exec, s[4:5]
	s_cbranch_vccnz .LBB230_751
; %bb.741:
	v_cmp_gt_i16_e32 vcc, 6, v4
	s_cbranch_vccnz .LBB230_744
; %bb.742:
	v_cmp_lt_i16_e32 vcc, 6, v4
	s_cbranch_vccz .LBB230_745
; %bb.743:
	global_load_dwordx2 v[6:7], v[2:3], off
	s_mov_b64 s[4:5], 0
	s_waitcnt vmcnt(0)
	v_cvt_f32_f64_e32 v1, v[6:7]
	s_branch .LBB230_746
.LBB230_744:
	s_mov_b64 s[4:5], -1
                                        ; implicit-def: $vgpr1
	s_branch .LBB230_749
.LBB230_745:
	s_mov_b64 s[4:5], -1
                                        ; implicit-def: $vgpr1
.LBB230_746:
	s_andn2_b64 vcc, exec, s[4:5]
	s_cbranch_vccnz .LBB230_748
; %bb.747:
	global_load_dword v1, v[2:3], off
.LBB230_748:
	s_mov_b64 s[4:5], 0
.LBB230_749:
	s_andn2_b64 vcc, exec, s[4:5]
	s_cbranch_vccnz .LBB230_751
; %bb.750:
	global_load_ushort v1, v[2:3], off
	s_waitcnt vmcnt(0)
	v_cvt_f32_f16_e32 v1, v1
.LBB230_751:
	s_mov_b64 s[4:5], 0
.LBB230_752:
	s_andn2_b64 vcc, exec, s[4:5]
	s_cbranch_vccnz .LBB230_772
; %bb.753:
	v_cmp_gt_i16_e32 vcc, 2, v4
	s_cbranch_vccnz .LBB230_757
; %bb.754:
	v_cmp_gt_i16_e32 vcc, 3, v4
	s_cbranch_vccnz .LBB230_758
; %bb.755:
	v_cmp_lt_i16_e32 vcc, 3, v4
	s_cbranch_vccz .LBB230_759
; %bb.756:
	global_load_dwordx2 v[6:7], v[2:3], off
	s_mov_b64 s[4:5], 0
	s_waitcnt vmcnt(0)
	v_xor_b32_e32 v5, v6, v7
	v_ffbh_i32_e32 v1, v7
	v_ashrrev_i32_e32 v5, 31, v5
	v_add_u32_e32 v1, -1, v1
	v_add_u32_e32 v5, 32, v5
	v_min_u32_e32 v1, v1, v5
	v_lshlrev_b64 v[6:7], v1, v[6:7]
	v_min_u32_e32 v5, 1, v6
	v_or_b32_e32 v5, v7, v5
	v_cvt_f32_i32_e32 v5, v5
	v_sub_u32_e32 v1, 32, v1
	v_ldexp_f32 v1, v5, v1
	s_branch .LBB230_760
.LBB230_757:
	s_mov_b64 s[4:5], -1
                                        ; implicit-def: $vgpr1
	s_branch .LBB230_766
.LBB230_758:
	s_mov_b64 s[4:5], -1
                                        ; implicit-def: $vgpr1
	s_branch .LBB230_763
.LBB230_759:
	s_mov_b64 s[4:5], -1
                                        ; implicit-def: $vgpr1
.LBB230_760:
	s_andn2_b64 vcc, exec, s[4:5]
	s_cbranch_vccnz .LBB230_762
; %bb.761:
	global_load_dword v1, v[2:3], off
	s_waitcnt vmcnt(0)
	v_cvt_f32_i32_e32 v1, v1
.LBB230_762:
	s_mov_b64 s[4:5], 0
.LBB230_763:
	s_andn2_b64 vcc, exec, s[4:5]
	s_cbranch_vccnz .LBB230_765
; %bb.764:
	global_load_sshort v1, v[2:3], off
	s_waitcnt vmcnt(0)
	v_cvt_f32_i32_e32 v1, v1
.LBB230_765:
	s_mov_b64 s[4:5], 0
.LBB230_766:
	s_andn2_b64 vcc, exec, s[4:5]
	s_cbranch_vccnz .LBB230_772
; %bb.767:
	v_cmp_lt_i16_e32 vcc, 0, v4
	s_cbranch_vccz .LBB230_769
; %bb.768:
	global_load_sbyte v1, v[2:3], off
	s_mov_b64 s[4:5], 0
	s_waitcnt vmcnt(0)
	v_cvt_f32_i32_e32 v1, v1
	s_branch .LBB230_770
.LBB230_769:
	s_mov_b64 s[4:5], -1
                                        ; implicit-def: $vgpr1
.LBB230_770:
	s_andn2_b64 vcc, exec, s[4:5]
	s_cbranch_vccnz .LBB230_772
; %bb.771:
	global_load_ubyte v1, v[2:3], off
	s_waitcnt vmcnt(0)
	v_cvt_f32_ubyte0_e32 v1, v1
.LBB230_772:
	s_mov_b64 s[4:5], -1
.LBB230_773:
	s_andn2_b64 vcc, exec, s[4:5]
	s_cbranch_vccnz .LBB230_781
; %bb.774:
	v_mul_lo_u32 v2, v48, s47
	v_ashrrev_i32_e32 v3, 31, v2
	v_mov_b32_e32 v5, s43
	v_add_co_u32_e32 v4, vcc, s42, v2
	v_addc_co_u32_e32 v5, vcc, v5, v3, vcc
	v_cmp_gt_i16_e32 vcc, 11, v49
	s_cbranch_vccnz .LBB230_782
; %bb.775:
	v_cmp_lt_i16_e32 vcc, 25, v49
	s_cbranch_vccz .LBB230_783
; %bb.776:
	v_cmp_lt_i16_e32 vcc, 28, v49
	s_cbranch_vccz .LBB230_784
	;; [unrolled: 3-line block ×4, first 2 shown]
; %bb.779:
	v_cmp_eq_u16_e32 vcc, 46, v49
	s_mov_b64 s[6:7], 0
	s_cbranch_vccz .LBB230_789
; %bb.780:
	global_load_dword v2, v[4:5], off
	s_mov_b64 s[4:5], -1
	s_mov_b64 s[62:63], 0
	s_waitcnt vmcnt(0)
	v_lshlrev_b32_e32 v2, 16, v2
	s_branch .LBB230_790
.LBB230_781:
	s_mov_b64 s[6:7], 0
                                        ; implicit-def: $vgpr48
	s_mov_b64 s[4:5], s[48:49]
	s_mov_b64 s[62:63], s[50:51]
	s_branch .LBB230_1028
.LBB230_782:
	s_mov_b64 s[6:7], -1
	s_mov_b64 s[4:5], 0
                                        ; implicit-def: $vgpr2
	s_mov_b64 s[62:63], s[50:51]
	s_branch .LBB230_855
.LBB230_783:
	s_mov_b64 s[6:7], -1
	s_mov_b64 s[4:5], 0
	s_mov_b64 s[62:63], s[50:51]
                                        ; implicit-def: $vgpr2
	s_branch .LBB230_819
.LBB230_784:
	s_mov_b64 s[6:7], -1
	s_mov_b64 s[4:5], 0
	s_mov_b64 s[62:63], s[50:51]
                                        ; implicit-def: $vgpr2
	s_branch .LBB230_800
.LBB230_785:
	s_mov_b64 s[6:7], -1
	s_mov_b64 s[4:5], 0
	s_mov_b64 s[62:63], s[50:51]
                                        ; implicit-def: $vgpr2
	s_branch .LBB230_795
.LBB230_786:
	s_mov_b64 s[6:7], -1
	s_mov_b64 s[4:5], 0
	s_mov_b64 s[62:63], s[50:51]
                                        ; implicit-def: $vgpr2
	s_branch .LBB230_790
.LBB230_787:
	s_or_saveexec_b64 s[10:11], s[10:11]
                                        ; implicit-def: $sgpr12
	s_xor_b64 exec, exec, s[10:11]
	s_cbranch_execz .LBB230_580
.LBB230_788:
	s_mov_b32 s12, 0x42800000
	v_add_f32_e64 v1, |v0|, s12
	v_and_b32_e32 v1, 0xff, v1
	v_cmp_ne_u32_e32 vcc, 0, v1
	s_andn2_b64 s[8:9], s[8:9], exec
	s_and_b64 s[14:15], vcc, exec
	s_mov_b32 s12, 0
	s_or_b64 s[8:9], s[8:9], s[14:15]
	s_or_b64 exec, exec, s[10:11]
	v_mov_b32_e32 v4, s12
	s_and_saveexec_b64 s[10:11], s[8:9]
	s_cbranch_execnz .LBB230_581
	s_branch .LBB230_582
.LBB230_789:
	s_mov_b64 s[62:63], -1
                                        ; implicit-def: $vgpr2
	s_mov_b64 s[4:5], 0
.LBB230_790:
	s_and_b64 vcc, exec, s[6:7]
	s_cbranch_vccz .LBB230_794
; %bb.791:
	v_cmp_eq_u16_e32 vcc, 44, v49
	s_cbranch_vccz .LBB230_793
; %bb.792:
	global_load_ubyte v2, v[4:5], off
	s_movk_i32 s6, 0xff
	v_mov_b32_e32 v3, 0x7f800001
	v_mov_b32_e32 v6, 0x400000
	s_mov_b64 s[4:5], -1
	s_mov_b64 s[62:63], 0
	s_waitcnt vmcnt(0)
	v_lshlrev_b32_e32 v7, 23, v2
	v_cmp_ne_u32_e32 vcc, s6, v2
	v_cndmask_b32_e32 v3, v3, v7, vcc
	v_cmp_ne_u32_e32 vcc, 0, v2
	v_cndmask_b32_e32 v2, v6, v3, vcc
	s_branch .LBB230_794
.LBB230_793:
	s_mov_b64 s[62:63], -1
                                        ; implicit-def: $vgpr2
.LBB230_794:
	s_mov_b64 s[6:7], 0
.LBB230_795:
	s_and_b64 vcc, exec, s[6:7]
	s_cbranch_vccz .LBB230_799
; %bb.796:
	v_cmp_eq_u16_e32 vcc, 29, v49
	s_cbranch_vccz .LBB230_798
; %bb.797:
	global_load_dwordx2 v[2:3], v[4:5], off
	s_mov_b64 s[4:5], -1
	s_mov_b64 s[62:63], 0
	s_mov_b64 s[6:7], 0
	s_waitcnt vmcnt(0)
	v_ffbh_u32_e32 v6, v3
	v_min_u32_e32 v6, 32, v6
	v_lshlrev_b64 v[2:3], v6, v[2:3]
	v_min_u32_e32 v2, 1, v2
	v_or_b32_e32 v2, v3, v2
	v_cvt_f32_u32_e32 v2, v2
	v_sub_u32_e32 v3, 32, v6
	v_ldexp_f32 v2, v2, v3
	s_branch .LBB230_800
.LBB230_798:
	s_mov_b64 s[62:63], -1
                                        ; implicit-def: $vgpr2
.LBB230_799:
	s_mov_b64 s[6:7], 0
.LBB230_800:
	s_and_b64 vcc, exec, s[6:7]
	s_cbranch_vccz .LBB230_818
; %bb.801:
	v_cmp_gt_i16_e32 vcc, 27, v49
	s_cbranch_vccnz .LBB230_804
; %bb.802:
	v_cmp_lt_i16_e32 vcc, 27, v49
	s_cbranch_vccz .LBB230_805
; %bb.803:
	global_load_dword v2, v[4:5], off
	s_mov_b64 s[4:5], 0
	s_waitcnt vmcnt(0)
	v_cvt_f32_u32_e32 v2, v2
	s_branch .LBB230_806
.LBB230_804:
	s_mov_b64 s[4:5], -1
                                        ; implicit-def: $vgpr2
	s_branch .LBB230_809
.LBB230_805:
	s_mov_b64 s[4:5], -1
                                        ; implicit-def: $vgpr2
.LBB230_806:
	s_andn2_b64 vcc, exec, s[4:5]
	s_cbranch_vccnz .LBB230_808
; %bb.807:
	global_load_ushort v2, v[4:5], off
	s_waitcnt vmcnt(0)
	v_cvt_f32_u32_e32 v2, v2
.LBB230_808:
	s_mov_b64 s[4:5], 0
.LBB230_809:
	s_andn2_b64 vcc, exec, s[4:5]
	s_cbranch_vccnz .LBB230_817
; %bb.810:
	global_load_ubyte v3, v[4:5], off
	s_movk_i32 s4, 0x7f
                                        ; implicit-def: $sgpr10
	s_waitcnt vmcnt(0)
	v_cmp_lt_i16_e32 vcc, s4, v3
	s_mov_b64 s[4:5], 0
	s_and_saveexec_b64 s[6:7], vcc
	s_xor_b64 s[6:7], exec, s[6:7]
	s_cbranch_execz .LBB230_831
; %bb.811:
	s_movk_i32 s4, 0x80
	v_cmp_eq_u16_e32 vcc, s4, v3
	s_mov_b64 s[4:5], -1
                                        ; implicit-def: $sgpr10
	s_and_saveexec_b64 s[8:9], vcc
; %bb.812:
	s_mov_b32 s10, 0x7f800001
	s_xor_b64 s[4:5], exec, -1
; %bb.813:
	s_or_b64 exec, exec, s[8:9]
	s_and_b64 s[4:5], s[4:5], exec
	s_or_saveexec_b64 s[6:7], s[6:7]
	v_mov_b32_e32 v2, s10
	s_xor_b64 exec, exec, s[6:7]
	s_cbranch_execnz .LBB230_832
.LBB230_814:
	s_or_b64 exec, exec, s[6:7]
	s_and_saveexec_b64 s[6:7], s[4:5]
	s_cbranch_execz .LBB230_816
.LBB230_815:
	v_lshlrev_b32_e32 v2, 24, v3
	v_and_b32_e32 v3, 0xffff, v3
	v_and_b32_e32 v6, 7, v3
	v_ffbh_u32_e32 v8, v6
	v_min_u32_e32 v8, 32, v8
	v_subrev_u32_e32 v9, 28, v8
	v_bfe_u32 v7, v3, 3, 4
	v_lshlrev_b32_e32 v3, v9, v3
	v_sub_u32_e32 v8, 29, v8
	v_and_b32_e32 v3, 7, v3
	v_cmp_eq_u32_e32 vcc, 0, v7
	v_cndmask_b32_e32 v7, v7, v8, vcc
	v_cndmask_b32_e32 v3, v6, v3, vcc
	v_mov_b32_e32 v6, 0x3b800000
	v_lshlrev_b32_e32 v3, 20, v3
	v_and_b32_e32 v2, 0x80000000, v2
	v_lshl_add_u32 v6, v7, 23, v6
	v_or3_b32 v2, v2, v6, v3
.LBB230_816:
	s_or_b64 exec, exec, s[6:7]
.LBB230_817:
	s_mov_b64 s[4:5], -1
.LBB230_818:
	s_mov_b64 s[6:7], 0
.LBB230_819:
	s_and_b64 vcc, exec, s[6:7]
	s_cbranch_vccz .LBB230_854
; %bb.820:
	v_cmp_lt_i16_e32 vcc, 22, v49
	s_cbranch_vccz .LBB230_830
; %bb.821:
	v_cmp_gt_i16_e32 vcc, 24, v49
	s_cbranch_vccnz .LBB230_833
; %bb.822:
	v_cmp_lt_i16_e32 vcc, 24, v49
	s_cbranch_vccz .LBB230_834
; %bb.823:
	global_load_ubyte v3, v[4:5], off
	s_movk_i32 s4, 0x7f
                                        ; implicit-def: $sgpr10
	s_waitcnt vmcnt(0)
	v_cmp_lt_i16_e32 vcc, s4, v3
	s_mov_b64 s[4:5], 0
	s_and_saveexec_b64 s[6:7], vcc
	s_xor_b64 s[6:7], exec, s[6:7]
	s_cbranch_execz .LBB230_846
; %bb.824:
	s_movk_i32 s4, 0x80
	v_cmp_eq_u16_e32 vcc, s4, v3
	s_mov_b64 s[4:5], -1
                                        ; implicit-def: $sgpr10
	s_and_saveexec_b64 s[8:9], vcc
; %bb.825:
	s_mov_b32 s10, 0x7f800001
	s_xor_b64 s[4:5], exec, -1
; %bb.826:
	s_or_b64 exec, exec, s[8:9]
	s_and_b64 s[4:5], s[4:5], exec
	s_or_saveexec_b64 s[6:7], s[6:7]
	v_mov_b32_e32 v2, s10
	s_xor_b64 exec, exec, s[6:7]
	s_cbranch_execnz .LBB230_847
.LBB230_827:
	s_or_b64 exec, exec, s[6:7]
	s_and_saveexec_b64 s[6:7], s[4:5]
	s_cbranch_execz .LBB230_829
.LBB230_828:
	v_lshlrev_b32_e32 v2, 24, v3
	v_and_b32_e32 v3, 0xffff, v3
	v_and_b32_e32 v6, 3, v3
	v_ffbh_u32_e32 v8, v6
	v_min_u32_e32 v8, 32, v8
	v_subrev_u32_e32 v9, 29, v8
	v_bfe_u32 v7, v3, 2, 5
	v_lshlrev_b32_e32 v3, v9, v3
	v_sub_u32_e32 v8, 30, v8
	v_and_b32_e32 v3, 3, v3
	v_cmp_eq_u32_e32 vcc, 0, v7
	v_cndmask_b32_e32 v7, v7, v8, vcc
	v_cndmask_b32_e32 v3, v6, v3, vcc
	v_mov_b32_e32 v6, 0x37800000
	v_lshlrev_b32_e32 v3, 21, v3
	v_and_b32_e32 v2, 0x80000000, v2
	v_lshl_add_u32 v6, v7, 23, v6
	v_or3_b32 v2, v2, v6, v3
.LBB230_829:
	s_or_b64 exec, exec, s[6:7]
	s_mov_b64 s[4:5], 0
	s_branch .LBB230_835
.LBB230_830:
	s_mov_b64 s[6:7], -1
                                        ; implicit-def: $vgpr2
	s_branch .LBB230_841
.LBB230_831:
	s_or_saveexec_b64 s[6:7], s[6:7]
	v_mov_b32_e32 v2, s10
	s_xor_b64 exec, exec, s[6:7]
	s_cbranch_execz .LBB230_814
.LBB230_832:
	v_cmp_ne_u16_e32 vcc, 0, v3
	s_andn2_b64 s[4:5], s[4:5], exec
	s_and_b64 s[8:9], vcc, exec
	v_mov_b32_e32 v2, 0
	s_or_b64 s[4:5], s[4:5], s[8:9]
	s_or_b64 exec, exec, s[6:7]
	s_and_saveexec_b64 s[6:7], s[4:5]
	s_cbranch_execnz .LBB230_815
	s_branch .LBB230_816
.LBB230_833:
	s_mov_b64 s[4:5], -1
                                        ; implicit-def: $vgpr2
	s_branch .LBB230_838
.LBB230_834:
	s_mov_b64 s[4:5], -1
                                        ; implicit-def: $vgpr2
.LBB230_835:
	s_and_b64 vcc, exec, s[4:5]
	s_cbranch_vccz .LBB230_837
; %bb.836:
	global_load_ubyte v2, v[4:5], off
	s_mov_b32 s4, 0x7f800000
	s_waitcnt vmcnt(0)
	v_lshlrev_b32_e32 v2, 24, v2
	v_and_b32_e32 v3, 0x7f000000, v2
	v_ffbh_u32_e32 v6, v3
	v_min_u32_e32 v6, 32, v6
	v_sub_u32_e64 v6, v6, 4 clamp
	v_lshlrev_b32_e32 v8, v6, v3
	v_lshlrev_b32_e32 v6, 23, v6
	v_lshrrev_b32_e32 v8, 4, v8
	v_add_u32_e32 v7, 0x1000000, v3
	v_sub_u32_e32 v6, v8, v6
	v_ashrrev_i32_e32 v7, 8, v7
	v_add_u32_e32 v6, 0x3c000000, v6
	v_and_or_b32 v6, v7, s4, v6
	v_cmp_ne_u32_e32 vcc, 0, v3
	v_cndmask_b32_e32 v3, 0, v6, vcc
	s_brev_b32 s4, 1
	v_and_or_b32 v2, v2, s4, v3
.LBB230_837:
	s_mov_b64 s[4:5], 0
.LBB230_838:
	s_andn2_b64 vcc, exec, s[4:5]
	s_cbranch_vccnz .LBB230_840
; %bb.839:
	global_load_ubyte v2, v[4:5], off
	s_movk_i32 s4, 0x7f00
	s_brev_b32 s5, 16
	s_waitcnt vmcnt(0)
	v_lshlrev_b16_e32 v3, 8, v2
	v_lshlrev_b32_e32 v2, 25, v2
	v_lshrrev_b32_e32 v6, 4, v2
	v_and_or_b32 v7, v3, s4, 0.5
	v_or_b32_e32 v6, 0x70000000, v6
	v_add_f32_e32 v7, -0.5, v7
	v_mul_f32_e32 v6, 0x7800000, v6
	v_cmp_gt_u32_e32 vcc, s5, v2
	v_bfe_i32 v3, v3, 0, 16
	v_cndmask_b32_e32 v2, v6, v7, vcc
	s_brev_b32 s4, 1
	v_and_or_b32 v2, v3, s4, v2
.LBB230_840:
	s_mov_b64 s[6:7], 0
	s_mov_b64 s[4:5], -1
.LBB230_841:
	s_andn2_b64 vcc, exec, s[6:7]
	s_cbranch_vccnz .LBB230_854
; %bb.842:
	v_cmp_lt_i16_e32 vcc, 14, v49
	s_cbranch_vccz .LBB230_845
; %bb.843:
	v_cmp_eq_u16_e32 vcc, 15, v49
	s_cbranch_vccz .LBB230_848
; %bb.844:
	global_load_ushort v2, v[4:5], off
	s_mov_b64 s[4:5], -1
	s_mov_b64 s[62:63], 0
	s_waitcnt vmcnt(0)
	v_lshlrev_b32_e32 v2, 16, v2
	s_branch .LBB230_849
.LBB230_845:
	s_mov_b64 s[6:7], -1
                                        ; implicit-def: $vgpr2
	s_branch .LBB230_850
.LBB230_846:
	s_or_saveexec_b64 s[6:7], s[6:7]
	v_mov_b32_e32 v2, s10
	s_xor_b64 exec, exec, s[6:7]
	s_cbranch_execz .LBB230_827
.LBB230_847:
	v_cmp_ne_u16_e32 vcc, 0, v3
	s_andn2_b64 s[4:5], s[4:5], exec
	s_and_b64 s[8:9], vcc, exec
	v_mov_b32_e32 v2, 0
	s_or_b64 s[4:5], s[4:5], s[8:9]
	s_or_b64 exec, exec, s[6:7]
	s_and_saveexec_b64 s[6:7], s[4:5]
	s_cbranch_execnz .LBB230_828
	s_branch .LBB230_829
.LBB230_848:
	s_mov_b64 s[62:63], -1
                                        ; implicit-def: $vgpr2
.LBB230_849:
	s_mov_b64 s[6:7], 0
.LBB230_850:
	s_and_b64 vcc, exec, s[6:7]
	s_cbranch_vccz .LBB230_854
; %bb.851:
	v_cmp_eq_u16_e32 vcc, 11, v49
	s_cbranch_vccz .LBB230_853
; %bb.852:
	global_load_ubyte v2, v[4:5], off
	s_mov_b64 s[4:5], -1
	s_mov_b64 s[62:63], 0
	s_waitcnt vmcnt(0)
	v_cmp_ne_u16_e32 vcc, 0, v2
	v_cndmask_b32_e64 v2, 0, 1.0, vcc
	s_branch .LBB230_854
.LBB230_853:
	s_mov_b64 s[62:63], -1
                                        ; implicit-def: $vgpr2
.LBB230_854:
	s_mov_b64 s[6:7], 0
.LBB230_855:
	s_and_b64 vcc, exec, s[6:7]
	s_cbranch_vccz .LBB230_904
; %bb.856:
	v_cmp_gt_i16_e32 vcc, 5, v49
	s_cbranch_vccnz .LBB230_861
; %bb.857:
	v_cmp_gt_i16_e32 vcc, 8, v49
	s_cbranch_vccnz .LBB230_862
	;; [unrolled: 3-line block ×3, first 2 shown]
; %bb.859:
	v_cmp_lt_i16_e32 vcc, 9, v49
	s_cbranch_vccz .LBB230_864
; %bb.860:
	global_load_dwordx2 v[2:3], v[4:5], off
	s_mov_b64 s[4:5], 0
	s_waitcnt vmcnt(0)
	v_cvt_f32_f64_e32 v2, v[2:3]
	s_branch .LBB230_865
.LBB230_861:
	s_mov_b64 s[4:5], -1
                                        ; implicit-def: $vgpr2
	s_branch .LBB230_883
.LBB230_862:
	s_mov_b64 s[4:5], -1
                                        ; implicit-def: $vgpr2
	s_branch .LBB230_871
.LBB230_863:
	s_mov_b64 s[4:5], -1
                                        ; implicit-def: $vgpr2
	s_branch .LBB230_868
.LBB230_864:
	s_mov_b64 s[4:5], -1
                                        ; implicit-def: $vgpr2
.LBB230_865:
	s_andn2_b64 vcc, exec, s[4:5]
	s_cbranch_vccnz .LBB230_867
; %bb.866:
	global_load_dword v2, v[4:5], off
.LBB230_867:
	s_mov_b64 s[4:5], 0
.LBB230_868:
	s_andn2_b64 vcc, exec, s[4:5]
	s_cbranch_vccnz .LBB230_870
; %bb.869:
	global_load_dword v2, v[4:5], off
	s_waitcnt vmcnt(0)
	v_cvt_f32_f16_e32 v2, v2
.LBB230_870:
	s_mov_b64 s[4:5], 0
.LBB230_871:
	s_andn2_b64 vcc, exec, s[4:5]
	s_cbranch_vccnz .LBB230_882
; %bb.872:
	v_cmp_gt_i16_e32 vcc, 6, v49
	s_cbranch_vccnz .LBB230_875
; %bb.873:
	v_cmp_lt_i16_e32 vcc, 6, v49
	s_cbranch_vccz .LBB230_876
; %bb.874:
	global_load_dwordx2 v[2:3], v[4:5], off
	s_mov_b64 s[4:5], 0
	s_waitcnt vmcnt(0)
	v_cvt_f32_f64_e32 v2, v[2:3]
	s_branch .LBB230_877
.LBB230_875:
	s_mov_b64 s[4:5], -1
                                        ; implicit-def: $vgpr2
	s_branch .LBB230_880
.LBB230_876:
	s_mov_b64 s[4:5], -1
                                        ; implicit-def: $vgpr2
.LBB230_877:
	s_andn2_b64 vcc, exec, s[4:5]
	s_cbranch_vccnz .LBB230_879
; %bb.878:
	global_load_dword v2, v[4:5], off
.LBB230_879:
	s_mov_b64 s[4:5], 0
.LBB230_880:
	s_andn2_b64 vcc, exec, s[4:5]
	s_cbranch_vccnz .LBB230_882
; %bb.881:
	global_load_ushort v2, v[4:5], off
	s_waitcnt vmcnt(0)
	v_cvt_f32_f16_e32 v2, v2
.LBB230_882:
	s_mov_b64 s[4:5], 0
.LBB230_883:
	s_andn2_b64 vcc, exec, s[4:5]
	s_cbranch_vccnz .LBB230_903
; %bb.884:
	v_cmp_gt_i16_e32 vcc, 2, v49
	s_cbranch_vccnz .LBB230_888
; %bb.885:
	v_cmp_gt_i16_e32 vcc, 3, v49
	s_cbranch_vccnz .LBB230_889
; %bb.886:
	v_cmp_lt_i16_e32 vcc, 3, v49
	s_cbranch_vccz .LBB230_890
; %bb.887:
	global_load_dwordx2 v[2:3], v[4:5], off
	s_mov_b64 s[4:5], 0
	s_waitcnt vmcnt(0)
	v_xor_b32_e32 v7, v2, v3
	v_ffbh_i32_e32 v6, v3
	v_ashrrev_i32_e32 v7, 31, v7
	v_add_u32_e32 v6, -1, v6
	v_add_u32_e32 v7, 32, v7
	v_min_u32_e32 v6, v6, v7
	v_lshlrev_b64 v[2:3], v6, v[2:3]
	v_min_u32_e32 v2, 1, v2
	v_or_b32_e32 v2, v3, v2
	v_cvt_f32_i32_e32 v2, v2
	v_sub_u32_e32 v3, 32, v6
	v_ldexp_f32 v2, v2, v3
	s_branch .LBB230_891
.LBB230_888:
	s_mov_b64 s[4:5], -1
                                        ; implicit-def: $vgpr2
	s_branch .LBB230_897
.LBB230_889:
	s_mov_b64 s[4:5], -1
                                        ; implicit-def: $vgpr2
	s_branch .LBB230_894
.LBB230_890:
	s_mov_b64 s[4:5], -1
                                        ; implicit-def: $vgpr2
.LBB230_891:
	s_andn2_b64 vcc, exec, s[4:5]
	s_cbranch_vccnz .LBB230_893
; %bb.892:
	global_load_dword v2, v[4:5], off
	s_waitcnt vmcnt(0)
	v_cvt_f32_i32_e32 v2, v2
.LBB230_893:
	s_mov_b64 s[4:5], 0
.LBB230_894:
	s_andn2_b64 vcc, exec, s[4:5]
	s_cbranch_vccnz .LBB230_896
; %bb.895:
	global_load_sshort v2, v[4:5], off
	s_waitcnt vmcnt(0)
	v_cvt_f32_i32_e32 v2, v2
.LBB230_896:
	s_mov_b64 s[4:5], 0
.LBB230_897:
	s_andn2_b64 vcc, exec, s[4:5]
	s_cbranch_vccnz .LBB230_903
; %bb.898:
	v_cmp_lt_i16_e32 vcc, 0, v49
	s_cbranch_vccz .LBB230_900
; %bb.899:
	global_load_sbyte v2, v[4:5], off
	s_mov_b64 s[4:5], 0
	s_waitcnt vmcnt(0)
	v_cvt_f32_i32_e32 v2, v2
	s_branch .LBB230_901
.LBB230_900:
	s_mov_b64 s[4:5], -1
                                        ; implicit-def: $vgpr2
.LBB230_901:
	s_andn2_b64 vcc, exec, s[4:5]
	s_cbranch_vccnz .LBB230_903
; %bb.902:
	global_load_ubyte v2, v[4:5], off
	s_waitcnt vmcnt(0)
	v_cvt_f32_ubyte0_e32 v2, v2
.LBB230_903:
	s_mov_b64 s[4:5], -1
.LBB230_904:
	s_andn2_b64 vcc, exec, s[4:5]
	s_cbranch_vccnz .LBB230_912
; %bb.905:
	s_getpc_b64 s[4:5]
	s_add_u32 s4, s4, _ZZZZN2at6native28launch_dirichlet_grad_kernelERNS_18TensorIteratorBaseEENKUlvE_clEvENKUlvE0_clEvENKUlfffE_clEfff@rel32@lo+4
	s_addc_u32 s5, s5, _ZZZZN2at6native28launch_dirichlet_grad_kernelERNS_18TensorIteratorBaseEENKUlvE_clEvENKUlvE0_clEvENKUlfffE_clEfff@rel32@hi+12
	s_swappc_b64 s[30:31], s[4:5]
	v_mul_lo_u32 v1, v48, s44
	v_ashrrev_i32_e32 v3, 31, v1
	v_mov_b32_e32 v4, s37
	v_add_co_u32_e32 v2, vcc, s36, v1
	v_mov_b32_e32 v1, 11
	v_addc_co_u32_e32 v3, vcc, v4, v3, vcc
	v_cmp_lt_i16_sdwa s[4:5], v47, v1 src0_sel:BYTE_0 src1_sel:DWORD
	s_and_b64 vcc, exec, s[4:5]
	s_cbranch_vccnz .LBB230_913
; %bb.906:
	v_mov_b32_e32 v1, 25
	v_cmp_gt_i16_sdwa s[4:5], v47, v1 src0_sel:BYTE_0 src1_sel:DWORD
	s_and_b64 vcc, exec, s[4:5]
	s_cbranch_vccz .LBB230_914
; %bb.907:
	v_mov_b32_e32 v1, 28
	v_cmp_gt_i16_sdwa s[4:5], v47, v1 src0_sel:BYTE_0 src1_sel:DWORD
	s_and_b64 vcc, exec, s[4:5]
	s_cbranch_vccz .LBB230_915
	;; [unrolled: 5-line block ×4, first 2 shown]
; %bb.910:
	v_mov_b32_e32 v1, 46
	v_cmp_eq_u16_sdwa s[6:7], v47, v1 src0_sel:BYTE_0 src1_sel:DWORD
	s_mov_b64 s[8:9], 0
	s_mov_b64 s[4:5], -1
	s_and_b64 vcc, exec, s[6:7]
	s_mov_b64 s[6:7], 0
	s_cbranch_vccz .LBB230_918
; %bb.911:
	v_bfe_u32 v1, v0, 16, 1
	s_movk_i32 s4, 0x7fff
	v_add3_u32 v1, v0, v1, s4
	v_lshrrev_b32_e32 v1, 16, v1
	v_mov_b32_e32 v4, 0x7fc0
	v_cmp_o_f32_e32 vcc, v0, v0
	v_cndmask_b32_e32 v1, v4, v1, vcc
	global_store_dword v[2:3], v1, off
	s_mov_b64 s[6:7], -1
	s_mov_b64 s[4:5], 0
	s_branch .LBB230_918
.LBB230_912:
	s_mov_b64 s[6:7], 0
                                        ; implicit-def: $vgpr48
	s_mov_b64 s[4:5], s[48:49]
	s_branch .LBB230_1028
.LBB230_913:
	s_mov_b64 s[8:9], -1
	s_mov_b64 s[6:7], 0
	s_mov_b64 s[4:5], s[48:49]
	s_branch .LBB230_987
.LBB230_914:
	s_mov_b64 s[8:9], -1
	s_mov_b64 s[6:7], 0
	s_mov_b64 s[4:5], s[48:49]
	s_branch .LBB230_945
.LBB230_915:
	s_mov_b64 s[8:9], -1
	s_mov_b64 s[6:7], 0
	s_mov_b64 s[4:5], s[48:49]
	s_branch .LBB230_928
.LBB230_916:
	s_mov_b64 s[8:9], -1
	s_mov_b64 s[6:7], 0
	s_mov_b64 s[4:5], s[48:49]
	s_branch .LBB230_924
.LBB230_917:
	s_mov_b64 s[8:9], -1
	s_mov_b64 s[6:7], 0
	s_mov_b64 s[4:5], s[48:49]
.LBB230_918:
	s_and_b64 vcc, exec, s[8:9]
	s_cbranch_vccz .LBB230_923
; %bb.919:
	v_mov_b32_e32 v1, 44
	v_cmp_eq_u16_sdwa s[8:9], v47, v1 src0_sel:BYTE_0 src1_sel:DWORD
	s_mov_b64 s[4:5], -1
	s_and_b64 vcc, exec, s[8:9]
	s_cbranch_vccz .LBB230_923
; %bb.920:
	v_bfe_u32 v1, v0, 23, 8
	s_movk_i32 s4, 0xff
	v_cmp_ne_u32_e32 vcc, s4, v1
	v_mov_b32_e32 v4, 0xff
	s_and_saveexec_b64 s[6:7], vcc
; %bb.921:
	s_mov_b32 s4, 0x3fffff
	v_and_b32_e32 v5, 0x400000, v0
	v_and_or_b32 v1, v0, s4, v1
	v_cmp_ne_u32_e32 vcc, 0, v5
	v_cmp_ne_u32_e64 s[4:5], 0, v1
	s_and_b64 s[4:5], vcc, s[4:5]
	v_lshrrev_b32_e32 v4, 23, v0
	v_cndmask_b32_e64 v1, 0, 1, s[4:5]
	v_add_u32_e32 v4, v4, v1
; %bb.922:
	s_or_b64 exec, exec, s[6:7]
	s_mov_b64 s[6:7], -1
	s_mov_b64 s[4:5], 0
	global_store_byte v[2:3], v4, off
.LBB230_923:
	s_mov_b64 s[8:9], 0
.LBB230_924:
	s_and_b64 vcc, exec, s[8:9]
	s_cbranch_vccz .LBB230_927
; %bb.925:
	v_mov_b32_e32 v1, 29
	v_cmp_eq_u16_sdwa s[8:9], v47, v1 src0_sel:BYTE_0 src1_sel:DWORD
	s_mov_b64 s[4:5], -1
	s_and_b64 vcc, exec, s[8:9]
	s_cbranch_vccz .LBB230_927
; %bb.926:
	v_trunc_f32_e32 v1, v0
	v_mul_f32_e32 v4, 0x2f800000, v1
	v_floor_f32_e32 v4, v4
	v_fmac_f32_e32 v1, 0xcf800000, v4
	v_cvt_u32_f32_e32 v5, v4
	v_cvt_u32_f32_e32 v4, v1
	s_mov_b64 s[6:7], -1
	s_mov_b64 s[4:5], 0
	s_mov_b64 s[8:9], 0
	global_store_dwordx2 v[2:3], v[4:5], off
	s_branch .LBB230_928
.LBB230_927:
	s_mov_b64 s[8:9], 0
.LBB230_928:
	s_and_b64 vcc, exec, s[8:9]
	s_cbranch_vccz .LBB230_944
; %bb.929:
	v_mov_b32_e32 v1, 27
	v_cmp_lt_i16_sdwa s[8:9], v47, v1 src0_sel:BYTE_0 src1_sel:DWORD
	s_mov_b64 s[6:7], -1
	s_and_b64 vcc, exec, s[8:9]
	s_cbranch_vccnz .LBB230_935
; %bb.930:
	v_cmp_gt_i16_sdwa s[8:9], v47, v1 src0_sel:BYTE_0 src1_sel:DWORD
	v_cvt_u32_f32_e32 v1, v0
	s_and_b64 vcc, exec, s[8:9]
	s_cbranch_vccz .LBB230_932
; %bb.931:
	s_mov_b64 s[6:7], 0
	global_store_dword v[2:3], v1, off
.LBB230_932:
	s_andn2_b64 vcc, exec, s[6:7]
	s_cbranch_vccnz .LBB230_934
; %bb.933:
	global_store_short v[2:3], v1, off
.LBB230_934:
	s_mov_b64 s[6:7], 0
.LBB230_935:
	s_andn2_b64 vcc, exec, s[6:7]
	s_cbranch_vccnz .LBB230_943
; %bb.936:
	v_and_b32_e32 v1, 0x7fffffff, v0
	s_mov_b32 s6, 0x43800000
	v_cmp_gt_u32_e32 vcc, s6, v1
	v_mov_b32_e32 v4, 0x80
	s_and_saveexec_b64 s[6:7], vcc
	s_cbranch_execz .LBB230_942
; %bb.937:
	s_mov_b32 s8, 0x3bffffff
	v_cmp_lt_u32_e32 vcc, s8, v1
	s_mov_b64 s[8:9], 0
                                        ; implicit-def: $vgpr1
	s_and_saveexec_b64 s[10:11], vcc
	s_xor_b64 s[10:11], exec, s[10:11]
	s_cbranch_execz .LBB230_1174
; %bb.938:
	v_bfe_u32 v1, v0, 20, 1
	s_mov_b32 s12, 0x487ffff
	v_add3_u32 v1, v0, v1, s12
	s_mov_b64 s[8:9], exec
	v_lshrrev_b32_e32 v1, 20, v1
	s_or_saveexec_b64 s[10:11], s[10:11]
                                        ; implicit-def: $sgpr12
	s_xor_b64 exec, exec, s[10:11]
	s_cbranch_execnz .LBB230_1175
.LBB230_939:
	s_or_b64 exec, exec, s[10:11]
	v_mov_b32_e32 v4, s12
	s_and_saveexec_b64 s[10:11], s[8:9]
.LBB230_940:
	v_lshrrev_b32_e32 v4, 24, v0
	s_movk_i32 s8, 0x80
	v_and_or_b32 v4, v4, s8, v1
.LBB230_941:
	s_or_b64 exec, exec, s[10:11]
.LBB230_942:
	s_or_b64 exec, exec, s[6:7]
	global_store_byte v[2:3], v4, off
.LBB230_943:
	s_mov_b64 s[6:7], -1
.LBB230_944:
	s_mov_b64 s[8:9], 0
.LBB230_945:
	s_and_b64 vcc, exec, s[8:9]
	s_cbranch_vccz .LBB230_986
; %bb.946:
	v_mov_b32_e32 v1, 22
	v_cmp_gt_i16_sdwa s[10:11], v47, v1 src0_sel:BYTE_0 src1_sel:DWORD
	s_mov_b64 s[8:9], -1
	s_and_b64 vcc, exec, s[10:11]
	s_cbranch_vccz .LBB230_978
; %bb.947:
	v_mov_b32_e32 v1, 24
	v_cmp_lt_i16_sdwa s[8:9], v47, v1 src0_sel:BYTE_0 src1_sel:DWORD
	s_mov_b64 s[6:7], -1
	s_and_b64 vcc, exec, s[8:9]
	s_cbranch_vccnz .LBB230_967
; %bb.948:
	v_cmp_gt_i16_sdwa s[8:9], v47, v1 src0_sel:BYTE_0 src1_sel:DWORD
	s_and_b64 vcc, exec, s[8:9]
	s_cbranch_vccz .LBB230_956
; %bb.949:
	v_and_b32_e32 v1, 0x7fffffff, v0
	s_mov_b32 s6, 0x47800000
	v_cmp_gt_u32_e32 vcc, s6, v1
	v_mov_b32_e32 v4, 0x80
	s_and_saveexec_b64 s[6:7], vcc
	s_cbranch_execz .LBB230_955
; %bb.950:
	s_mov_b32 s8, 0x37ffffff
	v_cmp_lt_u32_e32 vcc, s8, v1
	s_mov_b64 s[8:9], 0
                                        ; implicit-def: $vgpr1
	s_and_saveexec_b64 s[10:11], vcc
	s_xor_b64 s[10:11], exec, s[10:11]
	s_cbranch_execz .LBB230_1305
; %bb.951:
	v_bfe_u32 v1, v0, 21, 1
	s_mov_b32 s12, 0x88fffff
	v_add3_u32 v1, v0, v1, s12
	s_mov_b64 s[8:9], exec
	v_lshrrev_b32_e32 v1, 21, v1
	s_or_saveexec_b64 s[10:11], s[10:11]
                                        ; implicit-def: $sgpr12
	s_xor_b64 exec, exec, s[10:11]
	s_cbranch_execnz .LBB230_1306
.LBB230_952:
	s_or_b64 exec, exec, s[10:11]
	v_mov_b32_e32 v4, s12
	s_and_saveexec_b64 s[10:11], s[8:9]
.LBB230_953:
	v_lshrrev_b32_e32 v4, 24, v0
	s_movk_i32 s8, 0x80
	v_and_or_b32 v4, v4, s8, v1
.LBB230_954:
	s_or_b64 exec, exec, s[10:11]
.LBB230_955:
	s_or_b64 exec, exec, s[6:7]
	s_mov_b64 s[6:7], 0
	global_store_byte v[2:3], v4, off
.LBB230_956:
	s_and_b64 vcc, exec, s[6:7]
	s_cbranch_vccz .LBB230_966
; %bb.957:
	v_and_b32_e32 v4, 0x7fffffff, v0
	s_mov_b32 s6, 0x43f00000
	v_cmp_gt_u32_e32 vcc, s6, v4
                                        ; implicit-def: $vgpr1
	s_and_saveexec_b64 s[6:7], vcc
	s_xor_b64 s[6:7], exec, s[6:7]
	s_cbranch_execz .LBB230_963
; %bb.958:
	s_mov_b32 s8, 0x3c7fffff
	v_cmp_lt_u32_e32 vcc, s8, v4
                                        ; implicit-def: $vgpr1
	s_and_saveexec_b64 s[8:9], vcc
	s_xor_b64 s[8:9], exec, s[8:9]
; %bb.959:
	v_bfe_u32 v1, v0, 20, 1
	s_mov_b32 s10, 0x407ffff
	v_add3_u32 v1, v0, v1, s10
	v_lshrrev_b32_e32 v4, 20, v1
	v_and_b32_e32 v1, 0xff00000, v1
	s_mov_b32 s10, 0x7f00000
	v_mov_b32_e32 v5, 0x7e
	v_cmp_ne_u32_e32 vcc, s10, v1
	v_cndmask_b32_e32 v1, v5, v4, vcc
; %bb.960:
	s_andn2_saveexec_b64 s[8:9], s[8:9]
; %bb.961:
	s_mov_b32 s10, 0x46800000
	v_add_f32_e64 v1, |v0|, s10
; %bb.962:
	s_or_b64 exec, exec, s[8:9]
                                        ; implicit-def: $vgpr4
.LBB230_963:
	s_andn2_saveexec_b64 s[6:7], s[6:7]
; %bb.964:
	s_mov_b32 s8, 0x7f800000
	v_mov_b32_e32 v1, 0x7e
	v_mov_b32_e32 v5, 0x7f
	v_cmp_lt_u32_e32 vcc, s8, v4
	v_cndmask_b32_e32 v1, v1, v5, vcc
; %bb.965:
	s_or_b64 exec, exec, s[6:7]
	v_lshrrev_b32_e32 v4, 24, v0
	s_movk_i32 s6, 0x80
	v_and_or_b32 v1, v4, s6, v1
	global_store_byte v[2:3], v1, off
.LBB230_966:
	s_mov_b64 s[6:7], 0
.LBB230_967:
	s_andn2_b64 vcc, exec, s[6:7]
	s_cbranch_vccnz .LBB230_977
; %bb.968:
	v_and_b32_e32 v4, 0x7fffffff, v0
	s_mov_b32 s6, 0x47800000
	v_cmp_gt_u32_e32 vcc, s6, v4
                                        ; implicit-def: $vgpr1
	s_and_saveexec_b64 s[6:7], vcc
	s_xor_b64 s[6:7], exec, s[6:7]
	s_cbranch_execz .LBB230_974
; %bb.969:
	s_mov_b32 s8, 0x387fffff
	v_cmp_lt_u32_e32 vcc, s8, v4
                                        ; implicit-def: $vgpr1
	s_and_saveexec_b64 s[8:9], vcc
	s_xor_b64 s[8:9], exec, s[8:9]
; %bb.970:
	v_bfe_u32 v1, v0, 21, 1
	s_mov_b32 s10, 0x80fffff
	v_add3_u32 v1, v0, v1, s10
	v_lshrrev_b32_e32 v1, 21, v1
; %bb.971:
	s_andn2_saveexec_b64 s[8:9], s[8:9]
; %bb.972:
	s_mov_b32 s10, 0x43000000
	v_add_f32_e64 v1, |v0|, s10
; %bb.973:
	s_or_b64 exec, exec, s[8:9]
                                        ; implicit-def: $vgpr4
.LBB230_974:
	s_andn2_saveexec_b64 s[6:7], s[6:7]
; %bb.975:
	s_mov_b32 s8, 0x7f800000
	v_mov_b32_e32 v1, 0x7c
	v_mov_b32_e32 v5, 0x7f
	v_cmp_lt_u32_e32 vcc, s8, v4
	v_cndmask_b32_e32 v1, v1, v5, vcc
; %bb.976:
	s_or_b64 exec, exec, s[6:7]
	v_lshrrev_b32_e32 v4, 24, v0
	s_movk_i32 s6, 0x80
	v_and_or_b32 v1, v4, s6, v1
	global_store_byte v[2:3], v1, off
.LBB230_977:
	s_mov_b64 s[8:9], 0
	s_mov_b64 s[6:7], -1
.LBB230_978:
	s_andn2_b64 vcc, exec, s[8:9]
	s_cbranch_vccnz .LBB230_986
; %bb.979:
	v_mov_b32_e32 v1, 14
	v_cmp_gt_i16_sdwa s[10:11], v47, v1 src0_sel:BYTE_0 src1_sel:DWORD
	s_mov_b64 s[8:9], -1
	s_and_b64 vcc, exec, s[10:11]
	s_cbranch_vccz .LBB230_983
; %bb.980:
	v_mov_b32_e32 v1, 15
	v_cmp_eq_u16_sdwa s[8:9], v47, v1 src0_sel:BYTE_0 src1_sel:DWORD
	s_mov_b64 s[4:5], -1
	s_and_b64 vcc, exec, s[8:9]
	s_cbranch_vccz .LBB230_982
; %bb.981:
	v_bfe_u32 v1, v0, 16, 1
	s_movk_i32 s4, 0x7fff
	v_add3_u32 v1, v0, v1, s4
	v_lshrrev_b32_e32 v1, 16, v1
	v_mov_b32_e32 v4, 0x7fc0
	v_cmp_o_f32_e32 vcc, v0, v0
	v_cndmask_b32_e32 v1, v4, v1, vcc
	global_store_short v[2:3], v1, off
	s_mov_b64 s[6:7], -1
	s_mov_b64 s[4:5], 0
.LBB230_982:
	s_mov_b64 s[8:9], 0
.LBB230_983:
	s_and_b64 vcc, exec, s[8:9]
	s_cbranch_vccz .LBB230_986
; %bb.984:
	v_mov_b32_e32 v1, 11
	v_cmp_eq_u16_sdwa s[8:9], v47, v1 src0_sel:BYTE_0 src1_sel:DWORD
	s_mov_b64 s[4:5], -1
	s_and_b64 vcc, exec, s[8:9]
	s_cbranch_vccz .LBB230_986
; %bb.985:
	v_cmp_neq_f32_e32 vcc, 0, v0
	v_cndmask_b32_e64 v1, 0, 1, vcc
	s_mov_b64 s[6:7], -1
	s_mov_b64 s[4:5], 0
	global_store_byte v[2:3], v1, off
.LBB230_986:
	s_mov_b64 s[8:9], 0
.LBB230_987:
	s_and_b64 vcc, exec, s[8:9]
	s_cbranch_vccz .LBB230_1026
; %bb.988:
	v_mov_b32_e32 v1, 5
	v_cmp_lt_i16_sdwa s[8:9], v47, v1 src0_sel:BYTE_0 src1_sel:DWORD
	s_mov_b64 s[6:7], -1
	s_and_b64 vcc, exec, s[8:9]
	s_cbranch_vccnz .LBB230_1009
; %bb.989:
	v_mov_b32_e32 v1, 8
	v_cmp_lt_i16_sdwa s[8:9], v47, v1 src0_sel:BYTE_0 src1_sel:DWORD
	s_and_b64 vcc, exec, s[8:9]
	s_cbranch_vccnz .LBB230_999
; %bb.990:
	v_mov_b32_e32 v1, 9
	v_cmp_lt_i16_sdwa s[8:9], v47, v1 src0_sel:BYTE_0 src1_sel:DWORD
	s_and_b64 vcc, exec, s[8:9]
	s_cbranch_vccnz .LBB230_996
; %bb.991:
	v_cmp_gt_i16_sdwa s[8:9], v47, v1 src0_sel:BYTE_0 src1_sel:DWORD
	s_and_b64 vcc, exec, s[8:9]
	s_cbranch_vccz .LBB230_993
; %bb.992:
	v_mov_b32_e32 v6, 0
	v_cvt_f64_f32_e32 v[4:5], v0
	v_mov_b32_e32 v7, v6
	s_mov_b64 s[6:7], 0
	global_store_dwordx4 v[2:3], v[4:7], off
.LBB230_993:
	s_andn2_b64 vcc, exec, s[6:7]
	s_cbranch_vccnz .LBB230_995
; %bb.994:
	v_mov_b32_e32 v1, 0
	global_store_dwordx2 v[2:3], v[0:1], off
.LBB230_995:
	s_mov_b64 s[6:7], 0
.LBB230_996:
	s_andn2_b64 vcc, exec, s[6:7]
	s_cbranch_vccnz .LBB230_998
; %bb.997:
	v_cvt_f16_f32_e32 v1, v0
	global_store_dword v[2:3], v1, off
.LBB230_998:
	s_mov_b64 s[6:7], 0
.LBB230_999:
	s_andn2_b64 vcc, exec, s[6:7]
	s_cbranch_vccnz .LBB230_1008
; %bb.1000:
	v_mov_b32_e32 v1, 6
	v_cmp_lt_i16_sdwa s[8:9], v47, v1 src0_sel:BYTE_0 src1_sel:DWORD
	s_mov_b64 s[6:7], -1
	s_and_b64 vcc, exec, s[8:9]
	s_cbranch_vccnz .LBB230_1006
; %bb.1001:
	v_cmp_gt_i16_sdwa s[8:9], v47, v1 src0_sel:BYTE_0 src1_sel:DWORD
	s_and_b64 vcc, exec, s[8:9]
	s_cbranch_vccz .LBB230_1003
; %bb.1002:
	v_cvt_f64_f32_e32 v[4:5], v0
	s_mov_b64 s[6:7], 0
	global_store_dwordx2 v[2:3], v[4:5], off
.LBB230_1003:
	s_andn2_b64 vcc, exec, s[6:7]
	s_cbranch_vccnz .LBB230_1005
; %bb.1004:
	global_store_dword v[2:3], v0, off
.LBB230_1005:
	s_mov_b64 s[6:7], 0
.LBB230_1006:
	s_andn2_b64 vcc, exec, s[6:7]
	s_cbranch_vccnz .LBB230_1008
; %bb.1007:
	v_cvt_f16_f32_e32 v1, v0
	global_store_short v[2:3], v1, off
.LBB230_1008:
	s_mov_b64 s[6:7], 0
.LBB230_1009:
	s_andn2_b64 vcc, exec, s[6:7]
	s_cbranch_vccnz .LBB230_1025
; %bb.1010:
	v_mov_b32_e32 v1, 2
	v_cmp_lt_i16_sdwa s[8:9], v47, v1 src0_sel:BYTE_0 src1_sel:DWORD
	s_mov_b64 s[6:7], -1
	s_and_b64 vcc, exec, s[8:9]
	s_cbranch_vccnz .LBB230_1020
; %bb.1011:
	v_mov_b32_e32 v1, 3
	v_cmp_lt_i16_sdwa s[8:9], v47, v1 src0_sel:BYTE_0 src1_sel:DWORD
	s_and_b64 vcc, exec, s[8:9]
	s_cbranch_vccnz .LBB230_1017
; %bb.1012:
	v_cmp_gt_i16_sdwa s[8:9], v47, v1 src0_sel:BYTE_0 src1_sel:DWORD
	s_and_b64 vcc, exec, s[8:9]
	s_cbranch_vccz .LBB230_1014
; %bb.1013:
	v_trunc_f32_e32 v1, v0
	s_mov_b32 s6, 0x2f800000
	v_mul_f32_e64 v4, |v1|, s6
	v_floor_f32_e32 v4, v4
	s_mov_b32 s6, 0xcf800000
	v_cvt_u32_f32_e32 v5, v4
	v_fma_f32 v4, v4, s6, |v1|
	v_cvt_u32_f32_e32 v4, v4
	v_ashrrev_i32_e32 v1, 31, v1
	v_xor_b32_e32 v5, v5, v1
	s_mov_b64 s[6:7], 0
	v_xor_b32_e32 v4, v4, v1
	v_sub_co_u32_e32 v4, vcc, v4, v1
	v_subb_co_u32_e32 v5, vcc, v5, v1, vcc
	global_store_dwordx2 v[2:3], v[4:5], off
.LBB230_1014:
	s_andn2_b64 vcc, exec, s[6:7]
	s_cbranch_vccnz .LBB230_1016
; %bb.1015:
	v_cvt_i32_f32_e32 v1, v0
	global_store_dword v[2:3], v1, off
.LBB230_1016:
	s_mov_b64 s[6:7], 0
.LBB230_1017:
	s_andn2_b64 vcc, exec, s[6:7]
	s_cbranch_vccnz .LBB230_1019
; %bb.1018:
	v_cvt_i32_f32_e32 v1, v0
	global_store_short v[2:3], v1, off
.LBB230_1019:
	s_mov_b64 s[6:7], 0
.LBB230_1020:
	s_andn2_b64 vcc, exec, s[6:7]
	s_cbranch_vccnz .LBB230_1025
; %bb.1021:
	v_mov_b32_e32 v1, 0
	v_cmp_gt_i16_sdwa s[8:9], v47, v1 src0_sel:BYTE_0 src1_sel:DWORD
	s_mov_b64 s[6:7], -1
	s_and_b64 vcc, exec, s[8:9]
	s_cbranch_vccz .LBB230_1023
; %bb.1022:
	v_cvt_i32_f32_e32 v1, v0
	s_mov_b64 s[6:7], 0
	global_store_byte v[2:3], v1, off
.LBB230_1023:
	s_andn2_b64 vcc, exec, s[6:7]
	s_cbranch_vccnz .LBB230_1025
; %bb.1024:
	v_trunc_f32_e32 v0, v0
	s_mov_b32 s6, 0x2f800000
	v_mul_f32_e64 v1, |v0|, s6
	v_floor_f32_e32 v1, v1
	s_mov_b32 s6, 0xcf800000
	v_fma_f32 v1, v1, s6, |v0|
	v_cvt_u32_f32_e32 v1, v1
	v_ashrrev_i32_e32 v0, 31, v0
	v_xor_b32_e32 v1, v1, v0
	v_sub_u32_e32 v0, v1, v0
	global_store_byte v[2:3], v0, off
.LBB230_1025:
	s_mov_b64 s[6:7], -1
.LBB230_1026:
	s_andn2_b64 vcc, exec, s[6:7]
	s_cbranch_vccnz .LBB230_1040
; %bb.1027:
	v_add_u32_e32 v48, 0x80, v48
	s_mov_b64 s[6:7], -1
.LBB230_1028:
	s_andn2_b64 s[8:9], s[48:49], exec
	s_and_b64 s[4:5], s[4:5], exec
	s_or_b64 s[64:65], s[8:9], s[4:5]
	s_andn2_b64 s[4:5], s[50:51], exec
	s_and_b64 s[8:9], s[62:63], exec
	s_or_b64 s[62:63], s[4:5], s[8:9]
	;; [unrolled: 3-line block ×4, first 2 shown]
	s_orn2_b64 s[4:5], s[6:7], exec
.LBB230_1029:
	s_or_b64 exec, exec, s[66:67]
	s_mov_b64 s[10:11], 0
	s_mov_b64 s[8:9], 0
	;; [unrolled: 1-line block ×3, first 2 shown]
                                        ; implicit-def: $vgpr2
                                        ; implicit-def: $vgpr0_vgpr1
                                        ; implicit-def: $vgpr3
	s_and_saveexec_b64 s[66:67], s[4:5]
	s_cbranch_execz .LBB230_1630
; %bb.1030:
	v_cmp_gt_i32_e32 vcc, s33, v48
	s_mov_b64 s[20:21], -1
	s_mov_b64 s[4:5], s[58:59]
	s_mov_b64 s[6:7], s[60:61]
	;; [unrolled: 1-line block ×4, first 2 shown]
	s_and_saveexec_b64 s[68:69], vcc
	s_cbranch_execz .LBB230_1547
; %bb.1031:
	s_waitcnt vmcnt(0)
	v_mul_lo_u32 v0, v48, s45
	v_ashrrev_i32_e32 v1, 31, v0
	v_mov_b32_e32 v3, s39
	v_add_co_u32_e32 v2, vcc, s38, v0
	v_mov_b32_e32 v0, 11
	v_addc_co_u32_e32 v3, vcc, v3, v1, vcc
	v_cmp_lt_i16_sdwa s[4:5], v45, v0 src0_sel:BYTE_0 src1_sel:DWORD
	s_and_b64 vcc, exec, s[4:5]
	s_cbranch_vccnz .LBB230_1038
; %bb.1032:
	v_mov_b32_e32 v0, 25
	v_cmp_gt_i16_sdwa s[4:5], v45, v0 src0_sel:BYTE_0 src1_sel:DWORD
	s_and_b64 vcc, exec, s[4:5]
	s_cbranch_vccz .LBB230_1039
; %bb.1033:
	v_mov_b32_e32 v0, 28
	v_cmp_gt_i16_sdwa s[4:5], v45, v0 src0_sel:BYTE_0 src1_sel:DWORD
	s_and_b64 vcc, exec, s[4:5]
	s_cbranch_vccz .LBB230_1041
	;; [unrolled: 5-line block ×4, first 2 shown]
; %bb.1036:
	v_mov_b32_e32 v0, 46
	v_cmp_eq_u16_sdwa s[4:5], v45, v0 src0_sel:BYTE_0 src1_sel:DWORD
	s_mov_b64 s[6:7], 0
	s_and_b64 vcc, exec, s[4:5]
	s_cbranch_vccz .LBB230_1044
; %bb.1037:
	global_load_dword v0, v[2:3], off
	s_mov_b64 s[4:5], -1
	s_mov_b64 s[70:71], 0
	s_waitcnt vmcnt(0)
	v_lshlrev_b32_e32 v0, 16, v0
	s_branch .LBB230_1045
.LBB230_1038:
	s_mov_b64 s[6:7], -1
	s_mov_b64 s[4:5], 0
                                        ; implicit-def: $vgpr0
	s_mov_b64 s[70:71], s[58:59]
	s_branch .LBB230_1110
.LBB230_1039:
	s_mov_b64 s[6:7], -1
	s_mov_b64 s[4:5], 0
	s_mov_b64 s[70:71], s[58:59]
                                        ; implicit-def: $vgpr0
	s_branch .LBB230_1074
.LBB230_1040:
	s_mov_b64 s[6:7], 0
	s_branch .LBB230_544
.LBB230_1041:
	s_mov_b64 s[6:7], -1
	s_mov_b64 s[4:5], 0
	s_mov_b64 s[70:71], s[58:59]
                                        ; implicit-def: $vgpr0
	s_branch .LBB230_1055
.LBB230_1042:
	s_mov_b64 s[6:7], -1
	s_mov_b64 s[4:5], 0
	s_mov_b64 s[70:71], s[58:59]
                                        ; implicit-def: $vgpr0
	s_branch .LBB230_1050
.LBB230_1043:
	s_mov_b64 s[6:7], -1
	s_mov_b64 s[4:5], 0
	s_mov_b64 s[70:71], s[58:59]
                                        ; implicit-def: $vgpr0
	s_branch .LBB230_1045
.LBB230_1044:
	s_mov_b64 s[70:71], -1
                                        ; implicit-def: $vgpr0
	s_mov_b64 s[4:5], 0
.LBB230_1045:
	s_and_b64 vcc, exec, s[6:7]
	s_cbranch_vccz .LBB230_1049
; %bb.1046:
	v_mov_b32_e32 v0, 44
	v_cmp_eq_u16_sdwa s[6:7], v45, v0 src0_sel:BYTE_0 src1_sel:DWORD
	s_and_b64 vcc, exec, s[6:7]
	s_cbranch_vccz .LBB230_1048
; %bb.1047:
	global_load_ubyte v0, v[2:3], off
	s_movk_i32 s6, 0xff
	v_mov_b32_e32 v1, 0x7f800001
	v_mov_b32_e32 v4, 0x400000
	s_mov_b64 s[4:5], -1
	s_mov_b64 s[70:71], 0
	s_waitcnt vmcnt(0)
	v_lshlrev_b32_e32 v5, 23, v0
	v_cmp_ne_u32_e32 vcc, s6, v0
	v_cndmask_b32_e32 v1, v1, v5, vcc
	v_cmp_ne_u32_e32 vcc, 0, v0
	v_cndmask_b32_e32 v0, v4, v1, vcc
	s_branch .LBB230_1049
.LBB230_1048:
	s_mov_b64 s[70:71], -1
                                        ; implicit-def: $vgpr0
.LBB230_1049:
	s_mov_b64 s[6:7], 0
.LBB230_1050:
	s_and_b64 vcc, exec, s[6:7]
	s_cbranch_vccz .LBB230_1054
; %bb.1051:
	v_mov_b32_e32 v0, 29
	v_cmp_eq_u16_sdwa s[6:7], v45, v0 src0_sel:BYTE_0 src1_sel:DWORD
	s_and_b64 vcc, exec, s[6:7]
	s_cbranch_vccz .LBB230_1053
; %bb.1052:
	global_load_dwordx2 v[0:1], v[2:3], off
	s_mov_b64 s[4:5], -1
	s_mov_b64 s[70:71], 0
	s_mov_b64 s[6:7], 0
	s_waitcnt vmcnt(0)
	v_ffbh_u32_e32 v4, v1
	v_min_u32_e32 v4, 32, v4
	v_lshlrev_b64 v[0:1], v4, v[0:1]
	v_min_u32_e32 v0, 1, v0
	v_or_b32_e32 v0, v1, v0
	v_cvt_f32_u32_e32 v0, v0
	v_sub_u32_e32 v1, 32, v4
	v_ldexp_f32 v0, v0, v1
	s_branch .LBB230_1055
.LBB230_1053:
	s_mov_b64 s[70:71], -1
                                        ; implicit-def: $vgpr0
.LBB230_1054:
	s_mov_b64 s[6:7], 0
.LBB230_1055:
	s_and_b64 vcc, exec, s[6:7]
	s_cbranch_vccz .LBB230_1073
; %bb.1056:
	v_mov_b32_e32 v0, 27
	v_cmp_lt_i16_sdwa s[4:5], v45, v0 src0_sel:BYTE_0 src1_sel:DWORD
	s_and_b64 vcc, exec, s[4:5]
	s_cbranch_vccnz .LBB230_1059
; %bb.1057:
	v_cmp_gt_i16_sdwa s[4:5], v45, v0 src0_sel:BYTE_0 src1_sel:DWORD
	s_and_b64 vcc, exec, s[4:5]
	s_cbranch_vccz .LBB230_1060
; %bb.1058:
	global_load_dword v0, v[2:3], off
	s_mov_b64 s[4:5], 0
	s_waitcnt vmcnt(0)
	v_cvt_f32_u32_e32 v0, v0
	s_branch .LBB230_1061
.LBB230_1059:
	s_mov_b64 s[4:5], -1
                                        ; implicit-def: $vgpr0
	s_branch .LBB230_1064
.LBB230_1060:
	s_mov_b64 s[4:5], -1
                                        ; implicit-def: $vgpr0
.LBB230_1061:
	s_andn2_b64 vcc, exec, s[4:5]
	s_cbranch_vccnz .LBB230_1063
; %bb.1062:
	global_load_ushort v0, v[2:3], off
	s_waitcnt vmcnt(0)
	v_cvt_f32_u32_e32 v0, v0
.LBB230_1063:
	s_mov_b64 s[4:5], 0
.LBB230_1064:
	s_andn2_b64 vcc, exec, s[4:5]
	s_cbranch_vccnz .LBB230_1072
; %bb.1065:
	global_load_ubyte v1, v[2:3], off
	s_movk_i32 s4, 0x7f
                                        ; implicit-def: $sgpr10
	s_waitcnt vmcnt(0)
	v_cmp_lt_i16_e32 vcc, s4, v1
	s_mov_b64 s[4:5], 0
	s_and_saveexec_b64 s[6:7], vcc
	s_xor_b64 s[6:7], exec, s[6:7]
	s_cbranch_execz .LBB230_1086
; %bb.1066:
	s_movk_i32 s4, 0x80
	v_cmp_eq_u16_e32 vcc, s4, v1
	s_mov_b64 s[4:5], -1
                                        ; implicit-def: $sgpr10
	s_and_saveexec_b64 s[8:9], vcc
; %bb.1067:
	s_mov_b32 s10, 0x7f800001
	s_xor_b64 s[4:5], exec, -1
; %bb.1068:
	s_or_b64 exec, exec, s[8:9]
	s_and_b64 s[4:5], s[4:5], exec
	s_or_saveexec_b64 s[6:7], s[6:7]
	v_mov_b32_e32 v0, s10
	s_xor_b64 exec, exec, s[6:7]
	s_cbranch_execnz .LBB230_1087
.LBB230_1069:
	s_or_b64 exec, exec, s[6:7]
	s_and_saveexec_b64 s[6:7], s[4:5]
	s_cbranch_execz .LBB230_1071
.LBB230_1070:
	v_lshlrev_b32_e32 v0, 24, v1
	v_and_b32_e32 v1, 0xffff, v1
	v_and_b32_e32 v4, 7, v1
	v_ffbh_u32_e32 v6, v4
	v_min_u32_e32 v6, 32, v6
	v_subrev_u32_e32 v7, 28, v6
	v_bfe_u32 v5, v1, 3, 4
	v_lshlrev_b32_e32 v1, v7, v1
	v_sub_u32_e32 v6, 29, v6
	v_and_b32_e32 v1, 7, v1
	v_cmp_eq_u32_e32 vcc, 0, v5
	v_cndmask_b32_e32 v5, v5, v6, vcc
	v_cndmask_b32_e32 v1, v4, v1, vcc
	v_mov_b32_e32 v4, 0x3b800000
	v_lshlrev_b32_e32 v1, 20, v1
	v_and_b32_e32 v0, 0x80000000, v0
	v_lshl_add_u32 v4, v5, 23, v4
	v_or3_b32 v0, v0, v4, v1
.LBB230_1071:
	s_or_b64 exec, exec, s[6:7]
.LBB230_1072:
	s_mov_b64 s[4:5], -1
.LBB230_1073:
	s_mov_b64 s[6:7], 0
.LBB230_1074:
	s_and_b64 vcc, exec, s[6:7]
	s_cbranch_vccz .LBB230_1109
; %bb.1075:
	v_mov_b32_e32 v0, 22
	v_cmp_gt_i16_sdwa s[6:7], v45, v0 src0_sel:BYTE_0 src1_sel:DWORD
	s_and_b64 vcc, exec, s[6:7]
	s_cbranch_vccz .LBB230_1085
; %bb.1076:
	v_mov_b32_e32 v0, 24
	v_cmp_lt_i16_sdwa s[4:5], v45, v0 src0_sel:BYTE_0 src1_sel:DWORD
	s_and_b64 vcc, exec, s[4:5]
	s_cbranch_vccnz .LBB230_1088
; %bb.1077:
	v_cmp_gt_i16_sdwa s[4:5], v45, v0 src0_sel:BYTE_0 src1_sel:DWORD
	s_and_b64 vcc, exec, s[4:5]
	s_cbranch_vccz .LBB230_1089
; %bb.1078:
	global_load_ubyte v1, v[2:3], off
	s_movk_i32 s4, 0x7f
                                        ; implicit-def: $sgpr10
	s_waitcnt vmcnt(0)
	v_cmp_lt_i16_e32 vcc, s4, v1
	s_mov_b64 s[4:5], 0
	s_and_saveexec_b64 s[6:7], vcc
	s_xor_b64 s[6:7], exec, s[6:7]
	s_cbranch_execz .LBB230_1101
; %bb.1079:
	s_movk_i32 s4, 0x80
	v_cmp_eq_u16_e32 vcc, s4, v1
	s_mov_b64 s[4:5], -1
                                        ; implicit-def: $sgpr10
	s_and_saveexec_b64 s[8:9], vcc
; %bb.1080:
	s_mov_b32 s10, 0x7f800001
	s_xor_b64 s[4:5], exec, -1
; %bb.1081:
	s_or_b64 exec, exec, s[8:9]
	s_and_b64 s[4:5], s[4:5], exec
	s_or_saveexec_b64 s[6:7], s[6:7]
	v_mov_b32_e32 v0, s10
	s_xor_b64 exec, exec, s[6:7]
	s_cbranch_execnz .LBB230_1102
.LBB230_1082:
	s_or_b64 exec, exec, s[6:7]
	s_and_saveexec_b64 s[6:7], s[4:5]
	s_cbranch_execz .LBB230_1084
.LBB230_1083:
	v_lshlrev_b32_e32 v0, 24, v1
	v_and_b32_e32 v1, 0xffff, v1
	v_and_b32_e32 v4, 3, v1
	v_ffbh_u32_e32 v6, v4
	v_min_u32_e32 v6, 32, v6
	v_subrev_u32_e32 v7, 29, v6
	v_bfe_u32 v5, v1, 2, 5
	v_lshlrev_b32_e32 v1, v7, v1
	v_sub_u32_e32 v6, 30, v6
	v_and_b32_e32 v1, 3, v1
	v_cmp_eq_u32_e32 vcc, 0, v5
	v_cndmask_b32_e32 v5, v5, v6, vcc
	v_cndmask_b32_e32 v1, v4, v1, vcc
	v_mov_b32_e32 v4, 0x37800000
	v_lshlrev_b32_e32 v1, 21, v1
	v_and_b32_e32 v0, 0x80000000, v0
	v_lshl_add_u32 v4, v5, 23, v4
	v_or3_b32 v0, v0, v4, v1
.LBB230_1084:
	s_or_b64 exec, exec, s[6:7]
	s_mov_b64 s[4:5], 0
	s_branch .LBB230_1090
.LBB230_1085:
	s_mov_b64 s[6:7], -1
                                        ; implicit-def: $vgpr0
	s_branch .LBB230_1096
.LBB230_1086:
	s_or_saveexec_b64 s[6:7], s[6:7]
	v_mov_b32_e32 v0, s10
	s_xor_b64 exec, exec, s[6:7]
	s_cbranch_execz .LBB230_1069
.LBB230_1087:
	v_cmp_ne_u16_e32 vcc, 0, v1
	s_andn2_b64 s[4:5], s[4:5], exec
	s_and_b64 s[8:9], vcc, exec
	v_mov_b32_e32 v0, 0
	s_or_b64 s[4:5], s[4:5], s[8:9]
	s_or_b64 exec, exec, s[6:7]
	s_and_saveexec_b64 s[6:7], s[4:5]
	s_cbranch_execnz .LBB230_1070
	s_branch .LBB230_1071
.LBB230_1088:
	s_mov_b64 s[4:5], -1
                                        ; implicit-def: $vgpr0
	s_branch .LBB230_1093
.LBB230_1089:
	s_mov_b64 s[4:5], -1
                                        ; implicit-def: $vgpr0
.LBB230_1090:
	s_and_b64 vcc, exec, s[4:5]
	s_cbranch_vccz .LBB230_1092
; %bb.1091:
	global_load_ubyte v0, v[2:3], off
	s_mov_b32 s4, 0x7f800000
	s_waitcnt vmcnt(0)
	v_lshlrev_b32_e32 v0, 24, v0
	v_and_b32_e32 v1, 0x7f000000, v0
	v_ffbh_u32_e32 v4, v1
	v_min_u32_e32 v4, 32, v4
	v_sub_u32_e64 v4, v4, 4 clamp
	v_lshlrev_b32_e32 v6, v4, v1
	v_lshlrev_b32_e32 v4, 23, v4
	v_lshrrev_b32_e32 v6, 4, v6
	v_add_u32_e32 v5, 0x1000000, v1
	v_sub_u32_e32 v4, v6, v4
	v_ashrrev_i32_e32 v5, 8, v5
	v_add_u32_e32 v4, 0x3c000000, v4
	v_and_or_b32 v4, v5, s4, v4
	v_cmp_ne_u32_e32 vcc, 0, v1
	v_cndmask_b32_e32 v1, 0, v4, vcc
	s_brev_b32 s4, 1
	v_and_or_b32 v0, v0, s4, v1
.LBB230_1092:
	s_mov_b64 s[4:5], 0
.LBB230_1093:
	s_andn2_b64 vcc, exec, s[4:5]
	s_cbranch_vccnz .LBB230_1095
; %bb.1094:
	global_load_ubyte v0, v[2:3], off
	s_movk_i32 s4, 0x7f00
	s_brev_b32 s5, 16
	s_waitcnt vmcnt(0)
	v_lshlrev_b16_e32 v1, 8, v0
	v_lshlrev_b32_e32 v0, 25, v0
	v_lshrrev_b32_e32 v4, 4, v0
	v_and_or_b32 v5, v1, s4, 0.5
	v_or_b32_e32 v4, 0x70000000, v4
	v_add_f32_e32 v5, -0.5, v5
	v_mul_f32_e32 v4, 0x7800000, v4
	v_cmp_gt_u32_e32 vcc, s5, v0
	v_bfe_i32 v1, v1, 0, 16
	v_cndmask_b32_e32 v0, v4, v5, vcc
	s_brev_b32 s4, 1
	v_and_or_b32 v0, v1, s4, v0
.LBB230_1095:
	s_mov_b64 s[6:7], 0
	s_mov_b64 s[4:5], -1
.LBB230_1096:
	s_andn2_b64 vcc, exec, s[6:7]
	s_cbranch_vccnz .LBB230_1109
; %bb.1097:
	v_mov_b32_e32 v0, 14
	v_cmp_gt_i16_sdwa s[6:7], v45, v0 src0_sel:BYTE_0 src1_sel:DWORD
	s_and_b64 vcc, exec, s[6:7]
	s_cbranch_vccz .LBB230_1100
; %bb.1098:
	v_mov_b32_e32 v0, 15
	v_cmp_eq_u16_sdwa s[6:7], v45, v0 src0_sel:BYTE_0 src1_sel:DWORD
	s_and_b64 vcc, exec, s[6:7]
	s_cbranch_vccz .LBB230_1103
; %bb.1099:
	global_load_ushort v0, v[2:3], off
	s_mov_b64 s[4:5], -1
	s_mov_b64 s[70:71], 0
	s_waitcnt vmcnt(0)
	v_lshlrev_b32_e32 v0, 16, v0
	s_branch .LBB230_1104
.LBB230_1100:
	s_mov_b64 s[6:7], -1
                                        ; implicit-def: $vgpr0
	s_branch .LBB230_1105
.LBB230_1101:
	s_or_saveexec_b64 s[6:7], s[6:7]
	v_mov_b32_e32 v0, s10
	s_xor_b64 exec, exec, s[6:7]
	s_cbranch_execz .LBB230_1082
.LBB230_1102:
	v_cmp_ne_u16_e32 vcc, 0, v1
	s_andn2_b64 s[4:5], s[4:5], exec
	s_and_b64 s[8:9], vcc, exec
	v_mov_b32_e32 v0, 0
	s_or_b64 s[4:5], s[4:5], s[8:9]
	s_or_b64 exec, exec, s[6:7]
	s_and_saveexec_b64 s[6:7], s[4:5]
	s_cbranch_execnz .LBB230_1083
	s_branch .LBB230_1084
.LBB230_1103:
	s_mov_b64 s[70:71], -1
                                        ; implicit-def: $vgpr0
.LBB230_1104:
	s_mov_b64 s[6:7], 0
.LBB230_1105:
	s_and_b64 vcc, exec, s[6:7]
	s_cbranch_vccz .LBB230_1109
; %bb.1106:
	v_mov_b32_e32 v0, 11
	v_cmp_eq_u16_sdwa s[6:7], v45, v0 src0_sel:BYTE_0 src1_sel:DWORD
	s_and_b64 vcc, exec, s[6:7]
	s_cbranch_vccz .LBB230_1108
; %bb.1107:
	global_load_ubyte v0, v[2:3], off
	s_mov_b64 s[4:5], -1
	s_mov_b64 s[70:71], 0
	s_waitcnt vmcnt(0)
	v_cmp_ne_u16_e32 vcc, 0, v0
	v_cndmask_b32_e64 v0, 0, 1.0, vcc
	s_branch .LBB230_1109
.LBB230_1108:
	s_mov_b64 s[70:71], -1
                                        ; implicit-def: $vgpr0
.LBB230_1109:
	s_mov_b64 s[6:7], 0
.LBB230_1110:
	s_and_b64 vcc, exec, s[6:7]
	s_cbranch_vccz .LBB230_1159
; %bb.1111:
	v_mov_b32_e32 v0, 5
	v_cmp_lt_i16_sdwa s[4:5], v45, v0 src0_sel:BYTE_0 src1_sel:DWORD
	s_and_b64 vcc, exec, s[4:5]
	s_cbranch_vccnz .LBB230_1116
; %bb.1112:
	v_mov_b32_e32 v0, 8
	v_cmp_lt_i16_sdwa s[4:5], v45, v0 src0_sel:BYTE_0 src1_sel:DWORD
	s_and_b64 vcc, exec, s[4:5]
	s_cbranch_vccnz .LBB230_1117
	;; [unrolled: 5-line block ×3, first 2 shown]
; %bb.1114:
	v_cmp_gt_i16_sdwa s[4:5], v45, v0 src0_sel:BYTE_0 src1_sel:DWORD
	s_and_b64 vcc, exec, s[4:5]
	s_cbranch_vccz .LBB230_1119
; %bb.1115:
	global_load_dwordx2 v[0:1], v[2:3], off
	s_mov_b64 s[4:5], 0
	s_waitcnt vmcnt(0)
	v_cvt_f32_f64_e32 v0, v[0:1]
	s_branch .LBB230_1120
.LBB230_1116:
	s_mov_b64 s[4:5], -1
                                        ; implicit-def: $vgpr0
	s_branch .LBB230_1138
.LBB230_1117:
	s_mov_b64 s[4:5], -1
                                        ; implicit-def: $vgpr0
	s_branch .LBB230_1126
.LBB230_1118:
	s_mov_b64 s[4:5], -1
                                        ; implicit-def: $vgpr0
	s_branch .LBB230_1123
.LBB230_1119:
	s_mov_b64 s[4:5], -1
                                        ; implicit-def: $vgpr0
.LBB230_1120:
	s_andn2_b64 vcc, exec, s[4:5]
	s_cbranch_vccnz .LBB230_1122
; %bb.1121:
	global_load_dword v0, v[2:3], off
.LBB230_1122:
	s_mov_b64 s[4:5], 0
.LBB230_1123:
	s_andn2_b64 vcc, exec, s[4:5]
	s_cbranch_vccnz .LBB230_1125
; %bb.1124:
	global_load_dword v0, v[2:3], off
	s_waitcnt vmcnt(0)
	v_cvt_f32_f16_e32 v0, v0
.LBB230_1125:
	s_mov_b64 s[4:5], 0
.LBB230_1126:
	s_andn2_b64 vcc, exec, s[4:5]
	s_cbranch_vccnz .LBB230_1137
; %bb.1127:
	s_waitcnt vmcnt(0)
	v_mov_b32_e32 v0, 6
	v_cmp_lt_i16_sdwa s[4:5], v45, v0 src0_sel:BYTE_0 src1_sel:DWORD
	s_and_b64 vcc, exec, s[4:5]
	s_cbranch_vccnz .LBB230_1130
; %bb.1128:
	v_cmp_gt_i16_sdwa s[4:5], v45, v0 src0_sel:BYTE_0 src1_sel:DWORD
	s_and_b64 vcc, exec, s[4:5]
	s_cbranch_vccz .LBB230_1131
; %bb.1129:
	global_load_dwordx2 v[0:1], v[2:3], off
	s_mov_b64 s[4:5], 0
	s_waitcnt vmcnt(0)
	v_cvt_f32_f64_e32 v0, v[0:1]
	s_branch .LBB230_1132
.LBB230_1130:
	s_mov_b64 s[4:5], -1
                                        ; implicit-def: $vgpr0
	s_branch .LBB230_1135
.LBB230_1131:
	s_mov_b64 s[4:5], -1
                                        ; implicit-def: $vgpr0
.LBB230_1132:
	s_andn2_b64 vcc, exec, s[4:5]
	s_cbranch_vccnz .LBB230_1134
; %bb.1133:
	global_load_dword v0, v[2:3], off
.LBB230_1134:
	s_mov_b64 s[4:5], 0
.LBB230_1135:
	s_andn2_b64 vcc, exec, s[4:5]
	s_cbranch_vccnz .LBB230_1137
; %bb.1136:
	global_load_ushort v0, v[2:3], off
	s_waitcnt vmcnt(0)
	v_cvt_f32_f16_e32 v0, v0
.LBB230_1137:
	s_mov_b64 s[4:5], 0
.LBB230_1138:
	s_andn2_b64 vcc, exec, s[4:5]
	s_cbranch_vccnz .LBB230_1158
; %bb.1139:
	s_waitcnt vmcnt(0)
	v_mov_b32_e32 v0, 2
	v_cmp_lt_i16_sdwa s[4:5], v45, v0 src0_sel:BYTE_0 src1_sel:DWORD
	s_and_b64 vcc, exec, s[4:5]
	s_cbranch_vccnz .LBB230_1143
; %bb.1140:
	v_mov_b32_e32 v0, 3
	v_cmp_lt_i16_sdwa s[4:5], v45, v0 src0_sel:BYTE_0 src1_sel:DWORD
	s_and_b64 vcc, exec, s[4:5]
	s_cbranch_vccnz .LBB230_1144
; %bb.1141:
	v_cmp_gt_i16_sdwa s[4:5], v45, v0 src0_sel:BYTE_0 src1_sel:DWORD
	s_and_b64 vcc, exec, s[4:5]
	s_cbranch_vccz .LBB230_1145
; %bb.1142:
	global_load_dwordx2 v[0:1], v[2:3], off
	s_mov_b64 s[4:5], 0
	s_waitcnt vmcnt(0)
	v_xor_b32_e32 v5, v0, v1
	v_ffbh_i32_e32 v4, v1
	v_ashrrev_i32_e32 v5, 31, v5
	v_add_u32_e32 v4, -1, v4
	v_add_u32_e32 v5, 32, v5
	v_min_u32_e32 v4, v4, v5
	v_lshlrev_b64 v[0:1], v4, v[0:1]
	v_min_u32_e32 v0, 1, v0
	v_or_b32_e32 v0, v1, v0
	v_cvt_f32_i32_e32 v0, v0
	v_sub_u32_e32 v1, 32, v4
	v_ldexp_f32 v0, v0, v1
	s_branch .LBB230_1146
.LBB230_1143:
	s_mov_b64 s[4:5], -1
                                        ; implicit-def: $vgpr0
	s_branch .LBB230_1152
.LBB230_1144:
	s_mov_b64 s[4:5], -1
                                        ; implicit-def: $vgpr0
	s_branch .LBB230_1149
.LBB230_1145:
	s_mov_b64 s[4:5], -1
                                        ; implicit-def: $vgpr0
.LBB230_1146:
	s_andn2_b64 vcc, exec, s[4:5]
	s_cbranch_vccnz .LBB230_1148
; %bb.1147:
	global_load_dword v0, v[2:3], off
	s_waitcnt vmcnt(0)
	v_cvt_f32_i32_e32 v0, v0
.LBB230_1148:
	s_mov_b64 s[4:5], 0
.LBB230_1149:
	s_andn2_b64 vcc, exec, s[4:5]
	s_cbranch_vccnz .LBB230_1151
; %bb.1150:
	global_load_sshort v0, v[2:3], off
	s_waitcnt vmcnt(0)
	v_cvt_f32_i32_e32 v0, v0
.LBB230_1151:
	s_mov_b64 s[4:5], 0
.LBB230_1152:
	s_andn2_b64 vcc, exec, s[4:5]
	s_cbranch_vccnz .LBB230_1158
; %bb.1153:
	v_mov_b32_e32 v0, 0
	v_cmp_gt_i16_sdwa s[4:5], v45, v0 src0_sel:BYTE_0 src1_sel:DWORD
	s_and_b64 vcc, exec, s[4:5]
	s_cbranch_vccz .LBB230_1155
; %bb.1154:
	global_load_sbyte v0, v[2:3], off
	s_mov_b64 s[4:5], 0
	s_waitcnt vmcnt(0)
	v_cvt_f32_i32_e32 v0, v0
	s_branch .LBB230_1156
.LBB230_1155:
	s_mov_b64 s[4:5], -1
                                        ; implicit-def: $vgpr0
.LBB230_1156:
	s_andn2_b64 vcc, exec, s[4:5]
	s_cbranch_vccnz .LBB230_1158
; %bb.1157:
	global_load_ubyte v0, v[2:3], off
	s_waitcnt vmcnt(0)
	v_cvt_f32_ubyte0_e32 v0, v0
.LBB230_1158:
	s_mov_b64 s[4:5], -1
.LBB230_1159:
	s_andn2_b64 vcc, exec, s[4:5]
	s_cbranch_vccnz .LBB230_1167
; %bb.1160:
	v_mul_lo_u32 v1, v48, s46
	v_ashrrev_i32_e32 v3, 31, v1
	v_mov_b32_e32 v4, s41
	v_add_co_u32_e32 v2, vcc, s40, v1
	s_movk_i32 s4, 0xff
	v_addc_co_u32_e32 v3, vcc, v4, v3, vcc
	v_and_b32_sdwa v4, v47, s4 dst_sel:DWORD dst_unused:UNUSED_PAD src0_sel:WORD_1 src1_sel:DWORD
	v_cmp_gt_i16_e32 vcc, 11, v4
	s_cbranch_vccnz .LBB230_1169
; %bb.1161:
	v_cmp_lt_i16_e32 vcc, 25, v4
	s_cbranch_vccz .LBB230_1170
; %bb.1162:
	v_cmp_lt_i16_e32 vcc, 28, v4
	s_cbranch_vccz .LBB230_1171
	;; [unrolled: 3-line block ×4, first 2 shown]
; %bb.1165:
	v_cmp_eq_u16_e32 vcc, 46, v4
	s_mov_b64 s[6:7], 0
	s_cbranch_vccz .LBB230_1176
; %bb.1166:
	global_load_dword v1, v[2:3], off
	s_mov_b64 s[4:5], -1
	s_mov_b64 s[72:73], 0
	s_waitcnt vmcnt(0)
	v_lshlrev_b32_e32 v1, 16, v1
	s_branch .LBB230_1177
.LBB230_1167:
	s_mov_b64 s[12:13], 0
	s_mov_b64 s[4:5], s[64:65]
	;; [unrolled: 1-line block ×4, first 2 shown]
.LBB230_1168:
                                        ; implicit-def: $vgpr48
	s_branch .LBB230_1546
.LBB230_1169:
	s_mov_b64 s[6:7], -1
	s_mov_b64 s[4:5], 0
                                        ; implicit-def: $vgpr1
	s_mov_b64 s[72:73], s[60:61]
	s_branch .LBB230_1242
.LBB230_1170:
	s_mov_b64 s[6:7], -1
	s_mov_b64 s[4:5], 0
	s_mov_b64 s[72:73], s[60:61]
                                        ; implicit-def: $vgpr1
	s_branch .LBB230_1206
.LBB230_1171:
	s_mov_b64 s[6:7], -1
	s_mov_b64 s[4:5], 0
	s_mov_b64 s[72:73], s[60:61]
                                        ; implicit-def: $vgpr1
	s_branch .LBB230_1187
.LBB230_1172:
	s_mov_b64 s[6:7], -1
	s_mov_b64 s[4:5], 0
	s_mov_b64 s[72:73], s[60:61]
                                        ; implicit-def: $vgpr1
	s_branch .LBB230_1182
.LBB230_1173:
	s_mov_b64 s[6:7], -1
	s_mov_b64 s[4:5], 0
	s_mov_b64 s[72:73], s[60:61]
                                        ; implicit-def: $vgpr1
	s_branch .LBB230_1177
.LBB230_1174:
	s_or_saveexec_b64 s[10:11], s[10:11]
                                        ; implicit-def: $sgpr12
	s_xor_b64 exec, exec, s[10:11]
	s_cbranch_execz .LBB230_939
.LBB230_1175:
	s_mov_b32 s12, 0x46000000
	v_add_f32_e64 v1, |v0|, s12
	v_and_b32_e32 v1, 0xff, v1
	v_cmp_ne_u32_e32 vcc, 0, v1
	s_andn2_b64 s[8:9], s[8:9], exec
	s_and_b64 s[14:15], vcc, exec
	s_mov_b32 s12, 0
	s_or_b64 s[8:9], s[8:9], s[14:15]
	s_or_b64 exec, exec, s[10:11]
	v_mov_b32_e32 v4, s12
	s_and_saveexec_b64 s[10:11], s[8:9]
	s_cbranch_execnz .LBB230_940
	s_branch .LBB230_941
.LBB230_1176:
	s_mov_b64 s[72:73], -1
                                        ; implicit-def: $vgpr1
	s_mov_b64 s[4:5], 0
.LBB230_1177:
	s_and_b64 vcc, exec, s[6:7]
	s_cbranch_vccz .LBB230_1181
; %bb.1178:
	v_cmp_eq_u16_e32 vcc, 44, v4
	s_cbranch_vccz .LBB230_1180
; %bb.1179:
	global_load_ubyte v1, v[2:3], off
	s_movk_i32 s6, 0xff
	v_mov_b32_e32 v5, 0x7f800001
	v_mov_b32_e32 v6, 0x400000
	s_mov_b64 s[4:5], -1
	s_mov_b64 s[72:73], 0
	s_waitcnt vmcnt(0)
	v_lshlrev_b32_e32 v7, 23, v1
	v_cmp_ne_u32_e32 vcc, s6, v1
	v_cndmask_b32_e32 v5, v5, v7, vcc
	v_cmp_ne_u32_e32 vcc, 0, v1
	v_cndmask_b32_e32 v1, v6, v5, vcc
	s_branch .LBB230_1181
.LBB230_1180:
	s_mov_b64 s[72:73], -1
                                        ; implicit-def: $vgpr1
.LBB230_1181:
	s_mov_b64 s[6:7], 0
.LBB230_1182:
	s_and_b64 vcc, exec, s[6:7]
	s_cbranch_vccz .LBB230_1186
; %bb.1183:
	v_cmp_eq_u16_e32 vcc, 29, v4
	s_cbranch_vccz .LBB230_1185
; %bb.1184:
	global_load_dwordx2 v[6:7], v[2:3], off
	s_mov_b64 s[4:5], -1
	s_mov_b64 s[72:73], 0
	s_mov_b64 s[6:7], 0
	s_waitcnt vmcnt(0)
	v_ffbh_u32_e32 v1, v7
	v_min_u32_e32 v1, 32, v1
	v_lshlrev_b64 v[6:7], v1, v[6:7]
	v_min_u32_e32 v5, 1, v6
	v_or_b32_e32 v5, v7, v5
	v_cvt_f32_u32_e32 v5, v5
	v_sub_u32_e32 v1, 32, v1
	v_ldexp_f32 v1, v5, v1
	s_branch .LBB230_1187
.LBB230_1185:
	s_mov_b64 s[72:73], -1
                                        ; implicit-def: $vgpr1
.LBB230_1186:
	s_mov_b64 s[6:7], 0
.LBB230_1187:
	s_and_b64 vcc, exec, s[6:7]
	s_cbranch_vccz .LBB230_1205
; %bb.1188:
	v_cmp_gt_i16_e32 vcc, 27, v4
	s_cbranch_vccnz .LBB230_1191
; %bb.1189:
	v_cmp_lt_i16_e32 vcc, 27, v4
	s_cbranch_vccz .LBB230_1192
; %bb.1190:
	global_load_dword v1, v[2:3], off
	s_mov_b64 s[4:5], 0
	s_waitcnt vmcnt(0)
	v_cvt_f32_u32_e32 v1, v1
	s_branch .LBB230_1193
.LBB230_1191:
	s_mov_b64 s[4:5], -1
                                        ; implicit-def: $vgpr1
	s_branch .LBB230_1196
.LBB230_1192:
	s_mov_b64 s[4:5], -1
                                        ; implicit-def: $vgpr1
.LBB230_1193:
	s_andn2_b64 vcc, exec, s[4:5]
	s_cbranch_vccnz .LBB230_1195
; %bb.1194:
	global_load_ushort v1, v[2:3], off
	s_waitcnt vmcnt(0)
	v_cvt_f32_u32_e32 v1, v1
.LBB230_1195:
	s_mov_b64 s[4:5], 0
.LBB230_1196:
	s_andn2_b64 vcc, exec, s[4:5]
	s_cbranch_vccnz .LBB230_1204
; %bb.1197:
	global_load_ubyte v5, v[2:3], off
	s_movk_i32 s4, 0x7f
                                        ; implicit-def: $sgpr10
	s_waitcnt vmcnt(0)
	v_cmp_lt_i16_e32 vcc, s4, v5
	s_mov_b64 s[4:5], 0
	s_and_saveexec_b64 s[6:7], vcc
	s_xor_b64 s[6:7], exec, s[6:7]
	s_cbranch_execz .LBB230_1218
; %bb.1198:
	s_movk_i32 s4, 0x80
	v_cmp_eq_u16_e32 vcc, s4, v5
	s_mov_b64 s[4:5], -1
                                        ; implicit-def: $sgpr10
	s_and_saveexec_b64 s[8:9], vcc
; %bb.1199:
	s_mov_b32 s10, 0x7f800001
	s_xor_b64 s[4:5], exec, -1
; %bb.1200:
	s_or_b64 exec, exec, s[8:9]
	s_and_b64 s[4:5], s[4:5], exec
	s_or_saveexec_b64 s[6:7], s[6:7]
	v_mov_b32_e32 v1, s10
	s_xor_b64 exec, exec, s[6:7]
	s_cbranch_execnz .LBB230_1219
.LBB230_1201:
	s_or_b64 exec, exec, s[6:7]
	s_and_saveexec_b64 s[6:7], s[4:5]
	s_cbranch_execz .LBB230_1203
.LBB230_1202:
	v_lshlrev_b32_e32 v1, 24, v5
	v_and_b32_e32 v5, 0xffff, v5
	v_and_b32_e32 v6, 7, v5
	v_ffbh_u32_e32 v8, v6
	v_min_u32_e32 v8, 32, v8
	v_subrev_u32_e32 v9, 28, v8
	v_bfe_u32 v7, v5, 3, 4
	v_lshlrev_b32_e32 v5, v9, v5
	v_sub_u32_e32 v8, 29, v8
	v_and_b32_e32 v5, 7, v5
	v_cmp_eq_u32_e32 vcc, 0, v7
	v_cndmask_b32_e32 v7, v7, v8, vcc
	v_cndmask_b32_e32 v5, v6, v5, vcc
	v_mov_b32_e32 v6, 0x3b800000
	v_lshlrev_b32_e32 v5, 20, v5
	v_and_b32_e32 v1, 0x80000000, v1
	v_lshl_add_u32 v6, v7, 23, v6
	v_or3_b32 v1, v1, v6, v5
.LBB230_1203:
	s_or_b64 exec, exec, s[6:7]
.LBB230_1204:
	s_mov_b64 s[4:5], -1
.LBB230_1205:
	s_mov_b64 s[6:7], 0
.LBB230_1206:
	s_and_b64 vcc, exec, s[6:7]
	s_cbranch_vccz .LBB230_1241
; %bb.1207:
	v_cmp_lt_i16_e32 vcc, 22, v4
	s_cbranch_vccz .LBB230_1217
; %bb.1208:
	v_cmp_gt_i16_e32 vcc, 24, v4
	s_cbranch_vccnz .LBB230_1220
; %bb.1209:
	v_cmp_lt_i16_e32 vcc, 24, v4
	s_cbranch_vccz .LBB230_1221
; %bb.1210:
	global_load_ubyte v5, v[2:3], off
	s_movk_i32 s4, 0x7f
                                        ; implicit-def: $sgpr10
	s_waitcnt vmcnt(0)
	v_cmp_lt_i16_e32 vcc, s4, v5
	s_mov_b64 s[4:5], 0
	s_and_saveexec_b64 s[6:7], vcc
	s_xor_b64 s[6:7], exec, s[6:7]
	s_cbranch_execz .LBB230_1233
; %bb.1211:
	s_movk_i32 s4, 0x80
	v_cmp_eq_u16_e32 vcc, s4, v5
	s_mov_b64 s[4:5], -1
                                        ; implicit-def: $sgpr10
	s_and_saveexec_b64 s[8:9], vcc
; %bb.1212:
	s_mov_b32 s10, 0x7f800001
	s_xor_b64 s[4:5], exec, -1
; %bb.1213:
	s_or_b64 exec, exec, s[8:9]
	s_and_b64 s[4:5], s[4:5], exec
	s_or_saveexec_b64 s[6:7], s[6:7]
	v_mov_b32_e32 v1, s10
	s_xor_b64 exec, exec, s[6:7]
	s_cbranch_execnz .LBB230_1234
.LBB230_1214:
	s_or_b64 exec, exec, s[6:7]
	s_and_saveexec_b64 s[6:7], s[4:5]
	s_cbranch_execz .LBB230_1216
.LBB230_1215:
	v_lshlrev_b32_e32 v1, 24, v5
	v_and_b32_e32 v5, 0xffff, v5
	v_and_b32_e32 v6, 3, v5
	v_ffbh_u32_e32 v8, v6
	v_min_u32_e32 v8, 32, v8
	v_subrev_u32_e32 v9, 29, v8
	v_bfe_u32 v7, v5, 2, 5
	v_lshlrev_b32_e32 v5, v9, v5
	v_sub_u32_e32 v8, 30, v8
	v_and_b32_e32 v5, 3, v5
	v_cmp_eq_u32_e32 vcc, 0, v7
	v_cndmask_b32_e32 v7, v7, v8, vcc
	v_cndmask_b32_e32 v5, v6, v5, vcc
	v_mov_b32_e32 v6, 0x37800000
	v_lshlrev_b32_e32 v5, 21, v5
	v_and_b32_e32 v1, 0x80000000, v1
	v_lshl_add_u32 v6, v7, 23, v6
	v_or3_b32 v1, v1, v6, v5
.LBB230_1216:
	s_or_b64 exec, exec, s[6:7]
	s_mov_b64 s[4:5], 0
	s_branch .LBB230_1222
.LBB230_1217:
	s_mov_b64 s[6:7], -1
                                        ; implicit-def: $vgpr1
	s_branch .LBB230_1228
.LBB230_1218:
	s_or_saveexec_b64 s[6:7], s[6:7]
	v_mov_b32_e32 v1, s10
	s_xor_b64 exec, exec, s[6:7]
	s_cbranch_execz .LBB230_1201
.LBB230_1219:
	v_cmp_ne_u16_e32 vcc, 0, v5
	s_andn2_b64 s[4:5], s[4:5], exec
	s_and_b64 s[8:9], vcc, exec
	v_mov_b32_e32 v1, 0
	s_or_b64 s[4:5], s[4:5], s[8:9]
	s_or_b64 exec, exec, s[6:7]
	s_and_saveexec_b64 s[6:7], s[4:5]
	s_cbranch_execnz .LBB230_1202
	s_branch .LBB230_1203
.LBB230_1220:
	s_mov_b64 s[4:5], -1
                                        ; implicit-def: $vgpr1
	s_branch .LBB230_1225
.LBB230_1221:
	s_mov_b64 s[4:5], -1
                                        ; implicit-def: $vgpr1
.LBB230_1222:
	s_and_b64 vcc, exec, s[4:5]
	s_cbranch_vccz .LBB230_1224
; %bb.1223:
	global_load_ubyte v1, v[2:3], off
	s_mov_b32 s4, 0x7f800000
	s_waitcnt vmcnt(0)
	v_lshlrev_b32_e32 v1, 24, v1
	v_and_b32_e32 v5, 0x7f000000, v1
	v_ffbh_u32_e32 v6, v5
	v_min_u32_e32 v6, 32, v6
	v_sub_u32_e64 v6, v6, 4 clamp
	v_lshlrev_b32_e32 v8, v6, v5
	v_lshlrev_b32_e32 v6, 23, v6
	v_lshrrev_b32_e32 v8, 4, v8
	v_add_u32_e32 v7, 0x1000000, v5
	v_sub_u32_e32 v6, v8, v6
	v_ashrrev_i32_e32 v7, 8, v7
	v_add_u32_e32 v6, 0x3c000000, v6
	v_and_or_b32 v6, v7, s4, v6
	v_cmp_ne_u32_e32 vcc, 0, v5
	v_cndmask_b32_e32 v5, 0, v6, vcc
	s_brev_b32 s4, 1
	v_and_or_b32 v1, v1, s4, v5
.LBB230_1224:
	s_mov_b64 s[4:5], 0
.LBB230_1225:
	s_andn2_b64 vcc, exec, s[4:5]
	s_cbranch_vccnz .LBB230_1227
; %bb.1226:
	global_load_ubyte v1, v[2:3], off
	s_movk_i32 s4, 0x7f00
	s_brev_b32 s5, 16
	s_waitcnt vmcnt(0)
	v_lshlrev_b16_e32 v5, 8, v1
	v_lshlrev_b32_e32 v1, 25, v1
	v_lshrrev_b32_e32 v6, 4, v1
	v_and_or_b32 v7, v5, s4, 0.5
	v_or_b32_e32 v6, 0x70000000, v6
	v_add_f32_e32 v7, -0.5, v7
	v_mul_f32_e32 v6, 0x7800000, v6
	v_cmp_gt_u32_e32 vcc, s5, v1
	v_bfe_i32 v5, v5, 0, 16
	v_cndmask_b32_e32 v1, v6, v7, vcc
	s_brev_b32 s4, 1
	v_and_or_b32 v1, v5, s4, v1
.LBB230_1227:
	s_mov_b64 s[6:7], 0
	s_mov_b64 s[4:5], -1
.LBB230_1228:
	s_andn2_b64 vcc, exec, s[6:7]
	s_cbranch_vccnz .LBB230_1241
; %bb.1229:
	v_cmp_lt_i16_e32 vcc, 14, v4
	s_cbranch_vccz .LBB230_1232
; %bb.1230:
	v_cmp_eq_u16_e32 vcc, 15, v4
	s_cbranch_vccz .LBB230_1235
; %bb.1231:
	global_load_ushort v1, v[2:3], off
	s_mov_b64 s[4:5], -1
	s_mov_b64 s[72:73], 0
	s_waitcnt vmcnt(0)
	v_lshlrev_b32_e32 v1, 16, v1
	s_branch .LBB230_1236
.LBB230_1232:
	s_mov_b64 s[6:7], -1
                                        ; implicit-def: $vgpr1
	s_branch .LBB230_1237
.LBB230_1233:
	s_or_saveexec_b64 s[6:7], s[6:7]
	v_mov_b32_e32 v1, s10
	s_xor_b64 exec, exec, s[6:7]
	s_cbranch_execz .LBB230_1214
.LBB230_1234:
	v_cmp_ne_u16_e32 vcc, 0, v5
	s_andn2_b64 s[4:5], s[4:5], exec
	s_and_b64 s[8:9], vcc, exec
	v_mov_b32_e32 v1, 0
	s_or_b64 s[4:5], s[4:5], s[8:9]
	s_or_b64 exec, exec, s[6:7]
	s_and_saveexec_b64 s[6:7], s[4:5]
	s_cbranch_execnz .LBB230_1215
	s_branch .LBB230_1216
.LBB230_1235:
	s_mov_b64 s[72:73], -1
                                        ; implicit-def: $vgpr1
.LBB230_1236:
	s_mov_b64 s[6:7], 0
.LBB230_1237:
	s_and_b64 vcc, exec, s[6:7]
	s_cbranch_vccz .LBB230_1241
; %bb.1238:
	v_cmp_eq_u16_e32 vcc, 11, v4
	s_cbranch_vccz .LBB230_1240
; %bb.1239:
	global_load_ubyte v1, v[2:3], off
	s_mov_b64 s[4:5], -1
	s_mov_b64 s[72:73], 0
	s_waitcnt vmcnt(0)
	v_cmp_ne_u16_e32 vcc, 0, v1
	v_cndmask_b32_e64 v1, 0, 1.0, vcc
	s_branch .LBB230_1241
.LBB230_1240:
	s_mov_b64 s[72:73], -1
                                        ; implicit-def: $vgpr1
.LBB230_1241:
	s_mov_b64 s[6:7], 0
.LBB230_1242:
	s_and_b64 vcc, exec, s[6:7]
	s_cbranch_vccz .LBB230_1291
; %bb.1243:
	v_cmp_gt_i16_e32 vcc, 5, v4
	s_cbranch_vccnz .LBB230_1248
; %bb.1244:
	v_cmp_gt_i16_e32 vcc, 8, v4
	s_cbranch_vccnz .LBB230_1249
	;; [unrolled: 3-line block ×3, first 2 shown]
; %bb.1246:
	v_cmp_lt_i16_e32 vcc, 9, v4
	s_cbranch_vccz .LBB230_1251
; %bb.1247:
	global_load_dwordx2 v[6:7], v[2:3], off
	s_mov_b64 s[4:5], 0
	s_waitcnt vmcnt(0)
	v_cvt_f32_f64_e32 v1, v[6:7]
	s_branch .LBB230_1252
.LBB230_1248:
	s_mov_b64 s[4:5], -1
                                        ; implicit-def: $vgpr1
	s_branch .LBB230_1270
.LBB230_1249:
	s_mov_b64 s[4:5], -1
                                        ; implicit-def: $vgpr1
	s_branch .LBB230_1258
.LBB230_1250:
	s_mov_b64 s[4:5], -1
                                        ; implicit-def: $vgpr1
	s_branch .LBB230_1255
.LBB230_1251:
	s_mov_b64 s[4:5], -1
                                        ; implicit-def: $vgpr1
.LBB230_1252:
	s_andn2_b64 vcc, exec, s[4:5]
	s_cbranch_vccnz .LBB230_1254
; %bb.1253:
	global_load_dword v1, v[2:3], off
.LBB230_1254:
	s_mov_b64 s[4:5], 0
.LBB230_1255:
	s_andn2_b64 vcc, exec, s[4:5]
	s_cbranch_vccnz .LBB230_1257
; %bb.1256:
	global_load_dword v1, v[2:3], off
	s_waitcnt vmcnt(0)
	v_cvt_f32_f16_e32 v1, v1
.LBB230_1257:
	s_mov_b64 s[4:5], 0
.LBB230_1258:
	s_andn2_b64 vcc, exec, s[4:5]
	s_cbranch_vccnz .LBB230_1269
; %bb.1259:
	v_cmp_gt_i16_e32 vcc, 6, v4
	s_cbranch_vccnz .LBB230_1262
; %bb.1260:
	v_cmp_lt_i16_e32 vcc, 6, v4
	s_cbranch_vccz .LBB230_1263
; %bb.1261:
	global_load_dwordx2 v[6:7], v[2:3], off
	s_mov_b64 s[4:5], 0
	s_waitcnt vmcnt(0)
	v_cvt_f32_f64_e32 v1, v[6:7]
	s_branch .LBB230_1264
.LBB230_1262:
	s_mov_b64 s[4:5], -1
                                        ; implicit-def: $vgpr1
	s_branch .LBB230_1267
.LBB230_1263:
	s_mov_b64 s[4:5], -1
                                        ; implicit-def: $vgpr1
.LBB230_1264:
	s_andn2_b64 vcc, exec, s[4:5]
	s_cbranch_vccnz .LBB230_1266
; %bb.1265:
	global_load_dword v1, v[2:3], off
.LBB230_1266:
	s_mov_b64 s[4:5], 0
.LBB230_1267:
	s_andn2_b64 vcc, exec, s[4:5]
	s_cbranch_vccnz .LBB230_1269
; %bb.1268:
	global_load_ushort v1, v[2:3], off
	s_waitcnt vmcnt(0)
	v_cvt_f32_f16_e32 v1, v1
.LBB230_1269:
	s_mov_b64 s[4:5], 0
.LBB230_1270:
	s_andn2_b64 vcc, exec, s[4:5]
	s_cbranch_vccnz .LBB230_1290
; %bb.1271:
	v_cmp_gt_i16_e32 vcc, 2, v4
	s_cbranch_vccnz .LBB230_1275
; %bb.1272:
	v_cmp_gt_i16_e32 vcc, 3, v4
	s_cbranch_vccnz .LBB230_1276
; %bb.1273:
	v_cmp_lt_i16_e32 vcc, 3, v4
	s_cbranch_vccz .LBB230_1277
; %bb.1274:
	global_load_dwordx2 v[6:7], v[2:3], off
	s_mov_b64 s[4:5], 0
	s_waitcnt vmcnt(0)
	v_xor_b32_e32 v5, v6, v7
	v_ffbh_i32_e32 v1, v7
	v_ashrrev_i32_e32 v5, 31, v5
	v_add_u32_e32 v1, -1, v1
	v_add_u32_e32 v5, 32, v5
	v_min_u32_e32 v1, v1, v5
	v_lshlrev_b64 v[6:7], v1, v[6:7]
	v_min_u32_e32 v5, 1, v6
	v_or_b32_e32 v5, v7, v5
	v_cvt_f32_i32_e32 v5, v5
	v_sub_u32_e32 v1, 32, v1
	v_ldexp_f32 v1, v5, v1
	s_branch .LBB230_1278
.LBB230_1275:
	s_mov_b64 s[4:5], -1
                                        ; implicit-def: $vgpr1
	s_branch .LBB230_1284
.LBB230_1276:
	s_mov_b64 s[4:5], -1
                                        ; implicit-def: $vgpr1
	s_branch .LBB230_1281
.LBB230_1277:
	s_mov_b64 s[4:5], -1
                                        ; implicit-def: $vgpr1
.LBB230_1278:
	s_andn2_b64 vcc, exec, s[4:5]
	s_cbranch_vccnz .LBB230_1280
; %bb.1279:
	global_load_dword v1, v[2:3], off
	s_waitcnt vmcnt(0)
	v_cvt_f32_i32_e32 v1, v1
.LBB230_1280:
	s_mov_b64 s[4:5], 0
.LBB230_1281:
	s_andn2_b64 vcc, exec, s[4:5]
	s_cbranch_vccnz .LBB230_1283
; %bb.1282:
	global_load_sshort v1, v[2:3], off
	s_waitcnt vmcnt(0)
	v_cvt_f32_i32_e32 v1, v1
.LBB230_1283:
	s_mov_b64 s[4:5], 0
.LBB230_1284:
	s_andn2_b64 vcc, exec, s[4:5]
	s_cbranch_vccnz .LBB230_1290
; %bb.1285:
	v_cmp_lt_i16_e32 vcc, 0, v4
	s_cbranch_vccz .LBB230_1287
; %bb.1286:
	global_load_sbyte v1, v[2:3], off
	s_mov_b64 s[4:5], 0
	s_waitcnt vmcnt(0)
	v_cvt_f32_i32_e32 v1, v1
	s_branch .LBB230_1288
.LBB230_1287:
	s_mov_b64 s[4:5], -1
                                        ; implicit-def: $vgpr1
.LBB230_1288:
	s_andn2_b64 vcc, exec, s[4:5]
	s_cbranch_vccnz .LBB230_1290
; %bb.1289:
	global_load_ubyte v1, v[2:3], off
	s_waitcnt vmcnt(0)
	v_cvt_f32_ubyte0_e32 v1, v1
.LBB230_1290:
	s_mov_b64 s[4:5], -1
.LBB230_1291:
	s_andn2_b64 vcc, exec, s[4:5]
	s_cbranch_vccnz .LBB230_1299
; %bb.1292:
	v_mul_lo_u32 v2, v48, s47
	v_ashrrev_i32_e32 v3, 31, v2
	v_mov_b32_e32 v5, s43
	v_add_co_u32_e32 v4, vcc, s42, v2
	v_addc_co_u32_e32 v5, vcc, v5, v3, vcc
	v_cmp_gt_i16_e32 vcc, 11, v49
	s_cbranch_vccnz .LBB230_1300
; %bb.1293:
	v_cmp_lt_i16_e32 vcc, 25, v49
	s_cbranch_vccz .LBB230_1301
; %bb.1294:
	v_cmp_lt_i16_e32 vcc, 28, v49
	s_cbranch_vccz .LBB230_1302
	;; [unrolled: 3-line block ×4, first 2 shown]
; %bb.1297:
	v_cmp_eq_u16_e32 vcc, 46, v49
	s_mov_b64 s[6:7], 0
	s_cbranch_vccz .LBB230_1307
; %bb.1298:
	global_load_dword v2, v[4:5], off
	s_mov_b64 s[4:5], -1
	s_mov_b64 s[74:75], 0
	s_waitcnt vmcnt(0)
	v_lshlrev_b32_e32 v2, 16, v2
	s_branch .LBB230_1308
.LBB230_1299:
	s_mov_b64 s[12:13], 0
                                        ; implicit-def: $vgpr48
	s_mov_b64 s[4:5], s[64:65]
	s_mov_b64 s[74:75], s[62:63]
	s_branch .LBB230_1546
.LBB230_1300:
	s_mov_b64 s[6:7], -1
	s_mov_b64 s[4:5], 0
                                        ; implicit-def: $vgpr2
	s_mov_b64 s[74:75], s[62:63]
	s_branch .LBB230_1373
.LBB230_1301:
	s_mov_b64 s[6:7], -1
	s_mov_b64 s[4:5], 0
	s_mov_b64 s[74:75], s[62:63]
                                        ; implicit-def: $vgpr2
	s_branch .LBB230_1337
.LBB230_1302:
	s_mov_b64 s[6:7], -1
	s_mov_b64 s[4:5], 0
	s_mov_b64 s[74:75], s[62:63]
                                        ; implicit-def: $vgpr2
	s_branch .LBB230_1318
.LBB230_1303:
	s_mov_b64 s[6:7], -1
	s_mov_b64 s[4:5], 0
	s_mov_b64 s[74:75], s[62:63]
                                        ; implicit-def: $vgpr2
	s_branch .LBB230_1313
.LBB230_1304:
	s_mov_b64 s[6:7], -1
	s_mov_b64 s[4:5], 0
	s_mov_b64 s[74:75], s[62:63]
                                        ; implicit-def: $vgpr2
	s_branch .LBB230_1308
.LBB230_1305:
	s_or_saveexec_b64 s[10:11], s[10:11]
                                        ; implicit-def: $sgpr12
	s_xor_b64 exec, exec, s[10:11]
	s_cbranch_execz .LBB230_952
.LBB230_1306:
	s_mov_b32 s12, 0x42800000
	v_add_f32_e64 v1, |v0|, s12
	v_and_b32_e32 v1, 0xff, v1
	v_cmp_ne_u32_e32 vcc, 0, v1
	s_andn2_b64 s[8:9], s[8:9], exec
	s_and_b64 s[14:15], vcc, exec
	s_mov_b32 s12, 0
	s_or_b64 s[8:9], s[8:9], s[14:15]
	s_or_b64 exec, exec, s[10:11]
	v_mov_b32_e32 v4, s12
	s_and_saveexec_b64 s[10:11], s[8:9]
	s_cbranch_execnz .LBB230_953
	s_branch .LBB230_954
.LBB230_1307:
	s_mov_b64 s[74:75], -1
                                        ; implicit-def: $vgpr2
	s_mov_b64 s[4:5], 0
.LBB230_1308:
	s_and_b64 vcc, exec, s[6:7]
	s_cbranch_vccz .LBB230_1312
; %bb.1309:
	v_cmp_eq_u16_e32 vcc, 44, v49
	s_cbranch_vccz .LBB230_1311
; %bb.1310:
	global_load_ubyte v2, v[4:5], off
	s_movk_i32 s6, 0xff
	v_mov_b32_e32 v3, 0x7f800001
	v_mov_b32_e32 v6, 0x400000
	s_mov_b64 s[4:5], -1
	s_mov_b64 s[74:75], 0
	s_waitcnt vmcnt(0)
	v_lshlrev_b32_e32 v7, 23, v2
	v_cmp_ne_u32_e32 vcc, s6, v2
	v_cndmask_b32_e32 v3, v3, v7, vcc
	v_cmp_ne_u32_e32 vcc, 0, v2
	v_cndmask_b32_e32 v2, v6, v3, vcc
	s_branch .LBB230_1312
.LBB230_1311:
	s_mov_b64 s[74:75], -1
                                        ; implicit-def: $vgpr2
.LBB230_1312:
	s_mov_b64 s[6:7], 0
.LBB230_1313:
	s_and_b64 vcc, exec, s[6:7]
	s_cbranch_vccz .LBB230_1317
; %bb.1314:
	v_cmp_eq_u16_e32 vcc, 29, v49
	s_cbranch_vccz .LBB230_1316
; %bb.1315:
	global_load_dwordx2 v[2:3], v[4:5], off
	s_mov_b64 s[4:5], -1
	s_mov_b64 s[74:75], 0
	s_mov_b64 s[6:7], 0
	s_waitcnt vmcnt(0)
	v_ffbh_u32_e32 v6, v3
	v_min_u32_e32 v6, 32, v6
	v_lshlrev_b64 v[2:3], v6, v[2:3]
	v_min_u32_e32 v2, 1, v2
	v_or_b32_e32 v2, v3, v2
	v_cvt_f32_u32_e32 v2, v2
	v_sub_u32_e32 v3, 32, v6
	v_ldexp_f32 v2, v2, v3
	s_branch .LBB230_1318
.LBB230_1316:
	s_mov_b64 s[74:75], -1
                                        ; implicit-def: $vgpr2
.LBB230_1317:
	s_mov_b64 s[6:7], 0
.LBB230_1318:
	s_and_b64 vcc, exec, s[6:7]
	s_cbranch_vccz .LBB230_1336
; %bb.1319:
	v_cmp_gt_i16_e32 vcc, 27, v49
	s_cbranch_vccnz .LBB230_1322
; %bb.1320:
	v_cmp_lt_i16_e32 vcc, 27, v49
	s_cbranch_vccz .LBB230_1323
; %bb.1321:
	global_load_dword v2, v[4:5], off
	s_mov_b64 s[4:5], 0
	s_waitcnt vmcnt(0)
	v_cvt_f32_u32_e32 v2, v2
	s_branch .LBB230_1324
.LBB230_1322:
	s_mov_b64 s[4:5], -1
                                        ; implicit-def: $vgpr2
	s_branch .LBB230_1327
.LBB230_1323:
	s_mov_b64 s[4:5], -1
                                        ; implicit-def: $vgpr2
.LBB230_1324:
	s_andn2_b64 vcc, exec, s[4:5]
	s_cbranch_vccnz .LBB230_1326
; %bb.1325:
	global_load_ushort v2, v[4:5], off
	s_waitcnt vmcnt(0)
	v_cvt_f32_u32_e32 v2, v2
.LBB230_1326:
	s_mov_b64 s[4:5], 0
.LBB230_1327:
	s_andn2_b64 vcc, exec, s[4:5]
	s_cbranch_vccnz .LBB230_1335
; %bb.1328:
	global_load_ubyte v3, v[4:5], off
	s_movk_i32 s4, 0x7f
                                        ; implicit-def: $sgpr10
	s_waitcnt vmcnt(0)
	v_cmp_lt_i16_e32 vcc, s4, v3
	s_mov_b64 s[4:5], 0
	s_and_saveexec_b64 s[6:7], vcc
	s_xor_b64 s[6:7], exec, s[6:7]
	s_cbranch_execz .LBB230_1349
; %bb.1329:
	s_movk_i32 s4, 0x80
	v_cmp_eq_u16_e32 vcc, s4, v3
	s_mov_b64 s[4:5], -1
                                        ; implicit-def: $sgpr10
	s_and_saveexec_b64 s[8:9], vcc
; %bb.1330:
	s_mov_b32 s10, 0x7f800001
	s_xor_b64 s[4:5], exec, -1
; %bb.1331:
	s_or_b64 exec, exec, s[8:9]
	s_and_b64 s[4:5], s[4:5], exec
	s_or_saveexec_b64 s[6:7], s[6:7]
	v_mov_b32_e32 v2, s10
	s_xor_b64 exec, exec, s[6:7]
	s_cbranch_execnz .LBB230_1350
.LBB230_1332:
	s_or_b64 exec, exec, s[6:7]
	s_and_saveexec_b64 s[6:7], s[4:5]
	s_cbranch_execz .LBB230_1334
.LBB230_1333:
	v_lshlrev_b32_e32 v2, 24, v3
	v_and_b32_e32 v3, 0xffff, v3
	v_and_b32_e32 v6, 7, v3
	v_ffbh_u32_e32 v8, v6
	v_min_u32_e32 v8, 32, v8
	v_subrev_u32_e32 v9, 28, v8
	v_bfe_u32 v7, v3, 3, 4
	v_lshlrev_b32_e32 v3, v9, v3
	v_sub_u32_e32 v8, 29, v8
	v_and_b32_e32 v3, 7, v3
	v_cmp_eq_u32_e32 vcc, 0, v7
	v_cndmask_b32_e32 v7, v7, v8, vcc
	v_cndmask_b32_e32 v3, v6, v3, vcc
	v_mov_b32_e32 v6, 0x3b800000
	v_lshlrev_b32_e32 v3, 20, v3
	v_and_b32_e32 v2, 0x80000000, v2
	v_lshl_add_u32 v6, v7, 23, v6
	v_or3_b32 v2, v2, v6, v3
.LBB230_1334:
	s_or_b64 exec, exec, s[6:7]
.LBB230_1335:
	s_mov_b64 s[4:5], -1
.LBB230_1336:
	s_mov_b64 s[6:7], 0
.LBB230_1337:
	s_and_b64 vcc, exec, s[6:7]
	s_cbranch_vccz .LBB230_1372
; %bb.1338:
	v_cmp_lt_i16_e32 vcc, 22, v49
	s_cbranch_vccz .LBB230_1348
; %bb.1339:
	v_cmp_gt_i16_e32 vcc, 24, v49
	s_cbranch_vccnz .LBB230_1351
; %bb.1340:
	v_cmp_lt_i16_e32 vcc, 24, v49
	s_cbranch_vccz .LBB230_1352
; %bb.1341:
	global_load_ubyte v3, v[4:5], off
	s_movk_i32 s4, 0x7f
                                        ; implicit-def: $sgpr10
	s_waitcnt vmcnt(0)
	v_cmp_lt_i16_e32 vcc, s4, v3
	s_mov_b64 s[4:5], 0
	s_and_saveexec_b64 s[6:7], vcc
	s_xor_b64 s[6:7], exec, s[6:7]
	s_cbranch_execz .LBB230_1364
; %bb.1342:
	s_movk_i32 s4, 0x80
	v_cmp_eq_u16_e32 vcc, s4, v3
	s_mov_b64 s[4:5], -1
                                        ; implicit-def: $sgpr10
	s_and_saveexec_b64 s[8:9], vcc
; %bb.1343:
	s_mov_b32 s10, 0x7f800001
	s_xor_b64 s[4:5], exec, -1
; %bb.1344:
	s_or_b64 exec, exec, s[8:9]
	s_and_b64 s[4:5], s[4:5], exec
	s_or_saveexec_b64 s[6:7], s[6:7]
	v_mov_b32_e32 v2, s10
	s_xor_b64 exec, exec, s[6:7]
	s_cbranch_execnz .LBB230_1365
.LBB230_1345:
	s_or_b64 exec, exec, s[6:7]
	s_and_saveexec_b64 s[6:7], s[4:5]
	s_cbranch_execz .LBB230_1347
.LBB230_1346:
	v_lshlrev_b32_e32 v2, 24, v3
	v_and_b32_e32 v3, 0xffff, v3
	v_and_b32_e32 v6, 3, v3
	v_ffbh_u32_e32 v8, v6
	v_min_u32_e32 v8, 32, v8
	v_subrev_u32_e32 v9, 29, v8
	v_bfe_u32 v7, v3, 2, 5
	v_lshlrev_b32_e32 v3, v9, v3
	v_sub_u32_e32 v8, 30, v8
	v_and_b32_e32 v3, 3, v3
	v_cmp_eq_u32_e32 vcc, 0, v7
	v_cndmask_b32_e32 v7, v7, v8, vcc
	v_cndmask_b32_e32 v3, v6, v3, vcc
	v_mov_b32_e32 v6, 0x37800000
	v_lshlrev_b32_e32 v3, 21, v3
	v_and_b32_e32 v2, 0x80000000, v2
	v_lshl_add_u32 v6, v7, 23, v6
	v_or3_b32 v2, v2, v6, v3
.LBB230_1347:
	s_or_b64 exec, exec, s[6:7]
	s_mov_b64 s[4:5], 0
	s_branch .LBB230_1353
.LBB230_1348:
	s_mov_b64 s[6:7], -1
                                        ; implicit-def: $vgpr2
	s_branch .LBB230_1359
.LBB230_1349:
	s_or_saveexec_b64 s[6:7], s[6:7]
	v_mov_b32_e32 v2, s10
	s_xor_b64 exec, exec, s[6:7]
	s_cbranch_execz .LBB230_1332
.LBB230_1350:
	v_cmp_ne_u16_e32 vcc, 0, v3
	s_andn2_b64 s[4:5], s[4:5], exec
	s_and_b64 s[8:9], vcc, exec
	v_mov_b32_e32 v2, 0
	s_or_b64 s[4:5], s[4:5], s[8:9]
	s_or_b64 exec, exec, s[6:7]
	s_and_saveexec_b64 s[6:7], s[4:5]
	s_cbranch_execnz .LBB230_1333
	s_branch .LBB230_1334
.LBB230_1351:
	s_mov_b64 s[4:5], -1
                                        ; implicit-def: $vgpr2
	s_branch .LBB230_1356
.LBB230_1352:
	s_mov_b64 s[4:5], -1
                                        ; implicit-def: $vgpr2
.LBB230_1353:
	s_and_b64 vcc, exec, s[4:5]
	s_cbranch_vccz .LBB230_1355
; %bb.1354:
	global_load_ubyte v2, v[4:5], off
	s_mov_b32 s4, 0x7f800000
	s_waitcnt vmcnt(0)
	v_lshlrev_b32_e32 v2, 24, v2
	v_and_b32_e32 v3, 0x7f000000, v2
	v_ffbh_u32_e32 v6, v3
	v_min_u32_e32 v6, 32, v6
	v_sub_u32_e64 v6, v6, 4 clamp
	v_lshlrev_b32_e32 v8, v6, v3
	v_lshlrev_b32_e32 v6, 23, v6
	v_lshrrev_b32_e32 v8, 4, v8
	v_add_u32_e32 v7, 0x1000000, v3
	v_sub_u32_e32 v6, v8, v6
	v_ashrrev_i32_e32 v7, 8, v7
	v_add_u32_e32 v6, 0x3c000000, v6
	v_and_or_b32 v6, v7, s4, v6
	v_cmp_ne_u32_e32 vcc, 0, v3
	v_cndmask_b32_e32 v3, 0, v6, vcc
	s_brev_b32 s4, 1
	v_and_or_b32 v2, v2, s4, v3
.LBB230_1355:
	s_mov_b64 s[4:5], 0
.LBB230_1356:
	s_andn2_b64 vcc, exec, s[4:5]
	s_cbranch_vccnz .LBB230_1358
; %bb.1357:
	global_load_ubyte v2, v[4:5], off
	s_movk_i32 s4, 0x7f00
	s_brev_b32 s5, 16
	s_waitcnt vmcnt(0)
	v_lshlrev_b16_e32 v3, 8, v2
	v_lshlrev_b32_e32 v2, 25, v2
	v_lshrrev_b32_e32 v6, 4, v2
	v_and_or_b32 v7, v3, s4, 0.5
	v_or_b32_e32 v6, 0x70000000, v6
	v_add_f32_e32 v7, -0.5, v7
	v_mul_f32_e32 v6, 0x7800000, v6
	v_cmp_gt_u32_e32 vcc, s5, v2
	v_bfe_i32 v3, v3, 0, 16
	v_cndmask_b32_e32 v2, v6, v7, vcc
	s_brev_b32 s4, 1
	v_and_or_b32 v2, v3, s4, v2
.LBB230_1358:
	s_mov_b64 s[6:7], 0
	s_mov_b64 s[4:5], -1
.LBB230_1359:
	s_andn2_b64 vcc, exec, s[6:7]
	s_cbranch_vccnz .LBB230_1372
; %bb.1360:
	v_cmp_lt_i16_e32 vcc, 14, v49
	s_cbranch_vccz .LBB230_1363
; %bb.1361:
	v_cmp_eq_u16_e32 vcc, 15, v49
	s_cbranch_vccz .LBB230_1366
; %bb.1362:
	global_load_ushort v2, v[4:5], off
	s_mov_b64 s[4:5], -1
	s_mov_b64 s[74:75], 0
	s_waitcnt vmcnt(0)
	v_lshlrev_b32_e32 v2, 16, v2
	s_branch .LBB230_1367
.LBB230_1363:
	s_mov_b64 s[6:7], -1
                                        ; implicit-def: $vgpr2
	s_branch .LBB230_1368
.LBB230_1364:
	s_or_saveexec_b64 s[6:7], s[6:7]
	v_mov_b32_e32 v2, s10
	s_xor_b64 exec, exec, s[6:7]
	s_cbranch_execz .LBB230_1345
.LBB230_1365:
	v_cmp_ne_u16_e32 vcc, 0, v3
	s_andn2_b64 s[4:5], s[4:5], exec
	s_and_b64 s[8:9], vcc, exec
	v_mov_b32_e32 v2, 0
	s_or_b64 s[4:5], s[4:5], s[8:9]
	s_or_b64 exec, exec, s[6:7]
	s_and_saveexec_b64 s[6:7], s[4:5]
	s_cbranch_execnz .LBB230_1346
	s_branch .LBB230_1347
.LBB230_1366:
	s_mov_b64 s[74:75], -1
                                        ; implicit-def: $vgpr2
.LBB230_1367:
	s_mov_b64 s[6:7], 0
.LBB230_1368:
	s_and_b64 vcc, exec, s[6:7]
	s_cbranch_vccz .LBB230_1372
; %bb.1369:
	v_cmp_eq_u16_e32 vcc, 11, v49
	s_cbranch_vccz .LBB230_1371
; %bb.1370:
	global_load_ubyte v2, v[4:5], off
	s_mov_b64 s[4:5], -1
	s_mov_b64 s[74:75], 0
	s_waitcnt vmcnt(0)
	v_cmp_ne_u16_e32 vcc, 0, v2
	v_cndmask_b32_e64 v2, 0, 1.0, vcc
	s_branch .LBB230_1372
.LBB230_1371:
	s_mov_b64 s[74:75], -1
                                        ; implicit-def: $vgpr2
.LBB230_1372:
	s_mov_b64 s[6:7], 0
.LBB230_1373:
	s_and_b64 vcc, exec, s[6:7]
	s_cbranch_vccz .LBB230_1422
; %bb.1374:
	v_cmp_gt_i16_e32 vcc, 5, v49
	s_cbranch_vccnz .LBB230_1379
; %bb.1375:
	v_cmp_gt_i16_e32 vcc, 8, v49
	s_cbranch_vccnz .LBB230_1380
	;; [unrolled: 3-line block ×3, first 2 shown]
; %bb.1377:
	v_cmp_lt_i16_e32 vcc, 9, v49
	s_cbranch_vccz .LBB230_1382
; %bb.1378:
	global_load_dwordx2 v[2:3], v[4:5], off
	s_mov_b64 s[4:5], 0
	s_waitcnt vmcnt(0)
	v_cvt_f32_f64_e32 v2, v[2:3]
	s_branch .LBB230_1383
.LBB230_1379:
	s_mov_b64 s[4:5], -1
                                        ; implicit-def: $vgpr2
	s_branch .LBB230_1401
.LBB230_1380:
	s_mov_b64 s[4:5], -1
                                        ; implicit-def: $vgpr2
	s_branch .LBB230_1389
.LBB230_1381:
	s_mov_b64 s[4:5], -1
                                        ; implicit-def: $vgpr2
	s_branch .LBB230_1386
.LBB230_1382:
	s_mov_b64 s[4:5], -1
                                        ; implicit-def: $vgpr2
.LBB230_1383:
	s_andn2_b64 vcc, exec, s[4:5]
	s_cbranch_vccnz .LBB230_1385
; %bb.1384:
	global_load_dword v2, v[4:5], off
.LBB230_1385:
	s_mov_b64 s[4:5], 0
.LBB230_1386:
	s_andn2_b64 vcc, exec, s[4:5]
	s_cbranch_vccnz .LBB230_1388
; %bb.1387:
	global_load_dword v2, v[4:5], off
	s_waitcnt vmcnt(0)
	v_cvt_f32_f16_e32 v2, v2
.LBB230_1388:
	s_mov_b64 s[4:5], 0
.LBB230_1389:
	s_andn2_b64 vcc, exec, s[4:5]
	s_cbranch_vccnz .LBB230_1400
; %bb.1390:
	v_cmp_gt_i16_e32 vcc, 6, v49
	s_cbranch_vccnz .LBB230_1393
; %bb.1391:
	v_cmp_lt_i16_e32 vcc, 6, v49
	s_cbranch_vccz .LBB230_1394
; %bb.1392:
	global_load_dwordx2 v[2:3], v[4:5], off
	s_mov_b64 s[4:5], 0
	s_waitcnt vmcnt(0)
	v_cvt_f32_f64_e32 v2, v[2:3]
	s_branch .LBB230_1395
.LBB230_1393:
	s_mov_b64 s[4:5], -1
                                        ; implicit-def: $vgpr2
	s_branch .LBB230_1398
.LBB230_1394:
	s_mov_b64 s[4:5], -1
                                        ; implicit-def: $vgpr2
.LBB230_1395:
	s_andn2_b64 vcc, exec, s[4:5]
	s_cbranch_vccnz .LBB230_1397
; %bb.1396:
	global_load_dword v2, v[4:5], off
.LBB230_1397:
	s_mov_b64 s[4:5], 0
.LBB230_1398:
	s_andn2_b64 vcc, exec, s[4:5]
	s_cbranch_vccnz .LBB230_1400
; %bb.1399:
	global_load_ushort v2, v[4:5], off
	s_waitcnt vmcnt(0)
	v_cvt_f32_f16_e32 v2, v2
.LBB230_1400:
	s_mov_b64 s[4:5], 0
.LBB230_1401:
	s_andn2_b64 vcc, exec, s[4:5]
	s_cbranch_vccnz .LBB230_1421
; %bb.1402:
	v_cmp_gt_i16_e32 vcc, 2, v49
	s_cbranch_vccnz .LBB230_1406
; %bb.1403:
	v_cmp_gt_i16_e32 vcc, 3, v49
	s_cbranch_vccnz .LBB230_1407
; %bb.1404:
	v_cmp_lt_i16_e32 vcc, 3, v49
	s_cbranch_vccz .LBB230_1408
; %bb.1405:
	global_load_dwordx2 v[2:3], v[4:5], off
	s_mov_b64 s[4:5], 0
	s_waitcnt vmcnt(0)
	v_xor_b32_e32 v7, v2, v3
	v_ffbh_i32_e32 v6, v3
	v_ashrrev_i32_e32 v7, 31, v7
	v_add_u32_e32 v6, -1, v6
	v_add_u32_e32 v7, 32, v7
	v_min_u32_e32 v6, v6, v7
	v_lshlrev_b64 v[2:3], v6, v[2:3]
	v_min_u32_e32 v2, 1, v2
	v_or_b32_e32 v2, v3, v2
	v_cvt_f32_i32_e32 v2, v2
	v_sub_u32_e32 v3, 32, v6
	v_ldexp_f32 v2, v2, v3
	s_branch .LBB230_1409
.LBB230_1406:
	s_mov_b64 s[4:5], -1
                                        ; implicit-def: $vgpr2
	s_branch .LBB230_1415
.LBB230_1407:
	s_mov_b64 s[4:5], -1
                                        ; implicit-def: $vgpr2
	s_branch .LBB230_1412
.LBB230_1408:
	s_mov_b64 s[4:5], -1
                                        ; implicit-def: $vgpr2
.LBB230_1409:
	s_andn2_b64 vcc, exec, s[4:5]
	s_cbranch_vccnz .LBB230_1411
; %bb.1410:
	global_load_dword v2, v[4:5], off
	s_waitcnt vmcnt(0)
	v_cvt_f32_i32_e32 v2, v2
.LBB230_1411:
	s_mov_b64 s[4:5], 0
.LBB230_1412:
	s_andn2_b64 vcc, exec, s[4:5]
	s_cbranch_vccnz .LBB230_1414
; %bb.1413:
	global_load_sshort v2, v[4:5], off
	s_waitcnt vmcnt(0)
	v_cvt_f32_i32_e32 v2, v2
.LBB230_1414:
	s_mov_b64 s[4:5], 0
.LBB230_1415:
	s_andn2_b64 vcc, exec, s[4:5]
	s_cbranch_vccnz .LBB230_1421
; %bb.1416:
	v_cmp_lt_i16_e32 vcc, 0, v49
	s_cbranch_vccz .LBB230_1418
; %bb.1417:
	global_load_sbyte v2, v[4:5], off
	s_mov_b64 s[4:5], 0
	s_waitcnt vmcnt(0)
	v_cvt_f32_i32_e32 v2, v2
	s_branch .LBB230_1419
.LBB230_1418:
	s_mov_b64 s[4:5], -1
                                        ; implicit-def: $vgpr2
.LBB230_1419:
	s_andn2_b64 vcc, exec, s[4:5]
	s_cbranch_vccnz .LBB230_1421
; %bb.1420:
	global_load_ubyte v2, v[4:5], off
	s_waitcnt vmcnt(0)
	v_cvt_f32_ubyte0_e32 v2, v2
.LBB230_1421:
	s_mov_b64 s[4:5], -1
.LBB230_1422:
	s_andn2_b64 vcc, exec, s[4:5]
	s_cbranch_vccnz .LBB230_1430
; %bb.1423:
	s_getpc_b64 s[4:5]
	s_add_u32 s4, s4, _ZZZZN2at6native28launch_dirichlet_grad_kernelERNS_18TensorIteratorBaseEENKUlvE_clEvENKUlvE0_clEvENKUlfffE_clEfff@rel32@lo+4
	s_addc_u32 s5, s5, _ZZZZN2at6native28launch_dirichlet_grad_kernelERNS_18TensorIteratorBaseEENKUlvE_clEvENKUlvE0_clEvENKUlfffE_clEfff@rel32@hi+12
	s_swappc_b64 s[30:31], s[4:5]
	v_mul_lo_u32 v1, v48, s44
	v_ashrrev_i32_e32 v3, 31, v1
	v_mov_b32_e32 v4, s37
	v_add_co_u32_e32 v2, vcc, s36, v1
	v_mov_b32_e32 v1, 11
	v_addc_co_u32_e32 v3, vcc, v4, v3, vcc
	v_cmp_lt_i16_sdwa s[4:5], v47, v1 src0_sel:BYTE_0 src1_sel:DWORD
	s_and_b64 vcc, exec, s[4:5]
	s_cbranch_vccnz .LBB230_1431
; %bb.1424:
	v_mov_b32_e32 v1, 25
	v_cmp_gt_i16_sdwa s[4:5], v47, v1 src0_sel:BYTE_0 src1_sel:DWORD
	s_and_b64 vcc, exec, s[4:5]
	s_cbranch_vccz .LBB230_1432
; %bb.1425:
	v_mov_b32_e32 v1, 28
	v_cmp_gt_i16_sdwa s[4:5], v47, v1 src0_sel:BYTE_0 src1_sel:DWORD
	s_and_b64 vcc, exec, s[4:5]
	s_cbranch_vccz .LBB230_1433
	;; [unrolled: 5-line block ×4, first 2 shown]
; %bb.1428:
	v_mov_b32_e32 v1, 46
	v_cmp_eq_u16_sdwa s[6:7], v47, v1 src0_sel:BYTE_0 src1_sel:DWORD
	s_mov_b64 s[8:9], 0
	s_mov_b64 s[4:5], -1
	s_and_b64 vcc, exec, s[6:7]
	s_mov_b64 s[6:7], 0
	s_cbranch_vccz .LBB230_1436
; %bb.1429:
	v_bfe_u32 v1, v0, 16, 1
	s_movk_i32 s4, 0x7fff
	v_add3_u32 v1, v0, v1, s4
	v_lshrrev_b32_e32 v1, 16, v1
	v_mov_b32_e32 v4, 0x7fc0
	v_cmp_o_f32_e32 vcc, v0, v0
	v_cndmask_b32_e32 v1, v4, v1, vcc
	global_store_dword v[2:3], v1, off
	s_mov_b64 s[6:7], -1
	s_mov_b64 s[4:5], 0
	s_branch .LBB230_1436
.LBB230_1430:
	s_mov_b64 s[12:13], 0
                                        ; implicit-def: $vgpr48
	s_mov_b64 s[4:5], s[64:65]
	s_branch .LBB230_1546
.LBB230_1431:
	s_mov_b64 s[8:9], -1
	s_mov_b64 s[6:7], 0
	s_mov_b64 s[4:5], s[64:65]
	s_branch .LBB230_1505
.LBB230_1432:
	s_mov_b64 s[8:9], -1
	s_mov_b64 s[6:7], 0
	s_mov_b64 s[4:5], s[64:65]
	s_branch .LBB230_1463
.LBB230_1433:
	s_mov_b64 s[8:9], -1
	s_mov_b64 s[6:7], 0
	s_mov_b64 s[4:5], s[64:65]
	s_branch .LBB230_1446
.LBB230_1434:
	s_mov_b64 s[8:9], -1
	s_mov_b64 s[6:7], 0
	s_mov_b64 s[4:5], s[64:65]
	s_branch .LBB230_1442
.LBB230_1435:
	s_mov_b64 s[8:9], -1
	s_mov_b64 s[6:7], 0
	s_mov_b64 s[4:5], s[64:65]
.LBB230_1436:
	s_and_b64 vcc, exec, s[8:9]
	s_cbranch_vccz .LBB230_1441
; %bb.1437:
	v_mov_b32_e32 v1, 44
	v_cmp_eq_u16_sdwa s[8:9], v47, v1 src0_sel:BYTE_0 src1_sel:DWORD
	s_mov_b64 s[4:5], -1
	s_and_b64 vcc, exec, s[8:9]
	s_cbranch_vccz .LBB230_1441
; %bb.1438:
	v_bfe_u32 v1, v0, 23, 8
	s_movk_i32 s4, 0xff
	v_cmp_ne_u32_e32 vcc, s4, v1
	v_mov_b32_e32 v4, 0xff
	s_and_saveexec_b64 s[6:7], vcc
; %bb.1439:
	s_mov_b32 s4, 0x3fffff
	v_and_b32_e32 v5, 0x400000, v0
	v_and_or_b32 v1, v0, s4, v1
	v_cmp_ne_u32_e32 vcc, 0, v5
	v_cmp_ne_u32_e64 s[4:5], 0, v1
	s_and_b64 s[4:5], vcc, s[4:5]
	v_lshrrev_b32_e32 v4, 23, v0
	v_cndmask_b32_e64 v1, 0, 1, s[4:5]
	v_add_u32_e32 v4, v4, v1
; %bb.1440:
	s_or_b64 exec, exec, s[6:7]
	s_mov_b64 s[6:7], -1
	s_mov_b64 s[4:5], 0
	global_store_byte v[2:3], v4, off
.LBB230_1441:
	s_mov_b64 s[8:9], 0
.LBB230_1442:
	s_and_b64 vcc, exec, s[8:9]
	s_cbranch_vccz .LBB230_1445
; %bb.1443:
	v_mov_b32_e32 v1, 29
	v_cmp_eq_u16_sdwa s[8:9], v47, v1 src0_sel:BYTE_0 src1_sel:DWORD
	s_mov_b64 s[4:5], -1
	s_and_b64 vcc, exec, s[8:9]
	s_cbranch_vccz .LBB230_1445
; %bb.1444:
	v_trunc_f32_e32 v1, v0
	v_mul_f32_e32 v4, 0x2f800000, v1
	v_floor_f32_e32 v4, v4
	v_fmac_f32_e32 v1, 0xcf800000, v4
	v_cvt_u32_f32_e32 v5, v4
	v_cvt_u32_f32_e32 v4, v1
	s_mov_b64 s[6:7], -1
	s_mov_b64 s[4:5], 0
	s_mov_b64 s[8:9], 0
	global_store_dwordx2 v[2:3], v[4:5], off
	s_branch .LBB230_1446
.LBB230_1445:
	s_mov_b64 s[8:9], 0
.LBB230_1446:
	s_and_b64 vcc, exec, s[8:9]
	s_cbranch_vccz .LBB230_1462
; %bb.1447:
	v_mov_b32_e32 v1, 27
	v_cmp_lt_i16_sdwa s[8:9], v47, v1 src0_sel:BYTE_0 src1_sel:DWORD
	s_mov_b64 s[6:7], -1
	s_and_b64 vcc, exec, s[8:9]
	s_cbranch_vccnz .LBB230_1453
; %bb.1448:
	v_cmp_gt_i16_sdwa s[8:9], v47, v1 src0_sel:BYTE_0 src1_sel:DWORD
	v_cvt_u32_f32_e32 v1, v0
	s_and_b64 vcc, exec, s[8:9]
	s_cbranch_vccz .LBB230_1450
; %bb.1449:
	s_mov_b64 s[6:7], 0
	global_store_dword v[2:3], v1, off
.LBB230_1450:
	s_andn2_b64 vcc, exec, s[6:7]
	s_cbranch_vccnz .LBB230_1452
; %bb.1451:
	global_store_short v[2:3], v1, off
.LBB230_1452:
	s_mov_b64 s[6:7], 0
.LBB230_1453:
	s_andn2_b64 vcc, exec, s[6:7]
	s_cbranch_vccnz .LBB230_1461
; %bb.1454:
	v_and_b32_e32 v1, 0x7fffffff, v0
	s_mov_b32 s6, 0x43800000
	v_cmp_gt_u32_e32 vcc, s6, v1
	v_mov_b32_e32 v4, 0x80
	s_and_saveexec_b64 s[6:7], vcc
	s_cbranch_execz .LBB230_1460
; %bb.1455:
	s_mov_b32 s8, 0x3bffffff
	v_cmp_lt_u32_e32 vcc, s8, v1
	s_mov_b64 s[8:9], 0
                                        ; implicit-def: $vgpr1
	s_and_saveexec_b64 s[10:11], vcc
	s_xor_b64 s[10:11], exec, s[10:11]
	s_cbranch_execz .LBB230_2710
; %bb.1456:
	v_bfe_u32 v1, v0, 20, 1
	s_mov_b32 s12, 0x487ffff
	v_add3_u32 v1, v0, v1, s12
	s_mov_b64 s[8:9], exec
	v_lshrrev_b32_e32 v1, 20, v1
	s_or_saveexec_b64 s[10:11], s[10:11]
                                        ; implicit-def: $sgpr12
	s_xor_b64 exec, exec, s[10:11]
	s_cbranch_execnz .LBB230_2711
.LBB230_1457:
	s_or_b64 exec, exec, s[10:11]
	v_mov_b32_e32 v4, s12
	s_and_saveexec_b64 s[10:11], s[8:9]
.LBB230_1458:
	v_lshrrev_b32_e32 v4, 24, v0
	s_movk_i32 s8, 0x80
	v_and_or_b32 v4, v4, s8, v1
.LBB230_1459:
	s_or_b64 exec, exec, s[10:11]
.LBB230_1460:
	s_or_b64 exec, exec, s[6:7]
	global_store_byte v[2:3], v4, off
.LBB230_1461:
	s_mov_b64 s[6:7], -1
.LBB230_1462:
	s_mov_b64 s[8:9], 0
.LBB230_1463:
	s_and_b64 vcc, exec, s[8:9]
	s_cbranch_vccz .LBB230_1504
; %bb.1464:
	v_mov_b32_e32 v1, 22
	v_cmp_gt_i16_sdwa s[10:11], v47, v1 src0_sel:BYTE_0 src1_sel:DWORD
	s_mov_b64 s[8:9], -1
	s_and_b64 vcc, exec, s[10:11]
	s_cbranch_vccz .LBB230_1496
; %bb.1465:
	v_mov_b32_e32 v1, 24
	v_cmp_lt_i16_sdwa s[8:9], v47, v1 src0_sel:BYTE_0 src1_sel:DWORD
	s_mov_b64 s[6:7], -1
	s_and_b64 vcc, exec, s[8:9]
	s_cbranch_vccnz .LBB230_1485
; %bb.1466:
	v_cmp_gt_i16_sdwa s[8:9], v47, v1 src0_sel:BYTE_0 src1_sel:DWORD
	s_and_b64 vcc, exec, s[8:9]
	s_cbranch_vccz .LBB230_1474
; %bb.1467:
	v_and_b32_e32 v1, 0x7fffffff, v0
	s_mov_b32 s6, 0x47800000
	v_cmp_gt_u32_e32 vcc, s6, v1
	v_mov_b32_e32 v4, 0x80
	s_and_saveexec_b64 s[6:7], vcc
	s_cbranch_execz .LBB230_1473
; %bb.1468:
	s_mov_b32 s8, 0x37ffffff
	v_cmp_lt_u32_e32 vcc, s8, v1
	s_mov_b64 s[8:9], 0
                                        ; implicit-def: $vgpr1
	s_and_saveexec_b64 s[10:11], vcc
	s_xor_b64 s[10:11], exec, s[10:11]
	s_cbranch_execz .LBB230_2842
; %bb.1469:
	v_bfe_u32 v1, v0, 21, 1
	s_mov_b32 s12, 0x88fffff
	v_add3_u32 v1, v0, v1, s12
	s_mov_b64 s[8:9], exec
	v_lshrrev_b32_e32 v1, 21, v1
	s_or_saveexec_b64 s[10:11], s[10:11]
                                        ; implicit-def: $sgpr12
	s_xor_b64 exec, exec, s[10:11]
	s_cbranch_execnz .LBB230_2843
.LBB230_1470:
	s_or_b64 exec, exec, s[10:11]
	v_mov_b32_e32 v4, s12
	s_and_saveexec_b64 s[10:11], s[8:9]
.LBB230_1471:
	v_lshrrev_b32_e32 v4, 24, v0
	s_movk_i32 s8, 0x80
	v_and_or_b32 v4, v4, s8, v1
.LBB230_1472:
	s_or_b64 exec, exec, s[10:11]
.LBB230_1473:
	s_or_b64 exec, exec, s[6:7]
	s_mov_b64 s[6:7], 0
	global_store_byte v[2:3], v4, off
.LBB230_1474:
	s_and_b64 vcc, exec, s[6:7]
	s_cbranch_vccz .LBB230_1484
; %bb.1475:
	v_and_b32_e32 v4, 0x7fffffff, v0
	s_mov_b32 s6, 0x43f00000
	v_cmp_gt_u32_e32 vcc, s6, v4
                                        ; implicit-def: $vgpr1
	s_and_saveexec_b64 s[6:7], vcc
	s_xor_b64 s[6:7], exec, s[6:7]
	s_cbranch_execz .LBB230_1481
; %bb.1476:
	s_mov_b32 s8, 0x3c7fffff
	v_cmp_lt_u32_e32 vcc, s8, v4
                                        ; implicit-def: $vgpr1
	s_and_saveexec_b64 s[8:9], vcc
	s_xor_b64 s[8:9], exec, s[8:9]
; %bb.1477:
	v_bfe_u32 v1, v0, 20, 1
	s_mov_b32 s10, 0x407ffff
	v_add3_u32 v1, v0, v1, s10
	v_lshrrev_b32_e32 v4, 20, v1
	v_and_b32_e32 v1, 0xff00000, v1
	s_mov_b32 s10, 0x7f00000
	v_mov_b32_e32 v5, 0x7e
	v_cmp_ne_u32_e32 vcc, s10, v1
	v_cndmask_b32_e32 v1, v5, v4, vcc
; %bb.1478:
	s_andn2_saveexec_b64 s[8:9], s[8:9]
; %bb.1479:
	s_mov_b32 s10, 0x46800000
	v_add_f32_e64 v1, |v0|, s10
; %bb.1480:
	s_or_b64 exec, exec, s[8:9]
                                        ; implicit-def: $vgpr4
.LBB230_1481:
	s_andn2_saveexec_b64 s[6:7], s[6:7]
; %bb.1482:
	s_mov_b32 s8, 0x7f800000
	v_mov_b32_e32 v1, 0x7e
	v_mov_b32_e32 v5, 0x7f
	v_cmp_lt_u32_e32 vcc, s8, v4
	v_cndmask_b32_e32 v1, v1, v5, vcc
; %bb.1483:
	s_or_b64 exec, exec, s[6:7]
	v_lshrrev_b32_e32 v4, 24, v0
	s_movk_i32 s6, 0x80
	v_and_or_b32 v1, v4, s6, v1
	global_store_byte v[2:3], v1, off
.LBB230_1484:
	s_mov_b64 s[6:7], 0
.LBB230_1485:
	s_andn2_b64 vcc, exec, s[6:7]
	s_cbranch_vccnz .LBB230_1495
; %bb.1486:
	v_and_b32_e32 v4, 0x7fffffff, v0
	s_mov_b32 s6, 0x47800000
	v_cmp_gt_u32_e32 vcc, s6, v4
                                        ; implicit-def: $vgpr1
	s_and_saveexec_b64 s[6:7], vcc
	s_xor_b64 s[6:7], exec, s[6:7]
	s_cbranch_execz .LBB230_1492
; %bb.1487:
	s_mov_b32 s8, 0x387fffff
	v_cmp_lt_u32_e32 vcc, s8, v4
                                        ; implicit-def: $vgpr1
	s_and_saveexec_b64 s[8:9], vcc
	s_xor_b64 s[8:9], exec, s[8:9]
; %bb.1488:
	v_bfe_u32 v1, v0, 21, 1
	s_mov_b32 s10, 0x80fffff
	v_add3_u32 v1, v0, v1, s10
	v_lshrrev_b32_e32 v1, 21, v1
; %bb.1489:
	s_andn2_saveexec_b64 s[8:9], s[8:9]
; %bb.1490:
	s_mov_b32 s10, 0x43000000
	v_add_f32_e64 v1, |v0|, s10
; %bb.1491:
	s_or_b64 exec, exec, s[8:9]
                                        ; implicit-def: $vgpr4
.LBB230_1492:
	s_andn2_saveexec_b64 s[6:7], s[6:7]
; %bb.1493:
	s_mov_b32 s8, 0x7f800000
	v_mov_b32_e32 v1, 0x7c
	v_mov_b32_e32 v5, 0x7f
	v_cmp_lt_u32_e32 vcc, s8, v4
	v_cndmask_b32_e32 v1, v1, v5, vcc
; %bb.1494:
	s_or_b64 exec, exec, s[6:7]
	v_lshrrev_b32_e32 v4, 24, v0
	s_movk_i32 s6, 0x80
	v_and_or_b32 v1, v4, s6, v1
	global_store_byte v[2:3], v1, off
.LBB230_1495:
	s_mov_b64 s[8:9], 0
	s_mov_b64 s[6:7], -1
.LBB230_1496:
	s_andn2_b64 vcc, exec, s[8:9]
	s_cbranch_vccnz .LBB230_1504
; %bb.1497:
	v_mov_b32_e32 v1, 14
	v_cmp_gt_i16_sdwa s[10:11], v47, v1 src0_sel:BYTE_0 src1_sel:DWORD
	s_mov_b64 s[8:9], -1
	s_and_b64 vcc, exec, s[10:11]
	s_cbranch_vccz .LBB230_1501
; %bb.1498:
	v_mov_b32_e32 v1, 15
	v_cmp_eq_u16_sdwa s[8:9], v47, v1 src0_sel:BYTE_0 src1_sel:DWORD
	s_mov_b64 s[4:5], -1
	s_and_b64 vcc, exec, s[8:9]
	s_cbranch_vccz .LBB230_1500
; %bb.1499:
	v_bfe_u32 v1, v0, 16, 1
	s_movk_i32 s4, 0x7fff
	v_add3_u32 v1, v0, v1, s4
	v_lshrrev_b32_e32 v1, 16, v1
	v_mov_b32_e32 v4, 0x7fc0
	v_cmp_o_f32_e32 vcc, v0, v0
	v_cndmask_b32_e32 v1, v4, v1, vcc
	global_store_short v[2:3], v1, off
	s_mov_b64 s[6:7], -1
	s_mov_b64 s[4:5], 0
.LBB230_1500:
	s_mov_b64 s[8:9], 0
.LBB230_1501:
	s_and_b64 vcc, exec, s[8:9]
	s_cbranch_vccz .LBB230_1504
; %bb.1502:
	v_mov_b32_e32 v1, 11
	v_cmp_eq_u16_sdwa s[8:9], v47, v1 src0_sel:BYTE_0 src1_sel:DWORD
	s_mov_b64 s[4:5], -1
	s_and_b64 vcc, exec, s[8:9]
	s_cbranch_vccz .LBB230_1504
; %bb.1503:
	v_cmp_neq_f32_e32 vcc, 0, v0
	v_cndmask_b32_e64 v1, 0, 1, vcc
	s_mov_b64 s[6:7], -1
	s_mov_b64 s[4:5], 0
	global_store_byte v[2:3], v1, off
.LBB230_1504:
	s_mov_b64 s[8:9], 0
.LBB230_1505:
	s_and_b64 vcc, exec, s[8:9]
	s_cbranch_vccz .LBB230_1544
; %bb.1506:
	v_mov_b32_e32 v1, 5
	v_cmp_lt_i16_sdwa s[8:9], v47, v1 src0_sel:BYTE_0 src1_sel:DWORD
	s_mov_b64 s[6:7], -1
	s_and_b64 vcc, exec, s[8:9]
	s_cbranch_vccnz .LBB230_1527
; %bb.1507:
	v_mov_b32_e32 v1, 8
	v_cmp_lt_i16_sdwa s[8:9], v47, v1 src0_sel:BYTE_0 src1_sel:DWORD
	s_and_b64 vcc, exec, s[8:9]
	s_cbranch_vccnz .LBB230_1517
; %bb.1508:
	v_mov_b32_e32 v1, 9
	v_cmp_lt_i16_sdwa s[8:9], v47, v1 src0_sel:BYTE_0 src1_sel:DWORD
	s_and_b64 vcc, exec, s[8:9]
	s_cbranch_vccnz .LBB230_1514
; %bb.1509:
	v_cmp_gt_i16_sdwa s[8:9], v47, v1 src0_sel:BYTE_0 src1_sel:DWORD
	s_and_b64 vcc, exec, s[8:9]
	s_cbranch_vccz .LBB230_1511
; %bb.1510:
	v_mov_b32_e32 v6, 0
	v_cvt_f64_f32_e32 v[4:5], v0
	v_mov_b32_e32 v7, v6
	s_mov_b64 s[6:7], 0
	global_store_dwordx4 v[2:3], v[4:7], off
.LBB230_1511:
	s_andn2_b64 vcc, exec, s[6:7]
	s_cbranch_vccnz .LBB230_1513
; %bb.1512:
	v_mov_b32_e32 v1, 0
	global_store_dwordx2 v[2:3], v[0:1], off
.LBB230_1513:
	s_mov_b64 s[6:7], 0
.LBB230_1514:
	s_andn2_b64 vcc, exec, s[6:7]
	s_cbranch_vccnz .LBB230_1516
; %bb.1515:
	v_cvt_f16_f32_e32 v1, v0
	global_store_dword v[2:3], v1, off
.LBB230_1516:
	s_mov_b64 s[6:7], 0
.LBB230_1517:
	s_andn2_b64 vcc, exec, s[6:7]
	s_cbranch_vccnz .LBB230_1526
; %bb.1518:
	v_mov_b32_e32 v1, 6
	v_cmp_lt_i16_sdwa s[8:9], v47, v1 src0_sel:BYTE_0 src1_sel:DWORD
	s_mov_b64 s[6:7], -1
	s_and_b64 vcc, exec, s[8:9]
	s_cbranch_vccnz .LBB230_1524
; %bb.1519:
	v_cmp_gt_i16_sdwa s[8:9], v47, v1 src0_sel:BYTE_0 src1_sel:DWORD
	s_and_b64 vcc, exec, s[8:9]
	s_cbranch_vccz .LBB230_1521
; %bb.1520:
	v_cvt_f64_f32_e32 v[4:5], v0
	s_mov_b64 s[6:7], 0
	global_store_dwordx2 v[2:3], v[4:5], off
.LBB230_1521:
	s_andn2_b64 vcc, exec, s[6:7]
	s_cbranch_vccnz .LBB230_1523
; %bb.1522:
	global_store_dword v[2:3], v0, off
.LBB230_1523:
	s_mov_b64 s[6:7], 0
.LBB230_1524:
	s_andn2_b64 vcc, exec, s[6:7]
	s_cbranch_vccnz .LBB230_1526
; %bb.1525:
	v_cvt_f16_f32_e32 v1, v0
	global_store_short v[2:3], v1, off
.LBB230_1526:
	s_mov_b64 s[6:7], 0
.LBB230_1527:
	s_andn2_b64 vcc, exec, s[6:7]
	s_cbranch_vccnz .LBB230_1543
; %bb.1528:
	v_mov_b32_e32 v1, 2
	v_cmp_lt_i16_sdwa s[8:9], v47, v1 src0_sel:BYTE_0 src1_sel:DWORD
	s_mov_b64 s[6:7], -1
	s_and_b64 vcc, exec, s[8:9]
	s_cbranch_vccnz .LBB230_1538
; %bb.1529:
	v_mov_b32_e32 v1, 3
	v_cmp_lt_i16_sdwa s[8:9], v47, v1 src0_sel:BYTE_0 src1_sel:DWORD
	s_and_b64 vcc, exec, s[8:9]
	s_cbranch_vccnz .LBB230_1535
; %bb.1530:
	v_cmp_gt_i16_sdwa s[8:9], v47, v1 src0_sel:BYTE_0 src1_sel:DWORD
	s_and_b64 vcc, exec, s[8:9]
	s_cbranch_vccz .LBB230_1532
; %bb.1531:
	v_trunc_f32_e32 v1, v0
	s_mov_b32 s6, 0x2f800000
	v_mul_f32_e64 v4, |v1|, s6
	v_floor_f32_e32 v4, v4
	s_mov_b32 s6, 0xcf800000
	v_cvt_u32_f32_e32 v5, v4
	v_fma_f32 v4, v4, s6, |v1|
	v_cvt_u32_f32_e32 v4, v4
	v_ashrrev_i32_e32 v1, 31, v1
	v_xor_b32_e32 v5, v5, v1
	s_mov_b64 s[6:7], 0
	v_xor_b32_e32 v4, v4, v1
	v_sub_co_u32_e32 v4, vcc, v4, v1
	v_subb_co_u32_e32 v5, vcc, v5, v1, vcc
	global_store_dwordx2 v[2:3], v[4:5], off
.LBB230_1532:
	s_andn2_b64 vcc, exec, s[6:7]
	s_cbranch_vccnz .LBB230_1534
; %bb.1533:
	v_cvt_i32_f32_e32 v1, v0
	global_store_dword v[2:3], v1, off
.LBB230_1534:
	s_mov_b64 s[6:7], 0
.LBB230_1535:
	s_andn2_b64 vcc, exec, s[6:7]
	s_cbranch_vccnz .LBB230_1537
; %bb.1536:
	v_cvt_i32_f32_e32 v1, v0
	global_store_short v[2:3], v1, off
.LBB230_1537:
	s_mov_b64 s[6:7], 0
.LBB230_1538:
	s_andn2_b64 vcc, exec, s[6:7]
	s_cbranch_vccnz .LBB230_1543
; %bb.1539:
	v_mov_b32_e32 v1, 0
	v_cmp_gt_i16_sdwa s[8:9], v47, v1 src0_sel:BYTE_0 src1_sel:DWORD
	s_mov_b64 s[6:7], -1
	s_and_b64 vcc, exec, s[8:9]
	s_cbranch_vccz .LBB230_1541
; %bb.1540:
	v_cvt_i32_f32_e32 v1, v0
	s_mov_b64 s[6:7], 0
	global_store_byte v[2:3], v1, off
.LBB230_1541:
	s_andn2_b64 vcc, exec, s[6:7]
	s_cbranch_vccnz .LBB230_1543
; %bb.1542:
	v_trunc_f32_e32 v0, v0
	s_mov_b32 s6, 0x2f800000
	v_mul_f32_e64 v1, |v0|, s6
	v_floor_f32_e32 v1, v1
	s_mov_b32 s6, 0xcf800000
	v_fma_f32 v1, v1, s6, |v0|
	v_cvt_u32_f32_e32 v1, v1
	v_ashrrev_i32_e32 v0, 31, v0
	v_xor_b32_e32 v1, v1, v0
	v_sub_u32_e32 v0, v1, v0
	global_store_byte v[2:3], v0, off
.LBB230_1543:
	s_mov_b64 s[6:7], -1
.LBB230_1544:
	s_andn2_b64 vcc, exec, s[6:7]
	s_cbranch_vccnz .LBB230_1558
; %bb.1545:
	v_add_u32_e32 v48, 0x80, v48
	s_mov_b64 s[12:13], -1
.LBB230_1546:
	s_andn2_b64 s[6:7], s[64:65], exec
	s_and_b64 s[4:5], s[4:5], exec
	s_or_b64 s[10:11], s[6:7], s[4:5]
	s_andn2_b64 s[4:5], s[62:63], exec
	s_and_b64 s[6:7], s[74:75], exec
	s_or_b64 s[8:9], s[4:5], s[6:7]
	s_andn2_b64 s[4:5], s[60:61], exec
	s_and_b64 s[6:7], s[72:73], exec
	s_or_b64 s[6:7], s[4:5], s[6:7]
	s_andn2_b64 s[4:5], s[58:59], exec
	s_and_b64 s[14:15], s[70:71], exec
	s_or_b64 s[4:5], s[4:5], s[14:15]
	s_orn2_b64 s[20:21], s[12:13], exec
.LBB230_1547:
	s_or_b64 exec, exec, s[68:69]
	s_mov_b64 s[14:15], 0
	s_mov_b64 s[16:17], 0
	;; [unrolled: 1-line block ×3, first 2 shown]
                                        ; implicit-def: $vgpr2
                                        ; implicit-def: $vgpr0_vgpr1
                                        ; implicit-def: $vgpr3
	s_and_saveexec_b64 s[12:13], s[20:21]
	s_cbranch_execz .LBB230_1629
; %bb.1548:
	v_cmp_gt_i32_e32 vcc, s33, v48
	s_mov_b64 s[20:21], 0
	s_mov_b64 s[22:23], s[4:5]
	s_mov_b64 s[24:25], 0
	s_mov_b64 s[26:27], 0
                                        ; implicit-def: $vgpr2
                                        ; implicit-def: $vgpr0_vgpr1
                                        ; implicit-def: $vgpr3
	s_and_saveexec_b64 s[14:15], vcc
	s_cbranch_execz .LBB230_1628
; %bb.1549:
	s_waitcnt vmcnt(0)
	v_mul_lo_u32 v0, v48, s45
	v_ashrrev_i32_e32 v1, 31, v0
	v_mov_b32_e32 v2, s39
	v_add_co_u32_e32 v0, vcc, s38, v0
	v_addc_co_u32_e32 v1, vcc, v2, v1, vcc
	v_and_b32_e32 v2, 0xff, v45
	v_cmp_gt_i16_e32 vcc, 11, v2
	s_cbranch_vccnz .LBB230_1556
; %bb.1550:
	v_cmp_lt_i16_e32 vcc, 25, v2
	s_cbranch_vccz .LBB230_1557
; %bb.1551:
	v_cmp_lt_i16_e32 vcc, 28, v2
	s_cbranch_vccz .LBB230_1559
; %bb.1552:
	v_cmp_lt_i16_e32 vcc, 43, v2
	s_cbranch_vccz .LBB230_1560
; %bb.1553:
	v_cmp_lt_i16_e32 vcc, 45, v2
	s_cbranch_vccz .LBB230_1561
; %bb.1554:
	v_cmp_eq_u16_e32 vcc, 46, v2
	s_mov_b64 s[22:23], 0
	s_cbranch_vccz .LBB230_1562
; %bb.1555:
	global_load_dword v3, v[0:1], off
	s_mov_b64 s[20:21], -1
	s_waitcnt vmcnt(0)
	v_lshlrev_b32_e32 v3, 16, v3
	s_branch .LBB230_1564
.LBB230_1556:
	s_mov_b64 s[22:23], -1
                                        ; implicit-def: $vgpr3
	s_mov_b64 s[16:17], s[4:5]
	s_branch .LBB230_1627
.LBB230_1557:
	s_mov_b64 s[22:23], -1
	s_mov_b64 s[16:17], s[4:5]
                                        ; implicit-def: $vgpr3
	s_branch .LBB230_1593
.LBB230_1558:
	s_mov_b64 s[12:13], 0
	s_branch .LBB230_1168
.LBB230_1559:
	s_mov_b64 s[22:23], -1
	s_mov_b64 s[16:17], s[4:5]
                                        ; implicit-def: $vgpr3
	s_branch .LBB230_1574
.LBB230_1560:
	s_mov_b64 s[22:23], -1
	s_mov_b64 s[16:17], s[4:5]
                                        ; implicit-def: $vgpr3
	s_branch .LBB230_1569
.LBB230_1561:
	s_mov_b64 s[22:23], -1
	s_mov_b64 s[16:17], s[4:5]
	s_branch .LBB230_1563
.LBB230_1562:
	s_mov_b64 s[16:17], -1
.LBB230_1563:
                                        ; implicit-def: $vgpr3
.LBB230_1564:
	s_and_b64 vcc, exec, s[22:23]
	s_cbranch_vccz .LBB230_1568
; %bb.1565:
	v_cmp_eq_u16_e32 vcc, 44, v2
	s_cbranch_vccz .LBB230_1567
; %bb.1566:
	global_load_ubyte v3, v[0:1], off
	s_movk_i32 s20, 0xff
	v_mov_b32_e32 v4, 0x7f800001
	v_mov_b32_e32 v5, 0x400000
	s_mov_b64 s[16:17], 0
	s_waitcnt vmcnt(0)
	v_lshlrev_b32_e32 v6, 23, v3
	v_cmp_ne_u32_e32 vcc, s20, v3
	v_cndmask_b32_e32 v4, v4, v6, vcc
	v_cmp_ne_u32_e32 vcc, 0, v3
	v_cndmask_b32_e32 v3, v5, v4, vcc
	s_mov_b64 s[20:21], -1
	s_branch .LBB230_1568
.LBB230_1567:
	s_mov_b64 s[16:17], -1
                                        ; implicit-def: $vgpr3
.LBB230_1568:
	s_mov_b64 s[22:23], 0
.LBB230_1569:
	s_and_b64 vcc, exec, s[22:23]
	s_cbranch_vccz .LBB230_1573
; %bb.1570:
	v_cmp_eq_u16_e32 vcc, 29, v2
	s_cbranch_vccz .LBB230_1572
; %bb.1571:
	global_load_dwordx2 v[4:5], v[0:1], off
	s_mov_b64 s[16:17], 0
	s_mov_b64 s[20:21], -1
	s_mov_b64 s[22:23], 0
	s_waitcnt vmcnt(0)
	v_ffbh_u32_e32 v3, v5
	v_min_u32_e32 v3, 32, v3
	v_lshlrev_b64 v[4:5], v3, v[4:5]
	v_min_u32_e32 v4, 1, v4
	v_or_b32_e32 v4, v5, v4
	v_cvt_f32_u32_e32 v4, v4
	v_sub_u32_e32 v3, 32, v3
	v_ldexp_f32 v3, v4, v3
	s_branch .LBB230_1574
.LBB230_1572:
	s_mov_b64 s[16:17], -1
                                        ; implicit-def: $vgpr3
.LBB230_1573:
	s_mov_b64 s[22:23], 0
.LBB230_1574:
	s_and_b64 vcc, exec, s[22:23]
	s_cbranch_vccz .LBB230_1592
; %bb.1575:
	v_cmp_gt_i16_e32 vcc, 27, v2
	s_cbranch_vccnz .LBB230_1578
; %bb.1576:
	v_cmp_lt_i16_e32 vcc, 27, v2
	s_cbranch_vccz .LBB230_1579
; %bb.1577:
	global_load_dword v3, v[0:1], off
	s_mov_b64 s[20:21], 0
	s_waitcnt vmcnt(0)
	v_cvt_f32_u32_e32 v3, v3
	s_branch .LBB230_1580
.LBB230_1578:
	s_mov_b64 s[20:21], -1
                                        ; implicit-def: $vgpr3
	s_branch .LBB230_1583
.LBB230_1579:
	s_mov_b64 s[20:21], -1
                                        ; implicit-def: $vgpr3
.LBB230_1580:
	s_andn2_b64 vcc, exec, s[20:21]
	s_cbranch_vccnz .LBB230_1582
; %bb.1581:
	global_load_ushort v3, v[0:1], off
	s_waitcnt vmcnt(0)
	v_cvt_f32_u32_e32 v3, v3
.LBB230_1582:
	s_mov_b64 s[20:21], 0
.LBB230_1583:
	s_andn2_b64 vcc, exec, s[20:21]
	s_cbranch_vccnz .LBB230_1591
; %bb.1584:
	global_load_ubyte v4, v[0:1], off
	s_movk_i32 s20, 0x7f
                                        ; implicit-def: $sgpr26
	s_waitcnt vmcnt(0)
	v_cmp_lt_i16_e32 vcc, s20, v4
	s_mov_b64 s[20:21], 0
	s_and_saveexec_b64 s[22:23], vcc
	s_xor_b64 s[22:23], exec, s[22:23]
	s_cbranch_execz .LBB230_1605
; %bb.1585:
	s_movk_i32 s20, 0x80
	v_cmp_eq_u16_e32 vcc, s20, v4
	s_mov_b64 s[20:21], -1
                                        ; implicit-def: $sgpr26
	s_and_saveexec_b64 s[24:25], vcc
; %bb.1586:
	s_mov_b32 s26, 0x7f800001
	s_xor_b64 s[20:21], exec, -1
; %bb.1587:
	s_or_b64 exec, exec, s[24:25]
	s_and_b64 s[20:21], s[20:21], exec
	s_or_saveexec_b64 s[22:23], s[22:23]
	v_mov_b32_e32 v3, s26
	s_xor_b64 exec, exec, s[22:23]
	s_cbranch_execnz .LBB230_1606
.LBB230_1588:
	s_or_b64 exec, exec, s[22:23]
	s_and_saveexec_b64 s[22:23], s[20:21]
	s_cbranch_execz .LBB230_1590
.LBB230_1589:
	v_lshlrev_b32_e32 v3, 24, v4
	v_and_b32_e32 v4, 0xffff, v4
	v_and_b32_e32 v5, 7, v4
	v_ffbh_u32_e32 v7, v5
	v_min_u32_e32 v7, 32, v7
	v_subrev_u32_e32 v8, 28, v7
	v_bfe_u32 v6, v4, 3, 4
	v_lshlrev_b32_e32 v4, v8, v4
	v_sub_u32_e32 v7, 29, v7
	v_and_b32_e32 v4, 7, v4
	v_cmp_eq_u32_e32 vcc, 0, v6
	v_cndmask_b32_e32 v6, v6, v7, vcc
	v_cndmask_b32_e32 v4, v5, v4, vcc
	v_mov_b32_e32 v5, 0x3b800000
	v_lshlrev_b32_e32 v4, 20, v4
	v_and_b32_e32 v3, 0x80000000, v3
	v_lshl_add_u32 v5, v6, 23, v5
	v_or3_b32 v3, v3, v5, v4
.LBB230_1590:
	s_or_b64 exec, exec, s[22:23]
.LBB230_1591:
	s_mov_b64 s[20:21], -1
.LBB230_1592:
	s_mov_b64 s[22:23], 0
.LBB230_1593:
	s_and_b64 vcc, exec, s[22:23]
	s_cbranch_vccz .LBB230_1626
; %bb.1594:
	v_cmp_lt_i16_e32 vcc, 22, v2
	s_cbranch_vccz .LBB230_1604
; %bb.1595:
	v_cmp_gt_i16_e32 vcc, 24, v2
	s_cbranch_vccnz .LBB230_1607
; %bb.1596:
	v_cmp_lt_i16_e32 vcc, 24, v2
	s_cbranch_vccz .LBB230_1608
; %bb.1597:
	global_load_ubyte v4, v[0:1], off
	s_movk_i32 s18, 0x7f
                                        ; implicit-def: $sgpr24
	s_waitcnt vmcnt(0)
	v_cmp_lt_i16_e32 vcc, s18, v4
	s_mov_b64 s[18:19], 0
	s_and_saveexec_b64 s[20:21], vcc
	s_xor_b64 s[20:21], exec, s[20:21]
	s_cbranch_execz .LBB230_1620
; %bb.1598:
	s_movk_i32 s18, 0x80
	v_cmp_eq_u16_e32 vcc, s18, v4
	s_mov_b64 s[18:19], -1
                                        ; implicit-def: $sgpr24
	s_and_saveexec_b64 s[22:23], vcc
; %bb.1599:
	s_mov_b32 s24, 0x7f800001
	s_xor_b64 s[18:19], exec, -1
; %bb.1600:
	s_or_b64 exec, exec, s[22:23]
	s_and_b64 s[18:19], s[18:19], exec
	s_or_saveexec_b64 s[20:21], s[20:21]
	v_mov_b32_e32 v3, s24
	s_xor_b64 exec, exec, s[20:21]
	s_cbranch_execnz .LBB230_1621
.LBB230_1601:
	s_or_b64 exec, exec, s[20:21]
	s_and_saveexec_b64 s[20:21], s[18:19]
	s_cbranch_execz .LBB230_1603
.LBB230_1602:
	v_lshlrev_b32_e32 v3, 24, v4
	v_and_b32_e32 v4, 0xffff, v4
	v_and_b32_e32 v5, 3, v4
	v_ffbh_u32_e32 v7, v5
	v_min_u32_e32 v7, 32, v7
	v_subrev_u32_e32 v8, 29, v7
	v_bfe_u32 v6, v4, 2, 5
	v_lshlrev_b32_e32 v4, v8, v4
	v_sub_u32_e32 v7, 30, v7
	v_and_b32_e32 v4, 3, v4
	v_cmp_eq_u32_e32 vcc, 0, v6
	v_cndmask_b32_e32 v6, v6, v7, vcc
	v_cndmask_b32_e32 v4, v5, v4, vcc
	v_mov_b32_e32 v5, 0x37800000
	v_lshlrev_b32_e32 v4, 21, v4
	v_and_b32_e32 v3, 0x80000000, v3
	v_lshl_add_u32 v5, v6, 23, v5
	v_or3_b32 v3, v3, v5, v4
.LBB230_1603:
	s_or_b64 exec, exec, s[20:21]
	s_mov_b64 s[18:19], 0
	s_branch .LBB230_1609
.LBB230_1604:
	s_mov_b64 s[18:19], -1
                                        ; implicit-def: $vgpr3
	s_branch .LBB230_1615
.LBB230_1605:
	s_or_saveexec_b64 s[22:23], s[22:23]
	v_mov_b32_e32 v3, s26
	s_xor_b64 exec, exec, s[22:23]
	s_cbranch_execz .LBB230_1588
.LBB230_1606:
	v_cmp_ne_u16_e32 vcc, 0, v4
	s_andn2_b64 s[20:21], s[20:21], exec
	s_and_b64 s[24:25], vcc, exec
	v_mov_b32_e32 v3, 0
	s_or_b64 s[20:21], s[20:21], s[24:25]
	s_or_b64 exec, exec, s[22:23]
	s_and_saveexec_b64 s[22:23], s[20:21]
	s_cbranch_execnz .LBB230_1589
	s_branch .LBB230_1590
.LBB230_1607:
	s_mov_b64 s[18:19], -1
                                        ; implicit-def: $vgpr3
	s_branch .LBB230_1612
.LBB230_1608:
	s_mov_b64 s[18:19], -1
                                        ; implicit-def: $vgpr3
.LBB230_1609:
	s_and_b64 vcc, exec, s[18:19]
	s_cbranch_vccz .LBB230_1611
; %bb.1610:
	global_load_ubyte v3, v[0:1], off
	s_mov_b32 s18, 0x7f800000
	s_waitcnt vmcnt(0)
	v_lshlrev_b32_e32 v3, 24, v3
	v_and_b32_e32 v4, 0x7f000000, v3
	v_ffbh_u32_e32 v5, v4
	v_min_u32_e32 v5, 32, v5
	v_sub_u32_e64 v5, v5, 4 clamp
	v_lshlrev_b32_e32 v7, v5, v4
	v_lshlrev_b32_e32 v5, 23, v5
	v_lshrrev_b32_e32 v7, 4, v7
	v_add_u32_e32 v6, 0x1000000, v4
	v_sub_u32_e32 v5, v7, v5
	v_ashrrev_i32_e32 v6, 8, v6
	v_add_u32_e32 v5, 0x3c000000, v5
	v_and_or_b32 v5, v6, s18, v5
	v_cmp_ne_u32_e32 vcc, 0, v4
	v_cndmask_b32_e32 v4, 0, v5, vcc
	s_brev_b32 s18, 1
	v_and_or_b32 v3, v3, s18, v4
.LBB230_1611:
	s_mov_b64 s[18:19], 0
.LBB230_1612:
	s_andn2_b64 vcc, exec, s[18:19]
	s_cbranch_vccnz .LBB230_1614
; %bb.1613:
	global_load_ubyte v3, v[0:1], off
	s_movk_i32 s18, 0x7f00
	s_brev_b32 s19, 16
	s_waitcnt vmcnt(0)
	v_lshlrev_b16_e32 v4, 8, v3
	v_lshlrev_b32_e32 v3, 25, v3
	v_lshrrev_b32_e32 v5, 4, v3
	v_and_or_b32 v6, v4, s18, 0.5
	v_or_b32_e32 v5, 0x70000000, v5
	v_add_f32_e32 v6, -0.5, v6
	v_mul_f32_e32 v5, 0x7800000, v5
	v_cmp_gt_u32_e32 vcc, s19, v3
	v_bfe_i32 v4, v4, 0, 16
	v_cndmask_b32_e32 v3, v5, v6, vcc
	s_brev_b32 s18, 1
	v_and_or_b32 v3, v4, s18, v3
.LBB230_1614:
	s_mov_b64 s[18:19], 0
	s_mov_b64 s[20:21], -1
.LBB230_1615:
	s_andn2_b64 vcc, exec, s[18:19]
	s_mov_b64 s[18:19], 0
	s_cbranch_vccnz .LBB230_1626
; %bb.1616:
	v_cmp_lt_i16_e32 vcc, 14, v2
	s_cbranch_vccz .LBB230_1619
; %bb.1617:
	v_cmp_eq_u16_e32 vcc, 15, v2
	s_cbranch_vccz .LBB230_1622
; %bb.1618:
	global_load_ushort v3, v[0:1], off
	s_mov_b64 s[16:17], 0
	s_mov_b64 s[20:21], -1
	s_waitcnt vmcnt(0)
	v_lshlrev_b32_e32 v3, 16, v3
	s_branch .LBB230_1623
.LBB230_1619:
	s_mov_b64 s[22:23], -1
                                        ; implicit-def: $vgpr3
	s_branch .LBB230_1624
.LBB230_1620:
	s_or_saveexec_b64 s[20:21], s[20:21]
	v_mov_b32_e32 v3, s24
	s_xor_b64 exec, exec, s[20:21]
	s_cbranch_execz .LBB230_1601
.LBB230_1621:
	v_cmp_ne_u16_e32 vcc, 0, v4
	s_andn2_b64 s[18:19], s[18:19], exec
	s_and_b64 s[22:23], vcc, exec
	v_mov_b32_e32 v3, 0
	s_or_b64 s[18:19], s[18:19], s[22:23]
	s_or_b64 exec, exec, s[20:21]
	s_and_saveexec_b64 s[20:21], s[18:19]
	s_cbranch_execnz .LBB230_1602
	s_branch .LBB230_1603
.LBB230_1622:
	s_mov_b64 s[16:17], -1
                                        ; implicit-def: $vgpr3
.LBB230_1623:
	s_mov_b64 s[22:23], 0
.LBB230_1624:
	s_and_b64 vcc, exec, s[22:23]
	s_cbranch_vccz .LBB230_1626
; %bb.1625:
	v_cmp_ne_u16_e32 vcc, 11, v2
	s_andn2_b64 s[16:17], s[16:17], exec
	s_and_b64 s[22:23], vcc, exec
	s_mov_b64 s[18:19], -1
	s_or_b64 s[16:17], s[16:17], s[22:23]
                                        ; implicit-def: $vgpr3
.LBB230_1626:
	s_mov_b64 s[22:23], 0
.LBB230_1627:
	s_and_b64 s[26:27], s[20:21], exec
	s_and_b64 s[20:21], s[18:19], exec
	s_andn2_b64 s[18:19], s[4:5], exec
	s_and_b64 s[16:17], s[16:17], exec
	s_and_b64 s[24:25], s[22:23], exec
	s_or_b64 s[22:23], s[18:19], s[16:17]
.LBB230_1628:
	s_or_b64 exec, exec, s[14:15]
	s_and_b64 s[14:15], s[20:21], exec
	s_andn2_b64 s[4:5], s[4:5], exec
	s_and_b64 s[20:21], s[22:23], exec
	s_and_b64 s[18:19], s[26:27], exec
	s_and_b64 s[16:17], s[24:25], exec
	s_or_b64 s[4:5], s[4:5], s[20:21]
.LBB230_1629:
	s_or_b64 exec, exec, s[12:13]
	s_andn2_b64 s[12:13], s[64:65], exec
	s_and_b64 s[10:11], s[10:11], exec
	s_or_b64 s[64:65], s[12:13], s[10:11]
	s_andn2_b64 s[10:11], s[62:63], exec
	s_and_b64 s[8:9], s[8:9], exec
	s_or_b64 s[62:63], s[10:11], s[8:9]
	s_andn2_b64 s[8:9], s[60:61], exec
	s_and_b64 s[6:7], s[6:7], exec
	s_andn2_b64 s[12:13], s[58:59], exec
	s_and_b64 s[4:5], s[4:5], exec
	s_or_b64 s[60:61], s[8:9], s[6:7]
	s_and_b64 s[6:7], s[18:19], exec
	s_and_b64 s[8:9], s[16:17], exec
	;; [unrolled: 1-line block ×3, first 2 shown]
	s_or_b64 s[58:59], s[12:13], s[4:5]
.LBB230_1630:
	s_or_b64 exec, exec, s[66:67]
	s_andn2_b64 s[4:5], s[48:49], exec
	s_and_b64 s[12:13], s[64:65], exec
	s_or_b64 s[48:49], s[4:5], s[12:13]
	s_andn2_b64 s[4:5], s[50:51], exec
	s_and_b64 s[12:13], s[62:63], exec
	s_or_b64 s[50:51], s[4:5], s[12:13]
	;; [unrolled: 3-line block ×3, first 2 shown]
	s_and_b64 s[60:61], s[10:11], exec
	s_andn2_b64 s[4:5], s[54:55], exec
	s_and_b64 s[10:11], s[58:59], exec
	s_and_b64 s[6:7], s[6:7], exec
	;; [unrolled: 1-line block ×3, first 2 shown]
	s_or_b64 s[54:55], s[4:5], s[10:11]
	s_or_b64 exec, exec, s[56:57]
	s_mov_b64 s[56:57], 0
	s_and_saveexec_b64 s[4:5], s[54:55]
	s_cbranch_execz .LBB230_405
.LBB230_1631:
	s_mov_b64 s[56:57], exec
	s_andn2_b64 s[60:61], s[60:61], exec
	s_trap 2
                                        ; implicit-def: $vgpr3
	s_or_b64 exec, exec, s[4:5]
	s_and_saveexec_b64 s[4:5], s[60:61]
	s_xor_b64 s[4:5], exec, s[4:5]
	s_cbranch_execnz .LBB230_406
.LBB230_1632:
	s_or_b64 exec, exec, s[4:5]
	s_and_saveexec_b64 s[4:5], s[8:9]
	s_cbranch_execz .LBB230_1678
.LBB230_1633:
	s_waitcnt vmcnt(0)
	v_cmp_gt_i16_e32 vcc, 5, v2
	s_cbranch_vccnz .LBB230_1638
; %bb.1634:
	v_cmp_gt_i16_e32 vcc, 8, v2
	s_cbranch_vccnz .LBB230_1639
; %bb.1635:
	;; [unrolled: 3-line block ×3, first 2 shown]
	v_cmp_lt_i16_e32 vcc, 9, v2
	s_cbranch_vccz .LBB230_1641
; %bb.1637:
	global_load_dwordx2 v[4:5], v[0:1], off
	s_mov_b64 s[8:9], 0
	s_waitcnt vmcnt(0)
	v_cvt_f32_f64_e32 v3, v[4:5]
	s_branch .LBB230_1642
.LBB230_1638:
                                        ; implicit-def: $vgpr3
	s_branch .LBB230_1659
.LBB230_1639:
                                        ; implicit-def: $vgpr3
	s_branch .LBB230_1648
.LBB230_1640:
	s_mov_b64 s[8:9], -1
                                        ; implicit-def: $vgpr3
	s_branch .LBB230_1645
.LBB230_1641:
	s_mov_b64 s[8:9], -1
                                        ; implicit-def: $vgpr3
.LBB230_1642:
	s_andn2_b64 vcc, exec, s[8:9]
	s_cbranch_vccnz .LBB230_1644
; %bb.1643:
	global_load_dword v3, v[0:1], off
.LBB230_1644:
	s_mov_b64 s[8:9], 0
.LBB230_1645:
	s_andn2_b64 vcc, exec, s[8:9]
	s_cbranch_vccnz .LBB230_1647
; %bb.1646:
	global_load_dword v3, v[0:1], off
	s_waitcnt vmcnt(0)
	v_cvt_f32_f16_e32 v3, v3
.LBB230_1647:
	s_cbranch_execnz .LBB230_1658
.LBB230_1648:
	v_cmp_gt_i16_e32 vcc, 6, v2
	s_cbranch_vccnz .LBB230_1651
; %bb.1649:
	v_cmp_lt_i16_e32 vcc, 6, v2
	s_cbranch_vccz .LBB230_1652
; %bb.1650:
	global_load_dwordx2 v[4:5], v[0:1], off
	s_mov_b64 s[8:9], 0
	s_waitcnt vmcnt(0)
	v_cvt_f32_f64_e32 v3, v[4:5]
	s_branch .LBB230_1653
.LBB230_1651:
	s_mov_b64 s[8:9], -1
                                        ; implicit-def: $vgpr3
	s_branch .LBB230_1656
.LBB230_1652:
	s_mov_b64 s[8:9], -1
                                        ; implicit-def: $vgpr3
.LBB230_1653:
	s_andn2_b64 vcc, exec, s[8:9]
	s_cbranch_vccnz .LBB230_1655
; %bb.1654:
	global_load_dword v3, v[0:1], off
.LBB230_1655:
	s_mov_b64 s[8:9], 0
.LBB230_1656:
	s_andn2_b64 vcc, exec, s[8:9]
	s_cbranch_vccnz .LBB230_1658
; %bb.1657:
	global_load_ushort v3, v[0:1], off
	s_waitcnt vmcnt(0)
	v_cvt_f32_f16_e32 v3, v3
.LBB230_1658:
	s_cbranch_execnz .LBB230_1677
.LBB230_1659:
	v_cmp_gt_i16_e32 vcc, 2, v2
	s_cbranch_vccnz .LBB230_1663
; %bb.1660:
	v_cmp_gt_i16_e32 vcc, 3, v2
	s_cbranch_vccnz .LBB230_1664
; %bb.1661:
	v_cmp_lt_i16_e32 vcc, 3, v2
	s_cbranch_vccz .LBB230_1665
; %bb.1662:
	global_load_dwordx2 v[4:5], v[0:1], off
	s_mov_b64 s[8:9], 0
	s_waitcnt vmcnt(0)
	v_xor_b32_e32 v6, v4, v5
	v_ffbh_i32_e32 v3, v5
	v_ashrrev_i32_e32 v6, 31, v6
	v_add_u32_e32 v3, -1, v3
	v_add_u32_e32 v6, 32, v6
	v_min_u32_e32 v3, v3, v6
	v_lshlrev_b64 v[4:5], v3, v[4:5]
	v_min_u32_e32 v4, 1, v4
	v_or_b32_e32 v4, v5, v4
	v_cvt_f32_i32_e32 v4, v4
	v_sub_u32_e32 v3, 32, v3
	v_ldexp_f32 v3, v4, v3
	s_branch .LBB230_1666
.LBB230_1663:
                                        ; implicit-def: $vgpr3
	s_branch .LBB230_1672
.LBB230_1664:
	s_mov_b64 s[8:9], -1
                                        ; implicit-def: $vgpr3
	s_branch .LBB230_1669
.LBB230_1665:
	s_mov_b64 s[8:9], -1
                                        ; implicit-def: $vgpr3
.LBB230_1666:
	s_andn2_b64 vcc, exec, s[8:9]
	s_cbranch_vccnz .LBB230_1668
; %bb.1667:
	global_load_dword v3, v[0:1], off
	s_waitcnt vmcnt(0)
	v_cvt_f32_i32_e32 v3, v3
.LBB230_1668:
	s_mov_b64 s[8:9], 0
.LBB230_1669:
	s_andn2_b64 vcc, exec, s[8:9]
	s_cbranch_vccnz .LBB230_1671
; %bb.1670:
	global_load_sshort v3, v[0:1], off
	s_waitcnt vmcnt(0)
	v_cvt_f32_i32_e32 v3, v3
.LBB230_1671:
	s_cbranch_execnz .LBB230_1677
.LBB230_1672:
	v_cmp_lt_i16_e32 vcc, 0, v2
	s_cbranch_vccz .LBB230_1674
; %bb.1673:
	global_load_sbyte v2, v[0:1], off
	s_mov_b64 s[8:9], 0
	s_waitcnt vmcnt(0)
	v_cvt_f32_i32_e32 v3, v2
	s_branch .LBB230_1675
.LBB230_1674:
	s_mov_b64 s[8:9], -1
                                        ; implicit-def: $vgpr3
.LBB230_1675:
	s_andn2_b64 vcc, exec, s[8:9]
	s_cbranch_vccnz .LBB230_1677
; %bb.1676:
	global_load_ubyte v0, v[0:1], off
	s_waitcnt vmcnt(0)
	v_cvt_f32_ubyte0_e32 v3, v0
.LBB230_1677:
	s_or_b64 s[6:7], s[6:7], exec
.LBB230_1678:
	s_or_b64 exec, exec, s[4:5]
	s_mov_b64 s[8:9], 0
	s_mov_b64 s[12:13], 0
	;; [unrolled: 1-line block ×3, first 2 shown]
                                        ; implicit-def: $vgpr0
                                        ; implicit-def: $vgpr4_vgpr5
                                        ; implicit-def: $vgpr1
	s_and_saveexec_b64 s[4:5], s[6:7]
	s_cbranch_execz .LBB230_1686
; %bb.1679:
	s_waitcnt vmcnt(0)
	v_mul_lo_u32 v0, v48, s46
	v_ashrrev_i32_e32 v1, 31, v0
	v_mov_b32_e32 v2, s41
	v_add_co_u32_e32 v4, vcc, s40, v0
	s_movk_i32 s6, 0xff
	v_addc_co_u32_e32 v5, vcc, v2, v1, vcc
	v_and_b32_sdwa v0, v47, s6 dst_sel:DWORD dst_unused:UNUSED_PAD src0_sel:WORD_1 src1_sel:DWORD
	v_cmp_gt_i16_e32 vcc, 11, v0
	s_cbranch_vccnz .LBB230_1689
; %bb.1680:
	v_cmp_lt_i16_e32 vcc, 25, v0
	s_cbranch_vccz .LBB230_1690
; %bb.1681:
	v_cmp_lt_i16_e32 vcc, 28, v0
	s_cbranch_vccz .LBB230_1691
	;; [unrolled: 3-line block ×4, first 2 shown]
; %bb.1684:
	v_cmp_eq_u16_e32 vcc, 46, v0
	s_cbranch_vccz .LBB230_1694
; %bb.1685:
	global_load_dword v1, v[4:5], off
	s_mov_b64 s[6:7], 0
	s_mov_b64 s[10:11], -1
	s_waitcnt vmcnt(0)
	v_lshlrev_b32_e32 v1, 16, v1
	s_branch .LBB230_1696
.LBB230_1686:
	s_or_b64 exec, exec, s[4:5]
	s_and_saveexec_b64 s[4:5], s[52:53]
	s_cbranch_execnz .LBB230_1759
.LBB230_1687:
	s_or_b64 exec, exec, s[4:5]
	s_and_saveexec_b64 s[4:5], s[8:9]
	s_xor_b64 s[4:5], exec, s[4:5]
	s_cbranch_execz .LBB230_1760
.LBB230_1688:
	global_load_ubyte v1, v[4:5], off
	s_or_b64 s[10:11], s[10:11], exec
	s_waitcnt vmcnt(0)
	v_cmp_ne_u16_e32 vcc, 0, v1
	v_cndmask_b32_e64 v1, 0, 1.0, vcc
	s_or_b64 exec, exec, s[4:5]
	s_and_saveexec_b64 s[4:5], s[12:13]
	s_cbranch_execz .LBB230_1806
	s_branch .LBB230_1761
.LBB230_1689:
	s_mov_b64 s[12:13], -1
                                        ; implicit-def: $vgpr1
	s_mov_b64 s[6:7], s[52:53]
	s_branch .LBB230_1758
.LBB230_1690:
	s_mov_b64 s[6:7], s[52:53]
                                        ; implicit-def: $vgpr1
	s_cbranch_execnz .LBB230_1725
	s_branch .LBB230_1757
.LBB230_1691:
	s_mov_b64 s[12:13], -1
	s_mov_b64 s[6:7], s[52:53]
                                        ; implicit-def: $vgpr1
	s_branch .LBB230_1706
.LBB230_1692:
	s_mov_b64 s[12:13], -1
	s_mov_b64 s[6:7], s[52:53]
                                        ; implicit-def: $vgpr1
	s_branch .LBB230_1701
.LBB230_1693:
	s_mov_b64 s[12:13], -1
	s_mov_b64 s[6:7], s[52:53]
	s_branch .LBB230_1695
.LBB230_1694:
	s_mov_b64 s[6:7], -1
.LBB230_1695:
                                        ; implicit-def: $vgpr1
.LBB230_1696:
	s_and_b64 vcc, exec, s[12:13]
	s_cbranch_vccz .LBB230_1700
; %bb.1697:
	v_cmp_eq_u16_e32 vcc, 44, v0
	s_cbranch_vccz .LBB230_1699
; %bb.1698:
	global_load_ubyte v1, v[4:5], off
	s_movk_i32 s10, 0xff
	v_mov_b32_e32 v2, 0x7f800001
	v_mov_b32_e32 v6, 0x400000
	s_mov_b64 s[6:7], 0
	s_waitcnt vmcnt(0)
	v_lshlrev_b32_e32 v7, 23, v1
	v_cmp_ne_u32_e32 vcc, s10, v1
	v_cndmask_b32_e32 v2, v2, v7, vcc
	v_cmp_ne_u32_e32 vcc, 0, v1
	v_cndmask_b32_e32 v1, v6, v2, vcc
	s_mov_b64 s[10:11], -1
	s_branch .LBB230_1700
.LBB230_1699:
	s_mov_b64 s[6:7], -1
                                        ; implicit-def: $vgpr1
.LBB230_1700:
	s_mov_b64 s[12:13], 0
.LBB230_1701:
	s_and_b64 vcc, exec, s[12:13]
	s_cbranch_vccz .LBB230_1705
; %bb.1702:
	v_cmp_eq_u16_e32 vcc, 29, v0
	s_cbranch_vccz .LBB230_1704
; %bb.1703:
	global_load_dwordx2 v[6:7], v[4:5], off
	s_mov_b64 s[6:7], 0
	s_mov_b64 s[10:11], -1
	s_mov_b64 s[12:13], 0
	s_waitcnt vmcnt(0)
	v_ffbh_u32_e32 v1, v7
	v_min_u32_e32 v1, 32, v1
	v_lshlrev_b64 v[6:7], v1, v[6:7]
	v_min_u32_e32 v2, 1, v6
	v_or_b32_e32 v2, v7, v2
	v_cvt_f32_u32_e32 v2, v2
	v_sub_u32_e32 v1, 32, v1
	v_ldexp_f32 v1, v2, v1
	s_branch .LBB230_1706
.LBB230_1704:
	s_mov_b64 s[6:7], -1
                                        ; implicit-def: $vgpr1
.LBB230_1705:
	s_mov_b64 s[12:13], 0
.LBB230_1706:
	s_and_b64 vcc, exec, s[12:13]
	s_cbranch_vccz .LBB230_1724
; %bb.1707:
	v_cmp_gt_i16_e32 vcc, 27, v0
	s_cbranch_vccnz .LBB230_1710
; %bb.1708:
	v_cmp_lt_i16_e32 vcc, 27, v0
	s_cbranch_vccz .LBB230_1711
; %bb.1709:
	global_load_dword v1, v[4:5], off
	s_mov_b64 s[10:11], 0
	s_waitcnt vmcnt(0)
	v_cvt_f32_u32_e32 v1, v1
	s_branch .LBB230_1712
.LBB230_1710:
	s_mov_b64 s[10:11], -1
                                        ; implicit-def: $vgpr1
	s_branch .LBB230_1715
.LBB230_1711:
	s_mov_b64 s[10:11], -1
                                        ; implicit-def: $vgpr1
.LBB230_1712:
	s_andn2_b64 vcc, exec, s[10:11]
	s_cbranch_vccnz .LBB230_1714
; %bb.1713:
	global_load_ushort v1, v[4:5], off
	s_waitcnt vmcnt(0)
	v_cvt_f32_u32_e32 v1, v1
.LBB230_1714:
	s_mov_b64 s[10:11], 0
.LBB230_1715:
	s_andn2_b64 vcc, exec, s[10:11]
	s_cbranch_vccnz .LBB230_1723
; %bb.1716:
	global_load_ubyte v2, v[4:5], off
	s_movk_i32 s10, 0x7f
                                        ; implicit-def: $sgpr16
	s_waitcnt vmcnt(0)
	v_cmp_lt_i16_e32 vcc, s10, v2
	s_mov_b64 s[10:11], 0
	s_and_saveexec_b64 s[12:13], vcc
	s_xor_b64 s[12:13], exec, s[12:13]
	s_cbranch_execz .LBB230_1736
; %bb.1717:
	s_movk_i32 s10, 0x80
	v_cmp_eq_u16_e32 vcc, s10, v2
	s_mov_b64 s[10:11], -1
                                        ; implicit-def: $sgpr16
	s_and_saveexec_b64 s[14:15], vcc
; %bb.1718:
	s_mov_b32 s16, 0x7f800001
	s_xor_b64 s[10:11], exec, -1
; %bb.1719:
	s_or_b64 exec, exec, s[14:15]
	s_and_b64 s[10:11], s[10:11], exec
	s_or_saveexec_b64 s[12:13], s[12:13]
	v_mov_b32_e32 v1, s16
	s_xor_b64 exec, exec, s[12:13]
	s_cbranch_execnz .LBB230_1737
.LBB230_1720:
	s_or_b64 exec, exec, s[12:13]
	s_and_saveexec_b64 s[12:13], s[10:11]
	s_cbranch_execz .LBB230_1722
.LBB230_1721:
	v_lshlrev_b32_e32 v1, 24, v2
	v_and_b32_e32 v2, 0xffff, v2
	v_and_b32_e32 v6, 7, v2
	v_ffbh_u32_e32 v8, v6
	v_min_u32_e32 v8, 32, v8
	v_subrev_u32_e32 v9, 28, v8
	v_bfe_u32 v7, v2, 3, 4
	v_lshlrev_b32_e32 v2, v9, v2
	v_sub_u32_e32 v8, 29, v8
	v_and_b32_e32 v2, 7, v2
	v_cmp_eq_u32_e32 vcc, 0, v7
	v_cndmask_b32_e32 v7, v7, v8, vcc
	v_cndmask_b32_e32 v2, v6, v2, vcc
	v_mov_b32_e32 v6, 0x3b800000
	v_lshlrev_b32_e32 v2, 20, v2
	v_and_b32_e32 v1, 0x80000000, v1
	v_lshl_add_u32 v6, v7, 23, v6
	v_or3_b32 v1, v1, v6, v2
.LBB230_1722:
	s_or_b64 exec, exec, s[12:13]
.LBB230_1723:
	s_mov_b64 s[10:11], -1
.LBB230_1724:
	s_branch .LBB230_1757
.LBB230_1725:
	v_cmp_lt_i16_e32 vcc, 22, v0
	s_cbranch_vccz .LBB230_1735
; %bb.1726:
	v_cmp_gt_i16_e32 vcc, 24, v0
	s_cbranch_vccnz .LBB230_1738
; %bb.1727:
	v_cmp_lt_i16_e32 vcc, 24, v0
	s_cbranch_vccz .LBB230_1739
; %bb.1728:
	global_load_ubyte v2, v[4:5], off
	s_movk_i32 s8, 0x7f
                                        ; implicit-def: $sgpr14
	s_waitcnt vmcnt(0)
	v_cmp_lt_i16_e32 vcc, s8, v2
	s_mov_b64 s[8:9], 0
	s_and_saveexec_b64 s[10:11], vcc
	s_xor_b64 s[10:11], exec, s[10:11]
	s_cbranch_execz .LBB230_1751
; %bb.1729:
	s_movk_i32 s8, 0x80
	v_cmp_eq_u16_e32 vcc, s8, v2
	s_mov_b64 s[8:9], -1
                                        ; implicit-def: $sgpr14
	s_and_saveexec_b64 s[12:13], vcc
; %bb.1730:
	s_mov_b32 s14, 0x7f800001
	s_xor_b64 s[8:9], exec, -1
; %bb.1731:
	s_or_b64 exec, exec, s[12:13]
	s_and_b64 s[8:9], s[8:9], exec
	s_or_saveexec_b64 s[10:11], s[10:11]
	v_mov_b32_e32 v1, s14
	s_xor_b64 exec, exec, s[10:11]
	s_cbranch_execnz .LBB230_1752
.LBB230_1732:
	s_or_b64 exec, exec, s[10:11]
	s_and_saveexec_b64 s[10:11], s[8:9]
	s_cbranch_execz .LBB230_1734
.LBB230_1733:
	v_lshlrev_b32_e32 v1, 24, v2
	v_and_b32_e32 v2, 0xffff, v2
	v_and_b32_e32 v6, 3, v2
	v_ffbh_u32_e32 v8, v6
	v_min_u32_e32 v8, 32, v8
	v_subrev_u32_e32 v9, 29, v8
	v_bfe_u32 v7, v2, 2, 5
	v_lshlrev_b32_e32 v2, v9, v2
	v_sub_u32_e32 v8, 30, v8
	v_and_b32_e32 v2, 3, v2
	v_cmp_eq_u32_e32 vcc, 0, v7
	v_cndmask_b32_e32 v7, v7, v8, vcc
	v_cndmask_b32_e32 v2, v6, v2, vcc
	v_mov_b32_e32 v6, 0x37800000
	v_lshlrev_b32_e32 v2, 21, v2
	v_and_b32_e32 v1, 0x80000000, v1
	v_lshl_add_u32 v6, v7, 23, v6
	v_or3_b32 v1, v1, v6, v2
.LBB230_1734:
	s_or_b64 exec, exec, s[10:11]
	s_mov_b64 s[8:9], 0
	s_branch .LBB230_1740
.LBB230_1735:
	s_mov_b64 s[8:9], -1
                                        ; implicit-def: $vgpr1
	s_branch .LBB230_1746
.LBB230_1736:
	s_or_saveexec_b64 s[12:13], s[12:13]
	v_mov_b32_e32 v1, s16
	s_xor_b64 exec, exec, s[12:13]
	s_cbranch_execz .LBB230_1720
.LBB230_1737:
	v_cmp_ne_u16_e32 vcc, 0, v2
	s_andn2_b64 s[10:11], s[10:11], exec
	s_and_b64 s[14:15], vcc, exec
	v_mov_b32_e32 v1, 0
	s_or_b64 s[10:11], s[10:11], s[14:15]
	s_or_b64 exec, exec, s[12:13]
	s_and_saveexec_b64 s[12:13], s[10:11]
	s_cbranch_execnz .LBB230_1721
	s_branch .LBB230_1722
.LBB230_1738:
	s_mov_b64 s[8:9], -1
                                        ; implicit-def: $vgpr1
	s_branch .LBB230_1743
.LBB230_1739:
	s_mov_b64 s[8:9], -1
                                        ; implicit-def: $vgpr1
.LBB230_1740:
	s_and_b64 vcc, exec, s[8:9]
	s_cbranch_vccz .LBB230_1742
; %bb.1741:
	global_load_ubyte v1, v[4:5], off
	s_mov_b32 s8, 0x7f800000
	s_waitcnt vmcnt(0)
	v_lshlrev_b32_e32 v1, 24, v1
	v_and_b32_e32 v2, 0x7f000000, v1
	v_ffbh_u32_e32 v6, v2
	v_min_u32_e32 v6, 32, v6
	v_sub_u32_e64 v6, v6, 4 clamp
	v_lshlrev_b32_e32 v8, v6, v2
	v_lshlrev_b32_e32 v6, 23, v6
	v_lshrrev_b32_e32 v8, 4, v8
	v_add_u32_e32 v7, 0x1000000, v2
	v_sub_u32_e32 v6, v8, v6
	v_ashrrev_i32_e32 v7, 8, v7
	v_add_u32_e32 v6, 0x3c000000, v6
	v_and_or_b32 v6, v7, s8, v6
	v_cmp_ne_u32_e32 vcc, 0, v2
	v_cndmask_b32_e32 v2, 0, v6, vcc
	s_brev_b32 s8, 1
	v_and_or_b32 v1, v1, s8, v2
.LBB230_1742:
	s_mov_b64 s[8:9], 0
.LBB230_1743:
	s_andn2_b64 vcc, exec, s[8:9]
	s_cbranch_vccnz .LBB230_1745
; %bb.1744:
	global_load_ubyte v1, v[4:5], off
	s_movk_i32 s8, 0x7f00
	s_brev_b32 s9, 16
	s_waitcnt vmcnt(0)
	v_lshlrev_b16_e32 v2, 8, v1
	v_lshlrev_b32_e32 v1, 25, v1
	v_lshrrev_b32_e32 v6, 4, v1
	v_and_or_b32 v7, v2, s8, 0.5
	v_or_b32_e32 v6, 0x70000000, v6
	v_add_f32_e32 v7, -0.5, v7
	v_mul_f32_e32 v6, 0x7800000, v6
	v_cmp_gt_u32_e32 vcc, s9, v1
	v_bfe_i32 v2, v2, 0, 16
	v_cndmask_b32_e32 v1, v6, v7, vcc
	s_brev_b32 s8, 1
	v_and_or_b32 v1, v2, s8, v1
.LBB230_1745:
	s_mov_b64 s[8:9], 0
	s_mov_b64 s[10:11], -1
.LBB230_1746:
	s_andn2_b64 vcc, exec, s[8:9]
	s_mov_b64 s[8:9], 0
	s_cbranch_vccnz .LBB230_1757
; %bb.1747:
	v_cmp_lt_i16_e32 vcc, 14, v0
	s_cbranch_vccz .LBB230_1750
; %bb.1748:
	v_cmp_eq_u16_e32 vcc, 15, v0
	s_cbranch_vccz .LBB230_1753
; %bb.1749:
	global_load_ushort v1, v[4:5], off
	s_mov_b64 s[6:7], 0
	s_mov_b64 s[10:11], -1
	s_waitcnt vmcnt(0)
	v_lshlrev_b32_e32 v1, 16, v1
	s_branch .LBB230_1754
.LBB230_1750:
	s_mov_b64 s[12:13], -1
                                        ; implicit-def: $vgpr1
	s_branch .LBB230_1755
.LBB230_1751:
	s_or_saveexec_b64 s[10:11], s[10:11]
	v_mov_b32_e32 v1, s14
	s_xor_b64 exec, exec, s[10:11]
	s_cbranch_execz .LBB230_1732
.LBB230_1752:
	v_cmp_ne_u16_e32 vcc, 0, v2
	s_andn2_b64 s[8:9], s[8:9], exec
	s_and_b64 s[12:13], vcc, exec
	v_mov_b32_e32 v1, 0
	s_or_b64 s[8:9], s[8:9], s[12:13]
	s_or_b64 exec, exec, s[10:11]
	s_and_saveexec_b64 s[10:11], s[8:9]
	s_cbranch_execnz .LBB230_1733
	s_branch .LBB230_1734
.LBB230_1753:
	s_mov_b64 s[6:7], -1
                                        ; implicit-def: $vgpr1
.LBB230_1754:
	s_mov_b64 s[12:13], 0
.LBB230_1755:
	s_and_b64 vcc, exec, s[12:13]
	s_cbranch_vccz .LBB230_1757
; %bb.1756:
	v_cmp_ne_u16_e32 vcc, 11, v0
	s_andn2_b64 s[6:7], s[6:7], exec
	s_and_b64 s[12:13], vcc, exec
	s_mov_b64 s[8:9], -1
	s_or_b64 s[6:7], s[6:7], s[12:13]
                                        ; implicit-def: $vgpr1
.LBB230_1757:
	s_mov_b64 s[12:13], 0
.LBB230_1758:
	s_andn2_b64 s[14:15], s[52:53], exec
	s_and_b64 s[6:7], s[6:7], exec
	s_and_b64 s[10:11], s[10:11], exec
	;; [unrolled: 1-line block ×4, first 2 shown]
	s_or_b64 s[52:53], s[14:15], s[6:7]
	s_or_b64 exec, exec, s[4:5]
	s_and_saveexec_b64 s[4:5], s[52:53]
	s_cbranch_execz .LBB230_1687
.LBB230_1759:
	s_or_b64 s[56:57], s[56:57], exec
	s_andn2_b64 s[8:9], s[8:9], exec
	s_trap 2
                                        ; implicit-def: $vgpr1
	s_or_b64 exec, exec, s[4:5]
	s_and_saveexec_b64 s[4:5], s[8:9]
	s_xor_b64 s[4:5], exec, s[4:5]
	s_cbranch_execnz .LBB230_1688
.LBB230_1760:
	s_or_b64 exec, exec, s[4:5]
	s_and_saveexec_b64 s[4:5], s[12:13]
	s_cbranch_execz .LBB230_1806
.LBB230_1761:
	s_waitcnt vmcnt(0)
	v_cmp_gt_i16_e32 vcc, 5, v0
	s_cbranch_vccnz .LBB230_1766
; %bb.1762:
	v_cmp_gt_i16_e32 vcc, 8, v0
	s_cbranch_vccnz .LBB230_1767
; %bb.1763:
	;; [unrolled: 3-line block ×3, first 2 shown]
	v_cmp_lt_i16_e32 vcc, 9, v0
	s_cbranch_vccz .LBB230_1769
; %bb.1765:
	global_load_dwordx2 v[6:7], v[4:5], off
	s_mov_b64 s[6:7], 0
	s_waitcnt vmcnt(0)
	v_cvt_f32_f64_e32 v1, v[6:7]
	s_branch .LBB230_1770
.LBB230_1766:
                                        ; implicit-def: $vgpr1
	s_branch .LBB230_1787
.LBB230_1767:
                                        ; implicit-def: $vgpr1
	s_branch .LBB230_1776
.LBB230_1768:
	s_mov_b64 s[6:7], -1
                                        ; implicit-def: $vgpr1
	s_branch .LBB230_1773
.LBB230_1769:
	s_mov_b64 s[6:7], -1
                                        ; implicit-def: $vgpr1
.LBB230_1770:
	s_andn2_b64 vcc, exec, s[6:7]
	s_cbranch_vccnz .LBB230_1772
; %bb.1771:
	global_load_dword v1, v[4:5], off
.LBB230_1772:
	s_mov_b64 s[6:7], 0
.LBB230_1773:
	s_andn2_b64 vcc, exec, s[6:7]
	s_cbranch_vccnz .LBB230_1775
; %bb.1774:
	global_load_dword v1, v[4:5], off
	s_waitcnt vmcnt(0)
	v_cvt_f32_f16_e32 v1, v1
.LBB230_1775:
	s_cbranch_execnz .LBB230_1786
.LBB230_1776:
	v_cmp_gt_i16_e32 vcc, 6, v0
	s_cbranch_vccnz .LBB230_1779
; %bb.1777:
	v_cmp_lt_i16_e32 vcc, 6, v0
	s_cbranch_vccz .LBB230_1780
; %bb.1778:
	global_load_dwordx2 v[6:7], v[4:5], off
	s_mov_b64 s[6:7], 0
	s_waitcnt vmcnt(0)
	v_cvt_f32_f64_e32 v1, v[6:7]
	s_branch .LBB230_1781
.LBB230_1779:
	s_mov_b64 s[6:7], -1
                                        ; implicit-def: $vgpr1
	s_branch .LBB230_1784
.LBB230_1780:
	s_mov_b64 s[6:7], -1
                                        ; implicit-def: $vgpr1
.LBB230_1781:
	s_andn2_b64 vcc, exec, s[6:7]
	s_cbranch_vccnz .LBB230_1783
; %bb.1782:
	global_load_dword v1, v[4:5], off
.LBB230_1783:
	s_mov_b64 s[6:7], 0
.LBB230_1784:
	s_andn2_b64 vcc, exec, s[6:7]
	s_cbranch_vccnz .LBB230_1786
; %bb.1785:
	global_load_ushort v1, v[4:5], off
	s_waitcnt vmcnt(0)
	v_cvt_f32_f16_e32 v1, v1
.LBB230_1786:
	s_cbranch_execnz .LBB230_1805
.LBB230_1787:
	v_cmp_gt_i16_e32 vcc, 2, v0
	s_cbranch_vccnz .LBB230_1791
; %bb.1788:
	v_cmp_gt_i16_e32 vcc, 3, v0
	s_cbranch_vccnz .LBB230_1792
; %bb.1789:
	v_cmp_lt_i16_e32 vcc, 3, v0
	s_cbranch_vccz .LBB230_1793
; %bb.1790:
	global_load_dwordx2 v[6:7], v[4:5], off
	s_mov_b64 s[6:7], 0
	s_waitcnt vmcnt(0)
	v_xor_b32_e32 v2, v6, v7
	v_ffbh_i32_e32 v1, v7
	v_ashrrev_i32_e32 v2, 31, v2
	v_add_u32_e32 v1, -1, v1
	v_add_u32_e32 v2, 32, v2
	v_min_u32_e32 v1, v1, v2
	v_lshlrev_b64 v[6:7], v1, v[6:7]
	v_min_u32_e32 v2, 1, v6
	v_or_b32_e32 v2, v7, v2
	v_cvt_f32_i32_e32 v2, v2
	v_sub_u32_e32 v1, 32, v1
	v_ldexp_f32 v1, v2, v1
	s_branch .LBB230_1794
.LBB230_1791:
                                        ; implicit-def: $vgpr1
	s_branch .LBB230_1800
.LBB230_1792:
	s_mov_b64 s[6:7], -1
                                        ; implicit-def: $vgpr1
	s_branch .LBB230_1797
.LBB230_1793:
	s_mov_b64 s[6:7], -1
                                        ; implicit-def: $vgpr1
.LBB230_1794:
	s_andn2_b64 vcc, exec, s[6:7]
	s_cbranch_vccnz .LBB230_1796
; %bb.1795:
	global_load_dword v1, v[4:5], off
	s_waitcnt vmcnt(0)
	v_cvt_f32_i32_e32 v1, v1
.LBB230_1796:
	s_mov_b64 s[6:7], 0
.LBB230_1797:
	s_andn2_b64 vcc, exec, s[6:7]
	s_cbranch_vccnz .LBB230_1799
; %bb.1798:
	global_load_sshort v1, v[4:5], off
	s_waitcnt vmcnt(0)
	v_cvt_f32_i32_e32 v1, v1
.LBB230_1799:
	s_cbranch_execnz .LBB230_1805
.LBB230_1800:
	v_cmp_lt_i16_e32 vcc, 0, v0
	s_cbranch_vccz .LBB230_1802
; %bb.1801:
	global_load_sbyte v0, v[4:5], off
	s_mov_b64 s[6:7], 0
	s_waitcnt vmcnt(0)
	v_cvt_f32_i32_e32 v1, v0
	s_branch .LBB230_1803
.LBB230_1802:
	s_mov_b64 s[6:7], -1
                                        ; implicit-def: $vgpr1
.LBB230_1803:
	s_andn2_b64 vcc, exec, s[6:7]
	s_cbranch_vccnz .LBB230_1805
; %bb.1804:
	global_load_ubyte v0, v[4:5], off
	s_waitcnt vmcnt(0)
	v_cvt_f32_ubyte0_e32 v1, v0
.LBB230_1805:
	s_or_b64 s[10:11], s[10:11], exec
.LBB230_1806:
	s_or_b64 exec, exec, s[4:5]
	s_mov_b64 s[8:9], 0
	s_mov_b64 s[14:15], 0
	;; [unrolled: 1-line block ×3, first 2 shown]
                                        ; implicit-def: $vgpr4_vgpr5
                                        ; implicit-def: $vgpr2
	s_and_saveexec_b64 s[4:5], s[10:11]
	s_cbranch_execz .LBB230_1814
; %bb.1807:
	s_waitcnt vmcnt(0)
	v_mul_lo_u32 v0, v48, s47
	v_ashrrev_i32_e32 v2, 31, v0
	v_mov_b32_e32 v5, s43
	v_add_co_u32_e32 v4, vcc, s42, v0
	v_addc_co_u32_e32 v5, vcc, v5, v2, vcc
	v_cmp_gt_i16_e32 vcc, 11, v49
	s_cbranch_vccnz .LBB230_1817
; %bb.1808:
	v_cmp_lt_i16_e32 vcc, 25, v49
	s_cbranch_vccz .LBB230_1818
; %bb.1809:
	v_cmp_lt_i16_e32 vcc, 28, v49
	s_cbranch_vccz .LBB230_1819
	;; [unrolled: 3-line block ×4, first 2 shown]
; %bb.1812:
	v_cmp_eq_u16_e32 vcc, 46, v49
	s_cbranch_vccz .LBB230_1822
; %bb.1813:
	global_load_dword v0, v[4:5], off
	s_mov_b64 s[6:7], 0
	s_mov_b64 s[10:11], -1
	s_waitcnt vmcnt(0)
	v_lshlrev_b32_e32 v2, 16, v0
	s_branch .LBB230_1823
.LBB230_1814:
	s_or_b64 exec, exec, s[4:5]
	s_and_saveexec_b64 s[4:5], s[50:51]
	s_cbranch_execnz .LBB230_1886
.LBB230_1815:
	s_or_b64 exec, exec, s[4:5]
	s_and_saveexec_b64 s[4:5], s[8:9]
	s_xor_b64 s[4:5], exec, s[4:5]
	s_cbranch_execz .LBB230_1887
.LBB230_1816:
	global_load_ubyte v0, v[4:5], off
	s_or_b64 s[12:13], s[12:13], exec
	s_waitcnt vmcnt(0)
	v_cmp_ne_u16_e32 vcc, 0, v0
	v_cndmask_b32_e64 v2, 0, 1.0, vcc
	s_or_b64 exec, exec, s[4:5]
	s_and_saveexec_b64 s[4:5], s[14:15]
	s_cbranch_execz .LBB230_1933
	s_branch .LBB230_1888
.LBB230_1817:
	s_mov_b64 s[14:15], -1
	s_mov_b64 s[10:11], 0
                                        ; implicit-def: $vgpr2
	s_mov_b64 s[6:7], s[50:51]
	s_branch .LBB230_1885
.LBB230_1818:
	s_mov_b64 s[10:11], 0
	s_mov_b64 s[6:7], s[50:51]
                                        ; implicit-def: $vgpr2
	s_cbranch_execnz .LBB230_1852
	s_branch .LBB230_1884
.LBB230_1819:
	s_mov_b64 s[12:13], -1
	s_mov_b64 s[10:11], 0
	s_mov_b64 s[6:7], s[50:51]
                                        ; implicit-def: $vgpr2
	s_branch .LBB230_1833
.LBB230_1820:
	s_mov_b64 s[12:13], -1
	s_mov_b64 s[10:11], 0
	s_mov_b64 s[6:7], s[50:51]
                                        ; implicit-def: $vgpr2
	s_branch .LBB230_1828
.LBB230_1821:
	s_mov_b64 s[12:13], -1
	s_mov_b64 s[10:11], 0
	s_mov_b64 s[6:7], s[50:51]
                                        ; implicit-def: $vgpr2
	s_branch .LBB230_1823
.LBB230_1822:
	s_mov_b64 s[6:7], -1
                                        ; implicit-def: $vgpr2
	s_mov_b64 s[10:11], 0
.LBB230_1823:
	s_and_b64 vcc, exec, s[12:13]
	s_cbranch_vccz .LBB230_1827
; %bb.1824:
	v_cmp_eq_u16_e32 vcc, 44, v49
	s_cbranch_vccz .LBB230_1826
; %bb.1825:
	global_load_ubyte v0, v[4:5], off
	s_movk_i32 s10, 0xff
	v_mov_b32_e32 v2, 0x7f800001
	v_mov_b32_e32 v6, 0x400000
	s_mov_b64 s[6:7], 0
	s_waitcnt vmcnt(0)
	v_lshlrev_b32_e32 v7, 23, v0
	v_cmp_ne_u32_e32 vcc, s10, v0
	v_cndmask_b32_e32 v2, v2, v7, vcc
	v_cmp_ne_u32_e32 vcc, 0, v0
	v_cndmask_b32_e32 v2, v6, v2, vcc
	s_mov_b64 s[10:11], -1
	s_branch .LBB230_1827
.LBB230_1826:
	s_mov_b64 s[6:7], -1
                                        ; implicit-def: $vgpr2
.LBB230_1827:
	s_mov_b64 s[12:13], 0
.LBB230_1828:
	s_and_b64 vcc, exec, s[12:13]
	s_cbranch_vccz .LBB230_1832
; %bb.1829:
	v_cmp_eq_u16_e32 vcc, 29, v49
	s_cbranch_vccz .LBB230_1831
; %bb.1830:
	global_load_dwordx2 v[6:7], v[4:5], off
	s_mov_b64 s[6:7], 0
	s_mov_b64 s[10:11], -1
	s_mov_b64 s[12:13], 0
	s_waitcnt vmcnt(0)
	v_ffbh_u32_e32 v0, v7
	v_min_u32_e32 v0, 32, v0
	v_lshlrev_b64 v[6:7], v0, v[6:7]
	v_min_u32_e32 v2, 1, v6
	v_or_b32_e32 v2, v7, v2
	v_cvt_f32_u32_e32 v2, v2
	v_sub_u32_e32 v0, 32, v0
	v_ldexp_f32 v2, v2, v0
	s_branch .LBB230_1833
.LBB230_1831:
	s_mov_b64 s[6:7], -1
                                        ; implicit-def: $vgpr2
.LBB230_1832:
	s_mov_b64 s[12:13], 0
.LBB230_1833:
	s_and_b64 vcc, exec, s[12:13]
	s_cbranch_vccz .LBB230_1851
; %bb.1834:
	v_cmp_gt_i16_e32 vcc, 27, v49
	s_cbranch_vccnz .LBB230_1837
; %bb.1835:
	v_cmp_lt_i16_e32 vcc, 27, v49
	s_cbranch_vccz .LBB230_1838
; %bb.1836:
	global_load_dword v0, v[4:5], off
	s_mov_b64 s[10:11], 0
	s_waitcnt vmcnt(0)
	v_cvt_f32_u32_e32 v2, v0
	s_branch .LBB230_1839
.LBB230_1837:
	s_mov_b64 s[10:11], -1
                                        ; implicit-def: $vgpr2
	s_branch .LBB230_1842
.LBB230_1838:
	s_mov_b64 s[10:11], -1
                                        ; implicit-def: $vgpr2
.LBB230_1839:
	s_andn2_b64 vcc, exec, s[10:11]
	s_cbranch_vccnz .LBB230_1841
; %bb.1840:
	global_load_ushort v0, v[4:5], off
	s_waitcnt vmcnt(0)
	v_cvt_f32_u32_e32 v2, v0
.LBB230_1841:
	s_mov_b64 s[10:11], 0
.LBB230_1842:
	s_andn2_b64 vcc, exec, s[10:11]
	s_cbranch_vccnz .LBB230_1850
; %bb.1843:
	global_load_ubyte v0, v[4:5], off
	s_movk_i32 s10, 0x7f
                                        ; implicit-def: $sgpr16
	s_waitcnt vmcnt(0)
	v_cmp_lt_i16_e32 vcc, s10, v0
	s_mov_b64 s[10:11], 0
	s_and_saveexec_b64 s[12:13], vcc
	s_xor_b64 s[12:13], exec, s[12:13]
	s_cbranch_execz .LBB230_1863
; %bb.1844:
	s_movk_i32 s10, 0x80
	v_cmp_eq_u16_e32 vcc, s10, v0
	s_mov_b64 s[10:11], -1
                                        ; implicit-def: $sgpr16
	s_and_saveexec_b64 s[14:15], vcc
; %bb.1845:
	s_mov_b32 s16, 0x7f800001
	s_xor_b64 s[10:11], exec, -1
; %bb.1846:
	s_or_b64 exec, exec, s[14:15]
	s_and_b64 s[10:11], s[10:11], exec
	s_or_saveexec_b64 s[12:13], s[12:13]
	v_mov_b32_e32 v2, s16
	s_xor_b64 exec, exec, s[12:13]
	s_cbranch_execnz .LBB230_1864
.LBB230_1847:
	s_or_b64 exec, exec, s[12:13]
	s_and_saveexec_b64 s[12:13], s[10:11]
	s_cbranch_execz .LBB230_1849
.LBB230_1848:
	v_lshlrev_b32_e32 v2, 24, v0
	v_and_b32_e32 v0, 0xffff, v0
	v_and_b32_e32 v6, 7, v0
	v_ffbh_u32_e32 v8, v6
	v_min_u32_e32 v8, 32, v8
	v_subrev_u32_e32 v9, 28, v8
	v_bfe_u32 v7, v0, 3, 4
	v_lshlrev_b32_e32 v0, v9, v0
	v_sub_u32_e32 v8, 29, v8
	v_and_b32_e32 v0, 7, v0
	v_cmp_eq_u32_e32 vcc, 0, v7
	v_cndmask_b32_e32 v7, v7, v8, vcc
	v_cndmask_b32_e32 v0, v6, v0, vcc
	v_mov_b32_e32 v6, 0x3b800000
	v_lshlrev_b32_e32 v0, 20, v0
	v_and_b32_e32 v2, 0x80000000, v2
	v_lshl_add_u32 v6, v7, 23, v6
	v_or3_b32 v2, v2, v6, v0
.LBB230_1849:
	s_or_b64 exec, exec, s[12:13]
.LBB230_1850:
	s_mov_b64 s[10:11], -1
.LBB230_1851:
	s_branch .LBB230_1884
.LBB230_1852:
	v_cmp_lt_i16_e32 vcc, 22, v49
	s_cbranch_vccz .LBB230_1862
; %bb.1853:
	v_cmp_gt_i16_e32 vcc, 24, v49
	s_cbranch_vccnz .LBB230_1865
; %bb.1854:
	v_cmp_lt_i16_e32 vcc, 24, v49
	s_cbranch_vccz .LBB230_1866
; %bb.1855:
	global_load_ubyte v0, v[4:5], off
	s_movk_i32 s8, 0x7f
                                        ; implicit-def: $sgpr14
	s_waitcnt vmcnt(0)
	v_cmp_lt_i16_e32 vcc, s8, v0
	s_mov_b64 s[8:9], 0
	s_and_saveexec_b64 s[10:11], vcc
	s_xor_b64 s[10:11], exec, s[10:11]
	s_cbranch_execz .LBB230_1878
; %bb.1856:
	s_movk_i32 s8, 0x80
	v_cmp_eq_u16_e32 vcc, s8, v0
	s_mov_b64 s[8:9], -1
                                        ; implicit-def: $sgpr14
	s_and_saveexec_b64 s[12:13], vcc
; %bb.1857:
	s_mov_b32 s14, 0x7f800001
	s_xor_b64 s[8:9], exec, -1
; %bb.1858:
	s_or_b64 exec, exec, s[12:13]
	s_and_b64 s[8:9], s[8:9], exec
	s_or_saveexec_b64 s[10:11], s[10:11]
	v_mov_b32_e32 v2, s14
	s_xor_b64 exec, exec, s[10:11]
	s_cbranch_execnz .LBB230_1879
.LBB230_1859:
	s_or_b64 exec, exec, s[10:11]
	s_and_saveexec_b64 s[10:11], s[8:9]
	s_cbranch_execz .LBB230_1861
.LBB230_1860:
	v_lshlrev_b32_e32 v2, 24, v0
	v_and_b32_e32 v0, 0xffff, v0
	v_and_b32_e32 v6, 3, v0
	v_ffbh_u32_e32 v8, v6
	v_min_u32_e32 v8, 32, v8
	v_subrev_u32_e32 v9, 29, v8
	v_bfe_u32 v7, v0, 2, 5
	v_lshlrev_b32_e32 v0, v9, v0
	v_sub_u32_e32 v8, 30, v8
	v_and_b32_e32 v0, 3, v0
	v_cmp_eq_u32_e32 vcc, 0, v7
	v_cndmask_b32_e32 v7, v7, v8, vcc
	v_cndmask_b32_e32 v0, v6, v0, vcc
	v_mov_b32_e32 v6, 0x37800000
	v_lshlrev_b32_e32 v0, 21, v0
	v_and_b32_e32 v2, 0x80000000, v2
	v_lshl_add_u32 v6, v7, 23, v6
	v_or3_b32 v2, v2, v6, v0
.LBB230_1861:
	s_or_b64 exec, exec, s[10:11]
	s_mov_b64 s[8:9], 0
	s_branch .LBB230_1867
.LBB230_1862:
	s_mov_b64 s[8:9], -1
                                        ; implicit-def: $vgpr2
	s_branch .LBB230_1873
.LBB230_1863:
	s_or_saveexec_b64 s[12:13], s[12:13]
	v_mov_b32_e32 v2, s16
	s_xor_b64 exec, exec, s[12:13]
	s_cbranch_execz .LBB230_1847
.LBB230_1864:
	v_cmp_ne_u16_e32 vcc, 0, v0
	s_andn2_b64 s[10:11], s[10:11], exec
	s_and_b64 s[14:15], vcc, exec
	v_mov_b32_e32 v2, 0
	s_or_b64 s[10:11], s[10:11], s[14:15]
	s_or_b64 exec, exec, s[12:13]
	s_and_saveexec_b64 s[12:13], s[10:11]
	s_cbranch_execnz .LBB230_1848
	s_branch .LBB230_1849
.LBB230_1865:
	s_mov_b64 s[8:9], -1
                                        ; implicit-def: $vgpr2
	s_branch .LBB230_1870
.LBB230_1866:
	s_mov_b64 s[8:9], -1
                                        ; implicit-def: $vgpr2
.LBB230_1867:
	s_and_b64 vcc, exec, s[8:9]
	s_cbranch_vccz .LBB230_1869
; %bb.1868:
	global_load_ubyte v0, v[4:5], off
	s_mov_b32 s8, 0x7f800000
	s_waitcnt vmcnt(0)
	v_lshlrev_b32_e32 v0, 24, v0
	v_and_b32_e32 v2, 0x7f000000, v0
	v_ffbh_u32_e32 v6, v2
	v_min_u32_e32 v6, 32, v6
	v_sub_u32_e64 v6, v6, 4 clamp
	v_lshlrev_b32_e32 v8, v6, v2
	v_lshlrev_b32_e32 v6, 23, v6
	v_lshrrev_b32_e32 v8, 4, v8
	v_add_u32_e32 v7, 0x1000000, v2
	v_sub_u32_e32 v6, v8, v6
	v_ashrrev_i32_e32 v7, 8, v7
	v_add_u32_e32 v6, 0x3c000000, v6
	v_and_or_b32 v6, v7, s8, v6
	v_cmp_ne_u32_e32 vcc, 0, v2
	v_cndmask_b32_e32 v2, 0, v6, vcc
	s_brev_b32 s8, 1
	v_and_or_b32 v2, v0, s8, v2
.LBB230_1869:
	s_mov_b64 s[8:9], 0
.LBB230_1870:
	s_andn2_b64 vcc, exec, s[8:9]
	s_cbranch_vccnz .LBB230_1872
; %bb.1871:
	global_load_ubyte v0, v[4:5], off
	s_movk_i32 s8, 0x7f00
	s_brev_b32 s9, 16
	s_waitcnt vmcnt(0)
	v_lshlrev_b16_e32 v2, 8, v0
	v_lshlrev_b32_e32 v0, 25, v0
	v_lshrrev_b32_e32 v6, 4, v0
	v_and_or_b32 v7, v2, s8, 0.5
	v_or_b32_e32 v6, 0x70000000, v6
	v_add_f32_e32 v7, -0.5, v7
	v_mul_f32_e32 v6, 0x7800000, v6
	v_cmp_gt_u32_e32 vcc, s9, v0
	v_bfe_i32 v2, v2, 0, 16
	v_cndmask_b32_e32 v0, v6, v7, vcc
	s_brev_b32 s8, 1
	v_and_or_b32 v2, v2, s8, v0
.LBB230_1872:
	s_mov_b64 s[8:9], 0
	s_mov_b64 s[10:11], -1
.LBB230_1873:
	s_andn2_b64 vcc, exec, s[8:9]
	s_mov_b64 s[8:9], 0
	s_cbranch_vccnz .LBB230_1884
; %bb.1874:
	v_cmp_lt_i16_e32 vcc, 14, v49
	s_cbranch_vccz .LBB230_1877
; %bb.1875:
	v_cmp_eq_u16_e32 vcc, 15, v49
	s_cbranch_vccz .LBB230_1880
; %bb.1876:
	global_load_ushort v0, v[4:5], off
	s_mov_b64 s[6:7], 0
	s_mov_b64 s[10:11], -1
	s_waitcnt vmcnt(0)
	v_lshlrev_b32_e32 v2, 16, v0
	s_branch .LBB230_1881
.LBB230_1877:
	s_mov_b64 s[12:13], -1
                                        ; implicit-def: $vgpr2
	s_branch .LBB230_1882
.LBB230_1878:
	s_or_saveexec_b64 s[10:11], s[10:11]
	v_mov_b32_e32 v2, s14
	s_xor_b64 exec, exec, s[10:11]
	s_cbranch_execz .LBB230_1859
.LBB230_1879:
	v_cmp_ne_u16_e32 vcc, 0, v0
	s_andn2_b64 s[8:9], s[8:9], exec
	s_and_b64 s[12:13], vcc, exec
	v_mov_b32_e32 v2, 0
	s_or_b64 s[8:9], s[8:9], s[12:13]
	s_or_b64 exec, exec, s[10:11]
	s_and_saveexec_b64 s[10:11], s[8:9]
	s_cbranch_execnz .LBB230_1860
	s_branch .LBB230_1861
.LBB230_1880:
	s_mov_b64 s[6:7], -1
                                        ; implicit-def: $vgpr2
.LBB230_1881:
	s_mov_b64 s[12:13], 0
.LBB230_1882:
	s_and_b64 vcc, exec, s[12:13]
	s_cbranch_vccz .LBB230_1884
; %bb.1883:
	v_cmp_ne_u16_e32 vcc, 11, v49
	s_andn2_b64 s[6:7], s[6:7], exec
	s_and_b64 s[12:13], vcc, exec
	s_mov_b64 s[8:9], -1
	s_or_b64 s[6:7], s[6:7], s[12:13]
                                        ; implicit-def: $vgpr2
.LBB230_1884:
	s_mov_b64 s[14:15], 0
.LBB230_1885:
	s_and_b64 s[12:13], s[10:11], exec
	s_andn2_b64 s[10:11], s[50:51], exec
	s_and_b64 s[6:7], s[6:7], exec
	s_and_b64 s[14:15], s[14:15], exec
	;; [unrolled: 1-line block ×3, first 2 shown]
	s_or_b64 s[50:51], s[10:11], s[6:7]
	s_or_b64 exec, exec, s[4:5]
	s_and_saveexec_b64 s[4:5], s[50:51]
	s_cbranch_execz .LBB230_1815
.LBB230_1886:
	s_or_b64 s[56:57], s[56:57], exec
	s_andn2_b64 s[8:9], s[8:9], exec
	s_trap 2
                                        ; implicit-def: $vgpr2
	s_or_b64 exec, exec, s[4:5]
	s_and_saveexec_b64 s[4:5], s[8:9]
	s_xor_b64 s[4:5], exec, s[4:5]
	s_cbranch_execnz .LBB230_1816
.LBB230_1887:
	s_or_b64 exec, exec, s[4:5]
	s_and_saveexec_b64 s[4:5], s[14:15]
	s_cbranch_execz .LBB230_1933
.LBB230_1888:
	v_cmp_gt_i16_e32 vcc, 5, v49
	s_cbranch_vccnz .LBB230_1893
; %bb.1889:
	v_cmp_gt_i16_e32 vcc, 8, v49
	s_cbranch_vccnz .LBB230_1894
; %bb.1890:
	;; [unrolled: 3-line block ×3, first 2 shown]
	v_cmp_lt_i16_e32 vcc, 9, v49
	s_cbranch_vccz .LBB230_1896
; %bb.1892:
	global_load_dwordx2 v[6:7], v[4:5], off
	s_mov_b64 s[6:7], 0
	s_waitcnt vmcnt(0)
	v_cvt_f32_f64_e32 v2, v[6:7]
	s_branch .LBB230_1897
.LBB230_1893:
                                        ; implicit-def: $vgpr2
	s_branch .LBB230_1914
.LBB230_1894:
                                        ; implicit-def: $vgpr2
	s_branch .LBB230_1903
.LBB230_1895:
	s_mov_b64 s[6:7], -1
                                        ; implicit-def: $vgpr2
	s_branch .LBB230_1900
.LBB230_1896:
	s_mov_b64 s[6:7], -1
                                        ; implicit-def: $vgpr2
.LBB230_1897:
	s_andn2_b64 vcc, exec, s[6:7]
	s_cbranch_vccnz .LBB230_1899
; %bb.1898:
	global_load_dword v2, v[4:5], off
.LBB230_1899:
	s_mov_b64 s[6:7], 0
.LBB230_1900:
	s_andn2_b64 vcc, exec, s[6:7]
	s_cbranch_vccnz .LBB230_1902
; %bb.1901:
	global_load_dword v0, v[4:5], off
	s_waitcnt vmcnt(0)
	v_cvt_f32_f16_e32 v2, v0
.LBB230_1902:
	s_cbranch_execnz .LBB230_1913
.LBB230_1903:
	v_cmp_gt_i16_e32 vcc, 6, v49
	s_cbranch_vccnz .LBB230_1906
; %bb.1904:
	v_cmp_lt_i16_e32 vcc, 6, v49
	s_cbranch_vccz .LBB230_1907
; %bb.1905:
	global_load_dwordx2 v[6:7], v[4:5], off
	s_mov_b64 s[6:7], 0
	s_waitcnt vmcnt(0)
	v_cvt_f32_f64_e32 v2, v[6:7]
	s_branch .LBB230_1908
.LBB230_1906:
	s_mov_b64 s[6:7], -1
                                        ; implicit-def: $vgpr2
	s_branch .LBB230_1911
.LBB230_1907:
	s_mov_b64 s[6:7], -1
                                        ; implicit-def: $vgpr2
.LBB230_1908:
	s_andn2_b64 vcc, exec, s[6:7]
	s_cbranch_vccnz .LBB230_1910
; %bb.1909:
	global_load_dword v2, v[4:5], off
.LBB230_1910:
	s_mov_b64 s[6:7], 0
.LBB230_1911:
	s_andn2_b64 vcc, exec, s[6:7]
	s_cbranch_vccnz .LBB230_1913
; %bb.1912:
	global_load_ushort v0, v[4:5], off
	s_waitcnt vmcnt(0)
	v_cvt_f32_f16_e32 v2, v0
.LBB230_1913:
	s_cbranch_execnz .LBB230_1932
.LBB230_1914:
	v_cmp_gt_i16_e32 vcc, 2, v49
	s_cbranch_vccnz .LBB230_1918
; %bb.1915:
	v_cmp_gt_i16_e32 vcc, 3, v49
	s_cbranch_vccnz .LBB230_1919
; %bb.1916:
	v_cmp_lt_i16_e32 vcc, 3, v49
	s_cbranch_vccz .LBB230_1920
; %bb.1917:
	global_load_dwordx2 v[6:7], v[4:5], off
	s_mov_b64 s[6:7], 0
	s_waitcnt vmcnt(0)
	v_xor_b32_e32 v2, v6, v7
	v_ffbh_i32_e32 v0, v7
	v_ashrrev_i32_e32 v2, 31, v2
	v_add_u32_e32 v0, -1, v0
	v_add_u32_e32 v2, 32, v2
	v_min_u32_e32 v0, v0, v2
	v_lshlrev_b64 v[6:7], v0, v[6:7]
	v_min_u32_e32 v2, 1, v6
	v_or_b32_e32 v2, v7, v2
	v_cvt_f32_i32_e32 v2, v2
	v_sub_u32_e32 v0, 32, v0
	v_ldexp_f32 v2, v2, v0
	s_branch .LBB230_1921
.LBB230_1918:
                                        ; implicit-def: $vgpr2
	s_branch .LBB230_1927
.LBB230_1919:
	s_mov_b64 s[6:7], -1
                                        ; implicit-def: $vgpr2
	s_branch .LBB230_1924
.LBB230_1920:
	s_mov_b64 s[6:7], -1
                                        ; implicit-def: $vgpr2
.LBB230_1921:
	s_andn2_b64 vcc, exec, s[6:7]
	s_cbranch_vccnz .LBB230_1923
; %bb.1922:
	global_load_dword v0, v[4:5], off
	s_waitcnt vmcnt(0)
	v_cvt_f32_i32_e32 v2, v0
.LBB230_1923:
	s_mov_b64 s[6:7], 0
.LBB230_1924:
	s_andn2_b64 vcc, exec, s[6:7]
	s_cbranch_vccnz .LBB230_1926
; %bb.1925:
	global_load_sshort v0, v[4:5], off
	s_waitcnt vmcnt(0)
	v_cvt_f32_i32_e32 v2, v0
.LBB230_1926:
	s_cbranch_execnz .LBB230_1932
.LBB230_1927:
	v_cmp_lt_i16_e32 vcc, 0, v49
	s_cbranch_vccz .LBB230_1929
; %bb.1928:
	global_load_sbyte v0, v[4:5], off
	s_mov_b64 s[6:7], 0
	s_waitcnt vmcnt(0)
	v_cvt_f32_i32_e32 v2, v0
	s_branch .LBB230_1930
.LBB230_1929:
	s_mov_b64 s[6:7], -1
                                        ; implicit-def: $vgpr2
.LBB230_1930:
	s_andn2_b64 vcc, exec, s[6:7]
	s_cbranch_vccnz .LBB230_1932
; %bb.1931:
	global_load_ubyte v0, v[4:5], off
	s_waitcnt vmcnt(0)
	v_cvt_f32_ubyte0_e32 v2, v0
.LBB230_1932:
	s_or_b64 s[12:13], s[12:13], exec
.LBB230_1933:
	s_or_b64 exec, exec, s[4:5]
	s_mov_b64 s[8:9], 0
	s_mov_b64 s[6:7], 0
                                        ; implicit-def: $vgpr6
                                        ; implicit-def: $vgpr4_vgpr5
                                        ; implicit-def: $vgpr0
	s_and_saveexec_b64 s[50:51], s[12:13]
	s_cbranch_execz .LBB230_1951
; %bb.1934:
	s_waitcnt vmcnt(0)
	v_mov_b32_e32 v0, v3
	s_getpc_b64 s[4:5]
	s_add_u32 s4, s4, _ZZZZN2at6native28launch_dirichlet_grad_kernelERNS_18TensorIteratorBaseEENKUlvE_clEvENKUlvE0_clEvENKUlfffE_clEfff@rel32@lo+4
	s_addc_u32 s5, s5, _ZZZZN2at6native28launch_dirichlet_grad_kernelERNS_18TensorIteratorBaseEENKUlvE_clEvENKUlvE0_clEvENKUlfffE_clEfff@rel32@hi+12
	s_swappc_b64 s[30:31], s[4:5]
	v_mul_lo_u32 v1, v48, s44
	v_ashrrev_i32_e32 v2, 31, v1
	v_mov_b32_e32 v3, s37
	v_add_co_u32_e32 v4, vcc, s36, v1
	v_addc_co_u32_e32 v5, vcc, v3, v2, vcc
	v_and_b32_e32 v6, 0xff, v47
	v_cmp_gt_i16_e32 vcc, 11, v6
	s_cbranch_vccnz .LBB230_1954
; %bb.1935:
	v_cmp_lt_i16_e32 vcc, 25, v6
	s_mov_b64 s[8:9], -1
	s_mov_b64 s[4:5], s[48:49]
	s_cbranch_vccz .LBB230_1972
; %bb.1936:
	v_cmp_lt_i16_e32 vcc, 28, v6
	s_mov_b64 s[6:7], -1
	s_mov_b64 s[4:5], s[48:49]
	s_cbranch_vccz .LBB230_1956
; %bb.1937:
	v_cmp_lt_i16_e32 vcc, 43, v6
	s_mov_b64 s[4:5], s[48:49]
	s_cbranch_vccz .LBB230_1948
; %bb.1938:
	v_cmp_lt_i16_e32 vcc, 45, v6
	s_mov_b64 s[4:5], s[48:49]
	s_cbranch_vccz .LBB230_1942
; %bb.1939:
	v_cmp_eq_u16_e32 vcc, 46, v6
	s_mov_b64 s[4:5], -1
	s_cbranch_vccz .LBB230_1941
; %bb.1940:
	v_bfe_u32 v1, v0, 16, 1
	s_movk_i32 s4, 0x7fff
	v_add3_u32 v1, v0, v1, s4
	v_lshrrev_b32_e32 v1, 16, v1
	v_mov_b32_e32 v2, 0x7fc0
	v_cmp_o_f32_e32 vcc, v0, v0
	v_cndmask_b32_e32 v1, v2, v1, vcc
	global_store_dword v[4:5], v1, off
	s_mov_b64 s[4:5], 0
.LBB230_1941:
	s_mov_b64 s[6:7], 0
.LBB230_1942:
	s_and_b64 vcc, exec, s[6:7]
	s_cbranch_vccz .LBB230_1947
; %bb.1943:
	v_cmp_eq_u16_e32 vcc, 44, v6
	s_mov_b64 s[4:5], -1
	s_cbranch_vccz .LBB230_1947
; %bb.1944:
	v_bfe_u32 v1, v0, 23, 8
	s_movk_i32 s4, 0xff
	v_cmp_ne_u32_e32 vcc, s4, v1
	v_mov_b32_e32 v2, 0xff
	s_and_saveexec_b64 s[6:7], vcc
; %bb.1945:
	s_mov_b32 s4, 0x3fffff
	v_and_b32_e32 v3, 0x400000, v0
	v_and_or_b32 v1, v0, s4, v1
	v_cmp_ne_u32_e32 vcc, 0, v3
	v_cmp_ne_u32_e64 s[4:5], 0, v1
	s_and_b64 s[4:5], vcc, s[4:5]
	v_lshrrev_b32_e32 v2, 23, v0
	v_cndmask_b32_e64 v1, 0, 1, s[4:5]
	v_add_u32_e32 v2, v2, v1
; %bb.1946:
	s_or_b64 exec, exec, s[6:7]
	s_mov_b64 s[4:5], 0
	global_store_byte v[4:5], v2, off
.LBB230_1947:
	s_mov_b64 s[6:7], 0
.LBB230_1948:
	s_and_b64 vcc, exec, s[6:7]
	s_cbranch_vccz .LBB230_1955
; %bb.1949:
	v_cmp_eq_u16_e32 vcc, 29, v6
	s_mov_b64 s[4:5], -1
	s_cbranch_vccz .LBB230_1955
; %bb.1950:
	v_trunc_f32_e32 v1, v0
	v_mul_f32_e32 v2, 0x2f800000, v1
	v_floor_f32_e32 v2, v2
	v_fmac_f32_e32 v1, 0xcf800000, v2
	v_cvt_u32_f32_e32 v3, v2
	v_cvt_u32_f32_e32 v2, v1
	s_mov_b64 s[4:5], 0
	s_mov_b64 s[6:7], 0
	global_store_dwordx2 v[4:5], v[2:3], off
	s_branch .LBB230_1956
.LBB230_1951:
	s_or_b64 exec, exec, s[50:51]
	s_and_saveexec_b64 s[4:5], s[48:49]
	s_cbranch_execnz .LBB230_2014
.LBB230_1952:
	s_or_b64 exec, exec, s[4:5]
	s_and_saveexec_b64 s[4:5], s[8:9]
	s_xor_b64 s[4:5], exec, s[4:5]
	s_cbranch_execz .LBB230_2015
.LBB230_1953:
	s_waitcnt vmcnt(0)
	v_cmp_neq_f32_e32 vcc, 0, v0
	v_cndmask_b32_e64 v1, 0, 1, vcc
	global_store_byte v[4:5], v1, off
	s_or_b64 exec, exec, s[4:5]
	s_and_saveexec_b64 s[4:5], s[6:7]
	s_xor_b64 s[4:5], exec, s[4:5]
	s_cbranch_execz .LBB230_2053
	s_branch .LBB230_2016
.LBB230_1954:
	s_mov_b64 s[8:9], 0
	s_mov_b64 s[6:7], -1
	s_mov_b64 s[4:5], s[48:49]
	s_branch .LBB230_2013
.LBB230_1955:
	s_mov_b64 s[6:7], 0
.LBB230_1956:
	s_and_b64 vcc, exec, s[6:7]
	s_cbranch_vccz .LBB230_1971
; %bb.1957:
	v_cmp_gt_i16_e32 vcc, 27, v6
	s_mov_b64 s[6:7], -1
	s_cbranch_vccnz .LBB230_1963
; %bb.1958:
	v_cvt_u32_f32_e32 v1, v0
	v_cmp_lt_i16_e32 vcc, 27, v6
	s_cbranch_vccz .LBB230_1960
; %bb.1959:
	s_mov_b64 s[6:7], 0
	global_store_dword v[4:5], v1, off
.LBB230_1960:
	s_andn2_b64 vcc, exec, s[6:7]
	s_cbranch_vccnz .LBB230_1962
; %bb.1961:
	global_store_short v[4:5], v1, off
.LBB230_1962:
	s_mov_b64 s[6:7], 0
.LBB230_1963:
	s_andn2_b64 vcc, exec, s[6:7]
	s_cbranch_vccnz .LBB230_1971
; %bb.1964:
	v_and_b32_e32 v1, 0x7fffffff, v0
	s_mov_b32 s6, 0x43800000
	v_cmp_gt_u32_e32 vcc, s6, v1
	v_mov_b32_e32 v2, 0x80
	s_and_saveexec_b64 s[6:7], vcc
	s_cbranch_execz .LBB230_1970
; %bb.1965:
	s_mov_b32 s8, 0x3bffffff
	v_cmp_lt_u32_e32 vcc, s8, v1
	s_mov_b64 s[8:9], 0
                                        ; implicit-def: $vgpr1
	s_and_saveexec_b64 s[10:11], vcc
	s_xor_b64 s[10:11], exec, s[10:11]
	s_cbranch_execz .LBB230_2068
; %bb.1966:
	v_bfe_u32 v1, v0, 20, 1
	s_mov_b32 s12, 0x487ffff
	v_add3_u32 v1, v0, v1, s12
	s_mov_b64 s[8:9], exec
	v_lshrrev_b32_e32 v1, 20, v1
	s_or_saveexec_b64 s[10:11], s[10:11]
                                        ; implicit-def: $sgpr12
	s_xor_b64 exec, exec, s[10:11]
	s_cbranch_execnz .LBB230_2069
.LBB230_1967:
	s_or_b64 exec, exec, s[10:11]
	v_mov_b32_e32 v2, s12
	s_and_saveexec_b64 s[10:11], s[8:9]
.LBB230_1968:
	v_lshrrev_b32_e32 v2, 24, v0
	s_movk_i32 s8, 0x80
	v_and_or_b32 v2, v2, s8, v1
.LBB230_1969:
	s_or_b64 exec, exec, s[10:11]
.LBB230_1970:
	s_or_b64 exec, exec, s[6:7]
	global_store_byte v[4:5], v2, off
.LBB230_1971:
	s_mov_b64 s[8:9], 0
.LBB230_1972:
	s_mov_b64 s[6:7], 0
	s_and_b64 vcc, exec, s[8:9]
	s_cbranch_vccz .LBB230_2012
; %bb.1973:
	v_cmp_lt_i16_e32 vcc, 22, v6
	s_mov_b64 s[8:9], -1
	s_cbranch_vccz .LBB230_2005
; %bb.1974:
	v_cmp_gt_i16_e32 vcc, 24, v6
	s_cbranch_vccnz .LBB230_1994
; %bb.1975:
	v_cmp_lt_i16_e32 vcc, 24, v6
	s_cbranch_vccz .LBB230_1983
; %bb.1976:
	v_and_b32_e32 v1, 0x7fffffff, v0
	s_mov_b32 s8, 0x47800000
	v_cmp_gt_u32_e32 vcc, s8, v1
	v_mov_b32_e32 v2, 0x80
	s_and_saveexec_b64 s[8:9], vcc
	s_cbranch_execz .LBB230_1982
; %bb.1977:
	s_mov_b32 s10, 0x37ffffff
	v_cmp_lt_u32_e32 vcc, s10, v1
	s_mov_b64 s[10:11], 0
                                        ; implicit-def: $vgpr1
	s_and_saveexec_b64 s[12:13], vcc
	s_xor_b64 s[12:13], exec, s[12:13]
	s_cbranch_execz .LBB230_2193
; %bb.1978:
	v_bfe_u32 v1, v0, 21, 1
	s_mov_b32 s14, 0x88fffff
	v_add3_u32 v1, v0, v1, s14
	s_mov_b64 s[10:11], exec
	v_lshrrev_b32_e32 v1, 21, v1
	s_or_saveexec_b64 s[12:13], s[12:13]
                                        ; implicit-def: $sgpr14
	s_xor_b64 exec, exec, s[12:13]
	s_cbranch_execnz .LBB230_2194
.LBB230_1979:
	s_or_b64 exec, exec, s[12:13]
	v_mov_b32_e32 v2, s14
	s_and_saveexec_b64 s[12:13], s[10:11]
.LBB230_1980:
	v_lshrrev_b32_e32 v2, 24, v0
	s_movk_i32 s10, 0x80
	v_and_or_b32 v2, v2, s10, v1
.LBB230_1981:
	s_or_b64 exec, exec, s[12:13]
.LBB230_1982:
	s_or_b64 exec, exec, s[8:9]
	s_mov_b64 s[8:9], 0
	global_store_byte v[4:5], v2, off
.LBB230_1983:
	s_and_b64 vcc, exec, s[8:9]
	s_cbranch_vccz .LBB230_1993
; %bb.1984:
	v_and_b32_e32 v2, 0x7fffffff, v0
	s_mov_b32 s8, 0x43f00000
	v_cmp_gt_u32_e32 vcc, s8, v2
                                        ; implicit-def: $vgpr1
	s_and_saveexec_b64 s[8:9], vcc
	s_xor_b64 s[8:9], exec, s[8:9]
	s_cbranch_execz .LBB230_1990
; %bb.1985:
	s_mov_b32 s10, 0x3c7fffff
	v_cmp_lt_u32_e32 vcc, s10, v2
                                        ; implicit-def: $vgpr1
	s_and_saveexec_b64 s[10:11], vcc
	s_xor_b64 s[10:11], exec, s[10:11]
; %bb.1986:
	v_bfe_u32 v1, v0, 20, 1
	s_mov_b32 s12, 0x407ffff
	v_add3_u32 v1, v0, v1, s12
	v_lshrrev_b32_e32 v2, 20, v1
	v_and_b32_e32 v1, 0xff00000, v1
	s_mov_b32 s12, 0x7f00000
	v_mov_b32_e32 v3, 0x7e
	v_cmp_ne_u32_e32 vcc, s12, v1
	v_cndmask_b32_e32 v1, v3, v2, vcc
; %bb.1987:
	s_andn2_saveexec_b64 s[10:11], s[10:11]
; %bb.1988:
	s_mov_b32 s12, 0x46800000
	v_add_f32_e64 v1, |v0|, s12
; %bb.1989:
	s_or_b64 exec, exec, s[10:11]
                                        ; implicit-def: $vgpr2
.LBB230_1990:
	s_andn2_saveexec_b64 s[8:9], s[8:9]
; %bb.1991:
	s_mov_b32 s10, 0x7f800000
	v_mov_b32_e32 v1, 0x7e
	v_mov_b32_e32 v3, 0x7f
	v_cmp_lt_u32_e32 vcc, s10, v2
	v_cndmask_b32_e32 v1, v1, v3, vcc
; %bb.1992:
	s_or_b64 exec, exec, s[8:9]
	v_lshrrev_b32_e32 v2, 24, v0
	s_movk_i32 s8, 0x80
	v_and_or_b32 v1, v2, s8, v1
	global_store_byte v[4:5], v1, off
.LBB230_1993:
	s_mov_b64 s[8:9], 0
.LBB230_1994:
	s_andn2_b64 vcc, exec, s[8:9]
	s_cbranch_vccnz .LBB230_2004
; %bb.1995:
	v_and_b32_e32 v2, 0x7fffffff, v0
	s_mov_b32 s8, 0x47800000
	v_cmp_gt_u32_e32 vcc, s8, v2
                                        ; implicit-def: $vgpr1
	s_and_saveexec_b64 s[8:9], vcc
	s_xor_b64 s[8:9], exec, s[8:9]
	s_cbranch_execz .LBB230_2001
; %bb.1996:
	s_mov_b32 s10, 0x387fffff
	v_cmp_lt_u32_e32 vcc, s10, v2
                                        ; implicit-def: $vgpr1
	s_and_saveexec_b64 s[10:11], vcc
	s_xor_b64 s[10:11], exec, s[10:11]
; %bb.1997:
	v_bfe_u32 v1, v0, 21, 1
	s_mov_b32 s12, 0x80fffff
	v_add3_u32 v1, v0, v1, s12
	v_lshrrev_b32_e32 v1, 21, v1
; %bb.1998:
	s_andn2_saveexec_b64 s[10:11], s[10:11]
; %bb.1999:
	s_mov_b32 s12, 0x43000000
	v_add_f32_e64 v1, |v0|, s12
; %bb.2000:
	s_or_b64 exec, exec, s[10:11]
                                        ; implicit-def: $vgpr2
.LBB230_2001:
	s_andn2_saveexec_b64 s[8:9], s[8:9]
; %bb.2002:
	s_mov_b32 s10, 0x7f800000
	v_mov_b32_e32 v1, 0x7c
	v_mov_b32_e32 v3, 0x7f
	v_cmp_lt_u32_e32 vcc, s10, v2
	v_cndmask_b32_e32 v1, v1, v3, vcc
; %bb.2003:
	s_or_b64 exec, exec, s[8:9]
	v_lshrrev_b32_e32 v2, 24, v0
	s_movk_i32 s8, 0x80
	v_and_or_b32 v1, v2, s8, v1
	global_store_byte v[4:5], v1, off
.LBB230_2004:
	s_mov_b64 s[8:9], 0
.LBB230_2005:
	s_andn2_b64 vcc, exec, s[8:9]
	s_mov_b64 s[8:9], 0
	s_cbranch_vccnz .LBB230_2013
; %bb.2006:
	v_cmp_lt_i16_e32 vcc, 14, v6
	s_mov_b64 s[10:11], -1
	s_cbranch_vccz .LBB230_2010
; %bb.2007:
	v_cmp_eq_u16_e32 vcc, 15, v6
	s_mov_b64 s[4:5], -1
	s_cbranch_vccz .LBB230_2009
; %bb.2008:
	v_bfe_u32 v1, v0, 16, 1
	s_movk_i32 s4, 0x7fff
	v_add3_u32 v1, v0, v1, s4
	v_lshrrev_b32_e32 v1, 16, v1
	v_mov_b32_e32 v2, 0x7fc0
	v_cmp_o_f32_e32 vcc, v0, v0
	v_cndmask_b32_e32 v1, v2, v1, vcc
	global_store_short v[4:5], v1, off
	s_mov_b64 s[4:5], 0
.LBB230_2009:
	s_mov_b64 s[10:11], 0
.LBB230_2010:
	s_and_b64 vcc, exec, s[10:11]
	s_cbranch_vccz .LBB230_2013
; %bb.2011:
	v_cmp_ne_u16_e32 vcc, 11, v6
	s_andn2_b64 s[4:5], s[4:5], exec
	s_and_b64 s[10:11], vcc, exec
	s_mov_b64 s[8:9], -1
	s_or_b64 s[4:5], s[4:5], s[10:11]
	s_branch .LBB230_2013
.LBB230_2012:
	s_mov_b64 s[8:9], 0
.LBB230_2013:
	s_andn2_b64 s[10:11], s[48:49], exec
	s_and_b64 s[4:5], s[4:5], exec
	s_and_b64 s[6:7], s[6:7], exec
	;; [unrolled: 1-line block ×3, first 2 shown]
	s_or_b64 s[48:49], s[10:11], s[4:5]
	s_or_b64 exec, exec, s[50:51]
	s_and_saveexec_b64 s[4:5], s[48:49]
	s_cbranch_execz .LBB230_1952
.LBB230_2014:
	s_or_b64 s[56:57], s[56:57], exec
	s_andn2_b64 s[8:9], s[8:9], exec
	s_trap 2
	s_or_b64 exec, exec, s[4:5]
	s_and_saveexec_b64 s[4:5], s[8:9]
	s_xor_b64 s[4:5], exec, s[4:5]
	s_cbranch_execnz .LBB230_1953
.LBB230_2015:
	s_or_b64 exec, exec, s[4:5]
	s_and_saveexec_b64 s[4:5], s[6:7]
	s_xor_b64 s[4:5], exec, s[4:5]
	s_cbranch_execz .LBB230_2053
.LBB230_2016:
	v_cmp_gt_i16_e32 vcc, 5, v6
	s_mov_b64 s[6:7], -1
	s_cbranch_vccnz .LBB230_2037
; %bb.2017:
	v_cmp_gt_i16_e32 vcc, 8, v6
	s_cbranch_vccnz .LBB230_2027
; %bb.2018:
	v_cmp_gt_i16_e32 vcc, 9, v6
	s_cbranch_vccnz .LBB230_2024
; %bb.2019:
	v_cmp_lt_i16_e32 vcc, 9, v6
	s_cbranch_vccz .LBB230_2021
; %bb.2020:
	v_mov_b32_e32 v10, 0
	s_waitcnt vmcnt(0)
	v_cvt_f64_f32_e32 v[8:9], v0
	v_mov_b32_e32 v11, v10
	s_mov_b64 s[6:7], 0
	global_store_dwordx4 v[4:5], v[8:11], off
.LBB230_2021:
	s_andn2_b64 vcc, exec, s[6:7]
	s_cbranch_vccnz .LBB230_2023
; %bb.2022:
	s_waitcnt vmcnt(0)
	v_mov_b32_e32 v1, 0
	global_store_dwordx2 v[4:5], v[0:1], off
.LBB230_2023:
	s_mov_b64 s[6:7], 0
.LBB230_2024:
	s_andn2_b64 vcc, exec, s[6:7]
	s_cbranch_vccnz .LBB230_2026
; %bb.2025:
	s_waitcnt vmcnt(0)
	v_cvt_f16_f32_e32 v1, v0
	global_store_dword v[4:5], v1, off
.LBB230_2026:
	s_mov_b64 s[6:7], 0
.LBB230_2027:
	s_andn2_b64 vcc, exec, s[6:7]
	s_cbranch_vccnz .LBB230_2036
; %bb.2028:
	v_cmp_gt_i16_e32 vcc, 6, v6
	s_mov_b64 s[6:7], -1
	s_cbranch_vccnz .LBB230_2034
; %bb.2029:
	v_cmp_lt_i16_e32 vcc, 6, v6
	s_cbranch_vccz .LBB230_2031
; %bb.2030:
	s_waitcnt vmcnt(0)
	v_cvt_f64_f32_e32 v[2:3], v0
	s_mov_b64 s[6:7], 0
	global_store_dwordx2 v[4:5], v[2:3], off
.LBB230_2031:
	s_andn2_b64 vcc, exec, s[6:7]
	s_cbranch_vccnz .LBB230_2033
; %bb.2032:
	s_waitcnt vmcnt(0)
	global_store_dword v[4:5], v0, off
.LBB230_2033:
	s_mov_b64 s[6:7], 0
.LBB230_2034:
	s_andn2_b64 vcc, exec, s[6:7]
	s_cbranch_vccnz .LBB230_2036
; %bb.2035:
	s_waitcnt vmcnt(0)
	v_cvt_f16_f32_e32 v1, v0
	global_store_short v[4:5], v1, off
.LBB230_2036:
	s_mov_b64 s[6:7], 0
.LBB230_2037:
	s_andn2_b64 vcc, exec, s[6:7]
	s_cbranch_vccnz .LBB230_2053
; %bb.2038:
	v_cmp_gt_i16_e32 vcc, 2, v6
	s_mov_b64 s[6:7], -1
	s_cbranch_vccnz .LBB230_2048
; %bb.2039:
	v_cmp_gt_i16_e32 vcc, 3, v6
	s_cbranch_vccnz .LBB230_2045
; %bb.2040:
	v_cmp_lt_i16_e32 vcc, 3, v6
	s_cbranch_vccz .LBB230_2042
; %bb.2041:
	s_waitcnt vmcnt(0)
	v_trunc_f32_e32 v1, v0
	s_mov_b32 s6, 0x2f800000
	v_mul_f32_e64 v2, |v1|, s6
	v_floor_f32_e32 v2, v2
	s_mov_b32 s6, 0xcf800000
	v_cvt_u32_f32_e32 v3, v2
	v_fma_f32 v2, v2, s6, |v1|
	v_cvt_u32_f32_e32 v2, v2
	v_ashrrev_i32_e32 v1, 31, v1
	v_xor_b32_e32 v3, v3, v1
	s_mov_b64 s[6:7], 0
	v_xor_b32_e32 v2, v2, v1
	v_sub_co_u32_e32 v2, vcc, v2, v1
	v_subb_co_u32_e32 v3, vcc, v3, v1, vcc
	global_store_dwordx2 v[4:5], v[2:3], off
.LBB230_2042:
	s_andn2_b64 vcc, exec, s[6:7]
	s_cbranch_vccnz .LBB230_2044
; %bb.2043:
	s_waitcnt vmcnt(0)
	v_cvt_i32_f32_e32 v1, v0
	global_store_dword v[4:5], v1, off
.LBB230_2044:
	s_mov_b64 s[6:7], 0
.LBB230_2045:
	s_andn2_b64 vcc, exec, s[6:7]
	s_cbranch_vccnz .LBB230_2047
; %bb.2046:
	s_waitcnt vmcnt(0)
	v_cvt_i32_f32_e32 v1, v0
	global_store_short v[4:5], v1, off
.LBB230_2047:
	s_mov_b64 s[6:7], 0
.LBB230_2048:
	s_andn2_b64 vcc, exec, s[6:7]
	s_cbranch_vccnz .LBB230_2053
; %bb.2049:
	v_cmp_lt_i16_e32 vcc, 0, v6
	s_mov_b64 s[6:7], -1
	s_cbranch_vccz .LBB230_2051
; %bb.2050:
	s_waitcnt vmcnt(0)
	v_cvt_i32_f32_e32 v1, v0
	s_mov_b64 s[6:7], 0
	global_store_byte v[4:5], v1, off
.LBB230_2051:
	s_andn2_b64 vcc, exec, s[6:7]
	s_cbranch_vccnz .LBB230_2053
; %bb.2052:
	s_waitcnt vmcnt(0)
	v_trunc_f32_e32 v0, v0
	s_mov_b32 s6, 0x2f800000
	v_mul_f32_e64 v1, |v0|, s6
	v_floor_f32_e32 v1, v1
	s_mov_b32 s6, 0xcf800000
	v_fma_f32 v1, v1, s6, |v0|
	v_cvt_u32_f32_e32 v1, v1
	v_ashrrev_i32_e32 v0, 31, v0
	v_xor_b32_e32 v1, v1, v0
	v_sub_u32_e32 v0, v1, v0
	global_store_byte v[4:5], v0, off
.LBB230_2053:
	s_or_b64 exec, exec, s[4:5]
	s_and_b64 s[48:49], s[56:57], exec
                                        ; implicit-def: $vgpr48
                                        ; implicit-def: $vgpr45
                                        ; implicit-def: $vgpr47
                                        ; implicit-def: $vgpr49
.LBB230_2054:
	s_or_saveexec_b64 s[34:35], s[34:35]
	s_mov_b64 s[4:5], 0
                                        ; implicit-def: $vgpr4
                                        ; implicit-def: $vgpr2_vgpr3
                                        ; implicit-def: $vgpr0
	s_xor_b64 exec, exec, s[34:35]
	s_cbranch_execz .LBB230_4066
; %bb.2055:
	v_mul_lo_u32 v7, s45, v48
	s_waitcnt vmcnt(0)
	v_ashrrev_i32_e32 v0, 31, v7
	v_mov_b32_e32 v1, s39
	v_add_co_u32_e32 v2, vcc, s38, v7
	v_addc_co_u32_e32 v3, vcc, v1, v0, vcc
	v_mov_b32_e32 v0, 11
	v_cmp_lt_i16_sdwa s[4:5], v45, v0 src0_sel:BYTE_0 src1_sel:DWORD
	s_and_b64 vcc, exec, s[4:5]
	s_cbranch_vccnz .LBB230_2062
; %bb.2056:
	v_mov_b32_e32 v0, 25
	v_cmp_gt_i16_sdwa s[4:5], v45, v0 src0_sel:BYTE_0 src1_sel:DWORD
	s_mov_b64 s[6:7], 0
	s_and_b64 vcc, exec, s[4:5]
	s_cbranch_vccz .LBB230_2064
; %bb.2057:
	v_mov_b32_e32 v0, 28
	v_cmp_gt_i16_sdwa s[4:5], v45, v0 src0_sel:BYTE_0 src1_sel:DWORD
	s_and_b64 vcc, exec, s[4:5]
	s_cbranch_vccz .LBB230_2065
; %bb.2058:
	v_mov_b32_e32 v0, 43
	v_cmp_gt_i16_sdwa s[4:5], v45, v0 src0_sel:BYTE_0 src1_sel:DWORD
	;; [unrolled: 5-line block ×3, first 2 shown]
	s_and_b64 vcc, exec, s[4:5]
	s_cbranch_vccz .LBB230_2067
; %bb.2060:
	v_mov_b32_e32 v0, 46
	v_cmp_eq_u16_sdwa s[4:5], v45, v0 src0_sel:BYTE_0 src1_sel:DWORD
	s_mov_b64 s[10:11], 0
	s_and_b64 vcc, exec, s[4:5]
	s_cbranch_vccz .LBB230_2070
; %bb.2061:
	global_load_dword v0, v[2:3], off
	s_mov_b64 s[4:5], 0
	s_mov_b64 s[8:9], -1
	s_waitcnt vmcnt(0)
	v_lshlrev_b32_e32 v0, 16, v0
	s_branch .LBB230_2071
.LBB230_2062:
	s_mov_b64 s[8:9], 0
                                        ; implicit-def: $vgpr0
	s_mov_b64 s[50:51], s[48:49]
	s_cbranch_execnz .LBB230_2134
.LBB230_2063:
	s_andn2_b64 vcc, exec, s[8:9]
	s_cbranch_vccz .LBB230_2179
	s_branch .LBB230_4064
.LBB230_2064:
	s_mov_b64 s[8:9], 0
	s_mov_b64 s[4:5], 0
                                        ; implicit-def: $vgpr0
	s_cbranch_execnz .LBB230_2099
	s_branch .LBB230_2130
.LBB230_2065:
	s_mov_b64 s[10:11], -1
	s_mov_b64 s[8:9], 0
	s_mov_b64 s[4:5], 0
                                        ; implicit-def: $vgpr0
	s_branch .LBB230_2080
.LBB230_2066:
	s_mov_b64 s[8:9], 0
	s_mov_b64 s[4:5], 0
                                        ; implicit-def: $vgpr0
	s_cbranch_execnz .LBB230_2076
	s_branch .LBB230_2079
.LBB230_2067:
	s_mov_b64 s[10:11], -1
	s_mov_b64 s[8:9], 0
	s_mov_b64 s[4:5], 0
                                        ; implicit-def: $vgpr0
	s_branch .LBB230_2071
.LBB230_2068:
	s_or_saveexec_b64 s[10:11], s[10:11]
                                        ; implicit-def: $sgpr12
	s_xor_b64 exec, exec, s[10:11]
	s_cbranch_execz .LBB230_1967
.LBB230_2069:
	s_mov_b32 s12, 0x46000000
	v_add_f32_e64 v1, |v0|, s12
	v_and_b32_e32 v1, 0xff, v1
	v_cmp_ne_u32_e32 vcc, 0, v1
	s_andn2_b64 s[8:9], s[8:9], exec
	s_and_b64 s[14:15], vcc, exec
	s_mov_b32 s12, 0
	s_or_b64 s[8:9], s[8:9], s[14:15]
	s_or_b64 exec, exec, s[10:11]
	v_mov_b32_e32 v2, s12
	s_and_saveexec_b64 s[10:11], s[8:9]
	s_cbranch_execnz .LBB230_1968
	s_branch .LBB230_1969
.LBB230_2070:
	s_mov_b64 s[4:5], -1
                                        ; implicit-def: $vgpr0
	s_mov_b64 s[8:9], 0
.LBB230_2071:
	s_and_b64 vcc, exec, s[10:11]
	s_cbranch_vccz .LBB230_2074
; %bb.2072:
	v_mov_b32_e32 v0, 44
	v_cmp_eq_u16_sdwa s[4:5], v45, v0 src0_sel:BYTE_0 src1_sel:DWORD
	s_and_b64 vcc, exec, s[4:5]
	s_cbranch_vccz .LBB230_2075
; %bb.2073:
	global_load_ubyte v0, v[2:3], off
	s_movk_i32 s8, 0xff
	v_mov_b32_e32 v1, 0x7f800001
	v_mov_b32_e32 v4, 0x400000
	s_mov_b64 s[4:5], 0
	s_waitcnt vmcnt(0)
	v_lshlrev_b32_e32 v5, 23, v0
	v_cmp_ne_u32_e32 vcc, s8, v0
	v_cndmask_b32_e32 v1, v1, v5, vcc
	v_cmp_ne_u32_e32 vcc, 0, v0
	v_cndmask_b32_e32 v0, v4, v1, vcc
	s_mov_b64 s[8:9], -1
.LBB230_2074:
	s_branch .LBB230_2079
.LBB230_2075:
	s_mov_b64 s[4:5], -1
                                        ; implicit-def: $vgpr0
	s_branch .LBB230_2079
.LBB230_2076:
	v_mov_b32_e32 v0, 29
	v_cmp_eq_u16_sdwa s[4:5], v45, v0 src0_sel:BYTE_0 src1_sel:DWORD
	s_and_b64 vcc, exec, s[4:5]
	s_cbranch_vccz .LBB230_2078
; %bb.2077:
	global_load_dwordx2 v[0:1], v[2:3], off
	s_mov_b64 s[4:5], 0
	s_mov_b64 s[8:9], -1
	s_mov_b64 s[10:11], 0
	s_waitcnt vmcnt(0)
	v_ffbh_u32_e32 v4, v1
	v_min_u32_e32 v4, 32, v4
	v_lshlrev_b64 v[0:1], v4, v[0:1]
	v_min_u32_e32 v0, 1, v0
	v_or_b32_e32 v0, v1, v0
	v_cvt_f32_u32_e32 v0, v0
	v_sub_u32_e32 v1, 32, v4
	v_ldexp_f32 v0, v0, v1
	s_branch .LBB230_2080
.LBB230_2078:
	s_mov_b64 s[4:5], -1
                                        ; implicit-def: $vgpr0
.LBB230_2079:
	s_mov_b64 s[10:11], 0
.LBB230_2080:
	s_and_b64 vcc, exec, s[10:11]
	s_cbranch_vccz .LBB230_2098
; %bb.2081:
	v_mov_b32_e32 v0, 27
	v_cmp_lt_i16_sdwa s[8:9], v45, v0 src0_sel:BYTE_0 src1_sel:DWORD
	s_and_b64 vcc, exec, s[8:9]
	s_cbranch_vccnz .LBB230_2084
; %bb.2082:
	v_cmp_gt_i16_sdwa s[8:9], v45, v0 src0_sel:BYTE_0 src1_sel:DWORD
	s_and_b64 vcc, exec, s[8:9]
	s_cbranch_vccz .LBB230_2085
; %bb.2083:
	global_load_dword v0, v[2:3], off
	s_mov_b64 s[8:9], 0
	s_waitcnt vmcnt(0)
	v_cvt_f32_u32_e32 v0, v0
	s_branch .LBB230_2086
.LBB230_2084:
	s_mov_b64 s[8:9], -1
                                        ; implicit-def: $vgpr0
	s_branch .LBB230_2089
.LBB230_2085:
	s_mov_b64 s[8:9], -1
                                        ; implicit-def: $vgpr0
.LBB230_2086:
	s_andn2_b64 vcc, exec, s[8:9]
	s_cbranch_vccnz .LBB230_2088
; %bb.2087:
	global_load_ushort v0, v[2:3], off
	s_waitcnt vmcnt(0)
	v_cvt_f32_u32_e32 v0, v0
.LBB230_2088:
	s_mov_b64 s[8:9], 0
.LBB230_2089:
	s_andn2_b64 vcc, exec, s[8:9]
	s_cbranch_vccnz .LBB230_2097
; %bb.2090:
	global_load_ubyte v1, v[2:3], off
	s_movk_i32 s8, 0x7f
                                        ; implicit-def: $sgpr14
	s_waitcnt vmcnt(0)
	v_cmp_lt_i16_e32 vcc, s8, v1
	s_mov_b64 s[8:9], 0
	s_and_saveexec_b64 s[10:11], vcc
	s_xor_b64 s[10:11], exec, s[10:11]
	s_cbranch_execz .LBB230_2110
; %bb.2091:
	s_movk_i32 s8, 0x80
	v_cmp_eq_u16_e32 vcc, s8, v1
	s_mov_b64 s[8:9], -1
                                        ; implicit-def: $sgpr14
	s_and_saveexec_b64 s[12:13], vcc
; %bb.2092:
	s_mov_b32 s14, 0x7f800001
	s_xor_b64 s[8:9], exec, -1
; %bb.2093:
	s_or_b64 exec, exec, s[12:13]
	s_and_b64 s[8:9], s[8:9], exec
	s_or_saveexec_b64 s[10:11], s[10:11]
	v_mov_b32_e32 v0, s14
	s_xor_b64 exec, exec, s[10:11]
	s_cbranch_execnz .LBB230_2111
.LBB230_2094:
	s_or_b64 exec, exec, s[10:11]
	s_and_saveexec_b64 s[10:11], s[8:9]
	s_cbranch_execz .LBB230_2096
.LBB230_2095:
	v_lshlrev_b32_e32 v0, 24, v1
	v_and_b32_e32 v1, 0xffff, v1
	v_and_b32_e32 v4, 7, v1
	v_ffbh_u32_e32 v6, v4
	v_min_u32_e32 v6, 32, v6
	v_subrev_u32_e32 v8, 28, v6
	v_bfe_u32 v5, v1, 3, 4
	v_lshlrev_b32_e32 v1, v8, v1
	v_sub_u32_e32 v6, 29, v6
	v_and_b32_e32 v1, 7, v1
	v_cmp_eq_u32_e32 vcc, 0, v5
	v_cndmask_b32_e32 v5, v5, v6, vcc
	v_cndmask_b32_e32 v1, v4, v1, vcc
	v_mov_b32_e32 v4, 0x3b800000
	v_lshlrev_b32_e32 v1, 20, v1
	v_and_b32_e32 v0, 0x80000000, v0
	v_lshl_add_u32 v4, v5, 23, v4
	v_or3_b32 v0, v0, v4, v1
.LBB230_2096:
	s_or_b64 exec, exec, s[10:11]
.LBB230_2097:
	s_mov_b64 s[8:9], -1
.LBB230_2098:
	s_branch .LBB230_2130
.LBB230_2099:
	v_mov_b32_e32 v0, 22
	v_cmp_gt_i16_sdwa s[6:7], v45, v0 src0_sel:BYTE_0 src1_sel:DWORD
	s_and_b64 vcc, exec, s[6:7]
	s_cbranch_vccz .LBB230_2109
; %bb.2100:
	v_mov_b32_e32 v0, 24
	v_cmp_lt_i16_sdwa s[6:7], v45, v0 src0_sel:BYTE_0 src1_sel:DWORD
	s_and_b64 vcc, exec, s[6:7]
	s_cbranch_vccnz .LBB230_2112
; %bb.2101:
	v_cmp_gt_i16_sdwa s[6:7], v45, v0 src0_sel:BYTE_0 src1_sel:DWORD
	s_and_b64 vcc, exec, s[6:7]
	s_cbranch_vccz .LBB230_2113
; %bb.2102:
	global_load_ubyte v1, v[2:3], off
	s_movk_i32 s6, 0x7f
                                        ; implicit-def: $sgpr12
	s_waitcnt vmcnt(0)
	v_cmp_lt_i16_e32 vcc, s6, v1
	s_mov_b64 s[6:7], 0
	s_and_saveexec_b64 s[8:9], vcc
	s_xor_b64 s[8:9], exec, s[8:9]
	s_cbranch_execz .LBB230_2124
; %bb.2103:
	s_movk_i32 s6, 0x80
	v_cmp_eq_u16_e32 vcc, s6, v1
	s_mov_b64 s[6:7], -1
                                        ; implicit-def: $sgpr12
	s_and_saveexec_b64 s[10:11], vcc
; %bb.2104:
	s_mov_b32 s12, 0x7f800001
	s_xor_b64 s[6:7], exec, -1
; %bb.2105:
	s_or_b64 exec, exec, s[10:11]
	s_and_b64 s[6:7], s[6:7], exec
	s_or_saveexec_b64 s[8:9], s[8:9]
	v_mov_b32_e32 v0, s12
	s_xor_b64 exec, exec, s[8:9]
	s_cbranch_execnz .LBB230_2125
.LBB230_2106:
	s_or_b64 exec, exec, s[8:9]
	s_and_saveexec_b64 s[8:9], s[6:7]
	s_cbranch_execz .LBB230_2108
.LBB230_2107:
	v_lshlrev_b32_e32 v0, 24, v1
	v_and_b32_e32 v1, 0xffff, v1
	v_and_b32_e32 v4, 3, v1
	v_ffbh_u32_e32 v6, v4
	v_min_u32_e32 v6, 32, v6
	v_subrev_u32_e32 v8, 29, v6
	v_bfe_u32 v5, v1, 2, 5
	v_lshlrev_b32_e32 v1, v8, v1
	v_sub_u32_e32 v6, 30, v6
	v_and_b32_e32 v1, 3, v1
	v_cmp_eq_u32_e32 vcc, 0, v5
	v_cndmask_b32_e32 v5, v5, v6, vcc
	v_cndmask_b32_e32 v1, v4, v1, vcc
	v_mov_b32_e32 v4, 0x37800000
	v_lshlrev_b32_e32 v1, 21, v1
	v_and_b32_e32 v0, 0x80000000, v0
	v_lshl_add_u32 v4, v5, 23, v4
	v_or3_b32 v0, v0, v4, v1
.LBB230_2108:
	s_or_b64 exec, exec, s[8:9]
	s_mov_b64 s[6:7], 0
	s_branch .LBB230_2114
.LBB230_2109:
                                        ; implicit-def: $vgpr0
	s_mov_b64 s[6:7], 0
	s_branch .LBB230_2120
.LBB230_2110:
	s_or_saveexec_b64 s[10:11], s[10:11]
	v_mov_b32_e32 v0, s14
	s_xor_b64 exec, exec, s[10:11]
	s_cbranch_execz .LBB230_2094
.LBB230_2111:
	v_cmp_ne_u16_e32 vcc, 0, v1
	s_andn2_b64 s[8:9], s[8:9], exec
	s_and_b64 s[12:13], vcc, exec
	v_mov_b32_e32 v0, 0
	s_or_b64 s[8:9], s[8:9], s[12:13]
	s_or_b64 exec, exec, s[10:11]
	s_and_saveexec_b64 s[10:11], s[8:9]
	s_cbranch_execnz .LBB230_2095
	s_branch .LBB230_2096
.LBB230_2112:
	s_mov_b64 s[6:7], -1
                                        ; implicit-def: $vgpr0
	s_branch .LBB230_2117
.LBB230_2113:
	s_mov_b64 s[6:7], -1
                                        ; implicit-def: $vgpr0
.LBB230_2114:
	s_and_b64 vcc, exec, s[6:7]
	s_cbranch_vccz .LBB230_2116
; %bb.2115:
	global_load_ubyte v0, v[2:3], off
	s_mov_b32 s6, 0x7f800000
	s_waitcnt vmcnt(0)
	v_lshlrev_b32_e32 v0, 24, v0
	v_and_b32_e32 v1, 0x7f000000, v0
	v_ffbh_u32_e32 v4, v1
	v_min_u32_e32 v4, 32, v4
	v_sub_u32_e64 v4, v4, 4 clamp
	v_lshlrev_b32_e32 v6, v4, v1
	v_lshlrev_b32_e32 v4, 23, v4
	v_lshrrev_b32_e32 v6, 4, v6
	v_add_u32_e32 v5, 0x1000000, v1
	v_sub_u32_e32 v4, v6, v4
	v_ashrrev_i32_e32 v5, 8, v5
	v_add_u32_e32 v4, 0x3c000000, v4
	v_and_or_b32 v4, v5, s6, v4
	v_cmp_ne_u32_e32 vcc, 0, v1
	v_cndmask_b32_e32 v1, 0, v4, vcc
	s_brev_b32 s6, 1
	v_and_or_b32 v0, v0, s6, v1
.LBB230_2116:
	s_mov_b64 s[6:7], 0
.LBB230_2117:
	s_andn2_b64 vcc, exec, s[6:7]
	s_cbranch_vccnz .LBB230_2119
; %bb.2118:
	global_load_ubyte v0, v[2:3], off
	s_movk_i32 s6, 0x7f00
	s_brev_b32 s7, 16
	s_waitcnt vmcnt(0)
	v_lshlrev_b16_e32 v1, 8, v0
	v_lshlrev_b32_e32 v0, 25, v0
	v_lshrrev_b32_e32 v4, 4, v0
	v_and_or_b32 v5, v1, s6, 0.5
	v_or_b32_e32 v4, 0x70000000, v4
	v_add_f32_e32 v5, -0.5, v5
	v_mul_f32_e32 v4, 0x7800000, v4
	v_cmp_gt_u32_e32 vcc, s7, v0
	v_bfe_i32 v1, v1, 0, 16
	v_cndmask_b32_e32 v0, v4, v5, vcc
	s_brev_b32 s6, 1
	v_and_or_b32 v0, v1, s6, v0
.LBB230_2119:
	s_mov_b64 s[8:9], -1
	s_mov_b64 s[6:7], 0
	s_cbranch_execnz .LBB230_2130
.LBB230_2120:
	v_mov_b32_e32 v0, 14
	v_cmp_gt_i16_sdwa s[6:7], v45, v0 src0_sel:BYTE_0 src1_sel:DWORD
	s_and_b64 vcc, exec, s[6:7]
	s_cbranch_vccz .LBB230_2123
; %bb.2121:
	v_mov_b32_e32 v0, 15
	v_cmp_eq_u16_sdwa s[4:5], v45, v0 src0_sel:BYTE_0 src1_sel:DWORD
	s_and_b64 vcc, exec, s[4:5]
	s_cbranch_vccz .LBB230_2126
; %bb.2122:
	global_load_ushort v0, v[2:3], off
	s_mov_b64 s[4:5], 0
	s_mov_b64 s[8:9], -1
	s_waitcnt vmcnt(0)
	v_lshlrev_b32_e32 v0, 16, v0
	s_branch .LBB230_2127
.LBB230_2123:
	s_mov_b64 s[10:11], -1
                                        ; implicit-def: $vgpr0
	s_branch .LBB230_2128
.LBB230_2124:
	s_or_saveexec_b64 s[8:9], s[8:9]
	v_mov_b32_e32 v0, s12
	s_xor_b64 exec, exec, s[8:9]
	s_cbranch_execz .LBB230_2106
.LBB230_2125:
	v_cmp_ne_u16_e32 vcc, 0, v1
	s_andn2_b64 s[6:7], s[6:7], exec
	s_and_b64 s[10:11], vcc, exec
	v_mov_b32_e32 v0, 0
	s_or_b64 s[6:7], s[6:7], s[10:11]
	s_or_b64 exec, exec, s[8:9]
	s_and_saveexec_b64 s[8:9], s[6:7]
	s_cbranch_execnz .LBB230_2107
	s_branch .LBB230_2108
.LBB230_2126:
	s_mov_b64 s[4:5], -1
                                        ; implicit-def: $vgpr0
.LBB230_2127:
	s_mov_b64 s[10:11], 0
.LBB230_2128:
	s_mov_b64 s[6:7], 0
	s_and_b64 vcc, exec, s[10:11]
	s_cbranch_vccz .LBB230_2130
; %bb.2129:
	v_mov_b32_e32 v0, 11
	v_cmp_ne_u16_sdwa s[4:5], v45, v0 src0_sel:BYTE_0 src1_sel:DWORD
	s_mov_b64 s[6:7], -1
                                        ; implicit-def: $vgpr0
.LBB230_2130:
	s_and_b64 vcc, exec, s[4:5]
	s_mov_b64 s[50:51], s[48:49]
	s_cbranch_vccnz .LBB230_2191
; %bb.2131:
	s_andn2_b64 vcc, exec, s[6:7]
	s_cbranch_vccnz .LBB230_2133
.LBB230_2132:
	global_load_ubyte v0, v[2:3], off
	s_mov_b64 s[8:9], -1
	s_waitcnt vmcnt(0)
	v_cmp_ne_u16_e32 vcc, 0, v0
	v_cndmask_b32_e64 v0, 0, 1.0, vcc
.LBB230_2133:
	s_branch .LBB230_2063
.LBB230_2134:
	v_mov_b32_e32 v0, 5
	v_cmp_lt_i16_sdwa s[4:5], v45, v0 src0_sel:BYTE_0 src1_sel:DWORD
	s_and_b64 vcc, exec, s[4:5]
	s_cbranch_vccnz .LBB230_2139
; %bb.2135:
	v_mov_b32_e32 v0, 8
	v_cmp_lt_i16_sdwa s[4:5], v45, v0 src0_sel:BYTE_0 src1_sel:DWORD
	s_and_b64 vcc, exec, s[4:5]
	s_cbranch_vccnz .LBB230_2140
; %bb.2136:
	;; [unrolled: 5-line block ×3, first 2 shown]
	v_cmp_gt_i16_sdwa s[4:5], v45, v0 src0_sel:BYTE_0 src1_sel:DWORD
	s_and_b64 vcc, exec, s[4:5]
	s_cbranch_vccz .LBB230_2142
; %bb.2138:
	global_load_dwordx2 v[0:1], v[2:3], off
	s_mov_b64 s[4:5], 0
	s_waitcnt vmcnt(0)
	v_cvt_f32_f64_e32 v0, v[0:1]
	s_branch .LBB230_2143
.LBB230_2139:
                                        ; implicit-def: $vgpr0
	s_branch .LBB230_2160
.LBB230_2140:
                                        ; implicit-def: $vgpr0
	s_branch .LBB230_2149
.LBB230_2141:
	s_mov_b64 s[4:5], -1
                                        ; implicit-def: $vgpr0
	s_branch .LBB230_2146
.LBB230_2142:
	s_mov_b64 s[4:5], -1
                                        ; implicit-def: $vgpr0
.LBB230_2143:
	s_andn2_b64 vcc, exec, s[4:5]
	s_cbranch_vccnz .LBB230_2145
; %bb.2144:
	global_load_dword v0, v[2:3], off
.LBB230_2145:
	s_mov_b64 s[4:5], 0
.LBB230_2146:
	s_andn2_b64 vcc, exec, s[4:5]
	s_cbranch_vccnz .LBB230_2148
; %bb.2147:
	global_load_dword v0, v[2:3], off
	s_waitcnt vmcnt(0)
	v_cvt_f32_f16_e32 v0, v0
.LBB230_2148:
	s_cbranch_execnz .LBB230_2159
.LBB230_2149:
	s_waitcnt vmcnt(0)
	v_mov_b32_e32 v0, 6
	v_cmp_lt_i16_sdwa s[4:5], v45, v0 src0_sel:BYTE_0 src1_sel:DWORD
	s_and_b64 vcc, exec, s[4:5]
	s_cbranch_vccnz .LBB230_2152
; %bb.2150:
	v_cmp_gt_i16_sdwa s[4:5], v45, v0 src0_sel:BYTE_0 src1_sel:DWORD
	s_and_b64 vcc, exec, s[4:5]
	s_cbranch_vccz .LBB230_2153
; %bb.2151:
	global_load_dwordx2 v[0:1], v[2:3], off
	s_mov_b64 s[4:5], 0
	s_waitcnt vmcnt(0)
	v_cvt_f32_f64_e32 v0, v[0:1]
	s_branch .LBB230_2154
.LBB230_2152:
	s_mov_b64 s[4:5], -1
                                        ; implicit-def: $vgpr0
	s_branch .LBB230_2157
.LBB230_2153:
	s_mov_b64 s[4:5], -1
                                        ; implicit-def: $vgpr0
.LBB230_2154:
	s_andn2_b64 vcc, exec, s[4:5]
	s_cbranch_vccnz .LBB230_2156
; %bb.2155:
	global_load_dword v0, v[2:3], off
.LBB230_2156:
	s_mov_b64 s[4:5], 0
.LBB230_2157:
	s_andn2_b64 vcc, exec, s[4:5]
	s_cbranch_vccnz .LBB230_2159
; %bb.2158:
	global_load_ushort v0, v[2:3], off
	s_waitcnt vmcnt(0)
	v_cvt_f32_f16_e32 v0, v0
.LBB230_2159:
	s_cbranch_execnz .LBB230_2178
.LBB230_2160:
	s_waitcnt vmcnt(0)
	v_mov_b32_e32 v0, 2
	v_cmp_lt_i16_sdwa s[4:5], v45, v0 src0_sel:BYTE_0 src1_sel:DWORD
	s_and_b64 vcc, exec, s[4:5]
	s_cbranch_vccnz .LBB230_2164
; %bb.2161:
	v_mov_b32_e32 v0, 3
	v_cmp_lt_i16_sdwa s[4:5], v45, v0 src0_sel:BYTE_0 src1_sel:DWORD
	s_and_b64 vcc, exec, s[4:5]
	s_cbranch_vccnz .LBB230_2165
; %bb.2162:
	v_cmp_gt_i16_sdwa s[4:5], v45, v0 src0_sel:BYTE_0 src1_sel:DWORD
	s_and_b64 vcc, exec, s[4:5]
	s_cbranch_vccz .LBB230_2166
; %bb.2163:
	global_load_dwordx2 v[0:1], v[2:3], off
	s_mov_b64 s[4:5], 0
	s_waitcnt vmcnt(0)
	v_xor_b32_e32 v5, v0, v1
	v_ffbh_i32_e32 v4, v1
	v_ashrrev_i32_e32 v5, 31, v5
	v_add_u32_e32 v4, -1, v4
	v_add_u32_e32 v5, 32, v5
	v_min_u32_e32 v4, v4, v5
	v_lshlrev_b64 v[0:1], v4, v[0:1]
	v_min_u32_e32 v0, 1, v0
	v_or_b32_e32 v0, v1, v0
	v_cvt_f32_i32_e32 v0, v0
	v_sub_u32_e32 v1, 32, v4
	v_ldexp_f32 v0, v0, v1
	s_branch .LBB230_2167
.LBB230_2164:
                                        ; implicit-def: $vgpr0
	s_branch .LBB230_2173
.LBB230_2165:
	s_mov_b64 s[4:5], -1
                                        ; implicit-def: $vgpr0
	s_branch .LBB230_2170
.LBB230_2166:
	s_mov_b64 s[4:5], -1
                                        ; implicit-def: $vgpr0
.LBB230_2167:
	s_andn2_b64 vcc, exec, s[4:5]
	s_cbranch_vccnz .LBB230_2169
; %bb.2168:
	global_load_dword v0, v[2:3], off
	s_waitcnt vmcnt(0)
	v_cvt_f32_i32_e32 v0, v0
.LBB230_2169:
	s_mov_b64 s[4:5], 0
.LBB230_2170:
	s_andn2_b64 vcc, exec, s[4:5]
	s_cbranch_vccnz .LBB230_2172
; %bb.2171:
	global_load_sshort v0, v[2:3], off
	s_waitcnt vmcnt(0)
	v_cvt_f32_i32_e32 v0, v0
.LBB230_2172:
	s_cbranch_execnz .LBB230_2178
.LBB230_2173:
	v_mov_b32_e32 v0, 0
	v_cmp_gt_i16_sdwa s[4:5], v45, v0 src0_sel:BYTE_0 src1_sel:DWORD
	s_and_b64 vcc, exec, s[4:5]
	s_cbranch_vccz .LBB230_2175
; %bb.2174:
	global_load_sbyte v0, v[2:3], off
	s_mov_b64 s[4:5], 0
	s_waitcnt vmcnt(0)
	v_cvt_f32_i32_e32 v0, v0
	s_branch .LBB230_2176
.LBB230_2175:
	s_mov_b64 s[4:5], -1
                                        ; implicit-def: $vgpr0
.LBB230_2176:
	s_andn2_b64 vcc, exec, s[4:5]
	s_cbranch_vccnz .LBB230_2178
; %bb.2177:
	global_load_ubyte v0, v[2:3], off
	s_waitcnt vmcnt(0)
	v_cvt_f32_ubyte0_e32 v0, v0
.LBB230_2178:
.LBB230_2179:
	v_mul_lo_u32 v6, s46, v48
	v_ashrrev_i32_e32 v1, 31, v6
	v_mov_b32_e32 v3, s41
	v_add_co_u32_e32 v2, vcc, s40, v6
	s_movk_i32 s4, 0xff
	v_addc_co_u32_e32 v3, vcc, v3, v1, vcc
	v_and_b32_sdwa v4, v47, s4 dst_sel:DWORD dst_unused:UNUSED_PAD src0_sel:WORD_1 src1_sel:DWORD
	v_cmp_gt_i16_e32 vcc, 11, v4
	s_cbranch_vccnz .LBB230_2186
; %bb.2180:
	v_cmp_lt_i16_e32 vcc, 25, v4
	s_mov_b64 s[6:7], 0
	s_cbranch_vccz .LBB230_2188
; %bb.2181:
	v_cmp_lt_i16_e32 vcc, 28, v4
	s_cbranch_vccz .LBB230_2189
; %bb.2182:
	v_cmp_lt_i16_e32 vcc, 43, v4
	;; [unrolled: 3-line block ×3, first 2 shown]
	s_cbranch_vccz .LBB230_2192
; %bb.2184:
	v_cmp_eq_u16_e32 vcc, 46, v4
	s_mov_b64 s[10:11], 0
	s_cbranch_vccz .LBB230_2195
; %bb.2185:
	global_load_dword v1, v[2:3], off
	s_mov_b64 s[4:5], 0
	s_mov_b64 s[8:9], -1
	s_waitcnt vmcnt(0)
	v_lshlrev_b32_e32 v1, 16, v1
	s_branch .LBB230_2196
.LBB230_2186:
	s_mov_b64 s[8:9], 0
                                        ; implicit-def: $vgpr1
	s_cbranch_execnz .LBB230_2261
.LBB230_2187:
	s_andn2_b64 vcc, exec, s[8:9]
	s_cbranch_vccnz .LBB230_4064
	s_branch .LBB230_2308
.LBB230_2188:
	s_mov_b64 s[8:9], 0
	s_mov_b64 s[4:5], 0
                                        ; implicit-def: $vgpr1
	s_cbranch_execnz .LBB230_2225
	s_branch .LBB230_2257
.LBB230_2189:
	s_mov_b64 s[10:11], -1
	s_mov_b64 s[8:9], 0
	s_mov_b64 s[4:5], 0
                                        ; implicit-def: $vgpr1
	s_branch .LBB230_2206
.LBB230_2190:
	s_mov_b64 s[10:11], -1
	s_mov_b64 s[8:9], 0
	s_mov_b64 s[4:5], 0
                                        ; implicit-def: $vgpr1
	s_branch .LBB230_2201
.LBB230_2191:
	s_or_b64 s[50:51], s[48:49], exec
	s_trap 2
                                        ; implicit-def: $vgpr0
	s_cbranch_execz .LBB230_2132
	s_branch .LBB230_2133
.LBB230_2192:
	s_mov_b64 s[10:11], -1
	s_mov_b64 s[8:9], 0
	s_mov_b64 s[4:5], 0
                                        ; implicit-def: $vgpr1
	s_branch .LBB230_2196
.LBB230_2193:
	s_or_saveexec_b64 s[12:13], s[12:13]
                                        ; implicit-def: $sgpr14
	s_xor_b64 exec, exec, s[12:13]
	s_cbranch_execz .LBB230_1979
.LBB230_2194:
	s_mov_b32 s14, 0x42800000
	v_add_f32_e64 v1, |v0|, s14
	v_and_b32_e32 v1, 0xff, v1
	v_cmp_ne_u32_e32 vcc, 0, v1
	s_andn2_b64 s[10:11], s[10:11], exec
	s_and_b64 s[16:17], vcc, exec
	s_mov_b32 s14, 0
	s_or_b64 s[10:11], s[10:11], s[16:17]
	s_or_b64 exec, exec, s[12:13]
	v_mov_b32_e32 v2, s14
	s_and_saveexec_b64 s[12:13], s[10:11]
	s_cbranch_execnz .LBB230_1980
	s_branch .LBB230_1981
.LBB230_2195:
	s_mov_b64 s[4:5], -1
                                        ; implicit-def: $vgpr1
	s_mov_b64 s[8:9], 0
.LBB230_2196:
	s_and_b64 vcc, exec, s[10:11]
	s_cbranch_vccz .LBB230_2200
; %bb.2197:
	v_cmp_eq_u16_e32 vcc, 44, v4
	s_cbranch_vccz .LBB230_2199
; %bb.2198:
	global_load_ubyte v1, v[2:3], off
	s_movk_i32 s8, 0xff
	v_mov_b32_e32 v5, 0x7f800001
	v_mov_b32_e32 v8, 0x400000
	s_mov_b64 s[4:5], 0
	s_waitcnt vmcnt(0)
	v_lshlrev_b32_e32 v9, 23, v1
	v_cmp_ne_u32_e32 vcc, s8, v1
	v_cndmask_b32_e32 v5, v5, v9, vcc
	v_cmp_ne_u32_e32 vcc, 0, v1
	v_cndmask_b32_e32 v1, v8, v5, vcc
	s_mov_b64 s[8:9], -1
	s_branch .LBB230_2200
.LBB230_2199:
	s_mov_b64 s[4:5], -1
                                        ; implicit-def: $vgpr1
.LBB230_2200:
	s_mov_b64 s[10:11], 0
.LBB230_2201:
	s_and_b64 vcc, exec, s[10:11]
	s_cbranch_vccz .LBB230_2205
; %bb.2202:
	v_cmp_eq_u16_e32 vcc, 29, v4
	s_cbranch_vccz .LBB230_2204
; %bb.2203:
	global_load_dwordx2 v[8:9], v[2:3], off
	s_mov_b64 s[4:5], 0
	s_mov_b64 s[8:9], -1
	s_mov_b64 s[10:11], 0
	s_waitcnt vmcnt(0)
	v_ffbh_u32_e32 v1, v9
	v_min_u32_e32 v1, 32, v1
	v_lshlrev_b64 v[8:9], v1, v[8:9]
	v_min_u32_e32 v5, 1, v8
	v_or_b32_e32 v5, v9, v5
	v_cvt_f32_u32_e32 v5, v5
	v_sub_u32_e32 v1, 32, v1
	v_ldexp_f32 v1, v5, v1
	s_branch .LBB230_2206
.LBB230_2204:
	s_mov_b64 s[4:5], -1
                                        ; implicit-def: $vgpr1
.LBB230_2205:
	s_mov_b64 s[10:11], 0
.LBB230_2206:
	s_and_b64 vcc, exec, s[10:11]
	s_cbranch_vccz .LBB230_2224
; %bb.2207:
	v_cmp_gt_i16_e32 vcc, 27, v4
	s_cbranch_vccnz .LBB230_2210
; %bb.2208:
	v_cmp_lt_i16_e32 vcc, 27, v4
	s_cbranch_vccz .LBB230_2211
; %bb.2209:
	global_load_dword v1, v[2:3], off
	s_mov_b64 s[8:9], 0
	s_waitcnt vmcnt(0)
	v_cvt_f32_u32_e32 v1, v1
	s_branch .LBB230_2212
.LBB230_2210:
	s_mov_b64 s[8:9], -1
                                        ; implicit-def: $vgpr1
	s_branch .LBB230_2215
.LBB230_2211:
	s_mov_b64 s[8:9], -1
                                        ; implicit-def: $vgpr1
.LBB230_2212:
	s_andn2_b64 vcc, exec, s[8:9]
	s_cbranch_vccnz .LBB230_2214
; %bb.2213:
	global_load_ushort v1, v[2:3], off
	s_waitcnt vmcnt(0)
	v_cvt_f32_u32_e32 v1, v1
.LBB230_2214:
	s_mov_b64 s[8:9], 0
.LBB230_2215:
	s_andn2_b64 vcc, exec, s[8:9]
	s_cbranch_vccnz .LBB230_2223
; %bb.2216:
	global_load_ubyte v5, v[2:3], off
	s_movk_i32 s8, 0x7f
                                        ; implicit-def: $sgpr14
	s_waitcnt vmcnt(0)
	v_cmp_lt_i16_e32 vcc, s8, v5
	s_mov_b64 s[8:9], 0
	s_and_saveexec_b64 s[10:11], vcc
	s_xor_b64 s[10:11], exec, s[10:11]
	s_cbranch_execz .LBB230_2236
; %bb.2217:
	s_movk_i32 s8, 0x80
	v_cmp_eq_u16_e32 vcc, s8, v5
	s_mov_b64 s[8:9], -1
                                        ; implicit-def: $sgpr14
	s_and_saveexec_b64 s[12:13], vcc
; %bb.2218:
	s_mov_b32 s14, 0x7f800001
	s_xor_b64 s[8:9], exec, -1
; %bb.2219:
	s_or_b64 exec, exec, s[12:13]
	s_and_b64 s[8:9], s[8:9], exec
	s_or_saveexec_b64 s[10:11], s[10:11]
	v_mov_b32_e32 v1, s14
	s_xor_b64 exec, exec, s[10:11]
	s_cbranch_execnz .LBB230_2237
.LBB230_2220:
	s_or_b64 exec, exec, s[10:11]
	s_and_saveexec_b64 s[10:11], s[8:9]
	s_cbranch_execz .LBB230_2222
.LBB230_2221:
	v_lshlrev_b32_e32 v1, 24, v5
	v_and_b32_e32 v5, 0xffff, v5
	v_and_b32_e32 v8, 7, v5
	v_ffbh_u32_e32 v10, v8
	v_min_u32_e32 v10, 32, v10
	v_subrev_u32_e32 v11, 28, v10
	v_bfe_u32 v9, v5, 3, 4
	v_lshlrev_b32_e32 v5, v11, v5
	v_sub_u32_e32 v10, 29, v10
	v_and_b32_e32 v5, 7, v5
	v_cmp_eq_u32_e32 vcc, 0, v9
	v_cndmask_b32_e32 v9, v9, v10, vcc
	v_cndmask_b32_e32 v5, v8, v5, vcc
	v_mov_b32_e32 v8, 0x3b800000
	v_lshlrev_b32_e32 v5, 20, v5
	v_and_b32_e32 v1, 0x80000000, v1
	v_lshl_add_u32 v8, v9, 23, v8
	v_or3_b32 v1, v1, v8, v5
.LBB230_2222:
	s_or_b64 exec, exec, s[10:11]
.LBB230_2223:
	s_mov_b64 s[8:9], -1
.LBB230_2224:
	s_branch .LBB230_2257
.LBB230_2225:
	v_cmp_lt_i16_e32 vcc, 22, v4
	s_cbranch_vccz .LBB230_2235
; %bb.2226:
	v_cmp_gt_i16_e32 vcc, 24, v4
	s_cbranch_vccnz .LBB230_2238
; %bb.2227:
	v_cmp_lt_i16_e32 vcc, 24, v4
	s_cbranch_vccz .LBB230_2239
; %bb.2228:
	global_load_ubyte v5, v[2:3], off
	s_movk_i32 s6, 0x7f
                                        ; implicit-def: $sgpr12
	s_waitcnt vmcnt(0)
	v_cmp_lt_i16_e32 vcc, s6, v5
	s_mov_b64 s[6:7], 0
	s_and_saveexec_b64 s[8:9], vcc
	s_xor_b64 s[8:9], exec, s[8:9]
	s_cbranch_execz .LBB230_2251
; %bb.2229:
	s_movk_i32 s6, 0x80
	v_cmp_eq_u16_e32 vcc, s6, v5
	s_mov_b64 s[6:7], -1
                                        ; implicit-def: $sgpr12
	s_and_saveexec_b64 s[10:11], vcc
; %bb.2230:
	s_mov_b32 s12, 0x7f800001
	s_xor_b64 s[6:7], exec, -1
; %bb.2231:
	s_or_b64 exec, exec, s[10:11]
	s_and_b64 s[6:7], s[6:7], exec
	s_or_saveexec_b64 s[8:9], s[8:9]
	v_mov_b32_e32 v1, s12
	s_xor_b64 exec, exec, s[8:9]
	s_cbranch_execnz .LBB230_2252
.LBB230_2232:
	s_or_b64 exec, exec, s[8:9]
	s_and_saveexec_b64 s[8:9], s[6:7]
	s_cbranch_execz .LBB230_2234
.LBB230_2233:
	v_lshlrev_b32_e32 v1, 24, v5
	v_and_b32_e32 v5, 0xffff, v5
	v_and_b32_e32 v8, 3, v5
	v_ffbh_u32_e32 v10, v8
	v_min_u32_e32 v10, 32, v10
	v_subrev_u32_e32 v11, 29, v10
	v_bfe_u32 v9, v5, 2, 5
	v_lshlrev_b32_e32 v5, v11, v5
	v_sub_u32_e32 v10, 30, v10
	v_and_b32_e32 v5, 3, v5
	v_cmp_eq_u32_e32 vcc, 0, v9
	v_cndmask_b32_e32 v9, v9, v10, vcc
	v_cndmask_b32_e32 v5, v8, v5, vcc
	v_mov_b32_e32 v8, 0x37800000
	v_lshlrev_b32_e32 v5, 21, v5
	v_and_b32_e32 v1, 0x80000000, v1
	v_lshl_add_u32 v8, v9, 23, v8
	v_or3_b32 v1, v1, v8, v5
.LBB230_2234:
	s_or_b64 exec, exec, s[8:9]
	s_mov_b64 s[6:7], 0
	s_branch .LBB230_2240
.LBB230_2235:
	s_mov_b64 s[6:7], -1
                                        ; implicit-def: $vgpr1
	s_branch .LBB230_2246
.LBB230_2236:
	s_or_saveexec_b64 s[10:11], s[10:11]
	v_mov_b32_e32 v1, s14
	s_xor_b64 exec, exec, s[10:11]
	s_cbranch_execz .LBB230_2220
.LBB230_2237:
	v_cmp_ne_u16_e32 vcc, 0, v5
	s_andn2_b64 s[8:9], s[8:9], exec
	s_and_b64 s[12:13], vcc, exec
	v_mov_b32_e32 v1, 0
	s_or_b64 s[8:9], s[8:9], s[12:13]
	s_or_b64 exec, exec, s[10:11]
	s_and_saveexec_b64 s[10:11], s[8:9]
	s_cbranch_execnz .LBB230_2221
	s_branch .LBB230_2222
.LBB230_2238:
	s_mov_b64 s[6:7], -1
                                        ; implicit-def: $vgpr1
	s_branch .LBB230_2243
.LBB230_2239:
	s_mov_b64 s[6:7], -1
                                        ; implicit-def: $vgpr1
.LBB230_2240:
	s_and_b64 vcc, exec, s[6:7]
	s_cbranch_vccz .LBB230_2242
; %bb.2241:
	global_load_ubyte v1, v[2:3], off
	s_mov_b32 s6, 0x7f800000
	s_waitcnt vmcnt(0)
	v_lshlrev_b32_e32 v1, 24, v1
	v_and_b32_e32 v5, 0x7f000000, v1
	v_ffbh_u32_e32 v8, v5
	v_min_u32_e32 v8, 32, v8
	v_sub_u32_e64 v8, v8, 4 clamp
	v_lshlrev_b32_e32 v10, v8, v5
	v_lshlrev_b32_e32 v8, 23, v8
	v_lshrrev_b32_e32 v10, 4, v10
	v_add_u32_e32 v9, 0x1000000, v5
	v_sub_u32_e32 v8, v10, v8
	v_ashrrev_i32_e32 v9, 8, v9
	v_add_u32_e32 v8, 0x3c000000, v8
	v_and_or_b32 v8, v9, s6, v8
	v_cmp_ne_u32_e32 vcc, 0, v5
	v_cndmask_b32_e32 v5, 0, v8, vcc
	s_brev_b32 s6, 1
	v_and_or_b32 v1, v1, s6, v5
.LBB230_2242:
	s_mov_b64 s[6:7], 0
.LBB230_2243:
	s_andn2_b64 vcc, exec, s[6:7]
	s_cbranch_vccnz .LBB230_2245
; %bb.2244:
	global_load_ubyte v1, v[2:3], off
	s_movk_i32 s6, 0x7f00
	s_brev_b32 s7, 16
	s_waitcnt vmcnt(0)
	v_lshlrev_b16_e32 v5, 8, v1
	v_lshlrev_b32_e32 v1, 25, v1
	v_lshrrev_b32_e32 v8, 4, v1
	v_and_or_b32 v9, v5, s6, 0.5
	v_or_b32_e32 v8, 0x70000000, v8
	v_add_f32_e32 v9, -0.5, v9
	v_mul_f32_e32 v8, 0x7800000, v8
	v_cmp_gt_u32_e32 vcc, s7, v1
	v_bfe_i32 v5, v5, 0, 16
	v_cndmask_b32_e32 v1, v8, v9, vcc
	s_brev_b32 s6, 1
	v_and_or_b32 v1, v5, s6, v1
.LBB230_2245:
	s_mov_b64 s[6:7], 0
	s_mov_b64 s[8:9], -1
.LBB230_2246:
	s_andn2_b64 vcc, exec, s[6:7]
	s_mov_b64 s[6:7], 0
	s_cbranch_vccnz .LBB230_2257
; %bb.2247:
	v_cmp_lt_i16_e32 vcc, 14, v4
	s_cbranch_vccz .LBB230_2250
; %bb.2248:
	v_cmp_eq_u16_e32 vcc, 15, v4
	s_cbranch_vccz .LBB230_2253
; %bb.2249:
	global_load_ushort v1, v[2:3], off
	s_mov_b64 s[4:5], 0
	s_mov_b64 s[8:9], -1
	s_waitcnt vmcnt(0)
	v_lshlrev_b32_e32 v1, 16, v1
	s_branch .LBB230_2254
.LBB230_2250:
	s_mov_b64 s[10:11], -1
                                        ; implicit-def: $vgpr1
	s_branch .LBB230_2255
.LBB230_2251:
	s_or_saveexec_b64 s[8:9], s[8:9]
	v_mov_b32_e32 v1, s12
	s_xor_b64 exec, exec, s[8:9]
	s_cbranch_execz .LBB230_2232
.LBB230_2252:
	v_cmp_ne_u16_e32 vcc, 0, v5
	s_andn2_b64 s[6:7], s[6:7], exec
	s_and_b64 s[10:11], vcc, exec
	v_mov_b32_e32 v1, 0
	s_or_b64 s[6:7], s[6:7], s[10:11]
	s_or_b64 exec, exec, s[8:9]
	s_and_saveexec_b64 s[8:9], s[6:7]
	s_cbranch_execnz .LBB230_2233
	s_branch .LBB230_2234
.LBB230_2253:
	s_mov_b64 s[4:5], -1
                                        ; implicit-def: $vgpr1
.LBB230_2254:
	s_mov_b64 s[10:11], 0
.LBB230_2255:
	s_and_b64 vcc, exec, s[10:11]
	s_cbranch_vccz .LBB230_2257
; %bb.2256:
	v_cmp_ne_u16_e64 s[4:5], 11, v4
	s_mov_b64 s[6:7], -1
                                        ; implicit-def: $vgpr1
.LBB230_2257:
	s_and_b64 vcc, exec, s[4:5]
	s_cbranch_vccnz .LBB230_2320
; %bb.2258:
	s_andn2_b64 vcc, exec, s[6:7]
	s_cbranch_vccnz .LBB230_2260
.LBB230_2259:
	global_load_ubyte v1, v[2:3], off
	s_mov_b64 s[8:9], -1
	s_waitcnt vmcnt(0)
	v_cmp_ne_u16_e32 vcc, 0, v1
	v_cndmask_b32_e64 v1, 0, 1.0, vcc
.LBB230_2260:
	s_branch .LBB230_2187
.LBB230_2261:
	v_cmp_gt_i16_e32 vcc, 5, v4
	s_cbranch_vccnz .LBB230_2266
; %bb.2262:
	v_cmp_gt_i16_e32 vcc, 8, v4
	s_cbranch_vccnz .LBB230_2267
; %bb.2263:
	;; [unrolled: 3-line block ×3, first 2 shown]
	v_cmp_lt_i16_e32 vcc, 9, v4
	s_cbranch_vccz .LBB230_2269
; %bb.2265:
	global_load_dwordx2 v[8:9], v[2:3], off
	s_mov_b64 s[4:5], 0
	s_waitcnt vmcnt(0)
	v_cvt_f32_f64_e32 v1, v[8:9]
	s_branch .LBB230_2270
.LBB230_2266:
                                        ; implicit-def: $vgpr1
	s_branch .LBB230_2288
.LBB230_2267:
	s_mov_b64 s[4:5], -1
                                        ; implicit-def: $vgpr1
	s_branch .LBB230_2276
.LBB230_2268:
	s_mov_b64 s[4:5], -1
                                        ; implicit-def: $vgpr1
	s_branch .LBB230_2273
.LBB230_2269:
	s_mov_b64 s[4:5], -1
                                        ; implicit-def: $vgpr1
.LBB230_2270:
	s_andn2_b64 vcc, exec, s[4:5]
	s_cbranch_vccnz .LBB230_2272
; %bb.2271:
	global_load_dword v1, v[2:3], off
.LBB230_2272:
	s_mov_b64 s[4:5], 0
.LBB230_2273:
	s_andn2_b64 vcc, exec, s[4:5]
	s_cbranch_vccnz .LBB230_2275
; %bb.2274:
	global_load_dword v1, v[2:3], off
	s_waitcnt vmcnt(0)
	v_cvt_f32_f16_e32 v1, v1
.LBB230_2275:
	s_mov_b64 s[4:5], 0
.LBB230_2276:
	s_andn2_b64 vcc, exec, s[4:5]
	s_cbranch_vccnz .LBB230_2287
; %bb.2277:
	v_cmp_gt_i16_e32 vcc, 6, v4
	s_cbranch_vccnz .LBB230_2280
; %bb.2278:
	v_cmp_lt_i16_e32 vcc, 6, v4
	s_cbranch_vccz .LBB230_2281
; %bb.2279:
	global_load_dwordx2 v[8:9], v[2:3], off
	s_mov_b64 s[4:5], 0
	s_waitcnt vmcnt(0)
	v_cvt_f32_f64_e32 v1, v[8:9]
	s_branch .LBB230_2282
.LBB230_2280:
	s_mov_b64 s[4:5], -1
                                        ; implicit-def: $vgpr1
	s_branch .LBB230_2285
.LBB230_2281:
	s_mov_b64 s[4:5], -1
                                        ; implicit-def: $vgpr1
.LBB230_2282:
	s_andn2_b64 vcc, exec, s[4:5]
	s_cbranch_vccnz .LBB230_2284
; %bb.2283:
	global_load_dword v1, v[2:3], off
.LBB230_2284:
	s_mov_b64 s[4:5], 0
.LBB230_2285:
	s_andn2_b64 vcc, exec, s[4:5]
	s_cbranch_vccnz .LBB230_2287
; %bb.2286:
	global_load_ushort v1, v[2:3], off
	s_waitcnt vmcnt(0)
	v_cvt_f32_f16_e32 v1, v1
.LBB230_2287:
	s_cbranch_execnz .LBB230_2307
.LBB230_2288:
	v_cmp_gt_i16_e32 vcc, 2, v4
	s_cbranch_vccnz .LBB230_2292
; %bb.2289:
	v_cmp_gt_i16_e32 vcc, 3, v4
	s_cbranch_vccnz .LBB230_2293
; %bb.2290:
	v_cmp_lt_i16_e32 vcc, 3, v4
	s_cbranch_vccz .LBB230_2294
; %bb.2291:
	global_load_dwordx2 v[8:9], v[2:3], off
	s_mov_b64 s[4:5], 0
	s_waitcnt vmcnt(0)
	v_xor_b32_e32 v5, v8, v9
	v_ffbh_i32_e32 v1, v9
	v_ashrrev_i32_e32 v5, 31, v5
	v_add_u32_e32 v1, -1, v1
	v_add_u32_e32 v5, 32, v5
	v_min_u32_e32 v1, v1, v5
	v_lshlrev_b64 v[8:9], v1, v[8:9]
	v_min_u32_e32 v5, 1, v8
	v_or_b32_e32 v5, v9, v5
	v_cvt_f32_i32_e32 v5, v5
	v_sub_u32_e32 v1, 32, v1
	v_ldexp_f32 v1, v5, v1
	s_branch .LBB230_2295
.LBB230_2292:
	s_mov_b64 s[4:5], -1
                                        ; implicit-def: $vgpr1
	s_branch .LBB230_2301
.LBB230_2293:
	s_mov_b64 s[4:5], -1
                                        ; implicit-def: $vgpr1
	s_branch .LBB230_2298
.LBB230_2294:
	s_mov_b64 s[4:5], -1
                                        ; implicit-def: $vgpr1
.LBB230_2295:
	s_andn2_b64 vcc, exec, s[4:5]
	s_cbranch_vccnz .LBB230_2297
; %bb.2296:
	global_load_dword v1, v[2:3], off
	s_waitcnt vmcnt(0)
	v_cvt_f32_i32_e32 v1, v1
.LBB230_2297:
	s_mov_b64 s[4:5], 0
.LBB230_2298:
	s_andn2_b64 vcc, exec, s[4:5]
	s_cbranch_vccnz .LBB230_2300
; %bb.2299:
	global_load_sshort v1, v[2:3], off
	s_waitcnt vmcnt(0)
	v_cvt_f32_i32_e32 v1, v1
.LBB230_2300:
	s_mov_b64 s[4:5], 0
.LBB230_2301:
	s_andn2_b64 vcc, exec, s[4:5]
	s_cbranch_vccnz .LBB230_2307
; %bb.2302:
	v_cmp_lt_i16_e32 vcc, 0, v4
	s_cbranch_vccz .LBB230_2304
; %bb.2303:
	global_load_sbyte v1, v[2:3], off
	s_mov_b64 s[4:5], 0
	s_waitcnt vmcnt(0)
	v_cvt_f32_i32_e32 v1, v1
	s_branch .LBB230_2305
.LBB230_2304:
	s_mov_b64 s[4:5], -1
                                        ; implicit-def: $vgpr1
.LBB230_2305:
	s_andn2_b64 vcc, exec, s[4:5]
	s_cbranch_vccnz .LBB230_2307
; %bb.2306:
	global_load_ubyte v1, v[2:3], off
	s_waitcnt vmcnt(0)
	v_cvt_f32_ubyte0_e32 v1, v1
.LBB230_2307:
.LBB230_2308:
	v_mul_lo_u32 v3, s47, v48
	v_ashrrev_i32_e32 v2, 31, v3
	v_mov_b32_e32 v5, s43
	v_add_co_u32_e32 v4, vcc, s42, v3
	v_addc_co_u32_e32 v5, vcc, v5, v2, vcc
	v_cmp_gt_i16_e64 s[4:5], 11, v49
	s_and_b64 vcc, exec, s[4:5]
	s_cbranch_vccnz .LBB230_2315
; %bb.2309:
	v_cmp_lt_i16_e32 vcc, 25, v49
	s_mov_b64 s[8:9], 0
	s_cbranch_vccz .LBB230_2317
; %bb.2310:
	v_cmp_lt_i16_e32 vcc, 28, v49
	s_cbranch_vccz .LBB230_2318
; %bb.2311:
	v_cmp_lt_i16_e32 vcc, 43, v49
	;; [unrolled: 3-line block ×3, first 2 shown]
	s_cbranch_vccz .LBB230_2321
; %bb.2313:
	v_cmp_eq_u16_e32 vcc, 46, v49
	s_mov_b64 s[12:13], 0
	s_cbranch_vccz .LBB230_2322
; %bb.2314:
	global_load_dword v2, v[4:5], off
	s_mov_b64 s[6:7], 0
	s_mov_b64 s[10:11], -1
	s_waitcnt vmcnt(0)
	v_lshlrev_b32_e32 v2, 16, v2
	s_branch .LBB230_2323
.LBB230_2315:
	s_mov_b64 s[10:11], 0
                                        ; implicit-def: $vgpr2
	s_cbranch_execnz .LBB230_2389
.LBB230_2316:
	s_andn2_b64 vcc, exec, s[10:11]
	s_cbranch_vccnz .LBB230_4064
	s_branch .LBB230_2437
.LBB230_2317:
	s_mov_b64 s[12:13], -1
	s_mov_b64 s[10:11], 0
	s_mov_b64 s[6:7], 0
                                        ; implicit-def: $vgpr2
	s_branch .LBB230_2352
.LBB230_2318:
	s_mov_b64 s[12:13], -1
	s_mov_b64 s[10:11], 0
	s_mov_b64 s[6:7], 0
                                        ; implicit-def: $vgpr2
	s_branch .LBB230_2333
.LBB230_2319:
	s_mov_b64 s[12:13], -1
	s_mov_b64 s[10:11], 0
	s_mov_b64 s[6:7], 0
                                        ; implicit-def: $vgpr2
	s_branch .LBB230_2328
.LBB230_2320:
	s_trap 2
	s_or_b64 s[50:51], s[50:51], exec
                                        ; implicit-def: $vgpr1
	s_cbranch_execz .LBB230_2259
	s_branch .LBB230_2260
.LBB230_2321:
	s_mov_b64 s[12:13], -1
	s_mov_b64 s[10:11], 0
	s_mov_b64 s[6:7], 0
                                        ; implicit-def: $vgpr2
	s_branch .LBB230_2323
.LBB230_2322:
	s_mov_b64 s[6:7], -1
                                        ; implicit-def: $vgpr2
	s_mov_b64 s[10:11], 0
.LBB230_2323:
	s_and_b64 vcc, exec, s[12:13]
	s_cbranch_vccz .LBB230_2327
; %bb.2324:
	v_cmp_eq_u16_e32 vcc, 44, v49
	s_cbranch_vccz .LBB230_2326
; %bb.2325:
	global_load_ubyte v2, v[4:5], off
	s_movk_i32 s10, 0xff
	v_mov_b32_e32 v8, 0x7f800001
	v_mov_b32_e32 v9, 0x400000
	s_mov_b64 s[6:7], 0
	s_waitcnt vmcnt(0)
	v_lshlrev_b32_e32 v10, 23, v2
	v_cmp_ne_u32_e32 vcc, s10, v2
	v_cndmask_b32_e32 v8, v8, v10, vcc
	v_cmp_ne_u32_e32 vcc, 0, v2
	v_cndmask_b32_e32 v2, v9, v8, vcc
	s_mov_b64 s[10:11], -1
	s_branch .LBB230_2327
.LBB230_2326:
	s_mov_b64 s[6:7], -1
                                        ; implicit-def: $vgpr2
.LBB230_2327:
	s_mov_b64 s[12:13], 0
.LBB230_2328:
	s_and_b64 vcc, exec, s[12:13]
	s_cbranch_vccz .LBB230_2332
; %bb.2329:
	v_cmp_eq_u16_e32 vcc, 29, v49
	s_cbranch_vccz .LBB230_2331
; %bb.2330:
	global_load_dwordx2 v[8:9], v[4:5], off
	s_mov_b64 s[6:7], 0
	s_mov_b64 s[10:11], -1
	s_mov_b64 s[12:13], 0
	s_waitcnt vmcnt(0)
	v_ffbh_u32_e32 v2, v9
	v_min_u32_e32 v2, 32, v2
	v_lshlrev_b64 v[8:9], v2, v[8:9]
	v_min_u32_e32 v8, 1, v8
	v_or_b32_e32 v8, v9, v8
	v_cvt_f32_u32_e32 v8, v8
	v_sub_u32_e32 v2, 32, v2
	v_ldexp_f32 v2, v8, v2
	s_branch .LBB230_2333
.LBB230_2331:
	s_mov_b64 s[6:7], -1
                                        ; implicit-def: $vgpr2
.LBB230_2332:
	s_mov_b64 s[12:13], 0
.LBB230_2333:
	s_and_b64 vcc, exec, s[12:13]
	s_cbranch_vccz .LBB230_2351
; %bb.2334:
	v_cmp_gt_i16_e32 vcc, 27, v49
	s_cbranch_vccnz .LBB230_2337
; %bb.2335:
	v_cmp_lt_i16_e32 vcc, 27, v49
	s_cbranch_vccz .LBB230_2338
; %bb.2336:
	global_load_dword v2, v[4:5], off
	s_mov_b64 s[10:11], 0
	s_waitcnt vmcnt(0)
	v_cvt_f32_u32_e32 v2, v2
	s_branch .LBB230_2339
.LBB230_2337:
	s_mov_b64 s[10:11], -1
                                        ; implicit-def: $vgpr2
	s_branch .LBB230_2342
.LBB230_2338:
	s_mov_b64 s[10:11], -1
                                        ; implicit-def: $vgpr2
.LBB230_2339:
	s_andn2_b64 vcc, exec, s[10:11]
	s_cbranch_vccnz .LBB230_2341
; %bb.2340:
	global_load_ushort v2, v[4:5], off
	s_waitcnt vmcnt(0)
	v_cvt_f32_u32_e32 v2, v2
.LBB230_2341:
	s_mov_b64 s[10:11], 0
.LBB230_2342:
	s_andn2_b64 vcc, exec, s[10:11]
	s_cbranch_vccnz .LBB230_2350
; %bb.2343:
	global_load_ubyte v8, v[4:5], off
	s_movk_i32 s10, 0x7f
                                        ; implicit-def: $sgpr16
	s_waitcnt vmcnt(0)
	v_cmp_lt_i16_e32 vcc, s10, v8
	s_mov_b64 s[10:11], 0
	s_and_saveexec_b64 s[12:13], vcc
	s_xor_b64 s[12:13], exec, s[12:13]
	s_cbranch_execz .LBB230_2364
; %bb.2344:
	s_movk_i32 s10, 0x80
	v_cmp_eq_u16_e32 vcc, s10, v8
	s_mov_b64 s[10:11], -1
                                        ; implicit-def: $sgpr16
	s_and_saveexec_b64 s[14:15], vcc
; %bb.2345:
	s_mov_b32 s16, 0x7f800001
	s_xor_b64 s[10:11], exec, -1
; %bb.2346:
	s_or_b64 exec, exec, s[14:15]
	s_and_b64 s[10:11], s[10:11], exec
	s_or_saveexec_b64 s[12:13], s[12:13]
	v_mov_b32_e32 v2, s16
	s_xor_b64 exec, exec, s[12:13]
	s_cbranch_execnz .LBB230_2365
.LBB230_2347:
	s_or_b64 exec, exec, s[12:13]
	s_and_saveexec_b64 s[12:13], s[10:11]
	s_cbranch_execz .LBB230_2349
.LBB230_2348:
	v_lshlrev_b32_e32 v2, 24, v8
	v_and_b32_e32 v8, 0xffff, v8
	v_and_b32_e32 v9, 7, v8
	v_ffbh_u32_e32 v11, v9
	v_min_u32_e32 v11, 32, v11
	v_subrev_u32_e32 v12, 28, v11
	v_bfe_u32 v10, v8, 3, 4
	v_lshlrev_b32_e32 v8, v12, v8
	v_sub_u32_e32 v11, 29, v11
	v_and_b32_e32 v8, 7, v8
	v_cmp_eq_u32_e32 vcc, 0, v10
	v_cndmask_b32_e32 v10, v10, v11, vcc
	v_cndmask_b32_e32 v8, v9, v8, vcc
	v_mov_b32_e32 v9, 0x3b800000
	v_lshlrev_b32_e32 v8, 20, v8
	v_and_b32_e32 v2, 0x80000000, v2
	v_lshl_add_u32 v9, v10, 23, v9
	v_or3_b32 v2, v2, v9, v8
.LBB230_2349:
	s_or_b64 exec, exec, s[12:13]
.LBB230_2350:
	s_mov_b64 s[10:11], -1
.LBB230_2351:
	s_mov_b64 s[12:13], 0
.LBB230_2352:
	s_and_b64 vcc, exec, s[12:13]
	s_cbranch_vccz .LBB230_2385
; %bb.2353:
	v_cmp_lt_i16_e32 vcc, 22, v49
	s_cbranch_vccz .LBB230_2363
; %bb.2354:
	v_cmp_gt_i16_e32 vcc, 24, v49
	s_cbranch_vccnz .LBB230_2366
; %bb.2355:
	v_cmp_lt_i16_e32 vcc, 24, v49
	s_cbranch_vccz .LBB230_2367
; %bb.2356:
	global_load_ubyte v8, v[4:5], off
	s_movk_i32 s8, 0x7f
                                        ; implicit-def: $sgpr14
	s_waitcnt vmcnt(0)
	v_cmp_lt_i16_e32 vcc, s8, v8
	s_mov_b64 s[8:9], 0
	s_and_saveexec_b64 s[10:11], vcc
	s_xor_b64 s[10:11], exec, s[10:11]
	s_cbranch_execz .LBB230_2379
; %bb.2357:
	s_movk_i32 s8, 0x80
	v_cmp_eq_u16_e32 vcc, s8, v8
	s_mov_b64 s[8:9], -1
                                        ; implicit-def: $sgpr14
	s_and_saveexec_b64 s[12:13], vcc
; %bb.2358:
	s_mov_b32 s14, 0x7f800001
	s_xor_b64 s[8:9], exec, -1
; %bb.2359:
	s_or_b64 exec, exec, s[12:13]
	s_and_b64 s[8:9], s[8:9], exec
	s_or_saveexec_b64 s[10:11], s[10:11]
	v_mov_b32_e32 v2, s14
	s_xor_b64 exec, exec, s[10:11]
	s_cbranch_execnz .LBB230_2380
.LBB230_2360:
	s_or_b64 exec, exec, s[10:11]
	s_and_saveexec_b64 s[10:11], s[8:9]
	s_cbranch_execz .LBB230_2362
.LBB230_2361:
	v_lshlrev_b32_e32 v2, 24, v8
	v_and_b32_e32 v8, 0xffff, v8
	v_and_b32_e32 v9, 3, v8
	v_ffbh_u32_e32 v11, v9
	v_min_u32_e32 v11, 32, v11
	v_subrev_u32_e32 v12, 29, v11
	v_bfe_u32 v10, v8, 2, 5
	v_lshlrev_b32_e32 v8, v12, v8
	v_sub_u32_e32 v11, 30, v11
	v_and_b32_e32 v8, 3, v8
	v_cmp_eq_u32_e32 vcc, 0, v10
	v_cndmask_b32_e32 v10, v10, v11, vcc
	v_cndmask_b32_e32 v8, v9, v8, vcc
	v_mov_b32_e32 v9, 0x37800000
	v_lshlrev_b32_e32 v8, 21, v8
	v_and_b32_e32 v2, 0x80000000, v2
	v_lshl_add_u32 v9, v10, 23, v9
	v_or3_b32 v2, v2, v9, v8
.LBB230_2362:
	s_or_b64 exec, exec, s[10:11]
	s_mov_b64 s[8:9], 0
	s_branch .LBB230_2368
.LBB230_2363:
	s_mov_b64 s[8:9], -1
                                        ; implicit-def: $vgpr2
	s_branch .LBB230_2374
.LBB230_2364:
	s_or_saveexec_b64 s[12:13], s[12:13]
	v_mov_b32_e32 v2, s16
	s_xor_b64 exec, exec, s[12:13]
	s_cbranch_execz .LBB230_2347
.LBB230_2365:
	v_cmp_ne_u16_e32 vcc, 0, v8
	s_andn2_b64 s[10:11], s[10:11], exec
	s_and_b64 s[14:15], vcc, exec
	v_mov_b32_e32 v2, 0
	s_or_b64 s[10:11], s[10:11], s[14:15]
	s_or_b64 exec, exec, s[12:13]
	s_and_saveexec_b64 s[12:13], s[10:11]
	s_cbranch_execnz .LBB230_2348
	s_branch .LBB230_2349
.LBB230_2366:
	s_mov_b64 s[8:9], -1
                                        ; implicit-def: $vgpr2
	s_branch .LBB230_2371
.LBB230_2367:
	s_mov_b64 s[8:9], -1
                                        ; implicit-def: $vgpr2
.LBB230_2368:
	s_and_b64 vcc, exec, s[8:9]
	s_cbranch_vccz .LBB230_2370
; %bb.2369:
	global_load_ubyte v2, v[4:5], off
	s_mov_b32 s8, 0x7f800000
	s_waitcnt vmcnt(0)
	v_lshlrev_b32_e32 v2, 24, v2
	v_and_b32_e32 v8, 0x7f000000, v2
	v_ffbh_u32_e32 v9, v8
	v_min_u32_e32 v9, 32, v9
	v_sub_u32_e64 v9, v9, 4 clamp
	v_lshlrev_b32_e32 v11, v9, v8
	v_lshlrev_b32_e32 v9, 23, v9
	v_lshrrev_b32_e32 v11, 4, v11
	v_add_u32_e32 v10, 0x1000000, v8
	v_sub_u32_e32 v9, v11, v9
	v_ashrrev_i32_e32 v10, 8, v10
	v_add_u32_e32 v9, 0x3c000000, v9
	v_and_or_b32 v9, v10, s8, v9
	v_cmp_ne_u32_e32 vcc, 0, v8
	v_cndmask_b32_e32 v8, 0, v9, vcc
	s_brev_b32 s8, 1
	v_and_or_b32 v2, v2, s8, v8
.LBB230_2370:
	s_mov_b64 s[8:9], 0
.LBB230_2371:
	s_andn2_b64 vcc, exec, s[8:9]
	s_cbranch_vccnz .LBB230_2373
; %bb.2372:
	global_load_ubyte v2, v[4:5], off
	s_movk_i32 s8, 0x7f00
	s_brev_b32 s9, 16
	s_waitcnt vmcnt(0)
	v_lshlrev_b16_e32 v8, 8, v2
	v_lshlrev_b32_e32 v2, 25, v2
	v_lshrrev_b32_e32 v9, 4, v2
	v_and_or_b32 v10, v8, s8, 0.5
	v_or_b32_e32 v9, 0x70000000, v9
	v_add_f32_e32 v10, -0.5, v10
	v_mul_f32_e32 v9, 0x7800000, v9
	v_cmp_gt_u32_e32 vcc, s9, v2
	v_bfe_i32 v8, v8, 0, 16
	v_cndmask_b32_e32 v2, v9, v10, vcc
	s_brev_b32 s8, 1
	v_and_or_b32 v2, v8, s8, v2
.LBB230_2373:
	s_mov_b64 s[8:9], 0
	s_mov_b64 s[10:11], -1
.LBB230_2374:
	s_andn2_b64 vcc, exec, s[8:9]
	s_mov_b64 s[8:9], 0
	s_cbranch_vccnz .LBB230_2385
; %bb.2375:
	v_cmp_lt_i16_e32 vcc, 14, v49
	s_cbranch_vccz .LBB230_2378
; %bb.2376:
	v_cmp_eq_u16_e32 vcc, 15, v49
	s_cbranch_vccz .LBB230_2381
; %bb.2377:
	global_load_ushort v2, v[4:5], off
	s_mov_b64 s[6:7], 0
	s_mov_b64 s[10:11], -1
	s_waitcnt vmcnt(0)
	v_lshlrev_b32_e32 v2, 16, v2
	s_branch .LBB230_2382
.LBB230_2378:
	s_mov_b64 s[12:13], -1
                                        ; implicit-def: $vgpr2
	s_branch .LBB230_2383
.LBB230_2379:
	s_or_saveexec_b64 s[10:11], s[10:11]
	v_mov_b32_e32 v2, s14
	s_xor_b64 exec, exec, s[10:11]
	s_cbranch_execz .LBB230_2360
.LBB230_2380:
	v_cmp_ne_u16_e32 vcc, 0, v8
	s_andn2_b64 s[8:9], s[8:9], exec
	s_and_b64 s[12:13], vcc, exec
	v_mov_b32_e32 v2, 0
	s_or_b64 s[8:9], s[8:9], s[12:13]
	s_or_b64 exec, exec, s[10:11]
	s_and_saveexec_b64 s[10:11], s[8:9]
	s_cbranch_execnz .LBB230_2361
	s_branch .LBB230_2362
.LBB230_2381:
	s_mov_b64 s[6:7], -1
                                        ; implicit-def: $vgpr2
.LBB230_2382:
	s_mov_b64 s[12:13], 0
.LBB230_2383:
	s_and_b64 vcc, exec, s[12:13]
	s_cbranch_vccz .LBB230_2385
; %bb.2384:
	v_cmp_ne_u16_e64 s[6:7], 11, v49
	s_mov_b64 s[8:9], -1
                                        ; implicit-def: $vgpr2
.LBB230_2385:
	s_and_b64 vcc, exec, s[6:7]
	s_cbranch_vccnz .LBB230_2448
; %bb.2386:
	s_andn2_b64 vcc, exec, s[8:9]
	s_cbranch_vccnz .LBB230_2388
.LBB230_2387:
	global_load_ubyte v2, v[4:5], off
	s_mov_b64 s[10:11], -1
	s_waitcnt vmcnt(0)
	v_cmp_ne_u16_e32 vcc, 0, v2
	v_cndmask_b32_e64 v2, 0, 1.0, vcc
.LBB230_2388:
	s_branch .LBB230_2316
.LBB230_2389:
	v_cmp_gt_i16_e32 vcc, 5, v49
	s_cbranch_vccnz .LBB230_2394
; %bb.2390:
	v_cmp_gt_i16_e32 vcc, 8, v49
	s_cbranch_vccnz .LBB230_2395
; %bb.2391:
	;; [unrolled: 3-line block ×3, first 2 shown]
	v_cmp_lt_i16_e32 vcc, 9, v49
	s_cbranch_vccz .LBB230_2397
; %bb.2393:
	global_load_dwordx2 v[8:9], v[4:5], off
	s_mov_b64 s[6:7], 0
	s_waitcnt vmcnt(0)
	v_cvt_f32_f64_e32 v2, v[8:9]
	s_branch .LBB230_2398
.LBB230_2394:
	s_mov_b64 s[6:7], -1
                                        ; implicit-def: $vgpr2
	s_branch .LBB230_2416
.LBB230_2395:
	s_mov_b64 s[6:7], -1
                                        ; implicit-def: $vgpr2
	s_branch .LBB230_2404
.LBB230_2396:
	s_mov_b64 s[6:7], -1
                                        ; implicit-def: $vgpr2
	s_branch .LBB230_2401
.LBB230_2397:
	s_mov_b64 s[6:7], -1
                                        ; implicit-def: $vgpr2
.LBB230_2398:
	s_andn2_b64 vcc, exec, s[6:7]
	s_cbranch_vccnz .LBB230_2400
; %bb.2399:
	global_load_dword v2, v[4:5], off
.LBB230_2400:
	s_mov_b64 s[6:7], 0
.LBB230_2401:
	s_andn2_b64 vcc, exec, s[6:7]
	s_cbranch_vccnz .LBB230_2403
; %bb.2402:
	global_load_dword v2, v[4:5], off
	s_waitcnt vmcnt(0)
	v_cvt_f32_f16_e32 v2, v2
.LBB230_2403:
	s_mov_b64 s[6:7], 0
.LBB230_2404:
	s_andn2_b64 vcc, exec, s[6:7]
	s_cbranch_vccnz .LBB230_2415
; %bb.2405:
	v_cmp_gt_i16_e32 vcc, 6, v49
	s_cbranch_vccnz .LBB230_2408
; %bb.2406:
	v_cmp_lt_i16_e32 vcc, 6, v49
	s_cbranch_vccz .LBB230_2409
; %bb.2407:
	global_load_dwordx2 v[8:9], v[4:5], off
	s_mov_b64 s[6:7], 0
	s_waitcnt vmcnt(0)
	v_cvt_f32_f64_e32 v2, v[8:9]
	s_branch .LBB230_2410
.LBB230_2408:
	s_mov_b64 s[6:7], -1
                                        ; implicit-def: $vgpr2
	s_branch .LBB230_2413
.LBB230_2409:
	s_mov_b64 s[6:7], -1
                                        ; implicit-def: $vgpr2
.LBB230_2410:
	s_andn2_b64 vcc, exec, s[6:7]
	s_cbranch_vccnz .LBB230_2412
; %bb.2411:
	global_load_dword v2, v[4:5], off
.LBB230_2412:
	s_mov_b64 s[6:7], 0
.LBB230_2413:
	s_andn2_b64 vcc, exec, s[6:7]
	s_cbranch_vccnz .LBB230_2415
; %bb.2414:
	global_load_ushort v2, v[4:5], off
	s_waitcnt vmcnt(0)
	v_cvt_f32_f16_e32 v2, v2
.LBB230_2415:
	s_mov_b64 s[6:7], 0
.LBB230_2416:
	s_andn2_b64 vcc, exec, s[6:7]
	s_cbranch_vccnz .LBB230_2436
; %bb.2417:
	v_cmp_gt_i16_e32 vcc, 2, v49
	s_cbranch_vccnz .LBB230_2421
; %bb.2418:
	v_cmp_gt_i16_e32 vcc, 3, v49
	s_cbranch_vccnz .LBB230_2422
; %bb.2419:
	v_cmp_lt_i16_e32 vcc, 3, v49
	s_cbranch_vccz .LBB230_2423
; %bb.2420:
	global_load_dwordx2 v[8:9], v[4:5], off
	s_mov_b64 s[6:7], 0
	s_waitcnt vmcnt(0)
	v_xor_b32_e32 v10, v8, v9
	v_ffbh_i32_e32 v2, v9
	v_ashrrev_i32_e32 v10, 31, v10
	v_add_u32_e32 v2, -1, v2
	v_add_u32_e32 v10, 32, v10
	v_min_u32_e32 v2, v2, v10
	v_lshlrev_b64 v[8:9], v2, v[8:9]
	v_min_u32_e32 v8, 1, v8
	v_or_b32_e32 v8, v9, v8
	v_cvt_f32_i32_e32 v8, v8
	v_sub_u32_e32 v2, 32, v2
	v_ldexp_f32 v2, v8, v2
	s_branch .LBB230_2424
.LBB230_2421:
	s_mov_b64 s[6:7], -1
                                        ; implicit-def: $vgpr2
	s_branch .LBB230_2430
.LBB230_2422:
	s_mov_b64 s[6:7], -1
                                        ; implicit-def: $vgpr2
	s_branch .LBB230_2427
.LBB230_2423:
	s_mov_b64 s[6:7], -1
                                        ; implicit-def: $vgpr2
.LBB230_2424:
	s_andn2_b64 vcc, exec, s[6:7]
	s_cbranch_vccnz .LBB230_2426
; %bb.2425:
	global_load_dword v2, v[4:5], off
	s_waitcnt vmcnt(0)
	v_cvt_f32_i32_e32 v2, v2
.LBB230_2426:
	s_mov_b64 s[6:7], 0
.LBB230_2427:
	s_andn2_b64 vcc, exec, s[6:7]
	s_cbranch_vccnz .LBB230_2429
; %bb.2428:
	global_load_sshort v2, v[4:5], off
	s_waitcnt vmcnt(0)
	v_cvt_f32_i32_e32 v2, v2
.LBB230_2429:
	s_mov_b64 s[6:7], 0
.LBB230_2430:
	s_andn2_b64 vcc, exec, s[6:7]
	s_cbranch_vccnz .LBB230_2436
; %bb.2431:
	v_cmp_lt_i16_e32 vcc, 0, v49
	s_cbranch_vccz .LBB230_2433
; %bb.2432:
	global_load_sbyte v2, v[4:5], off
	s_mov_b64 s[6:7], 0
	s_waitcnt vmcnt(0)
	v_cvt_f32_i32_e32 v2, v2
	s_branch .LBB230_2434
.LBB230_2433:
	s_mov_b64 s[6:7], -1
                                        ; implicit-def: $vgpr2
.LBB230_2434:
	s_andn2_b64 vcc, exec, s[6:7]
	s_cbranch_vccnz .LBB230_2436
; %bb.2435:
	global_load_ubyte v2, v[4:5], off
	s_waitcnt vmcnt(0)
	v_cvt_f32_ubyte0_e32 v2, v2
.LBB230_2436:
.LBB230_2437:
	s_lshl_b32 s16, s45, 7
	v_add_u32_e32 v7, s16, v7
	v_ashrrev_i32_e32 v5, 31, v7
	v_mov_b32_e32 v8, s39
	v_add_co_u32_e32 v4, vcc, s38, v7
	v_addc_co_u32_e32 v5, vcc, v8, v5, vcc
	v_mov_b32_e32 v8, 11
	v_cmp_lt_i16_sdwa s[6:7], v45, v8 src0_sel:BYTE_0 src1_sel:DWORD
	s_and_b64 vcc, exec, s[6:7]
	s_cbranch_vccnz .LBB230_2444
; %bb.2438:
	v_mov_b32_e32 v8, 25
	v_cmp_gt_i16_sdwa s[6:7], v45, v8 src0_sel:BYTE_0 src1_sel:DWORD
	s_mov_b64 s[8:9], 0
	s_and_b64 vcc, exec, s[6:7]
	s_cbranch_vccz .LBB230_2445
; %bb.2439:
	v_mov_b32_e32 v8, 28
	v_cmp_gt_i16_sdwa s[6:7], v45, v8 src0_sel:BYTE_0 src1_sel:DWORD
	s_and_b64 vcc, exec, s[6:7]
	s_cbranch_vccz .LBB230_2446
; %bb.2440:
	v_mov_b32_e32 v8, 43
	v_cmp_gt_i16_sdwa s[6:7], v45, v8 src0_sel:BYTE_0 src1_sel:DWORD
	;; [unrolled: 5-line block ×3, first 2 shown]
	s_and_b64 vcc, exec, s[6:7]
	s_cbranch_vccz .LBB230_2449
; %bb.2442:
	v_mov_b32_e32 v8, 46
	v_cmp_eq_u16_sdwa s[6:7], v45, v8 src0_sel:BYTE_0 src1_sel:DWORD
	s_mov_b64 s[12:13], 0
	s_and_b64 vcc, exec, s[6:7]
	s_cbranch_vccz .LBB230_2450
; %bb.2443:
	global_load_dword v8, v[4:5], off
	s_mov_b64 s[6:7], 0
	s_mov_b64 s[10:11], -1
	s_waitcnt vmcnt(0)
	v_lshlrev_b32_e32 v38, 16, v8
	s_branch .LBB230_2451
.LBB230_2444:
	s_mov_b64 s[6:7], -1
	s_mov_b64 s[10:11], 0
                                        ; implicit-def: $vgpr38
	s_branch .LBB230_2517
.LBB230_2445:
	s_mov_b64 s[12:13], -1
	s_mov_b64 s[10:11], 0
	s_mov_b64 s[6:7], 0
                                        ; implicit-def: $vgpr38
	s_branch .LBB230_2480
.LBB230_2446:
	s_mov_b64 s[12:13], -1
	s_mov_b64 s[10:11], 0
	s_mov_b64 s[6:7], 0
                                        ; implicit-def: $vgpr38
	s_branch .LBB230_2461
.LBB230_2447:
	s_mov_b64 s[12:13], -1
	s_mov_b64 s[10:11], 0
	s_mov_b64 s[6:7], 0
                                        ; implicit-def: $vgpr38
	s_branch .LBB230_2456
.LBB230_2448:
	s_trap 2
	s_or_b64 s[50:51], s[50:51], exec
                                        ; implicit-def: $vgpr2
	s_cbranch_execz .LBB230_2387
	s_branch .LBB230_2388
.LBB230_2449:
	s_mov_b64 s[12:13], -1
	s_mov_b64 s[10:11], 0
	s_mov_b64 s[6:7], 0
                                        ; implicit-def: $vgpr38
	s_branch .LBB230_2451
.LBB230_2450:
	s_mov_b64 s[6:7], -1
                                        ; implicit-def: $vgpr38
	s_mov_b64 s[10:11], 0
.LBB230_2451:
	s_and_b64 vcc, exec, s[12:13]
	s_cbranch_vccz .LBB230_2455
; %bb.2452:
	v_mov_b32_e32 v8, 44
	v_cmp_eq_u16_sdwa s[6:7], v45, v8 src0_sel:BYTE_0 src1_sel:DWORD
	s_and_b64 vcc, exec, s[6:7]
	s_cbranch_vccz .LBB230_2454
; %bb.2453:
	global_load_ubyte v8, v[4:5], off
	s_movk_i32 s10, 0xff
	v_mov_b32_e32 v9, 0x7f800001
	v_mov_b32_e32 v10, 0x400000
	s_mov_b64 s[6:7], 0
	s_waitcnt vmcnt(0)
	v_lshlrev_b32_e32 v11, 23, v8
	v_cmp_ne_u32_e32 vcc, s10, v8
	v_cndmask_b32_e32 v9, v9, v11, vcc
	v_cmp_ne_u32_e32 vcc, 0, v8
	v_cndmask_b32_e32 v38, v10, v9, vcc
	s_mov_b64 s[10:11], -1
	s_branch .LBB230_2455
.LBB230_2454:
	s_mov_b64 s[6:7], -1
                                        ; implicit-def: $vgpr38
.LBB230_2455:
	s_mov_b64 s[12:13], 0
.LBB230_2456:
	s_and_b64 vcc, exec, s[12:13]
	s_cbranch_vccz .LBB230_2460
; %bb.2457:
	v_mov_b32_e32 v8, 29
	v_cmp_eq_u16_sdwa s[6:7], v45, v8 src0_sel:BYTE_0 src1_sel:DWORD
	s_and_b64 vcc, exec, s[6:7]
	s_cbranch_vccz .LBB230_2459
; %bb.2458:
	global_load_dwordx2 v[8:9], v[4:5], off
	s_mov_b64 s[6:7], 0
	s_mov_b64 s[10:11], -1
	s_mov_b64 s[12:13], 0
	s_waitcnt vmcnt(0)
	v_ffbh_u32_e32 v10, v9
	v_min_u32_e32 v10, 32, v10
	v_lshlrev_b64 v[8:9], v10, v[8:9]
	v_min_u32_e32 v8, 1, v8
	v_or_b32_e32 v8, v9, v8
	v_cvt_f32_u32_e32 v8, v8
	v_sub_u32_e32 v9, 32, v10
	v_ldexp_f32 v38, v8, v9
	s_branch .LBB230_2461
.LBB230_2459:
	s_mov_b64 s[6:7], -1
                                        ; implicit-def: $vgpr38
.LBB230_2460:
	s_mov_b64 s[12:13], 0
.LBB230_2461:
	s_and_b64 vcc, exec, s[12:13]
	s_cbranch_vccz .LBB230_2479
; %bb.2462:
	v_mov_b32_e32 v8, 27
	v_cmp_lt_i16_sdwa s[10:11], v45, v8 src0_sel:BYTE_0 src1_sel:DWORD
	s_and_b64 vcc, exec, s[10:11]
	s_cbranch_vccnz .LBB230_2465
; %bb.2463:
	v_cmp_gt_i16_sdwa s[10:11], v45, v8 src0_sel:BYTE_0 src1_sel:DWORD
	s_and_b64 vcc, exec, s[10:11]
	s_cbranch_vccz .LBB230_2466
; %bb.2464:
	global_load_dword v8, v[4:5], off
	s_mov_b64 s[10:11], 0
	s_waitcnt vmcnt(0)
	v_cvt_f32_u32_e32 v38, v8
	s_branch .LBB230_2467
.LBB230_2465:
	s_mov_b64 s[10:11], -1
                                        ; implicit-def: $vgpr38
	s_branch .LBB230_2470
.LBB230_2466:
	s_mov_b64 s[10:11], -1
                                        ; implicit-def: $vgpr38
.LBB230_2467:
	s_andn2_b64 vcc, exec, s[10:11]
	s_cbranch_vccnz .LBB230_2469
; %bb.2468:
	global_load_ushort v8, v[4:5], off
	s_waitcnt vmcnt(0)
	v_cvt_f32_u32_e32 v38, v8
.LBB230_2469:
	s_mov_b64 s[10:11], 0
.LBB230_2470:
	s_andn2_b64 vcc, exec, s[10:11]
	s_cbranch_vccnz .LBB230_2478
; %bb.2471:
	global_load_ubyte v8, v[4:5], off
	s_movk_i32 s10, 0x7f
                                        ; implicit-def: $sgpr17
	s_waitcnt vmcnt(0)
	v_cmp_lt_i16_e32 vcc, s10, v8
	s_mov_b64 s[10:11], 0
	s_and_saveexec_b64 s[12:13], vcc
	s_xor_b64 s[12:13], exec, s[12:13]
	s_cbranch_execz .LBB230_2492
; %bb.2472:
	s_movk_i32 s10, 0x80
	v_cmp_eq_u16_e32 vcc, s10, v8
	s_mov_b64 s[10:11], -1
                                        ; implicit-def: $sgpr17
	s_and_saveexec_b64 s[14:15], vcc
; %bb.2473:
	s_mov_b32 s17, 0x7f800001
	s_xor_b64 s[10:11], exec, -1
; %bb.2474:
	s_or_b64 exec, exec, s[14:15]
	s_and_b64 s[10:11], s[10:11], exec
	s_or_saveexec_b64 s[12:13], s[12:13]
	v_mov_b32_e32 v38, s17
	s_xor_b64 exec, exec, s[12:13]
	s_cbranch_execnz .LBB230_2493
.LBB230_2475:
	s_or_b64 exec, exec, s[12:13]
	s_and_saveexec_b64 s[12:13], s[10:11]
	s_cbranch_execz .LBB230_2477
.LBB230_2476:
	v_lshlrev_b32_e32 v9, 24, v8
	v_and_b32_e32 v8, 0xffff, v8
	v_and_b32_e32 v10, 7, v8
	v_ffbh_u32_e32 v12, v10
	v_min_u32_e32 v12, 32, v12
	v_subrev_u32_e32 v13, 28, v12
	v_bfe_u32 v11, v8, 3, 4
	v_lshlrev_b32_e32 v8, v13, v8
	v_sub_u32_e32 v12, 29, v12
	v_and_b32_e32 v8, 7, v8
	v_cmp_eq_u32_e32 vcc, 0, v11
	v_cndmask_b32_e32 v11, v11, v12, vcc
	v_cndmask_b32_e32 v8, v10, v8, vcc
	v_mov_b32_e32 v10, 0x3b800000
	v_lshlrev_b32_e32 v8, 20, v8
	v_and_b32_e32 v9, 0x80000000, v9
	v_lshl_add_u32 v10, v11, 23, v10
	v_or3_b32 v38, v9, v10, v8
.LBB230_2477:
	s_or_b64 exec, exec, s[12:13]
.LBB230_2478:
	s_mov_b64 s[10:11], -1
.LBB230_2479:
	s_mov_b64 s[12:13], 0
.LBB230_2480:
	s_and_b64 vcc, exec, s[12:13]
	s_cbranch_vccz .LBB230_2513
; %bb.2481:
	v_mov_b32_e32 v8, 22
	v_cmp_gt_i16_sdwa s[8:9], v45, v8 src0_sel:BYTE_0 src1_sel:DWORD
	s_and_b64 vcc, exec, s[8:9]
	s_cbranch_vccz .LBB230_2491
; %bb.2482:
	v_mov_b32_e32 v8, 24
	v_cmp_lt_i16_sdwa s[8:9], v45, v8 src0_sel:BYTE_0 src1_sel:DWORD
	s_and_b64 vcc, exec, s[8:9]
	s_cbranch_vccnz .LBB230_2494
; %bb.2483:
	v_cmp_gt_i16_sdwa s[8:9], v45, v8 src0_sel:BYTE_0 src1_sel:DWORD
	s_and_b64 vcc, exec, s[8:9]
	s_cbranch_vccz .LBB230_2495
; %bb.2484:
	global_load_ubyte v8, v[4:5], off
	s_movk_i32 s8, 0x7f
                                        ; implicit-def: $sgpr14
	s_waitcnt vmcnt(0)
	v_cmp_lt_i16_e32 vcc, s8, v8
	s_mov_b64 s[8:9], 0
	s_and_saveexec_b64 s[10:11], vcc
	s_xor_b64 s[10:11], exec, s[10:11]
	s_cbranch_execz .LBB230_2507
; %bb.2485:
	s_movk_i32 s8, 0x80
	v_cmp_eq_u16_e32 vcc, s8, v8
	s_mov_b64 s[8:9], -1
                                        ; implicit-def: $sgpr14
	s_and_saveexec_b64 s[12:13], vcc
; %bb.2486:
	s_mov_b32 s14, 0x7f800001
	s_xor_b64 s[8:9], exec, -1
; %bb.2487:
	s_or_b64 exec, exec, s[12:13]
	s_and_b64 s[8:9], s[8:9], exec
	s_or_saveexec_b64 s[10:11], s[10:11]
	v_mov_b32_e32 v38, s14
	s_xor_b64 exec, exec, s[10:11]
	s_cbranch_execnz .LBB230_2508
.LBB230_2488:
	s_or_b64 exec, exec, s[10:11]
	s_and_saveexec_b64 s[10:11], s[8:9]
	s_cbranch_execz .LBB230_2490
.LBB230_2489:
	v_lshlrev_b32_e32 v9, 24, v8
	v_and_b32_e32 v8, 0xffff, v8
	v_and_b32_e32 v10, 3, v8
	v_ffbh_u32_e32 v12, v10
	v_min_u32_e32 v12, 32, v12
	v_subrev_u32_e32 v13, 29, v12
	v_bfe_u32 v11, v8, 2, 5
	v_lshlrev_b32_e32 v8, v13, v8
	v_sub_u32_e32 v12, 30, v12
	v_and_b32_e32 v8, 3, v8
	v_cmp_eq_u32_e32 vcc, 0, v11
	v_cndmask_b32_e32 v11, v11, v12, vcc
	v_cndmask_b32_e32 v8, v10, v8, vcc
	v_mov_b32_e32 v10, 0x37800000
	v_lshlrev_b32_e32 v8, 21, v8
	v_and_b32_e32 v9, 0x80000000, v9
	v_lshl_add_u32 v10, v11, 23, v10
	v_or3_b32 v38, v9, v10, v8
.LBB230_2490:
	s_or_b64 exec, exec, s[10:11]
	s_mov_b64 s[8:9], 0
	s_branch .LBB230_2496
.LBB230_2491:
	s_mov_b64 s[8:9], -1
                                        ; implicit-def: $vgpr38
	s_branch .LBB230_2502
.LBB230_2492:
	s_or_saveexec_b64 s[12:13], s[12:13]
	v_mov_b32_e32 v38, s17
	s_xor_b64 exec, exec, s[12:13]
	s_cbranch_execz .LBB230_2475
.LBB230_2493:
	v_cmp_ne_u16_e32 vcc, 0, v8
	s_andn2_b64 s[10:11], s[10:11], exec
	s_and_b64 s[14:15], vcc, exec
	v_mov_b32_e32 v38, 0
	s_or_b64 s[10:11], s[10:11], s[14:15]
	s_or_b64 exec, exec, s[12:13]
	s_and_saveexec_b64 s[12:13], s[10:11]
	s_cbranch_execnz .LBB230_2476
	s_branch .LBB230_2477
.LBB230_2494:
	s_mov_b64 s[8:9], -1
                                        ; implicit-def: $vgpr38
	s_branch .LBB230_2499
.LBB230_2495:
	s_mov_b64 s[8:9], -1
                                        ; implicit-def: $vgpr38
.LBB230_2496:
	s_and_b64 vcc, exec, s[8:9]
	s_cbranch_vccz .LBB230_2498
; %bb.2497:
	global_load_ubyte v8, v[4:5], off
	s_mov_b32 s8, 0x7f800000
	s_waitcnt vmcnt(0)
	v_lshlrev_b32_e32 v8, 24, v8
	v_and_b32_e32 v9, 0x7f000000, v8
	v_ffbh_u32_e32 v10, v9
	v_min_u32_e32 v10, 32, v10
	v_sub_u32_e64 v10, v10, 4 clamp
	v_lshlrev_b32_e32 v12, v10, v9
	v_lshlrev_b32_e32 v10, 23, v10
	v_lshrrev_b32_e32 v12, 4, v12
	v_add_u32_e32 v11, 0x1000000, v9
	v_sub_u32_e32 v10, v12, v10
	v_ashrrev_i32_e32 v11, 8, v11
	v_add_u32_e32 v10, 0x3c000000, v10
	v_and_or_b32 v10, v11, s8, v10
	v_cmp_ne_u32_e32 vcc, 0, v9
	v_cndmask_b32_e32 v9, 0, v10, vcc
	s_brev_b32 s8, 1
	v_and_or_b32 v38, v8, s8, v9
.LBB230_2498:
	s_mov_b64 s[8:9], 0
.LBB230_2499:
	s_andn2_b64 vcc, exec, s[8:9]
	s_cbranch_vccnz .LBB230_2501
; %bb.2500:
	global_load_ubyte v8, v[4:5], off
	s_movk_i32 s8, 0x7f00
	s_brev_b32 s9, 16
	s_waitcnt vmcnt(0)
	v_lshlrev_b16_e32 v9, 8, v8
	v_lshlrev_b32_e32 v8, 25, v8
	v_lshrrev_b32_e32 v10, 4, v8
	v_and_or_b32 v11, v9, s8, 0.5
	v_or_b32_e32 v10, 0x70000000, v10
	v_add_f32_e32 v11, -0.5, v11
	v_mul_f32_e32 v10, 0x7800000, v10
	v_cmp_gt_u32_e32 vcc, s9, v8
	v_bfe_i32 v9, v9, 0, 16
	v_cndmask_b32_e32 v8, v10, v11, vcc
	s_brev_b32 s8, 1
	v_and_or_b32 v38, v9, s8, v8
.LBB230_2501:
	s_mov_b64 s[8:9], 0
	s_mov_b64 s[10:11], -1
.LBB230_2502:
	s_andn2_b64 vcc, exec, s[8:9]
	s_mov_b64 s[8:9], 0
	s_cbranch_vccnz .LBB230_2513
; %bb.2503:
	v_mov_b32_e32 v8, 14
	v_cmp_gt_i16_sdwa s[8:9], v45, v8 src0_sel:BYTE_0 src1_sel:DWORD
	s_and_b64 vcc, exec, s[8:9]
	s_cbranch_vccz .LBB230_2506
; %bb.2504:
	v_mov_b32_e32 v8, 15
	v_cmp_eq_u16_sdwa s[6:7], v45, v8 src0_sel:BYTE_0 src1_sel:DWORD
	s_and_b64 vcc, exec, s[6:7]
	s_cbranch_vccz .LBB230_2509
; %bb.2505:
	global_load_ushort v8, v[4:5], off
	s_mov_b64 s[6:7], 0
	s_mov_b64 s[10:11], -1
	s_waitcnt vmcnt(0)
	v_lshlrev_b32_e32 v38, 16, v8
	s_branch .LBB230_2510
.LBB230_2506:
	s_mov_b64 s[12:13], -1
                                        ; implicit-def: $vgpr38
	s_branch .LBB230_2511
.LBB230_2507:
	s_or_saveexec_b64 s[10:11], s[10:11]
	v_mov_b32_e32 v38, s14
	s_xor_b64 exec, exec, s[10:11]
	s_cbranch_execz .LBB230_2488
.LBB230_2508:
	v_cmp_ne_u16_e32 vcc, 0, v8
	s_andn2_b64 s[8:9], s[8:9], exec
	s_and_b64 s[12:13], vcc, exec
	v_mov_b32_e32 v38, 0
	s_or_b64 s[8:9], s[8:9], s[12:13]
	s_or_b64 exec, exec, s[10:11]
	s_and_saveexec_b64 s[10:11], s[8:9]
	s_cbranch_execnz .LBB230_2489
	s_branch .LBB230_2490
.LBB230_2509:
	s_mov_b64 s[6:7], -1
                                        ; implicit-def: $vgpr38
.LBB230_2510:
	s_mov_b64 s[12:13], 0
.LBB230_2511:
	s_mov_b64 s[8:9], 0
	s_and_b64 vcc, exec, s[12:13]
	s_cbranch_vccz .LBB230_2513
; %bb.2512:
	v_mov_b32_e32 v8, 11
	v_cmp_ne_u16_sdwa s[6:7], v45, v8 src0_sel:BYTE_0 src1_sel:DWORD
	s_mov_b64 s[8:9], -1
                                        ; implicit-def: $vgpr38
.LBB230_2513:
	s_and_b64 vcc, exec, s[6:7]
	s_cbranch_vccnz .LBB230_2578
; %bb.2514:
	s_andn2_b64 vcc, exec, s[8:9]
	s_cbranch_vccnz .LBB230_2516
.LBB230_2515:
	global_load_ubyte v8, v[4:5], off
	s_mov_b64 s[10:11], -1
	s_waitcnt vmcnt(0)
	v_cmp_ne_u16_e32 vcc, 0, v8
	v_cndmask_b32_e64 v38, 0, 1.0, vcc
.LBB230_2516:
	s_mov_b64 s[6:7], 0
.LBB230_2517:
	s_and_b64 vcc, exec, s[6:7]
	s_cbranch_vccz .LBB230_2566
; %bb.2518:
	v_mov_b32_e32 v8, 5
	v_cmp_lt_i16_sdwa s[6:7], v45, v8 src0_sel:BYTE_0 src1_sel:DWORD
	s_and_b64 vcc, exec, s[6:7]
	s_cbranch_vccnz .LBB230_2523
; %bb.2519:
	v_mov_b32_e32 v8, 8
	v_cmp_lt_i16_sdwa s[6:7], v45, v8 src0_sel:BYTE_0 src1_sel:DWORD
	s_and_b64 vcc, exec, s[6:7]
	s_cbranch_vccnz .LBB230_2524
	;; [unrolled: 5-line block ×3, first 2 shown]
; %bb.2521:
	v_cmp_gt_i16_sdwa s[6:7], v45, v8 src0_sel:BYTE_0 src1_sel:DWORD
	s_and_b64 vcc, exec, s[6:7]
	s_cbranch_vccz .LBB230_2526
; %bb.2522:
	global_load_dwordx2 v[8:9], v[4:5], off
	s_mov_b64 s[6:7], 0
	s_waitcnt vmcnt(0)
	v_cvt_f32_f64_e32 v38, v[8:9]
	s_branch .LBB230_2527
.LBB230_2523:
	s_mov_b64 s[6:7], -1
                                        ; implicit-def: $vgpr38
	s_branch .LBB230_2545
.LBB230_2524:
	s_mov_b64 s[6:7], -1
                                        ; implicit-def: $vgpr38
	s_branch .LBB230_2533
.LBB230_2525:
	s_mov_b64 s[6:7], -1
                                        ; implicit-def: $vgpr38
	s_branch .LBB230_2530
.LBB230_2526:
	s_mov_b64 s[6:7], -1
                                        ; implicit-def: $vgpr38
.LBB230_2527:
	s_andn2_b64 vcc, exec, s[6:7]
	s_cbranch_vccnz .LBB230_2529
; %bb.2528:
	global_load_dword v38, v[4:5], off
.LBB230_2529:
	s_mov_b64 s[6:7], 0
.LBB230_2530:
	s_andn2_b64 vcc, exec, s[6:7]
	s_cbranch_vccnz .LBB230_2532
; %bb.2531:
	global_load_dword v8, v[4:5], off
	s_waitcnt vmcnt(0)
	v_cvt_f32_f16_e32 v38, v8
.LBB230_2532:
	s_mov_b64 s[6:7], 0
.LBB230_2533:
	s_andn2_b64 vcc, exec, s[6:7]
	s_cbranch_vccnz .LBB230_2544
; %bb.2534:
	v_mov_b32_e32 v8, 6
	v_cmp_lt_i16_sdwa s[6:7], v45, v8 src0_sel:BYTE_0 src1_sel:DWORD
	s_and_b64 vcc, exec, s[6:7]
	s_cbranch_vccnz .LBB230_2537
; %bb.2535:
	v_cmp_gt_i16_sdwa s[6:7], v45, v8 src0_sel:BYTE_0 src1_sel:DWORD
	s_and_b64 vcc, exec, s[6:7]
	s_cbranch_vccz .LBB230_2538
; %bb.2536:
	global_load_dwordx2 v[8:9], v[4:5], off
	s_mov_b64 s[6:7], 0
	s_waitcnt vmcnt(0)
	v_cvt_f32_f64_e32 v38, v[8:9]
	s_branch .LBB230_2539
.LBB230_2537:
	s_mov_b64 s[6:7], -1
                                        ; implicit-def: $vgpr38
	s_branch .LBB230_2542
.LBB230_2538:
	s_mov_b64 s[6:7], -1
                                        ; implicit-def: $vgpr38
.LBB230_2539:
	s_andn2_b64 vcc, exec, s[6:7]
	s_cbranch_vccnz .LBB230_2541
; %bb.2540:
	global_load_dword v38, v[4:5], off
.LBB230_2541:
	s_mov_b64 s[6:7], 0
.LBB230_2542:
	s_andn2_b64 vcc, exec, s[6:7]
	s_cbranch_vccnz .LBB230_2544
; %bb.2543:
	global_load_ushort v8, v[4:5], off
	s_waitcnt vmcnt(0)
	v_cvt_f32_f16_e32 v38, v8
.LBB230_2544:
	s_mov_b64 s[6:7], 0
.LBB230_2545:
	s_andn2_b64 vcc, exec, s[6:7]
	s_cbranch_vccnz .LBB230_2565
; %bb.2546:
	v_mov_b32_e32 v8, 2
	v_cmp_lt_i16_sdwa s[6:7], v45, v8 src0_sel:BYTE_0 src1_sel:DWORD
	s_and_b64 vcc, exec, s[6:7]
	s_cbranch_vccnz .LBB230_2550
; %bb.2547:
	v_mov_b32_e32 v8, 3
	v_cmp_lt_i16_sdwa s[6:7], v45, v8 src0_sel:BYTE_0 src1_sel:DWORD
	s_and_b64 vcc, exec, s[6:7]
	s_cbranch_vccnz .LBB230_2551
; %bb.2548:
	v_cmp_gt_i16_sdwa s[6:7], v45, v8 src0_sel:BYTE_0 src1_sel:DWORD
	s_and_b64 vcc, exec, s[6:7]
	s_cbranch_vccz .LBB230_2552
; %bb.2549:
	global_load_dwordx2 v[8:9], v[4:5], off
	s_mov_b64 s[6:7], 0
	s_waitcnt vmcnt(0)
	v_xor_b32_e32 v11, v8, v9
	v_ffbh_i32_e32 v10, v9
	v_ashrrev_i32_e32 v11, 31, v11
	v_add_u32_e32 v10, -1, v10
	v_add_u32_e32 v11, 32, v11
	v_min_u32_e32 v10, v10, v11
	v_lshlrev_b64 v[8:9], v10, v[8:9]
	v_min_u32_e32 v8, 1, v8
	v_or_b32_e32 v8, v9, v8
	v_cvt_f32_i32_e32 v8, v8
	v_sub_u32_e32 v9, 32, v10
	v_ldexp_f32 v38, v8, v9
	s_branch .LBB230_2553
.LBB230_2550:
	s_mov_b64 s[6:7], -1
                                        ; implicit-def: $vgpr38
	s_branch .LBB230_2559
.LBB230_2551:
	s_mov_b64 s[6:7], -1
                                        ; implicit-def: $vgpr38
	s_branch .LBB230_2556
.LBB230_2552:
	s_mov_b64 s[6:7], -1
                                        ; implicit-def: $vgpr38
.LBB230_2553:
	s_andn2_b64 vcc, exec, s[6:7]
	s_cbranch_vccnz .LBB230_2555
; %bb.2554:
	global_load_dword v8, v[4:5], off
	s_waitcnt vmcnt(0)
	v_cvt_f32_i32_e32 v38, v8
.LBB230_2555:
	s_mov_b64 s[6:7], 0
.LBB230_2556:
	s_andn2_b64 vcc, exec, s[6:7]
	s_cbranch_vccnz .LBB230_2558
; %bb.2557:
	global_load_sshort v8, v[4:5], off
	s_waitcnt vmcnt(0)
	v_cvt_f32_i32_e32 v38, v8
.LBB230_2558:
	s_mov_b64 s[6:7], 0
.LBB230_2559:
	s_andn2_b64 vcc, exec, s[6:7]
	s_cbranch_vccnz .LBB230_2565
; %bb.2560:
	v_mov_b32_e32 v8, 0
	v_cmp_gt_i16_sdwa s[6:7], v45, v8 src0_sel:BYTE_0 src1_sel:DWORD
	s_and_b64 vcc, exec, s[6:7]
	s_cbranch_vccz .LBB230_2562
; %bb.2561:
	global_load_sbyte v8, v[4:5], off
	s_mov_b64 s[6:7], 0
	s_waitcnt vmcnt(0)
	v_cvt_f32_i32_e32 v38, v8
	s_branch .LBB230_2563
.LBB230_2562:
	s_mov_b64 s[6:7], -1
                                        ; implicit-def: $vgpr38
.LBB230_2563:
	s_andn2_b64 vcc, exec, s[6:7]
	s_cbranch_vccnz .LBB230_2565
; %bb.2564:
	global_load_ubyte v4, v[4:5], off
	s_waitcnt vmcnt(0)
	v_cvt_f32_ubyte0_e32 v38, v4
.LBB230_2565:
	s_mov_b64 s[10:11], -1
.LBB230_2566:
	s_andn2_b64 vcc, exec, s[10:11]
	s_cbranch_vccnz .LBB230_4064
; %bb.2567:
	s_lshl_b32 s17, s46, 7
	v_add_u32_e32 v6, s17, v6
	v_ashrrev_i32_e32 v5, 31, v6
	v_mov_b32_e32 v8, s41
	v_add_co_u32_e32 v4, vcc, s40, v6
	s_movk_i32 s6, 0xff
	v_addc_co_u32_e32 v5, vcc, v8, v5, vcc
	v_and_b32_sdwa v8, v47, s6 dst_sel:DWORD dst_unused:UNUSED_PAD src0_sel:WORD_1 src1_sel:DWORD
	v_cmp_gt_i16_e32 vcc, 11, v8
	s_cbranch_vccnz .LBB230_2574
; %bb.2568:
	v_cmp_lt_i16_e32 vcc, 25, v8
	s_mov_b64 s[8:9], 0
	s_cbranch_vccz .LBB230_2575
; %bb.2569:
	v_cmp_lt_i16_e32 vcc, 28, v8
	s_cbranch_vccz .LBB230_2576
; %bb.2570:
	v_cmp_lt_i16_e32 vcc, 43, v8
	;; [unrolled: 3-line block ×3, first 2 shown]
	s_cbranch_vccz .LBB230_2579
; %bb.2572:
	v_cmp_eq_u16_e32 vcc, 46, v8
	s_mov_b64 s[12:13], 0
	s_cbranch_vccz .LBB230_2580
; %bb.2573:
	global_load_dword v9, v[4:5], off
	s_mov_b64 s[6:7], 0
	s_mov_b64 s[10:11], -1
	s_waitcnt vmcnt(0)
	v_lshlrev_b32_e32 v39, 16, v9
	s_branch .LBB230_2581
.LBB230_2574:
	s_mov_b64 s[6:7], -1
	s_mov_b64 s[10:11], 0
                                        ; implicit-def: $vgpr39
	s_branch .LBB230_2647
.LBB230_2575:
	s_mov_b64 s[12:13], -1
	s_mov_b64 s[10:11], 0
	s_mov_b64 s[6:7], 0
                                        ; implicit-def: $vgpr39
	s_branch .LBB230_2610
.LBB230_2576:
	s_mov_b64 s[12:13], -1
	s_mov_b64 s[10:11], 0
	s_mov_b64 s[6:7], 0
                                        ; implicit-def: $vgpr39
	s_branch .LBB230_2591
.LBB230_2577:
	s_mov_b64 s[12:13], -1
	s_mov_b64 s[10:11], 0
	s_mov_b64 s[6:7], 0
                                        ; implicit-def: $vgpr39
	s_branch .LBB230_2586
.LBB230_2578:
	s_trap 2
	s_or_b64 s[50:51], s[50:51], exec
                                        ; implicit-def: $vgpr38
	s_cbranch_execz .LBB230_2515
	s_branch .LBB230_2516
.LBB230_2579:
	s_mov_b64 s[12:13], -1
	s_mov_b64 s[10:11], 0
	s_mov_b64 s[6:7], 0
                                        ; implicit-def: $vgpr39
	s_branch .LBB230_2581
.LBB230_2580:
	s_mov_b64 s[6:7], -1
                                        ; implicit-def: $vgpr39
	s_mov_b64 s[10:11], 0
.LBB230_2581:
	s_and_b64 vcc, exec, s[12:13]
	s_cbranch_vccz .LBB230_2585
; %bb.2582:
	v_cmp_eq_u16_e32 vcc, 44, v8
	s_cbranch_vccz .LBB230_2584
; %bb.2583:
	global_load_ubyte v9, v[4:5], off
	s_movk_i32 s10, 0xff
	v_mov_b32_e32 v10, 0x7f800001
	v_mov_b32_e32 v11, 0x400000
	s_mov_b64 s[6:7], 0
	s_waitcnt vmcnt(0)
	v_lshlrev_b32_e32 v12, 23, v9
	v_cmp_ne_u32_e32 vcc, s10, v9
	v_cndmask_b32_e32 v10, v10, v12, vcc
	v_cmp_ne_u32_e32 vcc, 0, v9
	v_cndmask_b32_e32 v39, v11, v10, vcc
	s_mov_b64 s[10:11], -1
	s_branch .LBB230_2585
.LBB230_2584:
	s_mov_b64 s[6:7], -1
                                        ; implicit-def: $vgpr39
.LBB230_2585:
	s_mov_b64 s[12:13], 0
.LBB230_2586:
	s_and_b64 vcc, exec, s[12:13]
	s_cbranch_vccz .LBB230_2590
; %bb.2587:
	v_cmp_eq_u16_e32 vcc, 29, v8
	s_cbranch_vccz .LBB230_2589
; %bb.2588:
	global_load_dwordx2 v[10:11], v[4:5], off
	s_mov_b64 s[6:7], 0
	s_mov_b64 s[10:11], -1
	s_mov_b64 s[12:13], 0
	s_waitcnt vmcnt(0)
	v_ffbh_u32_e32 v9, v11
	v_min_u32_e32 v9, 32, v9
	v_lshlrev_b64 v[10:11], v9, v[10:11]
	v_min_u32_e32 v10, 1, v10
	v_or_b32_e32 v10, v11, v10
	v_cvt_f32_u32_e32 v10, v10
	v_sub_u32_e32 v9, 32, v9
	v_ldexp_f32 v39, v10, v9
	s_branch .LBB230_2591
.LBB230_2589:
	s_mov_b64 s[6:7], -1
                                        ; implicit-def: $vgpr39
.LBB230_2590:
	s_mov_b64 s[12:13], 0
.LBB230_2591:
	s_and_b64 vcc, exec, s[12:13]
	s_cbranch_vccz .LBB230_2609
; %bb.2592:
	v_cmp_gt_i16_e32 vcc, 27, v8
	s_cbranch_vccnz .LBB230_2595
; %bb.2593:
	v_cmp_lt_i16_e32 vcc, 27, v8
	s_cbranch_vccz .LBB230_2596
; %bb.2594:
	global_load_dword v9, v[4:5], off
	s_mov_b64 s[10:11], 0
	s_waitcnt vmcnt(0)
	v_cvt_f32_u32_e32 v39, v9
	s_branch .LBB230_2597
.LBB230_2595:
	s_mov_b64 s[10:11], -1
                                        ; implicit-def: $vgpr39
	s_branch .LBB230_2600
.LBB230_2596:
	s_mov_b64 s[10:11], -1
                                        ; implicit-def: $vgpr39
.LBB230_2597:
	s_andn2_b64 vcc, exec, s[10:11]
	s_cbranch_vccnz .LBB230_2599
; %bb.2598:
	global_load_ushort v9, v[4:5], off
	s_waitcnt vmcnt(0)
	v_cvt_f32_u32_e32 v39, v9
.LBB230_2599:
	s_mov_b64 s[10:11], 0
.LBB230_2600:
	s_andn2_b64 vcc, exec, s[10:11]
	s_cbranch_vccnz .LBB230_2608
; %bb.2601:
	global_load_ubyte v9, v[4:5], off
	s_movk_i32 s10, 0x7f
                                        ; implicit-def: $sgpr18
	s_waitcnt vmcnt(0)
	v_cmp_lt_i16_e32 vcc, s10, v9
	s_mov_b64 s[10:11], 0
	s_and_saveexec_b64 s[12:13], vcc
	s_xor_b64 s[12:13], exec, s[12:13]
	s_cbranch_execz .LBB230_2622
; %bb.2602:
	s_movk_i32 s10, 0x80
	v_cmp_eq_u16_e32 vcc, s10, v9
	s_mov_b64 s[10:11], -1
                                        ; implicit-def: $sgpr18
	s_and_saveexec_b64 s[14:15], vcc
; %bb.2603:
	s_mov_b32 s18, 0x7f800001
	s_xor_b64 s[10:11], exec, -1
; %bb.2604:
	s_or_b64 exec, exec, s[14:15]
	s_and_b64 s[10:11], s[10:11], exec
	s_or_saveexec_b64 s[12:13], s[12:13]
	v_mov_b32_e32 v39, s18
	s_xor_b64 exec, exec, s[12:13]
	s_cbranch_execnz .LBB230_2623
.LBB230_2605:
	s_or_b64 exec, exec, s[12:13]
	s_and_saveexec_b64 s[12:13], s[10:11]
	s_cbranch_execz .LBB230_2607
.LBB230_2606:
	v_lshlrev_b32_e32 v10, 24, v9
	v_and_b32_e32 v9, 0xffff, v9
	v_and_b32_e32 v11, 7, v9
	v_ffbh_u32_e32 v13, v11
	v_min_u32_e32 v13, 32, v13
	v_subrev_u32_e32 v14, 28, v13
	v_bfe_u32 v12, v9, 3, 4
	v_lshlrev_b32_e32 v9, v14, v9
	v_sub_u32_e32 v13, 29, v13
	v_and_b32_e32 v9, 7, v9
	v_cmp_eq_u32_e32 vcc, 0, v12
	v_cndmask_b32_e32 v12, v12, v13, vcc
	v_cndmask_b32_e32 v9, v11, v9, vcc
	v_mov_b32_e32 v11, 0x3b800000
	v_lshlrev_b32_e32 v9, 20, v9
	v_and_b32_e32 v10, 0x80000000, v10
	v_lshl_add_u32 v11, v12, 23, v11
	v_or3_b32 v39, v10, v11, v9
.LBB230_2607:
	s_or_b64 exec, exec, s[12:13]
.LBB230_2608:
	s_mov_b64 s[10:11], -1
.LBB230_2609:
	s_mov_b64 s[12:13], 0
.LBB230_2610:
	s_and_b64 vcc, exec, s[12:13]
	s_cbranch_vccz .LBB230_2643
; %bb.2611:
	v_cmp_lt_i16_e32 vcc, 22, v8
	s_cbranch_vccz .LBB230_2621
; %bb.2612:
	v_cmp_gt_i16_e32 vcc, 24, v8
	s_cbranch_vccnz .LBB230_2624
; %bb.2613:
	v_cmp_lt_i16_e32 vcc, 24, v8
	s_cbranch_vccz .LBB230_2625
; %bb.2614:
	global_load_ubyte v9, v[4:5], off
	s_movk_i32 s8, 0x7f
                                        ; implicit-def: $sgpr14
	s_waitcnt vmcnt(0)
	v_cmp_lt_i16_e32 vcc, s8, v9
	s_mov_b64 s[8:9], 0
	s_and_saveexec_b64 s[10:11], vcc
	s_xor_b64 s[10:11], exec, s[10:11]
	s_cbranch_execz .LBB230_2637
; %bb.2615:
	s_movk_i32 s8, 0x80
	v_cmp_eq_u16_e32 vcc, s8, v9
	s_mov_b64 s[8:9], -1
                                        ; implicit-def: $sgpr14
	s_and_saveexec_b64 s[12:13], vcc
; %bb.2616:
	s_mov_b32 s14, 0x7f800001
	s_xor_b64 s[8:9], exec, -1
; %bb.2617:
	s_or_b64 exec, exec, s[12:13]
	s_and_b64 s[8:9], s[8:9], exec
	s_or_saveexec_b64 s[10:11], s[10:11]
	v_mov_b32_e32 v39, s14
	s_xor_b64 exec, exec, s[10:11]
	s_cbranch_execnz .LBB230_2638
.LBB230_2618:
	s_or_b64 exec, exec, s[10:11]
	s_and_saveexec_b64 s[10:11], s[8:9]
	s_cbranch_execz .LBB230_2620
.LBB230_2619:
	v_lshlrev_b32_e32 v10, 24, v9
	v_and_b32_e32 v9, 0xffff, v9
	v_and_b32_e32 v11, 3, v9
	v_ffbh_u32_e32 v13, v11
	v_min_u32_e32 v13, 32, v13
	v_subrev_u32_e32 v14, 29, v13
	v_bfe_u32 v12, v9, 2, 5
	v_lshlrev_b32_e32 v9, v14, v9
	v_sub_u32_e32 v13, 30, v13
	v_and_b32_e32 v9, 3, v9
	v_cmp_eq_u32_e32 vcc, 0, v12
	v_cndmask_b32_e32 v12, v12, v13, vcc
	v_cndmask_b32_e32 v9, v11, v9, vcc
	v_mov_b32_e32 v11, 0x37800000
	v_lshlrev_b32_e32 v9, 21, v9
	v_and_b32_e32 v10, 0x80000000, v10
	v_lshl_add_u32 v11, v12, 23, v11
	v_or3_b32 v39, v10, v11, v9
.LBB230_2620:
	s_or_b64 exec, exec, s[10:11]
	s_mov_b64 s[8:9], 0
	s_branch .LBB230_2626
.LBB230_2621:
	s_mov_b64 s[8:9], -1
                                        ; implicit-def: $vgpr39
	s_branch .LBB230_2632
.LBB230_2622:
	s_or_saveexec_b64 s[12:13], s[12:13]
	v_mov_b32_e32 v39, s18
	s_xor_b64 exec, exec, s[12:13]
	s_cbranch_execz .LBB230_2605
.LBB230_2623:
	v_cmp_ne_u16_e32 vcc, 0, v9
	s_andn2_b64 s[10:11], s[10:11], exec
	s_and_b64 s[14:15], vcc, exec
	v_mov_b32_e32 v39, 0
	s_or_b64 s[10:11], s[10:11], s[14:15]
	s_or_b64 exec, exec, s[12:13]
	s_and_saveexec_b64 s[12:13], s[10:11]
	s_cbranch_execnz .LBB230_2606
	s_branch .LBB230_2607
.LBB230_2624:
	s_mov_b64 s[8:9], -1
                                        ; implicit-def: $vgpr39
	s_branch .LBB230_2629
.LBB230_2625:
	s_mov_b64 s[8:9], -1
                                        ; implicit-def: $vgpr39
.LBB230_2626:
	s_and_b64 vcc, exec, s[8:9]
	s_cbranch_vccz .LBB230_2628
; %bb.2627:
	global_load_ubyte v9, v[4:5], off
	s_mov_b32 s8, 0x7f800000
	s_waitcnt vmcnt(0)
	v_lshlrev_b32_e32 v9, 24, v9
	v_and_b32_e32 v10, 0x7f000000, v9
	v_ffbh_u32_e32 v11, v10
	v_min_u32_e32 v11, 32, v11
	v_sub_u32_e64 v11, v11, 4 clamp
	v_lshlrev_b32_e32 v13, v11, v10
	v_lshlrev_b32_e32 v11, 23, v11
	v_lshrrev_b32_e32 v13, 4, v13
	v_add_u32_e32 v12, 0x1000000, v10
	v_sub_u32_e32 v11, v13, v11
	v_ashrrev_i32_e32 v12, 8, v12
	v_add_u32_e32 v11, 0x3c000000, v11
	v_and_or_b32 v11, v12, s8, v11
	v_cmp_ne_u32_e32 vcc, 0, v10
	v_cndmask_b32_e32 v10, 0, v11, vcc
	s_brev_b32 s8, 1
	v_and_or_b32 v39, v9, s8, v10
.LBB230_2628:
	s_mov_b64 s[8:9], 0
.LBB230_2629:
	s_andn2_b64 vcc, exec, s[8:9]
	s_cbranch_vccnz .LBB230_2631
; %bb.2630:
	global_load_ubyte v9, v[4:5], off
	s_movk_i32 s8, 0x7f00
	s_brev_b32 s9, 16
	s_waitcnt vmcnt(0)
	v_lshlrev_b16_e32 v10, 8, v9
	v_lshlrev_b32_e32 v9, 25, v9
	v_lshrrev_b32_e32 v11, 4, v9
	v_and_or_b32 v12, v10, s8, 0.5
	v_or_b32_e32 v11, 0x70000000, v11
	v_add_f32_e32 v12, -0.5, v12
	v_mul_f32_e32 v11, 0x7800000, v11
	v_cmp_gt_u32_e32 vcc, s9, v9
	v_bfe_i32 v10, v10, 0, 16
	v_cndmask_b32_e32 v9, v11, v12, vcc
	s_brev_b32 s8, 1
	v_and_or_b32 v39, v10, s8, v9
.LBB230_2631:
	s_mov_b64 s[8:9], 0
	s_mov_b64 s[10:11], -1
.LBB230_2632:
	s_andn2_b64 vcc, exec, s[8:9]
	s_mov_b64 s[8:9], 0
	s_cbranch_vccnz .LBB230_2643
; %bb.2633:
	v_cmp_lt_i16_e32 vcc, 14, v8
	s_cbranch_vccz .LBB230_2636
; %bb.2634:
	v_cmp_eq_u16_e32 vcc, 15, v8
	s_cbranch_vccz .LBB230_2639
; %bb.2635:
	global_load_ushort v9, v[4:5], off
	s_mov_b64 s[6:7], 0
	s_mov_b64 s[10:11], -1
	s_waitcnt vmcnt(0)
	v_lshlrev_b32_e32 v39, 16, v9
	s_branch .LBB230_2640
.LBB230_2636:
	s_mov_b64 s[12:13], -1
                                        ; implicit-def: $vgpr39
	s_branch .LBB230_2641
.LBB230_2637:
	s_or_saveexec_b64 s[10:11], s[10:11]
	v_mov_b32_e32 v39, s14
	s_xor_b64 exec, exec, s[10:11]
	s_cbranch_execz .LBB230_2618
.LBB230_2638:
	v_cmp_ne_u16_e32 vcc, 0, v9
	s_andn2_b64 s[8:9], s[8:9], exec
	s_and_b64 s[12:13], vcc, exec
	v_mov_b32_e32 v39, 0
	s_or_b64 s[8:9], s[8:9], s[12:13]
	s_or_b64 exec, exec, s[10:11]
	s_and_saveexec_b64 s[10:11], s[8:9]
	s_cbranch_execnz .LBB230_2619
	s_branch .LBB230_2620
.LBB230_2639:
	s_mov_b64 s[6:7], -1
                                        ; implicit-def: $vgpr39
.LBB230_2640:
	s_mov_b64 s[12:13], 0
.LBB230_2641:
	s_and_b64 vcc, exec, s[12:13]
	s_cbranch_vccz .LBB230_2643
; %bb.2642:
	v_cmp_ne_u16_e64 s[6:7], 11, v8
	s_mov_b64 s[8:9], -1
                                        ; implicit-def: $vgpr39
.LBB230_2643:
	s_and_b64 vcc, exec, s[6:7]
	s_cbranch_vccnz .LBB230_2708
; %bb.2644:
	s_andn2_b64 vcc, exec, s[8:9]
	s_cbranch_vccnz .LBB230_2646
.LBB230_2645:
	global_load_ubyte v9, v[4:5], off
	s_mov_b64 s[10:11], -1
	s_waitcnt vmcnt(0)
	v_cmp_ne_u16_e32 vcc, 0, v9
	v_cndmask_b32_e64 v39, 0, 1.0, vcc
.LBB230_2646:
	s_mov_b64 s[6:7], 0
.LBB230_2647:
	s_and_b64 vcc, exec, s[6:7]
	s_cbranch_vccz .LBB230_2696
; %bb.2648:
	v_cmp_gt_i16_e32 vcc, 5, v8
	s_cbranch_vccnz .LBB230_2653
; %bb.2649:
	v_cmp_gt_i16_e32 vcc, 8, v8
	s_cbranch_vccnz .LBB230_2654
	;; [unrolled: 3-line block ×3, first 2 shown]
; %bb.2651:
	v_cmp_lt_i16_e32 vcc, 9, v8
	s_cbranch_vccz .LBB230_2656
; %bb.2652:
	global_load_dwordx2 v[10:11], v[4:5], off
	s_mov_b64 s[6:7], 0
	s_waitcnt vmcnt(0)
	v_cvt_f32_f64_e32 v39, v[10:11]
	s_branch .LBB230_2657
.LBB230_2653:
	s_mov_b64 s[6:7], -1
                                        ; implicit-def: $vgpr39
	s_branch .LBB230_2675
.LBB230_2654:
	s_mov_b64 s[6:7], -1
                                        ; implicit-def: $vgpr39
	s_branch .LBB230_2663
.LBB230_2655:
	s_mov_b64 s[6:7], -1
                                        ; implicit-def: $vgpr39
	s_branch .LBB230_2660
.LBB230_2656:
	s_mov_b64 s[6:7], -1
                                        ; implicit-def: $vgpr39
.LBB230_2657:
	s_andn2_b64 vcc, exec, s[6:7]
	s_cbranch_vccnz .LBB230_2659
; %bb.2658:
	global_load_dword v39, v[4:5], off
.LBB230_2659:
	s_mov_b64 s[6:7], 0
.LBB230_2660:
	s_andn2_b64 vcc, exec, s[6:7]
	s_cbranch_vccnz .LBB230_2662
; %bb.2661:
	global_load_dword v9, v[4:5], off
	s_waitcnt vmcnt(0)
	v_cvt_f32_f16_e32 v39, v9
.LBB230_2662:
	s_mov_b64 s[6:7], 0
.LBB230_2663:
	s_andn2_b64 vcc, exec, s[6:7]
	s_cbranch_vccnz .LBB230_2674
; %bb.2664:
	v_cmp_gt_i16_e32 vcc, 6, v8
	s_cbranch_vccnz .LBB230_2667
; %bb.2665:
	v_cmp_lt_i16_e32 vcc, 6, v8
	s_cbranch_vccz .LBB230_2668
; %bb.2666:
	global_load_dwordx2 v[10:11], v[4:5], off
	s_mov_b64 s[6:7], 0
	s_waitcnt vmcnt(0)
	v_cvt_f32_f64_e32 v39, v[10:11]
	s_branch .LBB230_2669
.LBB230_2667:
	s_mov_b64 s[6:7], -1
                                        ; implicit-def: $vgpr39
	s_branch .LBB230_2672
.LBB230_2668:
	s_mov_b64 s[6:7], -1
                                        ; implicit-def: $vgpr39
.LBB230_2669:
	s_andn2_b64 vcc, exec, s[6:7]
	s_cbranch_vccnz .LBB230_2671
; %bb.2670:
	global_load_dword v39, v[4:5], off
.LBB230_2671:
	s_mov_b64 s[6:7], 0
.LBB230_2672:
	s_andn2_b64 vcc, exec, s[6:7]
	s_cbranch_vccnz .LBB230_2674
; %bb.2673:
	global_load_ushort v9, v[4:5], off
	s_waitcnt vmcnt(0)
	v_cvt_f32_f16_e32 v39, v9
.LBB230_2674:
	s_mov_b64 s[6:7], 0
.LBB230_2675:
	s_andn2_b64 vcc, exec, s[6:7]
	s_cbranch_vccnz .LBB230_2695
; %bb.2676:
	v_cmp_gt_i16_e32 vcc, 2, v8
	s_cbranch_vccnz .LBB230_2680
; %bb.2677:
	v_cmp_gt_i16_e32 vcc, 3, v8
	s_cbranch_vccnz .LBB230_2681
; %bb.2678:
	v_cmp_lt_i16_e32 vcc, 3, v8
	s_cbranch_vccz .LBB230_2682
; %bb.2679:
	global_load_dwordx2 v[10:11], v[4:5], off
	s_mov_b64 s[6:7], 0
	s_waitcnt vmcnt(0)
	v_xor_b32_e32 v12, v10, v11
	v_ffbh_i32_e32 v9, v11
	v_ashrrev_i32_e32 v12, 31, v12
	v_add_u32_e32 v9, -1, v9
	v_add_u32_e32 v12, 32, v12
	v_min_u32_e32 v9, v9, v12
	v_lshlrev_b64 v[10:11], v9, v[10:11]
	v_min_u32_e32 v10, 1, v10
	v_or_b32_e32 v10, v11, v10
	v_cvt_f32_i32_e32 v10, v10
	v_sub_u32_e32 v9, 32, v9
	v_ldexp_f32 v39, v10, v9
	s_branch .LBB230_2683
.LBB230_2680:
	s_mov_b64 s[6:7], -1
                                        ; implicit-def: $vgpr39
	s_branch .LBB230_2689
.LBB230_2681:
	s_mov_b64 s[6:7], -1
                                        ; implicit-def: $vgpr39
	s_branch .LBB230_2686
.LBB230_2682:
	s_mov_b64 s[6:7], -1
                                        ; implicit-def: $vgpr39
.LBB230_2683:
	s_andn2_b64 vcc, exec, s[6:7]
	s_cbranch_vccnz .LBB230_2685
; %bb.2684:
	global_load_dword v9, v[4:5], off
	s_waitcnt vmcnt(0)
	v_cvt_f32_i32_e32 v39, v9
.LBB230_2685:
	s_mov_b64 s[6:7], 0
.LBB230_2686:
	s_andn2_b64 vcc, exec, s[6:7]
	s_cbranch_vccnz .LBB230_2688
; %bb.2687:
	global_load_sshort v9, v[4:5], off
	s_waitcnt vmcnt(0)
	v_cvt_f32_i32_e32 v39, v9
.LBB230_2688:
	s_mov_b64 s[6:7], 0
.LBB230_2689:
	s_andn2_b64 vcc, exec, s[6:7]
	s_cbranch_vccnz .LBB230_2695
; %bb.2690:
	v_cmp_lt_i16_e32 vcc, 0, v8
	s_cbranch_vccz .LBB230_2692
; %bb.2691:
	global_load_sbyte v8, v[4:5], off
	s_mov_b64 s[6:7], 0
	s_waitcnt vmcnt(0)
	v_cvt_f32_i32_e32 v39, v8
	s_branch .LBB230_2693
.LBB230_2692:
	s_mov_b64 s[6:7], -1
                                        ; implicit-def: $vgpr39
.LBB230_2693:
	s_andn2_b64 vcc, exec, s[6:7]
	s_cbranch_vccnz .LBB230_2695
; %bb.2694:
	global_load_ubyte v4, v[4:5], off
	s_waitcnt vmcnt(0)
	v_cvt_f32_ubyte0_e32 v39, v4
.LBB230_2695:
	s_mov_b64 s[10:11], -1
.LBB230_2696:
	s_andn2_b64 vcc, exec, s[10:11]
	s_cbranch_vccnz .LBB230_4064
; %bb.2697:
	s_lshl_b32 s18, s47, 7
	v_add_u32_e32 v3, s18, v3
	v_ashrrev_i32_e32 v5, 31, v3
	v_mov_b32_e32 v8, s43
	v_add_co_u32_e32 v4, vcc, s42, v3
	v_addc_co_u32_e32 v5, vcc, v8, v5, vcc
	s_and_b64 vcc, exec, s[4:5]
	s_cbranch_vccnz .LBB230_2704
; %bb.2698:
	v_cmp_lt_i16_e32 vcc, 25, v49
	s_mov_b64 s[8:9], 0
	s_cbranch_vccz .LBB230_2705
; %bb.2699:
	v_cmp_lt_i16_e32 vcc, 28, v49
	s_cbranch_vccz .LBB230_2706
; %bb.2700:
	v_cmp_lt_i16_e32 vcc, 43, v49
	s_cbranch_vccz .LBB230_2707
; %bb.2701:
	v_cmp_lt_i16_e32 vcc, 45, v49
	s_cbranch_vccz .LBB230_2709
; %bb.2702:
	v_cmp_eq_u16_e32 vcc, 46, v49
	s_mov_b64 s[12:13], 0
	s_cbranch_vccz .LBB230_2712
; %bb.2703:
	global_load_dword v8, v[4:5], off
	s_mov_b64 s[6:7], 0
	s_mov_b64 s[10:11], -1
	s_waitcnt vmcnt(0)
	v_lshlrev_b32_e32 v40, 16, v8
	s_branch .LBB230_2713
.LBB230_2704:
	s_mov_b64 s[6:7], -1
	s_mov_b64 s[10:11], 0
                                        ; implicit-def: $vgpr40
	s_branch .LBB230_2779
.LBB230_2705:
	s_mov_b64 s[12:13], -1
	s_mov_b64 s[10:11], 0
	s_mov_b64 s[6:7], 0
                                        ; implicit-def: $vgpr40
	s_branch .LBB230_2742
.LBB230_2706:
	s_mov_b64 s[12:13], -1
	s_mov_b64 s[10:11], 0
	s_mov_b64 s[6:7], 0
                                        ; implicit-def: $vgpr40
	s_branch .LBB230_2723
.LBB230_2707:
	s_mov_b64 s[12:13], -1
	s_mov_b64 s[10:11], 0
	s_mov_b64 s[6:7], 0
                                        ; implicit-def: $vgpr40
	s_branch .LBB230_2718
.LBB230_2708:
	s_trap 2
	s_or_b64 s[50:51], s[50:51], exec
                                        ; implicit-def: $vgpr39
	s_cbranch_execz .LBB230_2645
	s_branch .LBB230_2646
.LBB230_2709:
	s_mov_b64 s[12:13], -1
	s_mov_b64 s[10:11], 0
	s_mov_b64 s[6:7], 0
                                        ; implicit-def: $vgpr40
	s_branch .LBB230_2713
.LBB230_2710:
	s_or_saveexec_b64 s[10:11], s[10:11]
                                        ; implicit-def: $sgpr12
	s_xor_b64 exec, exec, s[10:11]
	s_cbranch_execz .LBB230_1457
.LBB230_2711:
	s_mov_b32 s12, 0x46000000
	v_add_f32_e64 v1, |v0|, s12
	v_and_b32_e32 v1, 0xff, v1
	v_cmp_ne_u32_e32 vcc, 0, v1
	s_andn2_b64 s[8:9], s[8:9], exec
	s_and_b64 s[14:15], vcc, exec
	s_mov_b32 s12, 0
	s_or_b64 s[8:9], s[8:9], s[14:15]
	s_or_b64 exec, exec, s[10:11]
	v_mov_b32_e32 v4, s12
	s_and_saveexec_b64 s[10:11], s[8:9]
	s_cbranch_execnz .LBB230_1458
	s_branch .LBB230_1459
.LBB230_2712:
	s_mov_b64 s[6:7], -1
                                        ; implicit-def: $vgpr40
	s_mov_b64 s[10:11], 0
.LBB230_2713:
	s_and_b64 vcc, exec, s[12:13]
	s_cbranch_vccz .LBB230_2717
; %bb.2714:
	v_cmp_eq_u16_e32 vcc, 44, v49
	s_cbranch_vccz .LBB230_2716
; %bb.2715:
	global_load_ubyte v8, v[4:5], off
	s_movk_i32 s10, 0xff
	v_mov_b32_e32 v9, 0x7f800001
	v_mov_b32_e32 v10, 0x400000
	s_mov_b64 s[6:7], 0
	s_waitcnt vmcnt(0)
	v_lshlrev_b32_e32 v11, 23, v8
	v_cmp_ne_u32_e32 vcc, s10, v8
	v_cndmask_b32_e32 v9, v9, v11, vcc
	v_cmp_ne_u32_e32 vcc, 0, v8
	v_cndmask_b32_e32 v40, v10, v9, vcc
	s_mov_b64 s[10:11], -1
	s_branch .LBB230_2717
.LBB230_2716:
	s_mov_b64 s[6:7], -1
                                        ; implicit-def: $vgpr40
.LBB230_2717:
	s_mov_b64 s[12:13], 0
.LBB230_2718:
	s_and_b64 vcc, exec, s[12:13]
	s_cbranch_vccz .LBB230_2722
; %bb.2719:
	v_cmp_eq_u16_e32 vcc, 29, v49
	s_cbranch_vccz .LBB230_2721
; %bb.2720:
	global_load_dwordx2 v[8:9], v[4:5], off
	s_mov_b64 s[6:7], 0
	s_mov_b64 s[10:11], -1
	s_mov_b64 s[12:13], 0
	s_waitcnt vmcnt(0)
	v_ffbh_u32_e32 v10, v9
	v_min_u32_e32 v10, 32, v10
	v_lshlrev_b64 v[8:9], v10, v[8:9]
	v_min_u32_e32 v8, 1, v8
	v_or_b32_e32 v8, v9, v8
	v_cvt_f32_u32_e32 v8, v8
	v_sub_u32_e32 v9, 32, v10
	v_ldexp_f32 v40, v8, v9
	s_branch .LBB230_2723
.LBB230_2721:
	s_mov_b64 s[6:7], -1
                                        ; implicit-def: $vgpr40
.LBB230_2722:
	s_mov_b64 s[12:13], 0
.LBB230_2723:
	s_and_b64 vcc, exec, s[12:13]
	s_cbranch_vccz .LBB230_2741
; %bb.2724:
	v_cmp_gt_i16_e32 vcc, 27, v49
	s_cbranch_vccnz .LBB230_2727
; %bb.2725:
	v_cmp_lt_i16_e32 vcc, 27, v49
	s_cbranch_vccz .LBB230_2728
; %bb.2726:
	global_load_dword v8, v[4:5], off
	s_mov_b64 s[10:11], 0
	s_waitcnt vmcnt(0)
	v_cvt_f32_u32_e32 v40, v8
	s_branch .LBB230_2729
.LBB230_2727:
	s_mov_b64 s[10:11], -1
                                        ; implicit-def: $vgpr40
	s_branch .LBB230_2732
.LBB230_2728:
	s_mov_b64 s[10:11], -1
                                        ; implicit-def: $vgpr40
.LBB230_2729:
	s_andn2_b64 vcc, exec, s[10:11]
	s_cbranch_vccnz .LBB230_2731
; %bb.2730:
	global_load_ushort v8, v[4:5], off
	s_waitcnt vmcnt(0)
	v_cvt_f32_u32_e32 v40, v8
.LBB230_2731:
	s_mov_b64 s[10:11], 0
.LBB230_2732:
	s_andn2_b64 vcc, exec, s[10:11]
	s_cbranch_vccnz .LBB230_2740
; %bb.2733:
	global_load_ubyte v8, v[4:5], off
	s_movk_i32 s10, 0x7f
                                        ; implicit-def: $sgpr19
	s_waitcnt vmcnt(0)
	v_cmp_lt_i16_e32 vcc, s10, v8
	s_mov_b64 s[10:11], 0
	s_and_saveexec_b64 s[12:13], vcc
	s_xor_b64 s[12:13], exec, s[12:13]
	s_cbranch_execz .LBB230_2754
; %bb.2734:
	s_movk_i32 s10, 0x80
	v_cmp_eq_u16_e32 vcc, s10, v8
	s_mov_b64 s[10:11], -1
                                        ; implicit-def: $sgpr19
	s_and_saveexec_b64 s[14:15], vcc
; %bb.2735:
	s_mov_b32 s19, 0x7f800001
	s_xor_b64 s[10:11], exec, -1
; %bb.2736:
	s_or_b64 exec, exec, s[14:15]
	s_and_b64 s[10:11], s[10:11], exec
	s_or_saveexec_b64 s[12:13], s[12:13]
	v_mov_b32_e32 v40, s19
	s_xor_b64 exec, exec, s[12:13]
	s_cbranch_execnz .LBB230_2755
.LBB230_2737:
	s_or_b64 exec, exec, s[12:13]
	s_and_saveexec_b64 s[12:13], s[10:11]
	s_cbranch_execz .LBB230_2739
.LBB230_2738:
	v_lshlrev_b32_e32 v9, 24, v8
	v_and_b32_e32 v8, 0xffff, v8
	v_and_b32_e32 v10, 7, v8
	v_ffbh_u32_e32 v12, v10
	v_min_u32_e32 v12, 32, v12
	v_subrev_u32_e32 v13, 28, v12
	v_bfe_u32 v11, v8, 3, 4
	v_lshlrev_b32_e32 v8, v13, v8
	v_sub_u32_e32 v12, 29, v12
	v_and_b32_e32 v8, 7, v8
	v_cmp_eq_u32_e32 vcc, 0, v11
	v_cndmask_b32_e32 v11, v11, v12, vcc
	v_cndmask_b32_e32 v8, v10, v8, vcc
	v_mov_b32_e32 v10, 0x3b800000
	v_lshlrev_b32_e32 v8, 20, v8
	v_and_b32_e32 v9, 0x80000000, v9
	v_lshl_add_u32 v10, v11, 23, v10
	v_or3_b32 v40, v9, v10, v8
.LBB230_2739:
	s_or_b64 exec, exec, s[12:13]
.LBB230_2740:
	s_mov_b64 s[10:11], -1
.LBB230_2741:
	s_mov_b64 s[12:13], 0
.LBB230_2742:
	s_and_b64 vcc, exec, s[12:13]
	s_cbranch_vccz .LBB230_2775
; %bb.2743:
	v_cmp_lt_i16_e32 vcc, 22, v49
	s_cbranch_vccz .LBB230_2753
; %bb.2744:
	v_cmp_gt_i16_e32 vcc, 24, v49
	s_cbranch_vccnz .LBB230_2756
; %bb.2745:
	v_cmp_lt_i16_e32 vcc, 24, v49
	s_cbranch_vccz .LBB230_2757
; %bb.2746:
	global_load_ubyte v8, v[4:5], off
	s_movk_i32 s8, 0x7f
                                        ; implicit-def: $sgpr14
	s_waitcnt vmcnt(0)
	v_cmp_lt_i16_e32 vcc, s8, v8
	s_mov_b64 s[8:9], 0
	s_and_saveexec_b64 s[10:11], vcc
	s_xor_b64 s[10:11], exec, s[10:11]
	s_cbranch_execz .LBB230_2769
; %bb.2747:
	s_movk_i32 s8, 0x80
	v_cmp_eq_u16_e32 vcc, s8, v8
	s_mov_b64 s[8:9], -1
                                        ; implicit-def: $sgpr14
	s_and_saveexec_b64 s[12:13], vcc
; %bb.2748:
	s_mov_b32 s14, 0x7f800001
	s_xor_b64 s[8:9], exec, -1
; %bb.2749:
	s_or_b64 exec, exec, s[12:13]
	s_and_b64 s[8:9], s[8:9], exec
	s_or_saveexec_b64 s[10:11], s[10:11]
	v_mov_b32_e32 v40, s14
	s_xor_b64 exec, exec, s[10:11]
	s_cbranch_execnz .LBB230_2770
.LBB230_2750:
	s_or_b64 exec, exec, s[10:11]
	s_and_saveexec_b64 s[10:11], s[8:9]
	s_cbranch_execz .LBB230_2752
.LBB230_2751:
	v_lshlrev_b32_e32 v9, 24, v8
	v_and_b32_e32 v8, 0xffff, v8
	v_and_b32_e32 v10, 3, v8
	v_ffbh_u32_e32 v12, v10
	v_min_u32_e32 v12, 32, v12
	v_subrev_u32_e32 v13, 29, v12
	v_bfe_u32 v11, v8, 2, 5
	v_lshlrev_b32_e32 v8, v13, v8
	v_sub_u32_e32 v12, 30, v12
	v_and_b32_e32 v8, 3, v8
	v_cmp_eq_u32_e32 vcc, 0, v11
	v_cndmask_b32_e32 v11, v11, v12, vcc
	v_cndmask_b32_e32 v8, v10, v8, vcc
	v_mov_b32_e32 v10, 0x37800000
	v_lshlrev_b32_e32 v8, 21, v8
	v_and_b32_e32 v9, 0x80000000, v9
	v_lshl_add_u32 v10, v11, 23, v10
	v_or3_b32 v40, v9, v10, v8
.LBB230_2752:
	s_or_b64 exec, exec, s[10:11]
	s_mov_b64 s[8:9], 0
	s_branch .LBB230_2758
.LBB230_2753:
	s_mov_b64 s[8:9], -1
                                        ; implicit-def: $vgpr40
	s_branch .LBB230_2764
.LBB230_2754:
	s_or_saveexec_b64 s[12:13], s[12:13]
	v_mov_b32_e32 v40, s19
	s_xor_b64 exec, exec, s[12:13]
	s_cbranch_execz .LBB230_2737
.LBB230_2755:
	v_cmp_ne_u16_e32 vcc, 0, v8
	s_andn2_b64 s[10:11], s[10:11], exec
	s_and_b64 s[14:15], vcc, exec
	v_mov_b32_e32 v40, 0
	s_or_b64 s[10:11], s[10:11], s[14:15]
	s_or_b64 exec, exec, s[12:13]
	s_and_saveexec_b64 s[12:13], s[10:11]
	s_cbranch_execnz .LBB230_2738
	s_branch .LBB230_2739
.LBB230_2756:
	s_mov_b64 s[8:9], -1
                                        ; implicit-def: $vgpr40
	s_branch .LBB230_2761
.LBB230_2757:
	s_mov_b64 s[8:9], -1
                                        ; implicit-def: $vgpr40
.LBB230_2758:
	s_and_b64 vcc, exec, s[8:9]
	s_cbranch_vccz .LBB230_2760
; %bb.2759:
	global_load_ubyte v8, v[4:5], off
	s_mov_b32 s8, 0x7f800000
	s_waitcnt vmcnt(0)
	v_lshlrev_b32_e32 v8, 24, v8
	v_and_b32_e32 v9, 0x7f000000, v8
	v_ffbh_u32_e32 v10, v9
	v_min_u32_e32 v10, 32, v10
	v_sub_u32_e64 v10, v10, 4 clamp
	v_lshlrev_b32_e32 v12, v10, v9
	v_lshlrev_b32_e32 v10, 23, v10
	v_lshrrev_b32_e32 v12, 4, v12
	v_add_u32_e32 v11, 0x1000000, v9
	v_sub_u32_e32 v10, v12, v10
	v_ashrrev_i32_e32 v11, 8, v11
	v_add_u32_e32 v10, 0x3c000000, v10
	v_and_or_b32 v10, v11, s8, v10
	v_cmp_ne_u32_e32 vcc, 0, v9
	v_cndmask_b32_e32 v9, 0, v10, vcc
	s_brev_b32 s8, 1
	v_and_or_b32 v40, v8, s8, v9
.LBB230_2760:
	s_mov_b64 s[8:9], 0
.LBB230_2761:
	s_andn2_b64 vcc, exec, s[8:9]
	s_cbranch_vccnz .LBB230_2763
; %bb.2762:
	global_load_ubyte v8, v[4:5], off
	s_movk_i32 s8, 0x7f00
	s_brev_b32 s9, 16
	s_waitcnt vmcnt(0)
	v_lshlrev_b16_e32 v9, 8, v8
	v_lshlrev_b32_e32 v8, 25, v8
	v_lshrrev_b32_e32 v10, 4, v8
	v_and_or_b32 v11, v9, s8, 0.5
	v_or_b32_e32 v10, 0x70000000, v10
	v_add_f32_e32 v11, -0.5, v11
	v_mul_f32_e32 v10, 0x7800000, v10
	v_cmp_gt_u32_e32 vcc, s9, v8
	v_bfe_i32 v9, v9, 0, 16
	v_cndmask_b32_e32 v8, v10, v11, vcc
	s_brev_b32 s8, 1
	v_and_or_b32 v40, v9, s8, v8
.LBB230_2763:
	s_mov_b64 s[8:9], 0
	s_mov_b64 s[10:11], -1
.LBB230_2764:
	s_andn2_b64 vcc, exec, s[8:9]
	s_mov_b64 s[8:9], 0
	s_cbranch_vccnz .LBB230_2775
; %bb.2765:
	v_cmp_lt_i16_e32 vcc, 14, v49
	s_cbranch_vccz .LBB230_2768
; %bb.2766:
	v_cmp_eq_u16_e32 vcc, 15, v49
	s_cbranch_vccz .LBB230_2771
; %bb.2767:
	global_load_ushort v8, v[4:5], off
	s_mov_b64 s[6:7], 0
	s_mov_b64 s[10:11], -1
	s_waitcnt vmcnt(0)
	v_lshlrev_b32_e32 v40, 16, v8
	s_branch .LBB230_2772
.LBB230_2768:
	s_mov_b64 s[12:13], -1
                                        ; implicit-def: $vgpr40
	s_branch .LBB230_2773
.LBB230_2769:
	s_or_saveexec_b64 s[10:11], s[10:11]
	v_mov_b32_e32 v40, s14
	s_xor_b64 exec, exec, s[10:11]
	s_cbranch_execz .LBB230_2750
.LBB230_2770:
	v_cmp_ne_u16_e32 vcc, 0, v8
	s_andn2_b64 s[8:9], s[8:9], exec
	s_and_b64 s[12:13], vcc, exec
	v_mov_b32_e32 v40, 0
	s_or_b64 s[8:9], s[8:9], s[12:13]
	s_or_b64 exec, exec, s[10:11]
	s_and_saveexec_b64 s[10:11], s[8:9]
	s_cbranch_execnz .LBB230_2751
	s_branch .LBB230_2752
.LBB230_2771:
	s_mov_b64 s[6:7], -1
                                        ; implicit-def: $vgpr40
.LBB230_2772:
	s_mov_b64 s[12:13], 0
.LBB230_2773:
	s_and_b64 vcc, exec, s[12:13]
	s_cbranch_vccz .LBB230_2775
; %bb.2774:
	v_cmp_ne_u16_e64 s[6:7], 11, v49
	s_mov_b64 s[8:9], -1
                                        ; implicit-def: $vgpr40
.LBB230_2775:
	s_and_b64 vcc, exec, s[6:7]
	s_cbranch_vccnz .LBB230_2840
; %bb.2776:
	s_andn2_b64 vcc, exec, s[8:9]
	s_cbranch_vccnz .LBB230_2778
.LBB230_2777:
	global_load_ubyte v8, v[4:5], off
	s_mov_b64 s[10:11], -1
	s_waitcnt vmcnt(0)
	v_cmp_ne_u16_e32 vcc, 0, v8
	v_cndmask_b32_e64 v40, 0, 1.0, vcc
.LBB230_2778:
	s_mov_b64 s[6:7], 0
.LBB230_2779:
	s_and_b64 vcc, exec, s[6:7]
	s_cbranch_vccz .LBB230_2828
; %bb.2780:
	v_cmp_gt_i16_e32 vcc, 5, v49
	s_cbranch_vccnz .LBB230_2785
; %bb.2781:
	v_cmp_gt_i16_e32 vcc, 8, v49
	s_cbranch_vccnz .LBB230_2786
	;; [unrolled: 3-line block ×3, first 2 shown]
; %bb.2783:
	v_cmp_lt_i16_e32 vcc, 9, v49
	s_cbranch_vccz .LBB230_2788
; %bb.2784:
	global_load_dwordx2 v[8:9], v[4:5], off
	s_mov_b64 s[6:7], 0
	s_waitcnt vmcnt(0)
	v_cvt_f32_f64_e32 v40, v[8:9]
	s_branch .LBB230_2789
.LBB230_2785:
	s_mov_b64 s[6:7], -1
                                        ; implicit-def: $vgpr40
	s_branch .LBB230_2807
.LBB230_2786:
	s_mov_b64 s[6:7], -1
                                        ; implicit-def: $vgpr40
	s_branch .LBB230_2795
.LBB230_2787:
	s_mov_b64 s[6:7], -1
                                        ; implicit-def: $vgpr40
	s_branch .LBB230_2792
.LBB230_2788:
	s_mov_b64 s[6:7], -1
                                        ; implicit-def: $vgpr40
.LBB230_2789:
	s_andn2_b64 vcc, exec, s[6:7]
	s_cbranch_vccnz .LBB230_2791
; %bb.2790:
	global_load_dword v40, v[4:5], off
.LBB230_2791:
	s_mov_b64 s[6:7], 0
.LBB230_2792:
	s_andn2_b64 vcc, exec, s[6:7]
	s_cbranch_vccnz .LBB230_2794
; %bb.2793:
	global_load_dword v8, v[4:5], off
	s_waitcnt vmcnt(0)
	v_cvt_f32_f16_e32 v40, v8
.LBB230_2794:
	s_mov_b64 s[6:7], 0
.LBB230_2795:
	s_andn2_b64 vcc, exec, s[6:7]
	s_cbranch_vccnz .LBB230_2806
; %bb.2796:
	v_cmp_gt_i16_e32 vcc, 6, v49
	s_cbranch_vccnz .LBB230_2799
; %bb.2797:
	v_cmp_lt_i16_e32 vcc, 6, v49
	s_cbranch_vccz .LBB230_2800
; %bb.2798:
	global_load_dwordx2 v[8:9], v[4:5], off
	s_mov_b64 s[6:7], 0
	s_waitcnt vmcnt(0)
	v_cvt_f32_f64_e32 v40, v[8:9]
	s_branch .LBB230_2801
.LBB230_2799:
	s_mov_b64 s[6:7], -1
                                        ; implicit-def: $vgpr40
	s_branch .LBB230_2804
.LBB230_2800:
	s_mov_b64 s[6:7], -1
                                        ; implicit-def: $vgpr40
.LBB230_2801:
	s_andn2_b64 vcc, exec, s[6:7]
	s_cbranch_vccnz .LBB230_2803
; %bb.2802:
	global_load_dword v40, v[4:5], off
.LBB230_2803:
	s_mov_b64 s[6:7], 0
.LBB230_2804:
	s_andn2_b64 vcc, exec, s[6:7]
	s_cbranch_vccnz .LBB230_2806
; %bb.2805:
	global_load_ushort v8, v[4:5], off
	s_waitcnt vmcnt(0)
	v_cvt_f32_f16_e32 v40, v8
.LBB230_2806:
	s_mov_b64 s[6:7], 0
.LBB230_2807:
	s_andn2_b64 vcc, exec, s[6:7]
	s_cbranch_vccnz .LBB230_2827
; %bb.2808:
	v_cmp_gt_i16_e32 vcc, 2, v49
	s_cbranch_vccnz .LBB230_2812
; %bb.2809:
	v_cmp_gt_i16_e32 vcc, 3, v49
	s_cbranch_vccnz .LBB230_2813
; %bb.2810:
	v_cmp_lt_i16_e32 vcc, 3, v49
	s_cbranch_vccz .LBB230_2814
; %bb.2811:
	global_load_dwordx2 v[8:9], v[4:5], off
	s_mov_b64 s[6:7], 0
	s_waitcnt vmcnt(0)
	v_xor_b32_e32 v11, v8, v9
	v_ffbh_i32_e32 v10, v9
	v_ashrrev_i32_e32 v11, 31, v11
	v_add_u32_e32 v10, -1, v10
	v_add_u32_e32 v11, 32, v11
	v_min_u32_e32 v10, v10, v11
	v_lshlrev_b64 v[8:9], v10, v[8:9]
	v_min_u32_e32 v8, 1, v8
	v_or_b32_e32 v8, v9, v8
	v_cvt_f32_i32_e32 v8, v8
	v_sub_u32_e32 v9, 32, v10
	v_ldexp_f32 v40, v8, v9
	s_branch .LBB230_2815
.LBB230_2812:
	s_mov_b64 s[6:7], -1
                                        ; implicit-def: $vgpr40
	s_branch .LBB230_2821
.LBB230_2813:
	s_mov_b64 s[6:7], -1
                                        ; implicit-def: $vgpr40
	s_branch .LBB230_2818
.LBB230_2814:
	s_mov_b64 s[6:7], -1
                                        ; implicit-def: $vgpr40
.LBB230_2815:
	s_andn2_b64 vcc, exec, s[6:7]
	s_cbranch_vccnz .LBB230_2817
; %bb.2816:
	global_load_dword v8, v[4:5], off
	s_waitcnt vmcnt(0)
	v_cvt_f32_i32_e32 v40, v8
.LBB230_2817:
	s_mov_b64 s[6:7], 0
.LBB230_2818:
	s_andn2_b64 vcc, exec, s[6:7]
	s_cbranch_vccnz .LBB230_2820
; %bb.2819:
	global_load_sshort v8, v[4:5], off
	s_waitcnt vmcnt(0)
	v_cvt_f32_i32_e32 v40, v8
.LBB230_2820:
	s_mov_b64 s[6:7], 0
.LBB230_2821:
	s_andn2_b64 vcc, exec, s[6:7]
	s_cbranch_vccnz .LBB230_2827
; %bb.2822:
	v_cmp_lt_i16_e32 vcc, 0, v49
	s_cbranch_vccz .LBB230_2824
; %bb.2823:
	global_load_sbyte v8, v[4:5], off
	s_mov_b64 s[6:7], 0
	s_waitcnt vmcnt(0)
	v_cvt_f32_i32_e32 v40, v8
	s_branch .LBB230_2825
.LBB230_2824:
	s_mov_b64 s[6:7], -1
                                        ; implicit-def: $vgpr40
.LBB230_2825:
	s_andn2_b64 vcc, exec, s[6:7]
	s_cbranch_vccnz .LBB230_2827
; %bb.2826:
	global_load_ubyte v4, v[4:5], off
	s_waitcnt vmcnt(0)
	v_cvt_f32_ubyte0_e32 v40, v4
.LBB230_2827:
	s_mov_b64 s[10:11], -1
.LBB230_2828:
	s_andn2_b64 vcc, exec, s[10:11]
	s_cbranch_vccnz .LBB230_4064
; %bb.2829:
	v_add_u32_e32 v7, s16, v7
	v_ashrrev_i32_e32 v5, 31, v7
	v_mov_b32_e32 v8, s39
	v_add_co_u32_e32 v4, vcc, s38, v7
	v_addc_co_u32_e32 v5, vcc, v8, v5, vcc
	v_mov_b32_e32 v8, 11
	v_cmp_lt_i16_sdwa s[6:7], v45, v8 src0_sel:BYTE_0 src1_sel:DWORD
	s_and_b64 vcc, exec, s[6:7]
	s_cbranch_vccnz .LBB230_2836
; %bb.2830:
	v_mov_b32_e32 v8, 25
	v_cmp_gt_i16_sdwa s[6:7], v45, v8 src0_sel:BYTE_0 src1_sel:DWORD
	s_mov_b64 s[8:9], 0
	s_and_b64 vcc, exec, s[6:7]
	s_cbranch_vccz .LBB230_2837
; %bb.2831:
	v_mov_b32_e32 v8, 28
	v_cmp_gt_i16_sdwa s[6:7], v45, v8 src0_sel:BYTE_0 src1_sel:DWORD
	s_and_b64 vcc, exec, s[6:7]
	s_cbranch_vccz .LBB230_2838
; %bb.2832:
	v_mov_b32_e32 v8, 43
	v_cmp_gt_i16_sdwa s[6:7], v45, v8 src0_sel:BYTE_0 src1_sel:DWORD
	;; [unrolled: 5-line block ×3, first 2 shown]
	s_and_b64 vcc, exec, s[6:7]
	s_cbranch_vccz .LBB230_2841
; %bb.2834:
	v_mov_b32_e32 v8, 46
	v_cmp_eq_u16_sdwa s[6:7], v45, v8 src0_sel:BYTE_0 src1_sel:DWORD
	s_mov_b64 s[12:13], 0
	s_and_b64 vcc, exec, s[6:7]
	s_cbranch_vccz .LBB230_2844
; %bb.2835:
	global_load_dword v8, v[4:5], off
	s_mov_b64 s[6:7], 0
	s_mov_b64 s[10:11], -1
	s_waitcnt vmcnt(0)
	v_lshlrev_b32_e32 v41, 16, v8
	s_branch .LBB230_2845
.LBB230_2836:
	s_mov_b64 s[6:7], -1
	s_mov_b64 s[10:11], 0
                                        ; implicit-def: $vgpr41
	s_branch .LBB230_2911
.LBB230_2837:
	s_mov_b64 s[12:13], -1
	s_mov_b64 s[10:11], 0
	s_mov_b64 s[6:7], 0
                                        ; implicit-def: $vgpr41
	s_branch .LBB230_2874
.LBB230_2838:
	s_mov_b64 s[12:13], -1
	s_mov_b64 s[10:11], 0
	s_mov_b64 s[6:7], 0
                                        ; implicit-def: $vgpr41
	s_branch .LBB230_2855
.LBB230_2839:
	s_mov_b64 s[12:13], -1
	s_mov_b64 s[10:11], 0
	s_mov_b64 s[6:7], 0
                                        ; implicit-def: $vgpr41
	s_branch .LBB230_2850
.LBB230_2840:
	s_trap 2
	s_or_b64 s[50:51], s[50:51], exec
                                        ; implicit-def: $vgpr40
	s_cbranch_execz .LBB230_2777
	s_branch .LBB230_2778
.LBB230_2841:
	s_mov_b64 s[12:13], -1
	s_mov_b64 s[10:11], 0
	s_mov_b64 s[6:7], 0
                                        ; implicit-def: $vgpr41
	s_branch .LBB230_2845
.LBB230_2842:
	s_or_saveexec_b64 s[10:11], s[10:11]
                                        ; implicit-def: $sgpr12
	s_xor_b64 exec, exec, s[10:11]
	s_cbranch_execz .LBB230_1470
.LBB230_2843:
	s_mov_b32 s12, 0x42800000
	v_add_f32_e64 v1, |v0|, s12
	v_and_b32_e32 v1, 0xff, v1
	v_cmp_ne_u32_e32 vcc, 0, v1
	s_andn2_b64 s[8:9], s[8:9], exec
	s_and_b64 s[14:15], vcc, exec
	s_mov_b32 s12, 0
	s_or_b64 s[8:9], s[8:9], s[14:15]
	s_or_b64 exec, exec, s[10:11]
	v_mov_b32_e32 v4, s12
	s_and_saveexec_b64 s[10:11], s[8:9]
	s_cbranch_execnz .LBB230_1471
	s_branch .LBB230_1472
.LBB230_2844:
	s_mov_b64 s[6:7], -1
                                        ; implicit-def: $vgpr41
	s_mov_b64 s[10:11], 0
.LBB230_2845:
	s_and_b64 vcc, exec, s[12:13]
	s_cbranch_vccz .LBB230_2849
; %bb.2846:
	v_mov_b32_e32 v8, 44
	v_cmp_eq_u16_sdwa s[6:7], v45, v8 src0_sel:BYTE_0 src1_sel:DWORD
	s_and_b64 vcc, exec, s[6:7]
	s_cbranch_vccz .LBB230_2848
; %bb.2847:
	global_load_ubyte v8, v[4:5], off
	s_movk_i32 s10, 0xff
	v_mov_b32_e32 v9, 0x7f800001
	v_mov_b32_e32 v10, 0x400000
	s_mov_b64 s[6:7], 0
	s_waitcnt vmcnt(0)
	v_lshlrev_b32_e32 v11, 23, v8
	v_cmp_ne_u32_e32 vcc, s10, v8
	v_cndmask_b32_e32 v9, v9, v11, vcc
	v_cmp_ne_u32_e32 vcc, 0, v8
	v_cndmask_b32_e32 v41, v10, v9, vcc
	s_mov_b64 s[10:11], -1
	s_branch .LBB230_2849
.LBB230_2848:
	s_mov_b64 s[6:7], -1
                                        ; implicit-def: $vgpr41
.LBB230_2849:
	s_mov_b64 s[12:13], 0
.LBB230_2850:
	s_and_b64 vcc, exec, s[12:13]
	s_cbranch_vccz .LBB230_2854
; %bb.2851:
	v_mov_b32_e32 v8, 29
	v_cmp_eq_u16_sdwa s[6:7], v45, v8 src0_sel:BYTE_0 src1_sel:DWORD
	s_and_b64 vcc, exec, s[6:7]
	s_cbranch_vccz .LBB230_2853
; %bb.2852:
	global_load_dwordx2 v[8:9], v[4:5], off
	s_mov_b64 s[6:7], 0
	s_mov_b64 s[10:11], -1
	s_mov_b64 s[12:13], 0
	s_waitcnt vmcnt(0)
	v_ffbh_u32_e32 v10, v9
	v_min_u32_e32 v10, 32, v10
	v_lshlrev_b64 v[8:9], v10, v[8:9]
	v_min_u32_e32 v8, 1, v8
	v_or_b32_e32 v8, v9, v8
	v_cvt_f32_u32_e32 v8, v8
	v_sub_u32_e32 v9, 32, v10
	v_ldexp_f32 v41, v8, v9
	s_branch .LBB230_2855
.LBB230_2853:
	s_mov_b64 s[6:7], -1
                                        ; implicit-def: $vgpr41
.LBB230_2854:
	s_mov_b64 s[12:13], 0
.LBB230_2855:
	s_and_b64 vcc, exec, s[12:13]
	s_cbranch_vccz .LBB230_2873
; %bb.2856:
	v_mov_b32_e32 v8, 27
	v_cmp_lt_i16_sdwa s[10:11], v45, v8 src0_sel:BYTE_0 src1_sel:DWORD
	s_and_b64 vcc, exec, s[10:11]
	s_cbranch_vccnz .LBB230_2859
; %bb.2857:
	v_cmp_gt_i16_sdwa s[10:11], v45, v8 src0_sel:BYTE_0 src1_sel:DWORD
	s_and_b64 vcc, exec, s[10:11]
	s_cbranch_vccz .LBB230_2860
; %bb.2858:
	global_load_dword v8, v[4:5], off
	s_mov_b64 s[10:11], 0
	s_waitcnt vmcnt(0)
	v_cvt_f32_u32_e32 v41, v8
	s_branch .LBB230_2861
.LBB230_2859:
	s_mov_b64 s[10:11], -1
                                        ; implicit-def: $vgpr41
	s_branch .LBB230_2864
.LBB230_2860:
	s_mov_b64 s[10:11], -1
                                        ; implicit-def: $vgpr41
.LBB230_2861:
	s_andn2_b64 vcc, exec, s[10:11]
	s_cbranch_vccnz .LBB230_2863
; %bb.2862:
	global_load_ushort v8, v[4:5], off
	s_waitcnt vmcnt(0)
	v_cvt_f32_u32_e32 v41, v8
.LBB230_2863:
	s_mov_b64 s[10:11], 0
.LBB230_2864:
	s_andn2_b64 vcc, exec, s[10:11]
	s_cbranch_vccnz .LBB230_2872
; %bb.2865:
	global_load_ubyte v8, v[4:5], off
	s_movk_i32 s10, 0x7f
                                        ; implicit-def: $sgpr19
	s_waitcnt vmcnt(0)
	v_cmp_lt_i16_e32 vcc, s10, v8
	s_mov_b64 s[10:11], 0
	s_and_saveexec_b64 s[12:13], vcc
	s_xor_b64 s[12:13], exec, s[12:13]
	s_cbranch_execz .LBB230_2886
; %bb.2866:
	s_movk_i32 s10, 0x80
	v_cmp_eq_u16_e32 vcc, s10, v8
	s_mov_b64 s[10:11], -1
                                        ; implicit-def: $sgpr19
	s_and_saveexec_b64 s[14:15], vcc
; %bb.2867:
	s_mov_b32 s19, 0x7f800001
	s_xor_b64 s[10:11], exec, -1
; %bb.2868:
	s_or_b64 exec, exec, s[14:15]
	s_and_b64 s[10:11], s[10:11], exec
	s_or_saveexec_b64 s[12:13], s[12:13]
	v_mov_b32_e32 v41, s19
	s_xor_b64 exec, exec, s[12:13]
	s_cbranch_execnz .LBB230_2887
.LBB230_2869:
	s_or_b64 exec, exec, s[12:13]
	s_and_saveexec_b64 s[12:13], s[10:11]
	s_cbranch_execz .LBB230_2871
.LBB230_2870:
	v_lshlrev_b32_e32 v9, 24, v8
	v_and_b32_e32 v8, 0xffff, v8
	v_and_b32_e32 v10, 7, v8
	v_ffbh_u32_e32 v12, v10
	v_min_u32_e32 v12, 32, v12
	v_subrev_u32_e32 v13, 28, v12
	v_bfe_u32 v11, v8, 3, 4
	v_lshlrev_b32_e32 v8, v13, v8
	v_sub_u32_e32 v12, 29, v12
	v_and_b32_e32 v8, 7, v8
	v_cmp_eq_u32_e32 vcc, 0, v11
	v_cndmask_b32_e32 v11, v11, v12, vcc
	v_cndmask_b32_e32 v8, v10, v8, vcc
	v_mov_b32_e32 v10, 0x3b800000
	v_lshlrev_b32_e32 v8, 20, v8
	v_and_b32_e32 v9, 0x80000000, v9
	v_lshl_add_u32 v10, v11, 23, v10
	v_or3_b32 v41, v9, v10, v8
.LBB230_2871:
	s_or_b64 exec, exec, s[12:13]
.LBB230_2872:
	s_mov_b64 s[10:11], -1
.LBB230_2873:
	s_mov_b64 s[12:13], 0
.LBB230_2874:
	s_and_b64 vcc, exec, s[12:13]
	s_cbranch_vccz .LBB230_2907
; %bb.2875:
	v_mov_b32_e32 v8, 22
	v_cmp_gt_i16_sdwa s[8:9], v45, v8 src0_sel:BYTE_0 src1_sel:DWORD
	s_and_b64 vcc, exec, s[8:9]
	s_cbranch_vccz .LBB230_2885
; %bb.2876:
	v_mov_b32_e32 v8, 24
	v_cmp_lt_i16_sdwa s[8:9], v45, v8 src0_sel:BYTE_0 src1_sel:DWORD
	s_and_b64 vcc, exec, s[8:9]
	s_cbranch_vccnz .LBB230_2888
; %bb.2877:
	v_cmp_gt_i16_sdwa s[8:9], v45, v8 src0_sel:BYTE_0 src1_sel:DWORD
	s_and_b64 vcc, exec, s[8:9]
	s_cbranch_vccz .LBB230_2889
; %bb.2878:
	global_load_ubyte v8, v[4:5], off
	s_movk_i32 s8, 0x7f
                                        ; implicit-def: $sgpr14
	s_waitcnt vmcnt(0)
	v_cmp_lt_i16_e32 vcc, s8, v8
	s_mov_b64 s[8:9], 0
	s_and_saveexec_b64 s[10:11], vcc
	s_xor_b64 s[10:11], exec, s[10:11]
	s_cbranch_execz .LBB230_2901
; %bb.2879:
	s_movk_i32 s8, 0x80
	v_cmp_eq_u16_e32 vcc, s8, v8
	s_mov_b64 s[8:9], -1
                                        ; implicit-def: $sgpr14
	s_and_saveexec_b64 s[12:13], vcc
; %bb.2880:
	s_mov_b32 s14, 0x7f800001
	s_xor_b64 s[8:9], exec, -1
; %bb.2881:
	s_or_b64 exec, exec, s[12:13]
	s_and_b64 s[8:9], s[8:9], exec
	s_or_saveexec_b64 s[10:11], s[10:11]
	v_mov_b32_e32 v41, s14
	s_xor_b64 exec, exec, s[10:11]
	s_cbranch_execnz .LBB230_2902
.LBB230_2882:
	s_or_b64 exec, exec, s[10:11]
	s_and_saveexec_b64 s[10:11], s[8:9]
	s_cbranch_execz .LBB230_2884
.LBB230_2883:
	v_lshlrev_b32_e32 v9, 24, v8
	v_and_b32_e32 v8, 0xffff, v8
	v_and_b32_e32 v10, 3, v8
	v_ffbh_u32_e32 v12, v10
	v_min_u32_e32 v12, 32, v12
	v_subrev_u32_e32 v13, 29, v12
	v_bfe_u32 v11, v8, 2, 5
	v_lshlrev_b32_e32 v8, v13, v8
	v_sub_u32_e32 v12, 30, v12
	v_and_b32_e32 v8, 3, v8
	v_cmp_eq_u32_e32 vcc, 0, v11
	v_cndmask_b32_e32 v11, v11, v12, vcc
	v_cndmask_b32_e32 v8, v10, v8, vcc
	v_mov_b32_e32 v10, 0x37800000
	v_lshlrev_b32_e32 v8, 21, v8
	v_and_b32_e32 v9, 0x80000000, v9
	v_lshl_add_u32 v10, v11, 23, v10
	v_or3_b32 v41, v9, v10, v8
.LBB230_2884:
	s_or_b64 exec, exec, s[10:11]
	s_mov_b64 s[8:9], 0
	s_branch .LBB230_2890
.LBB230_2885:
	s_mov_b64 s[8:9], -1
                                        ; implicit-def: $vgpr41
	s_branch .LBB230_2896
.LBB230_2886:
	s_or_saveexec_b64 s[12:13], s[12:13]
	v_mov_b32_e32 v41, s19
	s_xor_b64 exec, exec, s[12:13]
	s_cbranch_execz .LBB230_2869
.LBB230_2887:
	v_cmp_ne_u16_e32 vcc, 0, v8
	s_andn2_b64 s[10:11], s[10:11], exec
	s_and_b64 s[14:15], vcc, exec
	v_mov_b32_e32 v41, 0
	s_or_b64 s[10:11], s[10:11], s[14:15]
	s_or_b64 exec, exec, s[12:13]
	s_and_saveexec_b64 s[12:13], s[10:11]
	s_cbranch_execnz .LBB230_2870
	s_branch .LBB230_2871
.LBB230_2888:
	s_mov_b64 s[8:9], -1
                                        ; implicit-def: $vgpr41
	s_branch .LBB230_2893
.LBB230_2889:
	s_mov_b64 s[8:9], -1
                                        ; implicit-def: $vgpr41
.LBB230_2890:
	s_and_b64 vcc, exec, s[8:9]
	s_cbranch_vccz .LBB230_2892
; %bb.2891:
	global_load_ubyte v8, v[4:5], off
	s_mov_b32 s8, 0x7f800000
	s_waitcnt vmcnt(0)
	v_lshlrev_b32_e32 v8, 24, v8
	v_and_b32_e32 v9, 0x7f000000, v8
	v_ffbh_u32_e32 v10, v9
	v_min_u32_e32 v10, 32, v10
	v_sub_u32_e64 v10, v10, 4 clamp
	v_lshlrev_b32_e32 v12, v10, v9
	v_lshlrev_b32_e32 v10, 23, v10
	v_lshrrev_b32_e32 v12, 4, v12
	v_add_u32_e32 v11, 0x1000000, v9
	v_sub_u32_e32 v10, v12, v10
	v_ashrrev_i32_e32 v11, 8, v11
	v_add_u32_e32 v10, 0x3c000000, v10
	v_and_or_b32 v10, v11, s8, v10
	v_cmp_ne_u32_e32 vcc, 0, v9
	v_cndmask_b32_e32 v9, 0, v10, vcc
	s_brev_b32 s8, 1
	v_and_or_b32 v41, v8, s8, v9
.LBB230_2892:
	s_mov_b64 s[8:9], 0
.LBB230_2893:
	s_andn2_b64 vcc, exec, s[8:9]
	s_cbranch_vccnz .LBB230_2895
; %bb.2894:
	global_load_ubyte v8, v[4:5], off
	s_movk_i32 s8, 0x7f00
	s_brev_b32 s9, 16
	s_waitcnt vmcnt(0)
	v_lshlrev_b16_e32 v9, 8, v8
	v_lshlrev_b32_e32 v8, 25, v8
	v_lshrrev_b32_e32 v10, 4, v8
	v_and_or_b32 v11, v9, s8, 0.5
	v_or_b32_e32 v10, 0x70000000, v10
	v_add_f32_e32 v11, -0.5, v11
	v_mul_f32_e32 v10, 0x7800000, v10
	v_cmp_gt_u32_e32 vcc, s9, v8
	v_bfe_i32 v9, v9, 0, 16
	v_cndmask_b32_e32 v8, v10, v11, vcc
	s_brev_b32 s8, 1
	v_and_or_b32 v41, v9, s8, v8
.LBB230_2895:
	s_mov_b64 s[8:9], 0
	s_mov_b64 s[10:11], -1
.LBB230_2896:
	s_andn2_b64 vcc, exec, s[8:9]
	s_mov_b64 s[8:9], 0
	s_cbranch_vccnz .LBB230_2907
; %bb.2897:
	v_mov_b32_e32 v8, 14
	v_cmp_gt_i16_sdwa s[8:9], v45, v8 src0_sel:BYTE_0 src1_sel:DWORD
	s_and_b64 vcc, exec, s[8:9]
	s_cbranch_vccz .LBB230_2900
; %bb.2898:
	v_mov_b32_e32 v8, 15
	v_cmp_eq_u16_sdwa s[6:7], v45, v8 src0_sel:BYTE_0 src1_sel:DWORD
	s_and_b64 vcc, exec, s[6:7]
	s_cbranch_vccz .LBB230_2903
; %bb.2899:
	global_load_ushort v8, v[4:5], off
	s_mov_b64 s[6:7], 0
	s_mov_b64 s[10:11], -1
	s_waitcnt vmcnt(0)
	v_lshlrev_b32_e32 v41, 16, v8
	s_branch .LBB230_2904
.LBB230_2900:
	s_mov_b64 s[12:13], -1
                                        ; implicit-def: $vgpr41
	s_branch .LBB230_2905
.LBB230_2901:
	s_or_saveexec_b64 s[10:11], s[10:11]
	v_mov_b32_e32 v41, s14
	s_xor_b64 exec, exec, s[10:11]
	s_cbranch_execz .LBB230_2882
.LBB230_2902:
	v_cmp_ne_u16_e32 vcc, 0, v8
	s_andn2_b64 s[8:9], s[8:9], exec
	s_and_b64 s[12:13], vcc, exec
	v_mov_b32_e32 v41, 0
	s_or_b64 s[8:9], s[8:9], s[12:13]
	s_or_b64 exec, exec, s[10:11]
	s_and_saveexec_b64 s[10:11], s[8:9]
	s_cbranch_execnz .LBB230_2883
	s_branch .LBB230_2884
.LBB230_2903:
	s_mov_b64 s[6:7], -1
                                        ; implicit-def: $vgpr41
.LBB230_2904:
	s_mov_b64 s[12:13], 0
.LBB230_2905:
	s_mov_b64 s[8:9], 0
	s_and_b64 vcc, exec, s[12:13]
	s_cbranch_vccz .LBB230_2907
; %bb.2906:
	v_mov_b32_e32 v8, 11
	v_cmp_ne_u16_sdwa s[6:7], v45, v8 src0_sel:BYTE_0 src1_sel:DWORD
	s_mov_b64 s[8:9], -1
                                        ; implicit-def: $vgpr41
.LBB230_2907:
	s_and_b64 vcc, exec, s[6:7]
	s_cbranch_vccnz .LBB230_2972
; %bb.2908:
	s_andn2_b64 vcc, exec, s[8:9]
	s_cbranch_vccnz .LBB230_2910
.LBB230_2909:
	global_load_ubyte v8, v[4:5], off
	s_mov_b64 s[10:11], -1
	s_waitcnt vmcnt(0)
	v_cmp_ne_u16_e32 vcc, 0, v8
	v_cndmask_b32_e64 v41, 0, 1.0, vcc
.LBB230_2910:
	s_mov_b64 s[6:7], 0
.LBB230_2911:
	s_and_b64 vcc, exec, s[6:7]
	s_cbranch_vccz .LBB230_2960
; %bb.2912:
	v_mov_b32_e32 v8, 5
	v_cmp_lt_i16_sdwa s[6:7], v45, v8 src0_sel:BYTE_0 src1_sel:DWORD
	s_and_b64 vcc, exec, s[6:7]
	s_cbranch_vccnz .LBB230_2917
; %bb.2913:
	v_mov_b32_e32 v8, 8
	v_cmp_lt_i16_sdwa s[6:7], v45, v8 src0_sel:BYTE_0 src1_sel:DWORD
	s_and_b64 vcc, exec, s[6:7]
	s_cbranch_vccnz .LBB230_2918
	;; [unrolled: 5-line block ×3, first 2 shown]
; %bb.2915:
	v_cmp_gt_i16_sdwa s[6:7], v45, v8 src0_sel:BYTE_0 src1_sel:DWORD
	s_and_b64 vcc, exec, s[6:7]
	s_cbranch_vccz .LBB230_2920
; %bb.2916:
	global_load_dwordx2 v[8:9], v[4:5], off
	s_mov_b64 s[6:7], 0
	s_waitcnt vmcnt(0)
	v_cvt_f32_f64_e32 v41, v[8:9]
	s_branch .LBB230_2921
.LBB230_2917:
	s_mov_b64 s[6:7], -1
                                        ; implicit-def: $vgpr41
	s_branch .LBB230_2939
.LBB230_2918:
	s_mov_b64 s[6:7], -1
                                        ; implicit-def: $vgpr41
	s_branch .LBB230_2927
.LBB230_2919:
	s_mov_b64 s[6:7], -1
                                        ; implicit-def: $vgpr41
	s_branch .LBB230_2924
.LBB230_2920:
	s_mov_b64 s[6:7], -1
                                        ; implicit-def: $vgpr41
.LBB230_2921:
	s_andn2_b64 vcc, exec, s[6:7]
	s_cbranch_vccnz .LBB230_2923
; %bb.2922:
	global_load_dword v41, v[4:5], off
.LBB230_2923:
	s_mov_b64 s[6:7], 0
.LBB230_2924:
	s_andn2_b64 vcc, exec, s[6:7]
	s_cbranch_vccnz .LBB230_2926
; %bb.2925:
	global_load_dword v8, v[4:5], off
	s_waitcnt vmcnt(0)
	v_cvt_f32_f16_e32 v41, v8
.LBB230_2926:
	s_mov_b64 s[6:7], 0
.LBB230_2927:
	s_andn2_b64 vcc, exec, s[6:7]
	s_cbranch_vccnz .LBB230_2938
; %bb.2928:
	v_mov_b32_e32 v8, 6
	v_cmp_lt_i16_sdwa s[6:7], v45, v8 src0_sel:BYTE_0 src1_sel:DWORD
	s_and_b64 vcc, exec, s[6:7]
	s_cbranch_vccnz .LBB230_2931
; %bb.2929:
	v_cmp_gt_i16_sdwa s[6:7], v45, v8 src0_sel:BYTE_0 src1_sel:DWORD
	s_and_b64 vcc, exec, s[6:7]
	s_cbranch_vccz .LBB230_2932
; %bb.2930:
	global_load_dwordx2 v[8:9], v[4:5], off
	s_mov_b64 s[6:7], 0
	s_waitcnt vmcnt(0)
	v_cvt_f32_f64_e32 v41, v[8:9]
	s_branch .LBB230_2933
.LBB230_2931:
	s_mov_b64 s[6:7], -1
                                        ; implicit-def: $vgpr41
	s_branch .LBB230_2936
.LBB230_2932:
	s_mov_b64 s[6:7], -1
                                        ; implicit-def: $vgpr41
.LBB230_2933:
	s_andn2_b64 vcc, exec, s[6:7]
	s_cbranch_vccnz .LBB230_2935
; %bb.2934:
	global_load_dword v41, v[4:5], off
.LBB230_2935:
	s_mov_b64 s[6:7], 0
.LBB230_2936:
	s_andn2_b64 vcc, exec, s[6:7]
	s_cbranch_vccnz .LBB230_2938
; %bb.2937:
	global_load_ushort v8, v[4:5], off
	s_waitcnt vmcnt(0)
	v_cvt_f32_f16_e32 v41, v8
.LBB230_2938:
	s_mov_b64 s[6:7], 0
.LBB230_2939:
	s_andn2_b64 vcc, exec, s[6:7]
	s_cbranch_vccnz .LBB230_2959
; %bb.2940:
	v_mov_b32_e32 v8, 2
	v_cmp_lt_i16_sdwa s[6:7], v45, v8 src0_sel:BYTE_0 src1_sel:DWORD
	s_and_b64 vcc, exec, s[6:7]
	s_cbranch_vccnz .LBB230_2944
; %bb.2941:
	v_mov_b32_e32 v8, 3
	v_cmp_lt_i16_sdwa s[6:7], v45, v8 src0_sel:BYTE_0 src1_sel:DWORD
	s_and_b64 vcc, exec, s[6:7]
	s_cbranch_vccnz .LBB230_2945
; %bb.2942:
	v_cmp_gt_i16_sdwa s[6:7], v45, v8 src0_sel:BYTE_0 src1_sel:DWORD
	s_and_b64 vcc, exec, s[6:7]
	s_cbranch_vccz .LBB230_2946
; %bb.2943:
	global_load_dwordx2 v[8:9], v[4:5], off
	s_mov_b64 s[6:7], 0
	s_waitcnt vmcnt(0)
	v_xor_b32_e32 v11, v8, v9
	v_ffbh_i32_e32 v10, v9
	v_ashrrev_i32_e32 v11, 31, v11
	v_add_u32_e32 v10, -1, v10
	v_add_u32_e32 v11, 32, v11
	v_min_u32_e32 v10, v10, v11
	v_lshlrev_b64 v[8:9], v10, v[8:9]
	v_min_u32_e32 v8, 1, v8
	v_or_b32_e32 v8, v9, v8
	v_cvt_f32_i32_e32 v8, v8
	v_sub_u32_e32 v9, 32, v10
	v_ldexp_f32 v41, v8, v9
	s_branch .LBB230_2947
.LBB230_2944:
	s_mov_b64 s[6:7], -1
                                        ; implicit-def: $vgpr41
	s_branch .LBB230_2953
.LBB230_2945:
	s_mov_b64 s[6:7], -1
                                        ; implicit-def: $vgpr41
	s_branch .LBB230_2950
.LBB230_2946:
	s_mov_b64 s[6:7], -1
                                        ; implicit-def: $vgpr41
.LBB230_2947:
	s_andn2_b64 vcc, exec, s[6:7]
	s_cbranch_vccnz .LBB230_2949
; %bb.2948:
	global_load_dword v8, v[4:5], off
	s_waitcnt vmcnt(0)
	v_cvt_f32_i32_e32 v41, v8
.LBB230_2949:
	s_mov_b64 s[6:7], 0
.LBB230_2950:
	s_andn2_b64 vcc, exec, s[6:7]
	s_cbranch_vccnz .LBB230_2952
; %bb.2951:
	global_load_sshort v8, v[4:5], off
	s_waitcnt vmcnt(0)
	v_cvt_f32_i32_e32 v41, v8
.LBB230_2952:
	s_mov_b64 s[6:7], 0
.LBB230_2953:
	s_andn2_b64 vcc, exec, s[6:7]
	s_cbranch_vccnz .LBB230_2959
; %bb.2954:
	v_mov_b32_e32 v8, 0
	v_cmp_gt_i16_sdwa s[6:7], v45, v8 src0_sel:BYTE_0 src1_sel:DWORD
	s_and_b64 vcc, exec, s[6:7]
	s_cbranch_vccz .LBB230_2956
; %bb.2955:
	global_load_sbyte v8, v[4:5], off
	s_mov_b64 s[6:7], 0
	s_waitcnt vmcnt(0)
	v_cvt_f32_i32_e32 v41, v8
	s_branch .LBB230_2957
.LBB230_2956:
	s_mov_b64 s[6:7], -1
                                        ; implicit-def: $vgpr41
.LBB230_2957:
	s_andn2_b64 vcc, exec, s[6:7]
	s_cbranch_vccnz .LBB230_2959
; %bb.2958:
	global_load_ubyte v4, v[4:5], off
	s_waitcnt vmcnt(0)
	v_cvt_f32_ubyte0_e32 v41, v4
.LBB230_2959:
	s_mov_b64 s[10:11], -1
.LBB230_2960:
	s_andn2_b64 vcc, exec, s[10:11]
	s_cbranch_vccnz .LBB230_4064
; %bb.2961:
	v_add_u32_e32 v6, s17, v6
	v_ashrrev_i32_e32 v5, 31, v6
	v_mov_b32_e32 v8, s41
	v_add_co_u32_e32 v4, vcc, s40, v6
	s_movk_i32 s6, 0xff
	v_addc_co_u32_e32 v5, vcc, v8, v5, vcc
	v_and_b32_sdwa v8, v47, s6 dst_sel:DWORD dst_unused:UNUSED_PAD src0_sel:WORD_1 src1_sel:DWORD
	v_cmp_gt_i16_e32 vcc, 11, v8
	s_cbranch_vccnz .LBB230_2968
; %bb.2962:
	v_cmp_lt_i16_e32 vcc, 25, v8
	s_mov_b64 s[8:9], 0
	s_cbranch_vccz .LBB230_2969
; %bb.2963:
	v_cmp_lt_i16_e32 vcc, 28, v8
	s_cbranch_vccz .LBB230_2970
; %bb.2964:
	v_cmp_lt_i16_e32 vcc, 43, v8
	;; [unrolled: 3-line block ×3, first 2 shown]
	s_cbranch_vccz .LBB230_2973
; %bb.2966:
	v_cmp_eq_u16_e32 vcc, 46, v8
	s_mov_b64 s[12:13], 0
	s_cbranch_vccz .LBB230_2974
; %bb.2967:
	global_load_dword v9, v[4:5], off
	s_mov_b64 s[6:7], 0
	s_mov_b64 s[10:11], -1
	s_waitcnt vmcnt(0)
	v_lshlrev_b32_e32 v42, 16, v9
	s_branch .LBB230_2975
.LBB230_2968:
	s_mov_b64 s[6:7], -1
	s_mov_b64 s[10:11], 0
                                        ; implicit-def: $vgpr42
	s_branch .LBB230_3041
.LBB230_2969:
	s_mov_b64 s[12:13], -1
	s_mov_b64 s[10:11], 0
	s_mov_b64 s[6:7], 0
                                        ; implicit-def: $vgpr42
	s_branch .LBB230_3004
.LBB230_2970:
	s_mov_b64 s[12:13], -1
	s_mov_b64 s[10:11], 0
	s_mov_b64 s[6:7], 0
                                        ; implicit-def: $vgpr42
	s_branch .LBB230_2985
.LBB230_2971:
	s_mov_b64 s[12:13], -1
	s_mov_b64 s[10:11], 0
	s_mov_b64 s[6:7], 0
                                        ; implicit-def: $vgpr42
	s_branch .LBB230_2980
.LBB230_2972:
	s_trap 2
	s_or_b64 s[50:51], s[50:51], exec
                                        ; implicit-def: $vgpr41
	s_cbranch_execz .LBB230_2909
	s_branch .LBB230_2910
.LBB230_2973:
	s_mov_b64 s[12:13], -1
	s_mov_b64 s[10:11], 0
	s_mov_b64 s[6:7], 0
                                        ; implicit-def: $vgpr42
	s_branch .LBB230_2975
.LBB230_2974:
	s_mov_b64 s[6:7], -1
                                        ; implicit-def: $vgpr42
	s_mov_b64 s[10:11], 0
.LBB230_2975:
	s_and_b64 vcc, exec, s[12:13]
	s_cbranch_vccz .LBB230_2979
; %bb.2976:
	v_cmp_eq_u16_e32 vcc, 44, v8
	s_cbranch_vccz .LBB230_2978
; %bb.2977:
	global_load_ubyte v9, v[4:5], off
	s_movk_i32 s10, 0xff
	v_mov_b32_e32 v10, 0x7f800001
	v_mov_b32_e32 v11, 0x400000
	s_mov_b64 s[6:7], 0
	s_waitcnt vmcnt(0)
	v_lshlrev_b32_e32 v12, 23, v9
	v_cmp_ne_u32_e32 vcc, s10, v9
	v_cndmask_b32_e32 v10, v10, v12, vcc
	v_cmp_ne_u32_e32 vcc, 0, v9
	v_cndmask_b32_e32 v42, v11, v10, vcc
	s_mov_b64 s[10:11], -1
	s_branch .LBB230_2979
.LBB230_2978:
	s_mov_b64 s[6:7], -1
                                        ; implicit-def: $vgpr42
.LBB230_2979:
	s_mov_b64 s[12:13], 0
.LBB230_2980:
	s_and_b64 vcc, exec, s[12:13]
	s_cbranch_vccz .LBB230_2984
; %bb.2981:
	v_cmp_eq_u16_e32 vcc, 29, v8
	s_cbranch_vccz .LBB230_2983
; %bb.2982:
	global_load_dwordx2 v[10:11], v[4:5], off
	s_mov_b64 s[6:7], 0
	s_mov_b64 s[10:11], -1
	s_mov_b64 s[12:13], 0
	s_waitcnt vmcnt(0)
	v_ffbh_u32_e32 v9, v11
	v_min_u32_e32 v9, 32, v9
	v_lshlrev_b64 v[10:11], v9, v[10:11]
	v_min_u32_e32 v10, 1, v10
	v_or_b32_e32 v10, v11, v10
	v_cvt_f32_u32_e32 v10, v10
	v_sub_u32_e32 v9, 32, v9
	v_ldexp_f32 v42, v10, v9
	s_branch .LBB230_2985
.LBB230_2983:
	s_mov_b64 s[6:7], -1
                                        ; implicit-def: $vgpr42
.LBB230_2984:
	s_mov_b64 s[12:13], 0
.LBB230_2985:
	s_and_b64 vcc, exec, s[12:13]
	s_cbranch_vccz .LBB230_3003
; %bb.2986:
	v_cmp_gt_i16_e32 vcc, 27, v8
	s_cbranch_vccnz .LBB230_2989
; %bb.2987:
	v_cmp_lt_i16_e32 vcc, 27, v8
	s_cbranch_vccz .LBB230_2990
; %bb.2988:
	global_load_dword v9, v[4:5], off
	s_mov_b64 s[10:11], 0
	s_waitcnt vmcnt(0)
	v_cvt_f32_u32_e32 v42, v9
	s_branch .LBB230_2991
.LBB230_2989:
	s_mov_b64 s[10:11], -1
                                        ; implicit-def: $vgpr42
	s_branch .LBB230_2994
.LBB230_2990:
	s_mov_b64 s[10:11], -1
                                        ; implicit-def: $vgpr42
.LBB230_2991:
	s_andn2_b64 vcc, exec, s[10:11]
	s_cbranch_vccnz .LBB230_2993
; %bb.2992:
	global_load_ushort v9, v[4:5], off
	s_waitcnt vmcnt(0)
	v_cvt_f32_u32_e32 v42, v9
.LBB230_2993:
	s_mov_b64 s[10:11], 0
.LBB230_2994:
	s_andn2_b64 vcc, exec, s[10:11]
	s_cbranch_vccnz .LBB230_3002
; %bb.2995:
	global_load_ubyte v9, v[4:5], off
	s_movk_i32 s10, 0x7f
                                        ; implicit-def: $sgpr19
	s_waitcnt vmcnt(0)
	v_cmp_lt_i16_e32 vcc, s10, v9
	s_mov_b64 s[10:11], 0
	s_and_saveexec_b64 s[12:13], vcc
	s_xor_b64 s[12:13], exec, s[12:13]
	s_cbranch_execz .LBB230_3016
; %bb.2996:
	s_movk_i32 s10, 0x80
	v_cmp_eq_u16_e32 vcc, s10, v9
	s_mov_b64 s[10:11], -1
                                        ; implicit-def: $sgpr19
	s_and_saveexec_b64 s[14:15], vcc
; %bb.2997:
	s_mov_b32 s19, 0x7f800001
	s_xor_b64 s[10:11], exec, -1
; %bb.2998:
	s_or_b64 exec, exec, s[14:15]
	s_and_b64 s[10:11], s[10:11], exec
	s_or_saveexec_b64 s[12:13], s[12:13]
	v_mov_b32_e32 v42, s19
	s_xor_b64 exec, exec, s[12:13]
	s_cbranch_execnz .LBB230_3017
.LBB230_2999:
	s_or_b64 exec, exec, s[12:13]
	s_and_saveexec_b64 s[12:13], s[10:11]
	s_cbranch_execz .LBB230_3001
.LBB230_3000:
	v_lshlrev_b32_e32 v10, 24, v9
	v_and_b32_e32 v9, 0xffff, v9
	v_and_b32_e32 v11, 7, v9
	v_ffbh_u32_e32 v13, v11
	v_min_u32_e32 v13, 32, v13
	v_subrev_u32_e32 v14, 28, v13
	v_bfe_u32 v12, v9, 3, 4
	v_lshlrev_b32_e32 v9, v14, v9
	v_sub_u32_e32 v13, 29, v13
	v_and_b32_e32 v9, 7, v9
	v_cmp_eq_u32_e32 vcc, 0, v12
	v_cndmask_b32_e32 v12, v12, v13, vcc
	v_cndmask_b32_e32 v9, v11, v9, vcc
	v_mov_b32_e32 v11, 0x3b800000
	v_lshlrev_b32_e32 v9, 20, v9
	v_and_b32_e32 v10, 0x80000000, v10
	v_lshl_add_u32 v11, v12, 23, v11
	v_or3_b32 v42, v10, v11, v9
.LBB230_3001:
	s_or_b64 exec, exec, s[12:13]
.LBB230_3002:
	s_mov_b64 s[10:11], -1
.LBB230_3003:
	s_mov_b64 s[12:13], 0
.LBB230_3004:
	s_and_b64 vcc, exec, s[12:13]
	s_cbranch_vccz .LBB230_3037
; %bb.3005:
	v_cmp_lt_i16_e32 vcc, 22, v8
	s_cbranch_vccz .LBB230_3015
; %bb.3006:
	v_cmp_gt_i16_e32 vcc, 24, v8
	s_cbranch_vccnz .LBB230_3018
; %bb.3007:
	v_cmp_lt_i16_e32 vcc, 24, v8
	s_cbranch_vccz .LBB230_3019
; %bb.3008:
	global_load_ubyte v9, v[4:5], off
	s_movk_i32 s8, 0x7f
                                        ; implicit-def: $sgpr14
	s_waitcnt vmcnt(0)
	v_cmp_lt_i16_e32 vcc, s8, v9
	s_mov_b64 s[8:9], 0
	s_and_saveexec_b64 s[10:11], vcc
	s_xor_b64 s[10:11], exec, s[10:11]
	s_cbranch_execz .LBB230_3031
; %bb.3009:
	s_movk_i32 s8, 0x80
	v_cmp_eq_u16_e32 vcc, s8, v9
	s_mov_b64 s[8:9], -1
                                        ; implicit-def: $sgpr14
	s_and_saveexec_b64 s[12:13], vcc
; %bb.3010:
	s_mov_b32 s14, 0x7f800001
	s_xor_b64 s[8:9], exec, -1
; %bb.3011:
	s_or_b64 exec, exec, s[12:13]
	s_and_b64 s[8:9], s[8:9], exec
	s_or_saveexec_b64 s[10:11], s[10:11]
	v_mov_b32_e32 v42, s14
	s_xor_b64 exec, exec, s[10:11]
	s_cbranch_execnz .LBB230_3032
.LBB230_3012:
	s_or_b64 exec, exec, s[10:11]
	s_and_saveexec_b64 s[10:11], s[8:9]
	s_cbranch_execz .LBB230_3014
.LBB230_3013:
	v_lshlrev_b32_e32 v10, 24, v9
	v_and_b32_e32 v9, 0xffff, v9
	v_and_b32_e32 v11, 3, v9
	v_ffbh_u32_e32 v13, v11
	v_min_u32_e32 v13, 32, v13
	v_subrev_u32_e32 v14, 29, v13
	v_bfe_u32 v12, v9, 2, 5
	v_lshlrev_b32_e32 v9, v14, v9
	v_sub_u32_e32 v13, 30, v13
	v_and_b32_e32 v9, 3, v9
	v_cmp_eq_u32_e32 vcc, 0, v12
	v_cndmask_b32_e32 v12, v12, v13, vcc
	v_cndmask_b32_e32 v9, v11, v9, vcc
	v_mov_b32_e32 v11, 0x37800000
	v_lshlrev_b32_e32 v9, 21, v9
	v_and_b32_e32 v10, 0x80000000, v10
	v_lshl_add_u32 v11, v12, 23, v11
	v_or3_b32 v42, v10, v11, v9
.LBB230_3014:
	s_or_b64 exec, exec, s[10:11]
	s_mov_b64 s[8:9], 0
	s_branch .LBB230_3020
.LBB230_3015:
	s_mov_b64 s[8:9], -1
                                        ; implicit-def: $vgpr42
	s_branch .LBB230_3026
.LBB230_3016:
	s_or_saveexec_b64 s[12:13], s[12:13]
	v_mov_b32_e32 v42, s19
	s_xor_b64 exec, exec, s[12:13]
	s_cbranch_execz .LBB230_2999
.LBB230_3017:
	v_cmp_ne_u16_e32 vcc, 0, v9
	s_andn2_b64 s[10:11], s[10:11], exec
	s_and_b64 s[14:15], vcc, exec
	v_mov_b32_e32 v42, 0
	s_or_b64 s[10:11], s[10:11], s[14:15]
	s_or_b64 exec, exec, s[12:13]
	s_and_saveexec_b64 s[12:13], s[10:11]
	s_cbranch_execnz .LBB230_3000
	s_branch .LBB230_3001
.LBB230_3018:
	s_mov_b64 s[8:9], -1
                                        ; implicit-def: $vgpr42
	s_branch .LBB230_3023
.LBB230_3019:
	s_mov_b64 s[8:9], -1
                                        ; implicit-def: $vgpr42
.LBB230_3020:
	s_and_b64 vcc, exec, s[8:9]
	s_cbranch_vccz .LBB230_3022
; %bb.3021:
	global_load_ubyte v9, v[4:5], off
	s_mov_b32 s8, 0x7f800000
	s_waitcnt vmcnt(0)
	v_lshlrev_b32_e32 v9, 24, v9
	v_and_b32_e32 v10, 0x7f000000, v9
	v_ffbh_u32_e32 v11, v10
	v_min_u32_e32 v11, 32, v11
	v_sub_u32_e64 v11, v11, 4 clamp
	v_lshlrev_b32_e32 v13, v11, v10
	v_lshlrev_b32_e32 v11, 23, v11
	v_lshrrev_b32_e32 v13, 4, v13
	v_add_u32_e32 v12, 0x1000000, v10
	v_sub_u32_e32 v11, v13, v11
	v_ashrrev_i32_e32 v12, 8, v12
	v_add_u32_e32 v11, 0x3c000000, v11
	v_and_or_b32 v11, v12, s8, v11
	v_cmp_ne_u32_e32 vcc, 0, v10
	v_cndmask_b32_e32 v10, 0, v11, vcc
	s_brev_b32 s8, 1
	v_and_or_b32 v42, v9, s8, v10
.LBB230_3022:
	s_mov_b64 s[8:9], 0
.LBB230_3023:
	s_andn2_b64 vcc, exec, s[8:9]
	s_cbranch_vccnz .LBB230_3025
; %bb.3024:
	global_load_ubyte v9, v[4:5], off
	s_movk_i32 s8, 0x7f00
	s_brev_b32 s9, 16
	s_waitcnt vmcnt(0)
	v_lshlrev_b16_e32 v10, 8, v9
	v_lshlrev_b32_e32 v9, 25, v9
	v_lshrrev_b32_e32 v11, 4, v9
	v_and_or_b32 v12, v10, s8, 0.5
	v_or_b32_e32 v11, 0x70000000, v11
	v_add_f32_e32 v12, -0.5, v12
	v_mul_f32_e32 v11, 0x7800000, v11
	v_cmp_gt_u32_e32 vcc, s9, v9
	v_bfe_i32 v10, v10, 0, 16
	v_cndmask_b32_e32 v9, v11, v12, vcc
	s_brev_b32 s8, 1
	v_and_or_b32 v42, v10, s8, v9
.LBB230_3025:
	s_mov_b64 s[8:9], 0
	s_mov_b64 s[10:11], -1
.LBB230_3026:
	s_andn2_b64 vcc, exec, s[8:9]
	s_mov_b64 s[8:9], 0
	s_cbranch_vccnz .LBB230_3037
; %bb.3027:
	v_cmp_lt_i16_e32 vcc, 14, v8
	s_cbranch_vccz .LBB230_3030
; %bb.3028:
	v_cmp_eq_u16_e32 vcc, 15, v8
	s_cbranch_vccz .LBB230_3033
; %bb.3029:
	global_load_ushort v9, v[4:5], off
	s_mov_b64 s[6:7], 0
	s_mov_b64 s[10:11], -1
	s_waitcnt vmcnt(0)
	v_lshlrev_b32_e32 v42, 16, v9
	s_branch .LBB230_3034
.LBB230_3030:
	s_mov_b64 s[12:13], -1
                                        ; implicit-def: $vgpr42
	s_branch .LBB230_3035
.LBB230_3031:
	s_or_saveexec_b64 s[10:11], s[10:11]
	v_mov_b32_e32 v42, s14
	s_xor_b64 exec, exec, s[10:11]
	s_cbranch_execz .LBB230_3012
.LBB230_3032:
	v_cmp_ne_u16_e32 vcc, 0, v9
	s_andn2_b64 s[8:9], s[8:9], exec
	s_and_b64 s[12:13], vcc, exec
	v_mov_b32_e32 v42, 0
	s_or_b64 s[8:9], s[8:9], s[12:13]
	s_or_b64 exec, exec, s[10:11]
	s_and_saveexec_b64 s[10:11], s[8:9]
	s_cbranch_execnz .LBB230_3013
	s_branch .LBB230_3014
.LBB230_3033:
	s_mov_b64 s[6:7], -1
                                        ; implicit-def: $vgpr42
.LBB230_3034:
	s_mov_b64 s[12:13], 0
.LBB230_3035:
	s_and_b64 vcc, exec, s[12:13]
	s_cbranch_vccz .LBB230_3037
; %bb.3036:
	v_cmp_ne_u16_e64 s[6:7], 11, v8
	s_mov_b64 s[8:9], -1
                                        ; implicit-def: $vgpr42
.LBB230_3037:
	s_and_b64 vcc, exec, s[6:7]
	s_cbranch_vccnz .LBB230_3102
; %bb.3038:
	s_andn2_b64 vcc, exec, s[8:9]
	s_cbranch_vccnz .LBB230_3040
.LBB230_3039:
	global_load_ubyte v9, v[4:5], off
	s_mov_b64 s[10:11], -1
	s_waitcnt vmcnt(0)
	v_cmp_ne_u16_e32 vcc, 0, v9
	v_cndmask_b32_e64 v42, 0, 1.0, vcc
.LBB230_3040:
	s_mov_b64 s[6:7], 0
.LBB230_3041:
	s_and_b64 vcc, exec, s[6:7]
	s_cbranch_vccz .LBB230_3090
; %bb.3042:
	v_cmp_gt_i16_e32 vcc, 5, v8
	s_cbranch_vccnz .LBB230_3047
; %bb.3043:
	v_cmp_gt_i16_e32 vcc, 8, v8
	s_cbranch_vccnz .LBB230_3048
	;; [unrolled: 3-line block ×3, first 2 shown]
; %bb.3045:
	v_cmp_lt_i16_e32 vcc, 9, v8
	s_cbranch_vccz .LBB230_3050
; %bb.3046:
	global_load_dwordx2 v[10:11], v[4:5], off
	s_mov_b64 s[6:7], 0
	s_waitcnt vmcnt(0)
	v_cvt_f32_f64_e32 v42, v[10:11]
	s_branch .LBB230_3051
.LBB230_3047:
	s_mov_b64 s[6:7], -1
                                        ; implicit-def: $vgpr42
	s_branch .LBB230_3069
.LBB230_3048:
	s_mov_b64 s[6:7], -1
                                        ; implicit-def: $vgpr42
	s_branch .LBB230_3057
.LBB230_3049:
	s_mov_b64 s[6:7], -1
                                        ; implicit-def: $vgpr42
	s_branch .LBB230_3054
.LBB230_3050:
	s_mov_b64 s[6:7], -1
                                        ; implicit-def: $vgpr42
.LBB230_3051:
	s_andn2_b64 vcc, exec, s[6:7]
	s_cbranch_vccnz .LBB230_3053
; %bb.3052:
	global_load_dword v42, v[4:5], off
.LBB230_3053:
	s_mov_b64 s[6:7], 0
.LBB230_3054:
	s_andn2_b64 vcc, exec, s[6:7]
	s_cbranch_vccnz .LBB230_3056
; %bb.3055:
	global_load_dword v9, v[4:5], off
	s_waitcnt vmcnt(0)
	v_cvt_f32_f16_e32 v42, v9
.LBB230_3056:
	s_mov_b64 s[6:7], 0
.LBB230_3057:
	s_andn2_b64 vcc, exec, s[6:7]
	s_cbranch_vccnz .LBB230_3068
; %bb.3058:
	v_cmp_gt_i16_e32 vcc, 6, v8
	s_cbranch_vccnz .LBB230_3061
; %bb.3059:
	v_cmp_lt_i16_e32 vcc, 6, v8
	s_cbranch_vccz .LBB230_3062
; %bb.3060:
	global_load_dwordx2 v[10:11], v[4:5], off
	s_mov_b64 s[6:7], 0
	s_waitcnt vmcnt(0)
	v_cvt_f32_f64_e32 v42, v[10:11]
	s_branch .LBB230_3063
.LBB230_3061:
	s_mov_b64 s[6:7], -1
                                        ; implicit-def: $vgpr42
	s_branch .LBB230_3066
.LBB230_3062:
	s_mov_b64 s[6:7], -1
                                        ; implicit-def: $vgpr42
.LBB230_3063:
	s_andn2_b64 vcc, exec, s[6:7]
	s_cbranch_vccnz .LBB230_3065
; %bb.3064:
	global_load_dword v42, v[4:5], off
.LBB230_3065:
	s_mov_b64 s[6:7], 0
.LBB230_3066:
	s_andn2_b64 vcc, exec, s[6:7]
	s_cbranch_vccnz .LBB230_3068
; %bb.3067:
	global_load_ushort v9, v[4:5], off
	s_waitcnt vmcnt(0)
	v_cvt_f32_f16_e32 v42, v9
.LBB230_3068:
	s_mov_b64 s[6:7], 0
.LBB230_3069:
	s_andn2_b64 vcc, exec, s[6:7]
	s_cbranch_vccnz .LBB230_3089
; %bb.3070:
	v_cmp_gt_i16_e32 vcc, 2, v8
	s_cbranch_vccnz .LBB230_3074
; %bb.3071:
	v_cmp_gt_i16_e32 vcc, 3, v8
	s_cbranch_vccnz .LBB230_3075
; %bb.3072:
	v_cmp_lt_i16_e32 vcc, 3, v8
	s_cbranch_vccz .LBB230_3076
; %bb.3073:
	global_load_dwordx2 v[10:11], v[4:5], off
	s_mov_b64 s[6:7], 0
	s_waitcnt vmcnt(0)
	v_xor_b32_e32 v12, v10, v11
	v_ffbh_i32_e32 v9, v11
	v_ashrrev_i32_e32 v12, 31, v12
	v_add_u32_e32 v9, -1, v9
	v_add_u32_e32 v12, 32, v12
	v_min_u32_e32 v9, v9, v12
	v_lshlrev_b64 v[10:11], v9, v[10:11]
	v_min_u32_e32 v10, 1, v10
	v_or_b32_e32 v10, v11, v10
	v_cvt_f32_i32_e32 v10, v10
	v_sub_u32_e32 v9, 32, v9
	v_ldexp_f32 v42, v10, v9
	s_branch .LBB230_3077
.LBB230_3074:
	s_mov_b64 s[6:7], -1
                                        ; implicit-def: $vgpr42
	s_branch .LBB230_3083
.LBB230_3075:
	s_mov_b64 s[6:7], -1
                                        ; implicit-def: $vgpr42
	s_branch .LBB230_3080
.LBB230_3076:
	s_mov_b64 s[6:7], -1
                                        ; implicit-def: $vgpr42
.LBB230_3077:
	s_andn2_b64 vcc, exec, s[6:7]
	s_cbranch_vccnz .LBB230_3079
; %bb.3078:
	global_load_dword v9, v[4:5], off
	s_waitcnt vmcnt(0)
	v_cvt_f32_i32_e32 v42, v9
.LBB230_3079:
	s_mov_b64 s[6:7], 0
.LBB230_3080:
	s_andn2_b64 vcc, exec, s[6:7]
	s_cbranch_vccnz .LBB230_3082
; %bb.3081:
	global_load_sshort v9, v[4:5], off
	s_waitcnt vmcnt(0)
	v_cvt_f32_i32_e32 v42, v9
.LBB230_3082:
	s_mov_b64 s[6:7], 0
.LBB230_3083:
	s_andn2_b64 vcc, exec, s[6:7]
	s_cbranch_vccnz .LBB230_3089
; %bb.3084:
	v_cmp_lt_i16_e32 vcc, 0, v8
	s_cbranch_vccz .LBB230_3086
; %bb.3085:
	global_load_sbyte v8, v[4:5], off
	s_mov_b64 s[6:7], 0
	s_waitcnt vmcnt(0)
	v_cvt_f32_i32_e32 v42, v8
	s_branch .LBB230_3087
.LBB230_3086:
	s_mov_b64 s[6:7], -1
                                        ; implicit-def: $vgpr42
.LBB230_3087:
	s_andn2_b64 vcc, exec, s[6:7]
	s_cbranch_vccnz .LBB230_3089
; %bb.3088:
	global_load_ubyte v4, v[4:5], off
	s_waitcnt vmcnt(0)
	v_cvt_f32_ubyte0_e32 v42, v4
.LBB230_3089:
	s_mov_b64 s[10:11], -1
.LBB230_3090:
	s_andn2_b64 vcc, exec, s[10:11]
	s_cbranch_vccnz .LBB230_4064
; %bb.3091:
	v_add_u32_e32 v3, s18, v3
	v_ashrrev_i32_e32 v5, 31, v3
	v_mov_b32_e32 v8, s43
	v_add_co_u32_e32 v4, vcc, s42, v3
	v_addc_co_u32_e32 v5, vcc, v8, v5, vcc
	s_and_b64 vcc, exec, s[4:5]
	s_cbranch_vccnz .LBB230_3098
; %bb.3092:
	v_cmp_lt_i16_e32 vcc, 25, v49
	s_mov_b64 s[8:9], 0
	s_cbranch_vccz .LBB230_3099
; %bb.3093:
	v_cmp_lt_i16_e32 vcc, 28, v49
	s_cbranch_vccz .LBB230_3100
; %bb.3094:
	v_cmp_lt_i16_e32 vcc, 43, v49
	;; [unrolled: 3-line block ×3, first 2 shown]
	s_cbranch_vccz .LBB230_3103
; %bb.3096:
	v_cmp_eq_u16_e32 vcc, 46, v49
	s_mov_b64 s[12:13], 0
	s_cbranch_vccz .LBB230_3104
; %bb.3097:
	global_load_dword v8, v[4:5], off
	s_mov_b64 s[6:7], 0
	s_mov_b64 s[10:11], -1
	s_waitcnt vmcnt(0)
	v_lshlrev_b32_e32 v43, 16, v8
	s_branch .LBB230_3105
.LBB230_3098:
	s_mov_b64 s[6:7], -1
	s_mov_b64 s[10:11], 0
                                        ; implicit-def: $vgpr43
	s_branch .LBB230_3171
.LBB230_3099:
	s_mov_b64 s[12:13], -1
	s_mov_b64 s[10:11], 0
	s_mov_b64 s[6:7], 0
                                        ; implicit-def: $vgpr43
	s_branch .LBB230_3134
.LBB230_3100:
	s_mov_b64 s[12:13], -1
	s_mov_b64 s[10:11], 0
	s_mov_b64 s[6:7], 0
                                        ; implicit-def: $vgpr43
	s_branch .LBB230_3115
.LBB230_3101:
	s_mov_b64 s[12:13], -1
	s_mov_b64 s[10:11], 0
	s_mov_b64 s[6:7], 0
                                        ; implicit-def: $vgpr43
	s_branch .LBB230_3110
.LBB230_3102:
	s_trap 2
	s_or_b64 s[50:51], s[50:51], exec
                                        ; implicit-def: $vgpr42
	s_cbranch_execz .LBB230_3039
	s_branch .LBB230_3040
.LBB230_3103:
	s_mov_b64 s[12:13], -1
	s_mov_b64 s[10:11], 0
	s_mov_b64 s[6:7], 0
                                        ; implicit-def: $vgpr43
	s_branch .LBB230_3105
.LBB230_3104:
	s_mov_b64 s[6:7], -1
                                        ; implicit-def: $vgpr43
	s_mov_b64 s[10:11], 0
.LBB230_3105:
	s_and_b64 vcc, exec, s[12:13]
	s_cbranch_vccz .LBB230_3109
; %bb.3106:
	v_cmp_eq_u16_e32 vcc, 44, v49
	s_cbranch_vccz .LBB230_3108
; %bb.3107:
	global_load_ubyte v8, v[4:5], off
	s_movk_i32 s10, 0xff
	v_mov_b32_e32 v9, 0x7f800001
	v_mov_b32_e32 v10, 0x400000
	s_mov_b64 s[6:7], 0
	s_waitcnt vmcnt(0)
	v_lshlrev_b32_e32 v11, 23, v8
	v_cmp_ne_u32_e32 vcc, s10, v8
	v_cndmask_b32_e32 v9, v9, v11, vcc
	v_cmp_ne_u32_e32 vcc, 0, v8
	v_cndmask_b32_e32 v43, v10, v9, vcc
	s_mov_b64 s[10:11], -1
	s_branch .LBB230_3109
.LBB230_3108:
	s_mov_b64 s[6:7], -1
                                        ; implicit-def: $vgpr43
.LBB230_3109:
	s_mov_b64 s[12:13], 0
.LBB230_3110:
	s_and_b64 vcc, exec, s[12:13]
	s_cbranch_vccz .LBB230_3114
; %bb.3111:
	v_cmp_eq_u16_e32 vcc, 29, v49
	s_cbranch_vccz .LBB230_3113
; %bb.3112:
	global_load_dwordx2 v[8:9], v[4:5], off
	s_mov_b64 s[6:7], 0
	s_mov_b64 s[10:11], -1
	s_mov_b64 s[12:13], 0
	s_waitcnt vmcnt(0)
	v_ffbh_u32_e32 v10, v9
	v_min_u32_e32 v10, 32, v10
	v_lshlrev_b64 v[8:9], v10, v[8:9]
	v_min_u32_e32 v8, 1, v8
	v_or_b32_e32 v8, v9, v8
	v_cvt_f32_u32_e32 v8, v8
	v_sub_u32_e32 v9, 32, v10
	v_ldexp_f32 v43, v8, v9
	s_branch .LBB230_3115
.LBB230_3113:
	s_mov_b64 s[6:7], -1
                                        ; implicit-def: $vgpr43
.LBB230_3114:
	s_mov_b64 s[12:13], 0
.LBB230_3115:
	s_and_b64 vcc, exec, s[12:13]
	s_cbranch_vccz .LBB230_3133
; %bb.3116:
	v_cmp_gt_i16_e32 vcc, 27, v49
	s_cbranch_vccnz .LBB230_3119
; %bb.3117:
	v_cmp_lt_i16_e32 vcc, 27, v49
	s_cbranch_vccz .LBB230_3120
; %bb.3118:
	global_load_dword v8, v[4:5], off
	s_mov_b64 s[10:11], 0
	s_waitcnt vmcnt(0)
	v_cvt_f32_u32_e32 v43, v8
	s_branch .LBB230_3121
.LBB230_3119:
	s_mov_b64 s[10:11], -1
                                        ; implicit-def: $vgpr43
	s_branch .LBB230_3124
.LBB230_3120:
	s_mov_b64 s[10:11], -1
                                        ; implicit-def: $vgpr43
.LBB230_3121:
	s_andn2_b64 vcc, exec, s[10:11]
	s_cbranch_vccnz .LBB230_3123
; %bb.3122:
	global_load_ushort v8, v[4:5], off
	s_waitcnt vmcnt(0)
	v_cvt_f32_u32_e32 v43, v8
.LBB230_3123:
	s_mov_b64 s[10:11], 0
.LBB230_3124:
	s_andn2_b64 vcc, exec, s[10:11]
	s_cbranch_vccnz .LBB230_3132
; %bb.3125:
	global_load_ubyte v8, v[4:5], off
	s_movk_i32 s10, 0x7f
                                        ; implicit-def: $sgpr19
	s_waitcnt vmcnt(0)
	v_cmp_lt_i16_e32 vcc, s10, v8
	s_mov_b64 s[10:11], 0
	s_and_saveexec_b64 s[12:13], vcc
	s_xor_b64 s[12:13], exec, s[12:13]
	s_cbranch_execz .LBB230_3146
; %bb.3126:
	s_movk_i32 s10, 0x80
	v_cmp_eq_u16_e32 vcc, s10, v8
	s_mov_b64 s[10:11], -1
                                        ; implicit-def: $sgpr19
	s_and_saveexec_b64 s[14:15], vcc
; %bb.3127:
	s_mov_b32 s19, 0x7f800001
	s_xor_b64 s[10:11], exec, -1
; %bb.3128:
	s_or_b64 exec, exec, s[14:15]
	s_and_b64 s[10:11], s[10:11], exec
	s_or_saveexec_b64 s[12:13], s[12:13]
	v_mov_b32_e32 v43, s19
	s_xor_b64 exec, exec, s[12:13]
	s_cbranch_execnz .LBB230_3147
.LBB230_3129:
	s_or_b64 exec, exec, s[12:13]
	s_and_saveexec_b64 s[12:13], s[10:11]
	s_cbranch_execz .LBB230_3131
.LBB230_3130:
	v_lshlrev_b32_e32 v9, 24, v8
	v_and_b32_e32 v8, 0xffff, v8
	v_and_b32_e32 v10, 7, v8
	v_ffbh_u32_e32 v12, v10
	v_min_u32_e32 v12, 32, v12
	v_subrev_u32_e32 v13, 28, v12
	v_bfe_u32 v11, v8, 3, 4
	v_lshlrev_b32_e32 v8, v13, v8
	v_sub_u32_e32 v12, 29, v12
	v_and_b32_e32 v8, 7, v8
	v_cmp_eq_u32_e32 vcc, 0, v11
	v_cndmask_b32_e32 v11, v11, v12, vcc
	v_cndmask_b32_e32 v8, v10, v8, vcc
	v_mov_b32_e32 v10, 0x3b800000
	v_lshlrev_b32_e32 v8, 20, v8
	v_and_b32_e32 v9, 0x80000000, v9
	v_lshl_add_u32 v10, v11, 23, v10
	v_or3_b32 v43, v9, v10, v8
.LBB230_3131:
	s_or_b64 exec, exec, s[12:13]
.LBB230_3132:
	s_mov_b64 s[10:11], -1
.LBB230_3133:
	s_mov_b64 s[12:13], 0
.LBB230_3134:
	s_and_b64 vcc, exec, s[12:13]
	s_cbranch_vccz .LBB230_3167
; %bb.3135:
	v_cmp_lt_i16_e32 vcc, 22, v49
	s_cbranch_vccz .LBB230_3145
; %bb.3136:
	v_cmp_gt_i16_e32 vcc, 24, v49
	s_cbranch_vccnz .LBB230_3148
; %bb.3137:
	v_cmp_lt_i16_e32 vcc, 24, v49
	s_cbranch_vccz .LBB230_3149
; %bb.3138:
	global_load_ubyte v8, v[4:5], off
	s_movk_i32 s8, 0x7f
                                        ; implicit-def: $sgpr14
	s_waitcnt vmcnt(0)
	v_cmp_lt_i16_e32 vcc, s8, v8
	s_mov_b64 s[8:9], 0
	s_and_saveexec_b64 s[10:11], vcc
	s_xor_b64 s[10:11], exec, s[10:11]
	s_cbranch_execz .LBB230_3161
; %bb.3139:
	s_movk_i32 s8, 0x80
	v_cmp_eq_u16_e32 vcc, s8, v8
	s_mov_b64 s[8:9], -1
                                        ; implicit-def: $sgpr14
	s_and_saveexec_b64 s[12:13], vcc
; %bb.3140:
	s_mov_b32 s14, 0x7f800001
	s_xor_b64 s[8:9], exec, -1
; %bb.3141:
	s_or_b64 exec, exec, s[12:13]
	s_and_b64 s[8:9], s[8:9], exec
	s_or_saveexec_b64 s[10:11], s[10:11]
	v_mov_b32_e32 v43, s14
	s_xor_b64 exec, exec, s[10:11]
	s_cbranch_execnz .LBB230_3162
.LBB230_3142:
	s_or_b64 exec, exec, s[10:11]
	s_and_saveexec_b64 s[10:11], s[8:9]
	s_cbranch_execz .LBB230_3144
.LBB230_3143:
	v_lshlrev_b32_e32 v9, 24, v8
	v_and_b32_e32 v8, 0xffff, v8
	v_and_b32_e32 v10, 3, v8
	v_ffbh_u32_e32 v12, v10
	v_min_u32_e32 v12, 32, v12
	v_subrev_u32_e32 v13, 29, v12
	v_bfe_u32 v11, v8, 2, 5
	v_lshlrev_b32_e32 v8, v13, v8
	v_sub_u32_e32 v12, 30, v12
	v_and_b32_e32 v8, 3, v8
	v_cmp_eq_u32_e32 vcc, 0, v11
	v_cndmask_b32_e32 v11, v11, v12, vcc
	v_cndmask_b32_e32 v8, v10, v8, vcc
	v_mov_b32_e32 v10, 0x37800000
	v_lshlrev_b32_e32 v8, 21, v8
	v_and_b32_e32 v9, 0x80000000, v9
	v_lshl_add_u32 v10, v11, 23, v10
	v_or3_b32 v43, v9, v10, v8
.LBB230_3144:
	s_or_b64 exec, exec, s[10:11]
	s_mov_b64 s[8:9], 0
	s_branch .LBB230_3150
.LBB230_3145:
	s_mov_b64 s[8:9], -1
                                        ; implicit-def: $vgpr43
	s_branch .LBB230_3156
.LBB230_3146:
	s_or_saveexec_b64 s[12:13], s[12:13]
	v_mov_b32_e32 v43, s19
	s_xor_b64 exec, exec, s[12:13]
	s_cbranch_execz .LBB230_3129
.LBB230_3147:
	v_cmp_ne_u16_e32 vcc, 0, v8
	s_andn2_b64 s[10:11], s[10:11], exec
	s_and_b64 s[14:15], vcc, exec
	v_mov_b32_e32 v43, 0
	s_or_b64 s[10:11], s[10:11], s[14:15]
	s_or_b64 exec, exec, s[12:13]
	s_and_saveexec_b64 s[12:13], s[10:11]
	s_cbranch_execnz .LBB230_3130
	s_branch .LBB230_3131
.LBB230_3148:
	s_mov_b64 s[8:9], -1
                                        ; implicit-def: $vgpr43
	s_branch .LBB230_3153
.LBB230_3149:
	s_mov_b64 s[8:9], -1
                                        ; implicit-def: $vgpr43
.LBB230_3150:
	s_and_b64 vcc, exec, s[8:9]
	s_cbranch_vccz .LBB230_3152
; %bb.3151:
	global_load_ubyte v8, v[4:5], off
	s_mov_b32 s8, 0x7f800000
	s_waitcnt vmcnt(0)
	v_lshlrev_b32_e32 v8, 24, v8
	v_and_b32_e32 v9, 0x7f000000, v8
	v_ffbh_u32_e32 v10, v9
	v_min_u32_e32 v10, 32, v10
	v_sub_u32_e64 v10, v10, 4 clamp
	v_lshlrev_b32_e32 v12, v10, v9
	v_lshlrev_b32_e32 v10, 23, v10
	v_lshrrev_b32_e32 v12, 4, v12
	v_add_u32_e32 v11, 0x1000000, v9
	v_sub_u32_e32 v10, v12, v10
	v_ashrrev_i32_e32 v11, 8, v11
	v_add_u32_e32 v10, 0x3c000000, v10
	v_and_or_b32 v10, v11, s8, v10
	v_cmp_ne_u32_e32 vcc, 0, v9
	v_cndmask_b32_e32 v9, 0, v10, vcc
	s_brev_b32 s8, 1
	v_and_or_b32 v43, v8, s8, v9
.LBB230_3152:
	s_mov_b64 s[8:9], 0
.LBB230_3153:
	s_andn2_b64 vcc, exec, s[8:9]
	s_cbranch_vccnz .LBB230_3155
; %bb.3154:
	global_load_ubyte v8, v[4:5], off
	s_movk_i32 s8, 0x7f00
	s_brev_b32 s9, 16
	s_waitcnt vmcnt(0)
	v_lshlrev_b16_e32 v9, 8, v8
	v_lshlrev_b32_e32 v8, 25, v8
	v_lshrrev_b32_e32 v10, 4, v8
	v_and_or_b32 v11, v9, s8, 0.5
	v_or_b32_e32 v10, 0x70000000, v10
	v_add_f32_e32 v11, -0.5, v11
	v_mul_f32_e32 v10, 0x7800000, v10
	v_cmp_gt_u32_e32 vcc, s9, v8
	v_bfe_i32 v9, v9, 0, 16
	v_cndmask_b32_e32 v8, v10, v11, vcc
	s_brev_b32 s8, 1
	v_and_or_b32 v43, v9, s8, v8
.LBB230_3155:
	s_mov_b64 s[8:9], 0
	s_mov_b64 s[10:11], -1
.LBB230_3156:
	s_andn2_b64 vcc, exec, s[8:9]
	s_mov_b64 s[8:9], 0
	s_cbranch_vccnz .LBB230_3167
; %bb.3157:
	v_cmp_lt_i16_e32 vcc, 14, v49
	s_cbranch_vccz .LBB230_3160
; %bb.3158:
	v_cmp_eq_u16_e32 vcc, 15, v49
	s_cbranch_vccz .LBB230_3163
; %bb.3159:
	global_load_ushort v8, v[4:5], off
	s_mov_b64 s[6:7], 0
	s_mov_b64 s[10:11], -1
	s_waitcnt vmcnt(0)
	v_lshlrev_b32_e32 v43, 16, v8
	s_branch .LBB230_3164
.LBB230_3160:
	s_mov_b64 s[12:13], -1
                                        ; implicit-def: $vgpr43
	s_branch .LBB230_3165
.LBB230_3161:
	s_or_saveexec_b64 s[10:11], s[10:11]
	v_mov_b32_e32 v43, s14
	s_xor_b64 exec, exec, s[10:11]
	s_cbranch_execz .LBB230_3142
.LBB230_3162:
	v_cmp_ne_u16_e32 vcc, 0, v8
	s_andn2_b64 s[8:9], s[8:9], exec
	s_and_b64 s[12:13], vcc, exec
	v_mov_b32_e32 v43, 0
	s_or_b64 s[8:9], s[8:9], s[12:13]
	s_or_b64 exec, exec, s[10:11]
	s_and_saveexec_b64 s[10:11], s[8:9]
	s_cbranch_execnz .LBB230_3143
	s_branch .LBB230_3144
.LBB230_3163:
	s_mov_b64 s[6:7], -1
                                        ; implicit-def: $vgpr43
.LBB230_3164:
	s_mov_b64 s[12:13], 0
.LBB230_3165:
	s_and_b64 vcc, exec, s[12:13]
	s_cbranch_vccz .LBB230_3167
; %bb.3166:
	v_cmp_ne_u16_e64 s[6:7], 11, v49
	s_mov_b64 s[8:9], -1
                                        ; implicit-def: $vgpr43
.LBB230_3167:
	s_and_b64 vcc, exec, s[6:7]
	s_cbranch_vccnz .LBB230_3232
; %bb.3168:
	s_andn2_b64 vcc, exec, s[8:9]
	s_cbranch_vccnz .LBB230_3170
.LBB230_3169:
	global_load_ubyte v8, v[4:5], off
	s_mov_b64 s[10:11], -1
	s_waitcnt vmcnt(0)
	v_cmp_ne_u16_e32 vcc, 0, v8
	v_cndmask_b32_e64 v43, 0, 1.0, vcc
.LBB230_3170:
	s_mov_b64 s[6:7], 0
.LBB230_3171:
	s_and_b64 vcc, exec, s[6:7]
	s_cbranch_vccz .LBB230_3220
; %bb.3172:
	v_cmp_gt_i16_e32 vcc, 5, v49
	s_cbranch_vccnz .LBB230_3177
; %bb.3173:
	v_cmp_gt_i16_e32 vcc, 8, v49
	s_cbranch_vccnz .LBB230_3178
	;; [unrolled: 3-line block ×3, first 2 shown]
; %bb.3175:
	v_cmp_lt_i16_e32 vcc, 9, v49
	s_cbranch_vccz .LBB230_3180
; %bb.3176:
	global_load_dwordx2 v[8:9], v[4:5], off
	s_mov_b64 s[6:7], 0
	s_waitcnt vmcnt(0)
	v_cvt_f32_f64_e32 v43, v[8:9]
	s_branch .LBB230_3181
.LBB230_3177:
	s_mov_b64 s[6:7], -1
                                        ; implicit-def: $vgpr43
	s_branch .LBB230_3199
.LBB230_3178:
	s_mov_b64 s[6:7], -1
                                        ; implicit-def: $vgpr43
	s_branch .LBB230_3187
.LBB230_3179:
	s_mov_b64 s[6:7], -1
                                        ; implicit-def: $vgpr43
	s_branch .LBB230_3184
.LBB230_3180:
	s_mov_b64 s[6:7], -1
                                        ; implicit-def: $vgpr43
.LBB230_3181:
	s_andn2_b64 vcc, exec, s[6:7]
	s_cbranch_vccnz .LBB230_3183
; %bb.3182:
	global_load_dword v43, v[4:5], off
.LBB230_3183:
	s_mov_b64 s[6:7], 0
.LBB230_3184:
	s_andn2_b64 vcc, exec, s[6:7]
	s_cbranch_vccnz .LBB230_3186
; %bb.3185:
	global_load_dword v8, v[4:5], off
	s_waitcnt vmcnt(0)
	v_cvt_f32_f16_e32 v43, v8
.LBB230_3186:
	s_mov_b64 s[6:7], 0
.LBB230_3187:
	s_andn2_b64 vcc, exec, s[6:7]
	s_cbranch_vccnz .LBB230_3198
; %bb.3188:
	v_cmp_gt_i16_e32 vcc, 6, v49
	s_cbranch_vccnz .LBB230_3191
; %bb.3189:
	v_cmp_lt_i16_e32 vcc, 6, v49
	s_cbranch_vccz .LBB230_3192
; %bb.3190:
	global_load_dwordx2 v[8:9], v[4:5], off
	s_mov_b64 s[6:7], 0
	s_waitcnt vmcnt(0)
	v_cvt_f32_f64_e32 v43, v[8:9]
	s_branch .LBB230_3193
.LBB230_3191:
	s_mov_b64 s[6:7], -1
                                        ; implicit-def: $vgpr43
	s_branch .LBB230_3196
.LBB230_3192:
	s_mov_b64 s[6:7], -1
                                        ; implicit-def: $vgpr43
.LBB230_3193:
	s_andn2_b64 vcc, exec, s[6:7]
	s_cbranch_vccnz .LBB230_3195
; %bb.3194:
	global_load_dword v43, v[4:5], off
.LBB230_3195:
	s_mov_b64 s[6:7], 0
.LBB230_3196:
	s_andn2_b64 vcc, exec, s[6:7]
	s_cbranch_vccnz .LBB230_3198
; %bb.3197:
	global_load_ushort v8, v[4:5], off
	s_waitcnt vmcnt(0)
	v_cvt_f32_f16_e32 v43, v8
.LBB230_3198:
	s_mov_b64 s[6:7], 0
.LBB230_3199:
	s_andn2_b64 vcc, exec, s[6:7]
	s_cbranch_vccnz .LBB230_3219
; %bb.3200:
	v_cmp_gt_i16_e32 vcc, 2, v49
	s_cbranch_vccnz .LBB230_3204
; %bb.3201:
	v_cmp_gt_i16_e32 vcc, 3, v49
	s_cbranch_vccnz .LBB230_3205
; %bb.3202:
	v_cmp_lt_i16_e32 vcc, 3, v49
	s_cbranch_vccz .LBB230_3206
; %bb.3203:
	global_load_dwordx2 v[8:9], v[4:5], off
	s_mov_b64 s[6:7], 0
	s_waitcnt vmcnt(0)
	v_xor_b32_e32 v11, v8, v9
	v_ffbh_i32_e32 v10, v9
	v_ashrrev_i32_e32 v11, 31, v11
	v_add_u32_e32 v10, -1, v10
	v_add_u32_e32 v11, 32, v11
	v_min_u32_e32 v10, v10, v11
	v_lshlrev_b64 v[8:9], v10, v[8:9]
	v_min_u32_e32 v8, 1, v8
	v_or_b32_e32 v8, v9, v8
	v_cvt_f32_i32_e32 v8, v8
	v_sub_u32_e32 v9, 32, v10
	v_ldexp_f32 v43, v8, v9
	s_branch .LBB230_3207
.LBB230_3204:
	s_mov_b64 s[6:7], -1
                                        ; implicit-def: $vgpr43
	s_branch .LBB230_3213
.LBB230_3205:
	s_mov_b64 s[6:7], -1
                                        ; implicit-def: $vgpr43
	s_branch .LBB230_3210
.LBB230_3206:
	s_mov_b64 s[6:7], -1
                                        ; implicit-def: $vgpr43
.LBB230_3207:
	s_andn2_b64 vcc, exec, s[6:7]
	s_cbranch_vccnz .LBB230_3209
; %bb.3208:
	global_load_dword v8, v[4:5], off
	s_waitcnt vmcnt(0)
	v_cvt_f32_i32_e32 v43, v8
.LBB230_3209:
	s_mov_b64 s[6:7], 0
.LBB230_3210:
	s_andn2_b64 vcc, exec, s[6:7]
	s_cbranch_vccnz .LBB230_3212
; %bb.3211:
	global_load_sshort v8, v[4:5], off
	s_waitcnt vmcnt(0)
	v_cvt_f32_i32_e32 v43, v8
.LBB230_3212:
	s_mov_b64 s[6:7], 0
.LBB230_3213:
	s_andn2_b64 vcc, exec, s[6:7]
	s_cbranch_vccnz .LBB230_3219
; %bb.3214:
	v_cmp_lt_i16_e32 vcc, 0, v49
	s_cbranch_vccz .LBB230_3216
; %bb.3215:
	global_load_sbyte v8, v[4:5], off
	s_mov_b64 s[6:7], 0
	s_waitcnt vmcnt(0)
	v_cvt_f32_i32_e32 v43, v8
	s_branch .LBB230_3217
.LBB230_3216:
	s_mov_b64 s[6:7], -1
                                        ; implicit-def: $vgpr43
.LBB230_3217:
	s_andn2_b64 vcc, exec, s[6:7]
	s_cbranch_vccnz .LBB230_3219
; %bb.3218:
	global_load_ubyte v4, v[4:5], off
	s_waitcnt vmcnt(0)
	v_cvt_f32_ubyte0_e32 v43, v4
.LBB230_3219:
	s_mov_b64 s[10:11], -1
.LBB230_3220:
	s_andn2_b64 vcc, exec, s[10:11]
	s_cbranch_vccnz .LBB230_4064
; %bb.3221:
	v_add_u32_e32 v4, s16, v7
	v_ashrrev_i32_e32 v5, 31, v4
	v_mov_b32_e32 v7, s39
	v_add_co_u32_e32 v4, vcc, s38, v4
	v_addc_co_u32_e32 v5, vcc, v7, v5, vcc
	v_mov_b32_e32 v7, 11
	v_cmp_lt_i16_sdwa s[6:7], v45, v7 src0_sel:BYTE_0 src1_sel:DWORD
	s_and_b64 vcc, exec, s[6:7]
	s_cbranch_vccnz .LBB230_3228
; %bb.3222:
	v_mov_b32_e32 v7, 25
	v_cmp_gt_i16_sdwa s[6:7], v45, v7 src0_sel:BYTE_0 src1_sel:DWORD
	s_mov_b64 s[8:9], 0
	s_and_b64 vcc, exec, s[6:7]
	s_cbranch_vccz .LBB230_3229
; %bb.3223:
	v_mov_b32_e32 v7, 28
	v_cmp_gt_i16_sdwa s[6:7], v45, v7 src0_sel:BYTE_0 src1_sel:DWORD
	s_and_b64 vcc, exec, s[6:7]
	s_cbranch_vccz .LBB230_3230
; %bb.3224:
	v_mov_b32_e32 v7, 43
	v_cmp_gt_i16_sdwa s[6:7], v45, v7 src0_sel:BYTE_0 src1_sel:DWORD
	;; [unrolled: 5-line block ×3, first 2 shown]
	s_and_b64 vcc, exec, s[6:7]
	s_cbranch_vccz .LBB230_3233
; %bb.3226:
	v_mov_b32_e32 v7, 46
	v_cmp_eq_u16_sdwa s[6:7], v45, v7 src0_sel:BYTE_0 src1_sel:DWORD
	s_mov_b64 s[12:13], 0
	s_and_b64 vcc, exec, s[6:7]
	s_cbranch_vccz .LBB230_3234
; %bb.3227:
	global_load_dword v7, v[4:5], off
	s_mov_b64 s[6:7], 0
	s_mov_b64 s[10:11], -1
	s_waitcnt vmcnt(0)
	v_lshlrev_b32_e32 v44, 16, v7
	s_branch .LBB230_3235
.LBB230_3228:
	s_mov_b64 s[6:7], -1
	s_mov_b64 s[10:11], 0
                                        ; implicit-def: $vgpr44
	s_branch .LBB230_3301
.LBB230_3229:
	s_mov_b64 s[12:13], -1
	s_mov_b64 s[10:11], 0
	s_mov_b64 s[6:7], 0
                                        ; implicit-def: $vgpr44
	s_branch .LBB230_3264
.LBB230_3230:
	s_mov_b64 s[12:13], -1
	s_mov_b64 s[10:11], 0
	s_mov_b64 s[6:7], 0
                                        ; implicit-def: $vgpr44
	s_branch .LBB230_3245
.LBB230_3231:
	s_mov_b64 s[12:13], -1
	s_mov_b64 s[10:11], 0
	s_mov_b64 s[6:7], 0
                                        ; implicit-def: $vgpr44
	s_branch .LBB230_3240
.LBB230_3232:
	s_trap 2
	s_or_b64 s[50:51], s[50:51], exec
                                        ; implicit-def: $vgpr43
	s_cbranch_execz .LBB230_3169
	s_branch .LBB230_3170
.LBB230_3233:
	s_mov_b64 s[12:13], -1
	s_mov_b64 s[10:11], 0
	s_mov_b64 s[6:7], 0
                                        ; implicit-def: $vgpr44
	s_branch .LBB230_3235
.LBB230_3234:
	s_mov_b64 s[6:7], -1
                                        ; implicit-def: $vgpr44
	s_mov_b64 s[10:11], 0
.LBB230_3235:
	s_and_b64 vcc, exec, s[12:13]
	s_cbranch_vccz .LBB230_3239
; %bb.3236:
	v_mov_b32_e32 v7, 44
	v_cmp_eq_u16_sdwa s[6:7], v45, v7 src0_sel:BYTE_0 src1_sel:DWORD
	s_and_b64 vcc, exec, s[6:7]
	s_cbranch_vccz .LBB230_3238
; %bb.3237:
	global_load_ubyte v7, v[4:5], off
	s_movk_i32 s10, 0xff
	v_mov_b32_e32 v8, 0x7f800001
	v_mov_b32_e32 v9, 0x400000
	s_mov_b64 s[6:7], 0
	s_waitcnt vmcnt(0)
	v_lshlrev_b32_e32 v10, 23, v7
	v_cmp_ne_u32_e32 vcc, s10, v7
	v_cndmask_b32_e32 v8, v8, v10, vcc
	v_cmp_ne_u32_e32 vcc, 0, v7
	v_cndmask_b32_e32 v44, v9, v8, vcc
	s_mov_b64 s[10:11], -1
	s_branch .LBB230_3239
.LBB230_3238:
	s_mov_b64 s[6:7], -1
                                        ; implicit-def: $vgpr44
.LBB230_3239:
	s_mov_b64 s[12:13], 0
.LBB230_3240:
	s_and_b64 vcc, exec, s[12:13]
	s_cbranch_vccz .LBB230_3244
; %bb.3241:
	v_mov_b32_e32 v7, 29
	v_cmp_eq_u16_sdwa s[6:7], v45, v7 src0_sel:BYTE_0 src1_sel:DWORD
	s_and_b64 vcc, exec, s[6:7]
	s_cbranch_vccz .LBB230_3243
; %bb.3242:
	global_load_dwordx2 v[8:9], v[4:5], off
	s_mov_b64 s[6:7], 0
	s_mov_b64 s[10:11], -1
	s_mov_b64 s[12:13], 0
	s_waitcnt vmcnt(0)
	v_ffbh_u32_e32 v7, v9
	v_min_u32_e32 v7, 32, v7
	v_lshlrev_b64 v[8:9], v7, v[8:9]
	v_min_u32_e32 v8, 1, v8
	v_or_b32_e32 v8, v9, v8
	v_cvt_f32_u32_e32 v8, v8
	v_sub_u32_e32 v7, 32, v7
	v_ldexp_f32 v44, v8, v7
	s_branch .LBB230_3245
.LBB230_3243:
	s_mov_b64 s[6:7], -1
                                        ; implicit-def: $vgpr44
.LBB230_3244:
	s_mov_b64 s[12:13], 0
.LBB230_3245:
	s_and_b64 vcc, exec, s[12:13]
	s_cbranch_vccz .LBB230_3263
; %bb.3246:
	v_mov_b32_e32 v7, 27
	v_cmp_lt_i16_sdwa s[10:11], v45, v7 src0_sel:BYTE_0 src1_sel:DWORD
	s_and_b64 vcc, exec, s[10:11]
	s_cbranch_vccnz .LBB230_3249
; %bb.3247:
	v_cmp_gt_i16_sdwa s[10:11], v45, v7 src0_sel:BYTE_0 src1_sel:DWORD
	s_and_b64 vcc, exec, s[10:11]
	s_cbranch_vccz .LBB230_3250
; %bb.3248:
	global_load_dword v7, v[4:5], off
	s_mov_b64 s[10:11], 0
	s_waitcnt vmcnt(0)
	v_cvt_f32_u32_e32 v44, v7
	s_branch .LBB230_3251
.LBB230_3249:
	s_mov_b64 s[10:11], -1
                                        ; implicit-def: $vgpr44
	s_branch .LBB230_3254
.LBB230_3250:
	s_mov_b64 s[10:11], -1
                                        ; implicit-def: $vgpr44
.LBB230_3251:
	s_andn2_b64 vcc, exec, s[10:11]
	s_cbranch_vccnz .LBB230_3253
; %bb.3252:
	global_load_ushort v7, v[4:5], off
	s_waitcnt vmcnt(0)
	v_cvt_f32_u32_e32 v44, v7
.LBB230_3253:
	s_mov_b64 s[10:11], 0
.LBB230_3254:
	s_andn2_b64 vcc, exec, s[10:11]
	s_cbranch_vccnz .LBB230_3262
; %bb.3255:
	global_load_ubyte v7, v[4:5], off
	s_movk_i32 s10, 0x7f
                                        ; implicit-def: $sgpr16
	s_waitcnt vmcnt(0)
	v_cmp_lt_i16_e32 vcc, s10, v7
	s_mov_b64 s[10:11], 0
	s_and_saveexec_b64 s[12:13], vcc
	s_xor_b64 s[12:13], exec, s[12:13]
	s_cbranch_execz .LBB230_3276
; %bb.3256:
	s_movk_i32 s10, 0x80
	v_cmp_eq_u16_e32 vcc, s10, v7
	s_mov_b64 s[10:11], -1
                                        ; implicit-def: $sgpr16
	s_and_saveexec_b64 s[14:15], vcc
; %bb.3257:
	s_mov_b32 s16, 0x7f800001
	s_xor_b64 s[10:11], exec, -1
; %bb.3258:
	s_or_b64 exec, exec, s[14:15]
	s_and_b64 s[10:11], s[10:11], exec
	s_or_saveexec_b64 s[12:13], s[12:13]
	v_mov_b32_e32 v44, s16
	s_xor_b64 exec, exec, s[12:13]
	s_cbranch_execnz .LBB230_3277
.LBB230_3259:
	s_or_b64 exec, exec, s[12:13]
	s_and_saveexec_b64 s[12:13], s[10:11]
	s_cbranch_execz .LBB230_3261
.LBB230_3260:
	v_lshlrev_b32_e32 v8, 24, v7
	v_and_b32_e32 v7, 0xffff, v7
	v_and_b32_e32 v9, 7, v7
	v_ffbh_u32_e32 v11, v9
	v_min_u32_e32 v11, 32, v11
	v_subrev_u32_e32 v12, 28, v11
	v_bfe_u32 v10, v7, 3, 4
	v_lshlrev_b32_e32 v7, v12, v7
	v_sub_u32_e32 v11, 29, v11
	v_and_b32_e32 v7, 7, v7
	v_cmp_eq_u32_e32 vcc, 0, v10
	v_cndmask_b32_e32 v10, v10, v11, vcc
	v_cndmask_b32_e32 v7, v9, v7, vcc
	v_mov_b32_e32 v9, 0x3b800000
	v_lshlrev_b32_e32 v7, 20, v7
	v_and_b32_e32 v8, 0x80000000, v8
	v_lshl_add_u32 v9, v10, 23, v9
	v_or3_b32 v44, v8, v9, v7
.LBB230_3261:
	s_or_b64 exec, exec, s[12:13]
.LBB230_3262:
	s_mov_b64 s[10:11], -1
.LBB230_3263:
	s_mov_b64 s[12:13], 0
.LBB230_3264:
	s_and_b64 vcc, exec, s[12:13]
	s_cbranch_vccz .LBB230_3297
; %bb.3265:
	v_mov_b32_e32 v7, 22
	v_cmp_gt_i16_sdwa s[8:9], v45, v7 src0_sel:BYTE_0 src1_sel:DWORD
	s_and_b64 vcc, exec, s[8:9]
	s_cbranch_vccz .LBB230_3275
; %bb.3266:
	v_mov_b32_e32 v7, 24
	v_cmp_lt_i16_sdwa s[8:9], v45, v7 src0_sel:BYTE_0 src1_sel:DWORD
	s_and_b64 vcc, exec, s[8:9]
	s_cbranch_vccnz .LBB230_3278
; %bb.3267:
	v_cmp_gt_i16_sdwa s[8:9], v45, v7 src0_sel:BYTE_0 src1_sel:DWORD
	s_and_b64 vcc, exec, s[8:9]
	s_cbranch_vccz .LBB230_3279
; %bb.3268:
	global_load_ubyte v7, v[4:5], off
	s_movk_i32 s8, 0x7f
                                        ; implicit-def: $sgpr14
	s_waitcnt vmcnt(0)
	v_cmp_lt_i16_e32 vcc, s8, v7
	s_mov_b64 s[8:9], 0
	s_and_saveexec_b64 s[10:11], vcc
	s_xor_b64 s[10:11], exec, s[10:11]
	s_cbranch_execz .LBB230_3291
; %bb.3269:
	s_movk_i32 s8, 0x80
	v_cmp_eq_u16_e32 vcc, s8, v7
	s_mov_b64 s[8:9], -1
                                        ; implicit-def: $sgpr14
	s_and_saveexec_b64 s[12:13], vcc
; %bb.3270:
	s_mov_b32 s14, 0x7f800001
	s_xor_b64 s[8:9], exec, -1
; %bb.3271:
	s_or_b64 exec, exec, s[12:13]
	s_and_b64 s[8:9], s[8:9], exec
	s_or_saveexec_b64 s[10:11], s[10:11]
	v_mov_b32_e32 v44, s14
	s_xor_b64 exec, exec, s[10:11]
	s_cbranch_execnz .LBB230_3292
.LBB230_3272:
	s_or_b64 exec, exec, s[10:11]
	s_and_saveexec_b64 s[10:11], s[8:9]
	s_cbranch_execz .LBB230_3274
.LBB230_3273:
	v_lshlrev_b32_e32 v8, 24, v7
	v_and_b32_e32 v7, 0xffff, v7
	v_and_b32_e32 v9, 3, v7
	v_ffbh_u32_e32 v11, v9
	v_min_u32_e32 v11, 32, v11
	v_subrev_u32_e32 v12, 29, v11
	v_bfe_u32 v10, v7, 2, 5
	v_lshlrev_b32_e32 v7, v12, v7
	v_sub_u32_e32 v11, 30, v11
	v_and_b32_e32 v7, 3, v7
	v_cmp_eq_u32_e32 vcc, 0, v10
	v_cndmask_b32_e32 v10, v10, v11, vcc
	v_cndmask_b32_e32 v7, v9, v7, vcc
	v_mov_b32_e32 v9, 0x37800000
	v_lshlrev_b32_e32 v7, 21, v7
	v_and_b32_e32 v8, 0x80000000, v8
	v_lshl_add_u32 v9, v10, 23, v9
	v_or3_b32 v44, v8, v9, v7
.LBB230_3274:
	s_or_b64 exec, exec, s[10:11]
	s_mov_b64 s[8:9], 0
	s_branch .LBB230_3280
.LBB230_3275:
	s_mov_b64 s[8:9], -1
                                        ; implicit-def: $vgpr44
	s_branch .LBB230_3286
.LBB230_3276:
	s_or_saveexec_b64 s[12:13], s[12:13]
	v_mov_b32_e32 v44, s16
	s_xor_b64 exec, exec, s[12:13]
	s_cbranch_execz .LBB230_3259
.LBB230_3277:
	v_cmp_ne_u16_e32 vcc, 0, v7
	s_andn2_b64 s[10:11], s[10:11], exec
	s_and_b64 s[14:15], vcc, exec
	v_mov_b32_e32 v44, 0
	s_or_b64 s[10:11], s[10:11], s[14:15]
	s_or_b64 exec, exec, s[12:13]
	s_and_saveexec_b64 s[12:13], s[10:11]
	s_cbranch_execnz .LBB230_3260
	s_branch .LBB230_3261
.LBB230_3278:
	s_mov_b64 s[8:9], -1
                                        ; implicit-def: $vgpr44
	s_branch .LBB230_3283
.LBB230_3279:
	s_mov_b64 s[8:9], -1
                                        ; implicit-def: $vgpr44
.LBB230_3280:
	s_and_b64 vcc, exec, s[8:9]
	s_cbranch_vccz .LBB230_3282
; %bb.3281:
	global_load_ubyte v7, v[4:5], off
	s_mov_b32 s8, 0x7f800000
	s_waitcnt vmcnt(0)
	v_lshlrev_b32_e32 v7, 24, v7
	v_and_b32_e32 v8, 0x7f000000, v7
	v_ffbh_u32_e32 v9, v8
	v_min_u32_e32 v9, 32, v9
	v_sub_u32_e64 v9, v9, 4 clamp
	v_lshlrev_b32_e32 v11, v9, v8
	v_lshlrev_b32_e32 v9, 23, v9
	v_lshrrev_b32_e32 v11, 4, v11
	v_add_u32_e32 v10, 0x1000000, v8
	v_sub_u32_e32 v9, v11, v9
	v_ashrrev_i32_e32 v10, 8, v10
	v_add_u32_e32 v9, 0x3c000000, v9
	v_and_or_b32 v9, v10, s8, v9
	v_cmp_ne_u32_e32 vcc, 0, v8
	v_cndmask_b32_e32 v8, 0, v9, vcc
	s_brev_b32 s8, 1
	v_and_or_b32 v44, v7, s8, v8
.LBB230_3282:
	s_mov_b64 s[8:9], 0
.LBB230_3283:
	s_andn2_b64 vcc, exec, s[8:9]
	s_cbranch_vccnz .LBB230_3285
; %bb.3284:
	global_load_ubyte v7, v[4:5], off
	s_movk_i32 s8, 0x7f00
	s_brev_b32 s9, 16
	s_waitcnt vmcnt(0)
	v_lshlrev_b16_e32 v8, 8, v7
	v_lshlrev_b32_e32 v7, 25, v7
	v_lshrrev_b32_e32 v9, 4, v7
	v_and_or_b32 v10, v8, s8, 0.5
	v_or_b32_e32 v9, 0x70000000, v9
	v_add_f32_e32 v10, -0.5, v10
	v_mul_f32_e32 v9, 0x7800000, v9
	v_cmp_gt_u32_e32 vcc, s9, v7
	v_bfe_i32 v8, v8, 0, 16
	v_cndmask_b32_e32 v7, v9, v10, vcc
	s_brev_b32 s8, 1
	v_and_or_b32 v44, v8, s8, v7
.LBB230_3285:
	s_mov_b64 s[8:9], 0
	s_mov_b64 s[10:11], -1
.LBB230_3286:
	s_andn2_b64 vcc, exec, s[8:9]
	s_mov_b64 s[8:9], 0
	s_cbranch_vccnz .LBB230_3297
; %bb.3287:
	v_mov_b32_e32 v7, 14
	v_cmp_gt_i16_sdwa s[8:9], v45, v7 src0_sel:BYTE_0 src1_sel:DWORD
	s_and_b64 vcc, exec, s[8:9]
	s_cbranch_vccz .LBB230_3290
; %bb.3288:
	v_mov_b32_e32 v7, 15
	v_cmp_eq_u16_sdwa s[6:7], v45, v7 src0_sel:BYTE_0 src1_sel:DWORD
	s_and_b64 vcc, exec, s[6:7]
	s_cbranch_vccz .LBB230_3293
; %bb.3289:
	global_load_ushort v7, v[4:5], off
	s_mov_b64 s[6:7], 0
	s_mov_b64 s[10:11], -1
	s_waitcnt vmcnt(0)
	v_lshlrev_b32_e32 v44, 16, v7
	s_branch .LBB230_3294
.LBB230_3290:
	s_mov_b64 s[12:13], -1
                                        ; implicit-def: $vgpr44
	s_branch .LBB230_3295
.LBB230_3291:
	s_or_saveexec_b64 s[10:11], s[10:11]
	v_mov_b32_e32 v44, s14
	s_xor_b64 exec, exec, s[10:11]
	s_cbranch_execz .LBB230_3272
.LBB230_3292:
	v_cmp_ne_u16_e32 vcc, 0, v7
	s_andn2_b64 s[8:9], s[8:9], exec
	s_and_b64 s[12:13], vcc, exec
	v_mov_b32_e32 v44, 0
	s_or_b64 s[8:9], s[8:9], s[12:13]
	s_or_b64 exec, exec, s[10:11]
	s_and_saveexec_b64 s[10:11], s[8:9]
	s_cbranch_execnz .LBB230_3273
	s_branch .LBB230_3274
.LBB230_3293:
	s_mov_b64 s[6:7], -1
                                        ; implicit-def: $vgpr44
.LBB230_3294:
	s_mov_b64 s[12:13], 0
.LBB230_3295:
	s_mov_b64 s[8:9], 0
	s_and_b64 vcc, exec, s[12:13]
	s_cbranch_vccz .LBB230_3297
; %bb.3296:
	v_mov_b32_e32 v7, 11
	v_cmp_ne_u16_sdwa s[6:7], v45, v7 src0_sel:BYTE_0 src1_sel:DWORD
	s_mov_b64 s[8:9], -1
                                        ; implicit-def: $vgpr44
.LBB230_3297:
	s_and_b64 vcc, exec, s[6:7]
	s_cbranch_vccnz .LBB230_3362
; %bb.3298:
	s_andn2_b64 vcc, exec, s[8:9]
	s_cbranch_vccnz .LBB230_3300
.LBB230_3299:
	global_load_ubyte v7, v[4:5], off
	s_mov_b64 s[10:11], -1
	s_waitcnt vmcnt(0)
	v_cmp_ne_u16_e32 vcc, 0, v7
	v_cndmask_b32_e64 v44, 0, 1.0, vcc
.LBB230_3300:
	s_mov_b64 s[6:7], 0
.LBB230_3301:
	s_and_b64 vcc, exec, s[6:7]
	s_cbranch_vccz .LBB230_3350
; %bb.3302:
	v_mov_b32_e32 v7, 5
	v_cmp_lt_i16_sdwa s[6:7], v45, v7 src0_sel:BYTE_0 src1_sel:DWORD
	s_and_b64 vcc, exec, s[6:7]
	s_cbranch_vccnz .LBB230_3307
; %bb.3303:
	v_mov_b32_e32 v7, 8
	v_cmp_lt_i16_sdwa s[6:7], v45, v7 src0_sel:BYTE_0 src1_sel:DWORD
	s_and_b64 vcc, exec, s[6:7]
	s_cbranch_vccnz .LBB230_3308
	;; [unrolled: 5-line block ×3, first 2 shown]
; %bb.3305:
	v_cmp_gt_i16_sdwa s[6:7], v45, v7 src0_sel:BYTE_0 src1_sel:DWORD
	s_and_b64 vcc, exec, s[6:7]
	s_cbranch_vccz .LBB230_3310
; %bb.3306:
	global_load_dwordx2 v[8:9], v[4:5], off
	s_mov_b64 s[6:7], 0
	s_waitcnt vmcnt(0)
	v_cvt_f32_f64_e32 v44, v[8:9]
	s_branch .LBB230_3311
.LBB230_3307:
	s_mov_b64 s[6:7], -1
                                        ; implicit-def: $vgpr44
	s_branch .LBB230_3329
.LBB230_3308:
	s_mov_b64 s[6:7], -1
                                        ; implicit-def: $vgpr44
	s_branch .LBB230_3317
.LBB230_3309:
	s_mov_b64 s[6:7], -1
                                        ; implicit-def: $vgpr44
	s_branch .LBB230_3314
.LBB230_3310:
	s_mov_b64 s[6:7], -1
                                        ; implicit-def: $vgpr44
.LBB230_3311:
	s_andn2_b64 vcc, exec, s[6:7]
	s_cbranch_vccnz .LBB230_3313
; %bb.3312:
	global_load_dword v44, v[4:5], off
.LBB230_3313:
	s_mov_b64 s[6:7], 0
.LBB230_3314:
	s_andn2_b64 vcc, exec, s[6:7]
	s_cbranch_vccnz .LBB230_3316
; %bb.3315:
	global_load_dword v7, v[4:5], off
	s_waitcnt vmcnt(0)
	v_cvt_f32_f16_e32 v44, v7
.LBB230_3316:
	s_mov_b64 s[6:7], 0
.LBB230_3317:
	s_andn2_b64 vcc, exec, s[6:7]
	s_cbranch_vccnz .LBB230_3328
; %bb.3318:
	v_mov_b32_e32 v7, 6
	v_cmp_lt_i16_sdwa s[6:7], v45, v7 src0_sel:BYTE_0 src1_sel:DWORD
	s_and_b64 vcc, exec, s[6:7]
	s_cbranch_vccnz .LBB230_3321
; %bb.3319:
	v_cmp_gt_i16_sdwa s[6:7], v45, v7 src0_sel:BYTE_0 src1_sel:DWORD
	s_and_b64 vcc, exec, s[6:7]
	s_cbranch_vccz .LBB230_3322
; %bb.3320:
	global_load_dwordx2 v[8:9], v[4:5], off
	s_mov_b64 s[6:7], 0
	s_waitcnt vmcnt(0)
	v_cvt_f32_f64_e32 v44, v[8:9]
	s_branch .LBB230_3323
.LBB230_3321:
	s_mov_b64 s[6:7], -1
                                        ; implicit-def: $vgpr44
	s_branch .LBB230_3326
.LBB230_3322:
	s_mov_b64 s[6:7], -1
                                        ; implicit-def: $vgpr44
.LBB230_3323:
	s_andn2_b64 vcc, exec, s[6:7]
	s_cbranch_vccnz .LBB230_3325
; %bb.3324:
	global_load_dword v44, v[4:5], off
.LBB230_3325:
	s_mov_b64 s[6:7], 0
.LBB230_3326:
	s_andn2_b64 vcc, exec, s[6:7]
	s_cbranch_vccnz .LBB230_3328
; %bb.3327:
	global_load_ushort v7, v[4:5], off
	s_waitcnt vmcnt(0)
	v_cvt_f32_f16_e32 v44, v7
.LBB230_3328:
	s_mov_b64 s[6:7], 0
.LBB230_3329:
	s_andn2_b64 vcc, exec, s[6:7]
	s_cbranch_vccnz .LBB230_3349
; %bb.3330:
	v_mov_b32_e32 v7, 2
	v_cmp_lt_i16_sdwa s[6:7], v45, v7 src0_sel:BYTE_0 src1_sel:DWORD
	s_and_b64 vcc, exec, s[6:7]
	s_cbranch_vccnz .LBB230_3334
; %bb.3331:
	v_mov_b32_e32 v7, 3
	v_cmp_lt_i16_sdwa s[6:7], v45, v7 src0_sel:BYTE_0 src1_sel:DWORD
	s_and_b64 vcc, exec, s[6:7]
	s_cbranch_vccnz .LBB230_3335
; %bb.3332:
	v_cmp_gt_i16_sdwa s[6:7], v45, v7 src0_sel:BYTE_0 src1_sel:DWORD
	s_and_b64 vcc, exec, s[6:7]
	s_cbranch_vccz .LBB230_3336
; %bb.3333:
	global_load_dwordx2 v[8:9], v[4:5], off
	s_mov_b64 s[6:7], 0
	s_waitcnt vmcnt(0)
	v_xor_b32_e32 v10, v8, v9
	v_ffbh_i32_e32 v7, v9
	v_ashrrev_i32_e32 v10, 31, v10
	v_add_u32_e32 v7, -1, v7
	v_add_u32_e32 v10, 32, v10
	v_min_u32_e32 v7, v7, v10
	v_lshlrev_b64 v[8:9], v7, v[8:9]
	v_min_u32_e32 v8, 1, v8
	v_or_b32_e32 v8, v9, v8
	v_cvt_f32_i32_e32 v8, v8
	v_sub_u32_e32 v7, 32, v7
	v_ldexp_f32 v44, v8, v7
	s_branch .LBB230_3337
.LBB230_3334:
	s_mov_b64 s[6:7], -1
                                        ; implicit-def: $vgpr44
	s_branch .LBB230_3343
.LBB230_3335:
	s_mov_b64 s[6:7], -1
                                        ; implicit-def: $vgpr44
	s_branch .LBB230_3340
.LBB230_3336:
	s_mov_b64 s[6:7], -1
                                        ; implicit-def: $vgpr44
.LBB230_3337:
	s_andn2_b64 vcc, exec, s[6:7]
	s_cbranch_vccnz .LBB230_3339
; %bb.3338:
	global_load_dword v7, v[4:5], off
	s_waitcnt vmcnt(0)
	v_cvt_f32_i32_e32 v44, v7
.LBB230_3339:
	s_mov_b64 s[6:7], 0
.LBB230_3340:
	s_andn2_b64 vcc, exec, s[6:7]
	s_cbranch_vccnz .LBB230_3342
; %bb.3341:
	global_load_sshort v7, v[4:5], off
	s_waitcnt vmcnt(0)
	v_cvt_f32_i32_e32 v44, v7
.LBB230_3342:
	s_mov_b64 s[6:7], 0
.LBB230_3343:
	s_andn2_b64 vcc, exec, s[6:7]
	s_cbranch_vccnz .LBB230_3349
; %bb.3344:
	v_mov_b32_e32 v7, 0
	v_cmp_gt_i16_sdwa s[6:7], v45, v7 src0_sel:BYTE_0 src1_sel:DWORD
	s_and_b64 vcc, exec, s[6:7]
	s_cbranch_vccz .LBB230_3346
; %bb.3345:
	global_load_sbyte v7, v[4:5], off
	s_mov_b64 s[6:7], 0
	s_waitcnt vmcnt(0)
	v_cvt_f32_i32_e32 v44, v7
	s_branch .LBB230_3347
.LBB230_3346:
	s_mov_b64 s[6:7], -1
                                        ; implicit-def: $vgpr44
.LBB230_3347:
	s_andn2_b64 vcc, exec, s[6:7]
	s_cbranch_vccnz .LBB230_3349
; %bb.3348:
	global_load_ubyte v4, v[4:5], off
	s_waitcnt vmcnt(0)
	v_cvt_f32_ubyte0_e32 v44, v4
.LBB230_3349:
	s_mov_b64 s[10:11], -1
.LBB230_3350:
	s_andn2_b64 vcc, exec, s[10:11]
	s_cbranch_vccnz .LBB230_4064
; %bb.3351:
	v_add_u32_e32 v4, s17, v6
	v_ashrrev_i32_e32 v5, 31, v4
	v_mov_b32_e32 v6, s41
	v_add_co_u32_e32 v4, vcc, s40, v4
	s_movk_i32 s6, 0xff
	v_addc_co_u32_e32 v5, vcc, v6, v5, vcc
	v_and_b32_sdwa v6, v47, s6 dst_sel:DWORD dst_unused:UNUSED_PAD src0_sel:WORD_1 src1_sel:DWORD
	v_cmp_gt_i16_e32 vcc, 11, v6
	s_cbranch_vccnz .LBB230_3358
; %bb.3352:
	v_cmp_lt_i16_e32 vcc, 25, v6
	s_mov_b64 s[8:9], 0
	s_cbranch_vccz .LBB230_3359
; %bb.3353:
	v_cmp_lt_i16_e32 vcc, 28, v6
	s_cbranch_vccz .LBB230_3360
; %bb.3354:
	v_cmp_lt_i16_e32 vcc, 43, v6
	s_cbranch_vccz .LBB230_3361
; %bb.3355:
	v_cmp_lt_i16_e32 vcc, 45, v6
	s_cbranch_vccz .LBB230_3363
; %bb.3356:
	v_cmp_eq_u16_e32 vcc, 46, v6
	s_mov_b64 s[12:13], 0
	s_cbranch_vccz .LBB230_3364
; %bb.3357:
	global_load_dword v7, v[4:5], off
	s_mov_b64 s[6:7], 0
	s_mov_b64 s[10:11], -1
	s_waitcnt vmcnt(0)
	v_lshlrev_b32_e32 v45, 16, v7
	s_branch .LBB230_3365
.LBB230_3358:
	s_mov_b64 s[6:7], -1
	s_mov_b64 s[10:11], 0
                                        ; implicit-def: $vgpr45
	s_branch .LBB230_3431
.LBB230_3359:
	s_mov_b64 s[12:13], -1
	s_mov_b64 s[10:11], 0
	s_mov_b64 s[6:7], 0
                                        ; implicit-def: $vgpr45
	s_branch .LBB230_3394
.LBB230_3360:
	s_mov_b64 s[12:13], -1
	s_mov_b64 s[10:11], 0
	s_mov_b64 s[6:7], 0
                                        ; implicit-def: $vgpr45
	s_branch .LBB230_3375
.LBB230_3361:
	s_mov_b64 s[12:13], -1
	s_mov_b64 s[10:11], 0
	s_mov_b64 s[6:7], 0
                                        ; implicit-def: $vgpr45
	s_branch .LBB230_3370
.LBB230_3362:
	s_trap 2
	s_or_b64 s[50:51], s[50:51], exec
                                        ; implicit-def: $vgpr44
	s_cbranch_execz .LBB230_3299
	s_branch .LBB230_3300
.LBB230_3363:
	s_mov_b64 s[12:13], -1
	s_mov_b64 s[10:11], 0
	s_mov_b64 s[6:7], 0
                                        ; implicit-def: $vgpr45
	s_branch .LBB230_3365
.LBB230_3364:
	s_mov_b64 s[6:7], -1
                                        ; implicit-def: $vgpr45
	s_mov_b64 s[10:11], 0
.LBB230_3365:
	s_and_b64 vcc, exec, s[12:13]
	s_cbranch_vccz .LBB230_3369
; %bb.3366:
	v_cmp_eq_u16_e32 vcc, 44, v6
	s_cbranch_vccz .LBB230_3368
; %bb.3367:
	global_load_ubyte v7, v[4:5], off
	s_movk_i32 s10, 0xff
	v_mov_b32_e32 v8, 0x7f800001
	v_mov_b32_e32 v9, 0x400000
	s_mov_b64 s[6:7], 0
	s_waitcnt vmcnt(0)
	v_lshlrev_b32_e32 v10, 23, v7
	v_cmp_ne_u32_e32 vcc, s10, v7
	v_cndmask_b32_e32 v8, v8, v10, vcc
	v_cmp_ne_u32_e32 vcc, 0, v7
	v_cndmask_b32_e32 v45, v9, v8, vcc
	s_mov_b64 s[10:11], -1
	s_branch .LBB230_3369
.LBB230_3368:
	s_mov_b64 s[6:7], -1
                                        ; implicit-def: $vgpr45
.LBB230_3369:
	s_mov_b64 s[12:13], 0
.LBB230_3370:
	s_and_b64 vcc, exec, s[12:13]
	s_cbranch_vccz .LBB230_3374
; %bb.3371:
	v_cmp_eq_u16_e32 vcc, 29, v6
	s_cbranch_vccz .LBB230_3373
; %bb.3372:
	global_load_dwordx2 v[8:9], v[4:5], off
	s_mov_b64 s[6:7], 0
	s_mov_b64 s[10:11], -1
	s_mov_b64 s[12:13], 0
	s_waitcnt vmcnt(0)
	v_ffbh_u32_e32 v7, v9
	v_min_u32_e32 v7, 32, v7
	v_lshlrev_b64 v[8:9], v7, v[8:9]
	v_min_u32_e32 v8, 1, v8
	v_or_b32_e32 v8, v9, v8
	v_cvt_f32_u32_e32 v8, v8
	v_sub_u32_e32 v7, 32, v7
	v_ldexp_f32 v45, v8, v7
	s_branch .LBB230_3375
.LBB230_3373:
	s_mov_b64 s[6:7], -1
                                        ; implicit-def: $vgpr45
.LBB230_3374:
	s_mov_b64 s[12:13], 0
.LBB230_3375:
	s_and_b64 vcc, exec, s[12:13]
	s_cbranch_vccz .LBB230_3393
; %bb.3376:
	v_cmp_gt_i16_e32 vcc, 27, v6
	s_cbranch_vccnz .LBB230_3379
; %bb.3377:
	v_cmp_lt_i16_e32 vcc, 27, v6
	s_cbranch_vccz .LBB230_3380
; %bb.3378:
	global_load_dword v7, v[4:5], off
	s_mov_b64 s[10:11], 0
	s_waitcnt vmcnt(0)
	v_cvt_f32_u32_e32 v45, v7
	s_branch .LBB230_3381
.LBB230_3379:
	s_mov_b64 s[10:11], -1
                                        ; implicit-def: $vgpr45
	s_branch .LBB230_3384
.LBB230_3380:
	s_mov_b64 s[10:11], -1
                                        ; implicit-def: $vgpr45
.LBB230_3381:
	s_andn2_b64 vcc, exec, s[10:11]
	s_cbranch_vccnz .LBB230_3383
; %bb.3382:
	global_load_ushort v7, v[4:5], off
	s_waitcnt vmcnt(0)
	v_cvt_f32_u32_e32 v45, v7
.LBB230_3383:
	s_mov_b64 s[10:11], 0
.LBB230_3384:
	s_andn2_b64 vcc, exec, s[10:11]
	s_cbranch_vccnz .LBB230_3392
; %bb.3385:
	global_load_ubyte v7, v[4:5], off
	s_movk_i32 s10, 0x7f
                                        ; implicit-def: $sgpr16
	s_waitcnt vmcnt(0)
	v_cmp_lt_i16_e32 vcc, s10, v7
	s_mov_b64 s[10:11], 0
	s_and_saveexec_b64 s[12:13], vcc
	s_xor_b64 s[12:13], exec, s[12:13]
	s_cbranch_execz .LBB230_3406
; %bb.3386:
	s_movk_i32 s10, 0x80
	v_cmp_eq_u16_e32 vcc, s10, v7
	s_mov_b64 s[10:11], -1
                                        ; implicit-def: $sgpr16
	s_and_saveexec_b64 s[14:15], vcc
; %bb.3387:
	s_mov_b32 s16, 0x7f800001
	s_xor_b64 s[10:11], exec, -1
; %bb.3388:
	s_or_b64 exec, exec, s[14:15]
	s_and_b64 s[10:11], s[10:11], exec
	s_or_saveexec_b64 s[12:13], s[12:13]
	v_mov_b32_e32 v45, s16
	s_xor_b64 exec, exec, s[12:13]
	s_cbranch_execnz .LBB230_3407
.LBB230_3389:
	s_or_b64 exec, exec, s[12:13]
	s_and_saveexec_b64 s[12:13], s[10:11]
	s_cbranch_execz .LBB230_3391
.LBB230_3390:
	v_lshlrev_b32_e32 v8, 24, v7
	v_and_b32_e32 v7, 0xffff, v7
	v_and_b32_e32 v9, 7, v7
	v_ffbh_u32_e32 v11, v9
	v_min_u32_e32 v11, 32, v11
	v_subrev_u32_e32 v12, 28, v11
	v_bfe_u32 v10, v7, 3, 4
	v_lshlrev_b32_e32 v7, v12, v7
	v_sub_u32_e32 v11, 29, v11
	v_and_b32_e32 v7, 7, v7
	v_cmp_eq_u32_e32 vcc, 0, v10
	v_cndmask_b32_e32 v10, v10, v11, vcc
	v_cndmask_b32_e32 v7, v9, v7, vcc
	v_mov_b32_e32 v9, 0x3b800000
	v_lshlrev_b32_e32 v7, 20, v7
	v_and_b32_e32 v8, 0x80000000, v8
	v_lshl_add_u32 v9, v10, 23, v9
	v_or3_b32 v45, v8, v9, v7
.LBB230_3391:
	s_or_b64 exec, exec, s[12:13]
.LBB230_3392:
	s_mov_b64 s[10:11], -1
.LBB230_3393:
	s_mov_b64 s[12:13], 0
.LBB230_3394:
	s_and_b64 vcc, exec, s[12:13]
	s_cbranch_vccz .LBB230_3427
; %bb.3395:
	v_cmp_lt_i16_e32 vcc, 22, v6
	s_cbranch_vccz .LBB230_3405
; %bb.3396:
	v_cmp_gt_i16_e32 vcc, 24, v6
	s_cbranch_vccnz .LBB230_3408
; %bb.3397:
	v_cmp_lt_i16_e32 vcc, 24, v6
	s_cbranch_vccz .LBB230_3409
; %bb.3398:
	global_load_ubyte v7, v[4:5], off
	s_movk_i32 s8, 0x7f
                                        ; implicit-def: $sgpr14
	s_waitcnt vmcnt(0)
	v_cmp_lt_i16_e32 vcc, s8, v7
	s_mov_b64 s[8:9], 0
	s_and_saveexec_b64 s[10:11], vcc
	s_xor_b64 s[10:11], exec, s[10:11]
	s_cbranch_execz .LBB230_3421
; %bb.3399:
	s_movk_i32 s8, 0x80
	v_cmp_eq_u16_e32 vcc, s8, v7
	s_mov_b64 s[8:9], -1
                                        ; implicit-def: $sgpr14
	s_and_saveexec_b64 s[12:13], vcc
; %bb.3400:
	s_mov_b32 s14, 0x7f800001
	s_xor_b64 s[8:9], exec, -1
; %bb.3401:
	s_or_b64 exec, exec, s[12:13]
	s_and_b64 s[8:9], s[8:9], exec
	s_or_saveexec_b64 s[10:11], s[10:11]
	v_mov_b32_e32 v45, s14
	s_xor_b64 exec, exec, s[10:11]
	s_cbranch_execnz .LBB230_3422
.LBB230_3402:
	s_or_b64 exec, exec, s[10:11]
	s_and_saveexec_b64 s[10:11], s[8:9]
	s_cbranch_execz .LBB230_3404
.LBB230_3403:
	v_lshlrev_b32_e32 v8, 24, v7
	v_and_b32_e32 v7, 0xffff, v7
	v_and_b32_e32 v9, 3, v7
	v_ffbh_u32_e32 v11, v9
	v_min_u32_e32 v11, 32, v11
	v_subrev_u32_e32 v12, 29, v11
	v_bfe_u32 v10, v7, 2, 5
	v_lshlrev_b32_e32 v7, v12, v7
	v_sub_u32_e32 v11, 30, v11
	v_and_b32_e32 v7, 3, v7
	v_cmp_eq_u32_e32 vcc, 0, v10
	v_cndmask_b32_e32 v10, v10, v11, vcc
	v_cndmask_b32_e32 v7, v9, v7, vcc
	v_mov_b32_e32 v9, 0x37800000
	v_lshlrev_b32_e32 v7, 21, v7
	v_and_b32_e32 v8, 0x80000000, v8
	v_lshl_add_u32 v9, v10, 23, v9
	v_or3_b32 v45, v8, v9, v7
.LBB230_3404:
	s_or_b64 exec, exec, s[10:11]
	s_mov_b64 s[8:9], 0
	s_branch .LBB230_3410
.LBB230_3405:
	s_mov_b64 s[8:9], -1
                                        ; implicit-def: $vgpr45
	s_branch .LBB230_3416
.LBB230_3406:
	s_or_saveexec_b64 s[12:13], s[12:13]
	v_mov_b32_e32 v45, s16
	s_xor_b64 exec, exec, s[12:13]
	s_cbranch_execz .LBB230_3389
.LBB230_3407:
	v_cmp_ne_u16_e32 vcc, 0, v7
	s_andn2_b64 s[10:11], s[10:11], exec
	s_and_b64 s[14:15], vcc, exec
	v_mov_b32_e32 v45, 0
	s_or_b64 s[10:11], s[10:11], s[14:15]
	s_or_b64 exec, exec, s[12:13]
	s_and_saveexec_b64 s[12:13], s[10:11]
	s_cbranch_execnz .LBB230_3390
	s_branch .LBB230_3391
.LBB230_3408:
	s_mov_b64 s[8:9], -1
                                        ; implicit-def: $vgpr45
	s_branch .LBB230_3413
.LBB230_3409:
	s_mov_b64 s[8:9], -1
                                        ; implicit-def: $vgpr45
.LBB230_3410:
	s_and_b64 vcc, exec, s[8:9]
	s_cbranch_vccz .LBB230_3412
; %bb.3411:
	global_load_ubyte v7, v[4:5], off
	s_mov_b32 s8, 0x7f800000
	s_waitcnt vmcnt(0)
	v_lshlrev_b32_e32 v7, 24, v7
	v_and_b32_e32 v8, 0x7f000000, v7
	v_ffbh_u32_e32 v9, v8
	v_min_u32_e32 v9, 32, v9
	v_sub_u32_e64 v9, v9, 4 clamp
	v_lshlrev_b32_e32 v11, v9, v8
	v_lshlrev_b32_e32 v9, 23, v9
	v_lshrrev_b32_e32 v11, 4, v11
	v_add_u32_e32 v10, 0x1000000, v8
	v_sub_u32_e32 v9, v11, v9
	v_ashrrev_i32_e32 v10, 8, v10
	v_add_u32_e32 v9, 0x3c000000, v9
	v_and_or_b32 v9, v10, s8, v9
	v_cmp_ne_u32_e32 vcc, 0, v8
	v_cndmask_b32_e32 v8, 0, v9, vcc
	s_brev_b32 s8, 1
	v_and_or_b32 v45, v7, s8, v8
.LBB230_3412:
	s_mov_b64 s[8:9], 0
.LBB230_3413:
	s_andn2_b64 vcc, exec, s[8:9]
	s_cbranch_vccnz .LBB230_3415
; %bb.3414:
	global_load_ubyte v7, v[4:5], off
	s_movk_i32 s8, 0x7f00
	s_brev_b32 s9, 16
	s_waitcnt vmcnt(0)
	v_lshlrev_b16_e32 v8, 8, v7
	v_lshlrev_b32_e32 v7, 25, v7
	v_lshrrev_b32_e32 v9, 4, v7
	v_and_or_b32 v10, v8, s8, 0.5
	v_or_b32_e32 v9, 0x70000000, v9
	v_add_f32_e32 v10, -0.5, v10
	v_mul_f32_e32 v9, 0x7800000, v9
	v_cmp_gt_u32_e32 vcc, s9, v7
	v_bfe_i32 v8, v8, 0, 16
	v_cndmask_b32_e32 v7, v9, v10, vcc
	s_brev_b32 s8, 1
	v_and_or_b32 v45, v8, s8, v7
.LBB230_3415:
	s_mov_b64 s[8:9], 0
	s_mov_b64 s[10:11], -1
.LBB230_3416:
	s_andn2_b64 vcc, exec, s[8:9]
	s_mov_b64 s[8:9], 0
	s_cbranch_vccnz .LBB230_3427
; %bb.3417:
	v_cmp_lt_i16_e32 vcc, 14, v6
	s_cbranch_vccz .LBB230_3420
; %bb.3418:
	v_cmp_eq_u16_e32 vcc, 15, v6
	s_cbranch_vccz .LBB230_3423
; %bb.3419:
	global_load_ushort v7, v[4:5], off
	s_mov_b64 s[6:7], 0
	s_mov_b64 s[10:11], -1
	s_waitcnt vmcnt(0)
	v_lshlrev_b32_e32 v45, 16, v7
	s_branch .LBB230_3424
.LBB230_3420:
	s_mov_b64 s[12:13], -1
                                        ; implicit-def: $vgpr45
	s_branch .LBB230_3425
.LBB230_3421:
	s_or_saveexec_b64 s[10:11], s[10:11]
	v_mov_b32_e32 v45, s14
	s_xor_b64 exec, exec, s[10:11]
	s_cbranch_execz .LBB230_3402
.LBB230_3422:
	v_cmp_ne_u16_e32 vcc, 0, v7
	s_andn2_b64 s[8:9], s[8:9], exec
	s_and_b64 s[12:13], vcc, exec
	v_mov_b32_e32 v45, 0
	s_or_b64 s[8:9], s[8:9], s[12:13]
	s_or_b64 exec, exec, s[10:11]
	s_and_saveexec_b64 s[10:11], s[8:9]
	s_cbranch_execnz .LBB230_3403
	s_branch .LBB230_3404
.LBB230_3423:
	s_mov_b64 s[6:7], -1
                                        ; implicit-def: $vgpr45
.LBB230_3424:
	s_mov_b64 s[12:13], 0
.LBB230_3425:
	s_and_b64 vcc, exec, s[12:13]
	s_cbranch_vccz .LBB230_3427
; %bb.3426:
	v_cmp_ne_u16_e64 s[6:7], 11, v6
	s_mov_b64 s[8:9], -1
                                        ; implicit-def: $vgpr45
.LBB230_3427:
	s_and_b64 vcc, exec, s[6:7]
	s_cbranch_vccnz .LBB230_3492
; %bb.3428:
	s_andn2_b64 vcc, exec, s[8:9]
	s_cbranch_vccnz .LBB230_3430
.LBB230_3429:
	global_load_ubyte v7, v[4:5], off
	s_mov_b64 s[10:11], -1
	s_waitcnt vmcnt(0)
	v_cmp_ne_u16_e32 vcc, 0, v7
	v_cndmask_b32_e64 v45, 0, 1.0, vcc
.LBB230_3430:
	s_mov_b64 s[6:7], 0
.LBB230_3431:
	s_and_b64 vcc, exec, s[6:7]
	s_cbranch_vccz .LBB230_3480
; %bb.3432:
	v_cmp_gt_i16_e32 vcc, 5, v6
	s_cbranch_vccnz .LBB230_3437
; %bb.3433:
	v_cmp_gt_i16_e32 vcc, 8, v6
	s_cbranch_vccnz .LBB230_3438
	;; [unrolled: 3-line block ×3, first 2 shown]
; %bb.3435:
	v_cmp_lt_i16_e32 vcc, 9, v6
	s_cbranch_vccz .LBB230_3440
; %bb.3436:
	global_load_dwordx2 v[8:9], v[4:5], off
	s_mov_b64 s[6:7], 0
	s_waitcnt vmcnt(0)
	v_cvt_f32_f64_e32 v45, v[8:9]
	s_branch .LBB230_3441
.LBB230_3437:
	s_mov_b64 s[6:7], -1
                                        ; implicit-def: $vgpr45
	s_branch .LBB230_3459
.LBB230_3438:
	s_mov_b64 s[6:7], -1
                                        ; implicit-def: $vgpr45
	s_branch .LBB230_3447
.LBB230_3439:
	s_mov_b64 s[6:7], -1
                                        ; implicit-def: $vgpr45
	s_branch .LBB230_3444
.LBB230_3440:
	s_mov_b64 s[6:7], -1
                                        ; implicit-def: $vgpr45
.LBB230_3441:
	s_andn2_b64 vcc, exec, s[6:7]
	s_cbranch_vccnz .LBB230_3443
; %bb.3442:
	global_load_dword v45, v[4:5], off
.LBB230_3443:
	s_mov_b64 s[6:7], 0
.LBB230_3444:
	s_andn2_b64 vcc, exec, s[6:7]
	s_cbranch_vccnz .LBB230_3446
; %bb.3445:
	global_load_dword v7, v[4:5], off
	s_waitcnt vmcnt(0)
	v_cvt_f32_f16_e32 v45, v7
.LBB230_3446:
	s_mov_b64 s[6:7], 0
.LBB230_3447:
	s_andn2_b64 vcc, exec, s[6:7]
	s_cbranch_vccnz .LBB230_3458
; %bb.3448:
	v_cmp_gt_i16_e32 vcc, 6, v6
	s_cbranch_vccnz .LBB230_3451
; %bb.3449:
	v_cmp_lt_i16_e32 vcc, 6, v6
	s_cbranch_vccz .LBB230_3452
; %bb.3450:
	global_load_dwordx2 v[8:9], v[4:5], off
	s_mov_b64 s[6:7], 0
	s_waitcnt vmcnt(0)
	v_cvt_f32_f64_e32 v45, v[8:9]
	s_branch .LBB230_3453
.LBB230_3451:
	s_mov_b64 s[6:7], -1
                                        ; implicit-def: $vgpr45
	s_branch .LBB230_3456
.LBB230_3452:
	s_mov_b64 s[6:7], -1
                                        ; implicit-def: $vgpr45
.LBB230_3453:
	s_andn2_b64 vcc, exec, s[6:7]
	s_cbranch_vccnz .LBB230_3455
; %bb.3454:
	global_load_dword v45, v[4:5], off
.LBB230_3455:
	s_mov_b64 s[6:7], 0
.LBB230_3456:
	s_andn2_b64 vcc, exec, s[6:7]
	s_cbranch_vccnz .LBB230_3458
; %bb.3457:
	global_load_ushort v7, v[4:5], off
	s_waitcnt vmcnt(0)
	v_cvt_f32_f16_e32 v45, v7
.LBB230_3458:
	s_mov_b64 s[6:7], 0
.LBB230_3459:
	s_andn2_b64 vcc, exec, s[6:7]
	s_cbranch_vccnz .LBB230_3479
; %bb.3460:
	v_cmp_gt_i16_e32 vcc, 2, v6
	s_cbranch_vccnz .LBB230_3464
; %bb.3461:
	v_cmp_gt_i16_e32 vcc, 3, v6
	s_cbranch_vccnz .LBB230_3465
; %bb.3462:
	v_cmp_lt_i16_e32 vcc, 3, v6
	s_cbranch_vccz .LBB230_3466
; %bb.3463:
	global_load_dwordx2 v[8:9], v[4:5], off
	s_mov_b64 s[6:7], 0
	s_waitcnt vmcnt(0)
	v_xor_b32_e32 v10, v8, v9
	v_ffbh_i32_e32 v7, v9
	v_ashrrev_i32_e32 v10, 31, v10
	v_add_u32_e32 v7, -1, v7
	v_add_u32_e32 v10, 32, v10
	v_min_u32_e32 v7, v7, v10
	v_lshlrev_b64 v[8:9], v7, v[8:9]
	v_min_u32_e32 v8, 1, v8
	v_or_b32_e32 v8, v9, v8
	v_cvt_f32_i32_e32 v8, v8
	v_sub_u32_e32 v7, 32, v7
	v_ldexp_f32 v45, v8, v7
	s_branch .LBB230_3467
.LBB230_3464:
	s_mov_b64 s[6:7], -1
                                        ; implicit-def: $vgpr45
	s_branch .LBB230_3473
.LBB230_3465:
	s_mov_b64 s[6:7], -1
                                        ; implicit-def: $vgpr45
	s_branch .LBB230_3470
.LBB230_3466:
	s_mov_b64 s[6:7], -1
                                        ; implicit-def: $vgpr45
.LBB230_3467:
	s_andn2_b64 vcc, exec, s[6:7]
	s_cbranch_vccnz .LBB230_3469
; %bb.3468:
	global_load_dword v7, v[4:5], off
	s_waitcnt vmcnt(0)
	v_cvt_f32_i32_e32 v45, v7
.LBB230_3469:
	s_mov_b64 s[6:7], 0
.LBB230_3470:
	s_andn2_b64 vcc, exec, s[6:7]
	s_cbranch_vccnz .LBB230_3472
; %bb.3471:
	global_load_sshort v7, v[4:5], off
	s_waitcnt vmcnt(0)
	v_cvt_f32_i32_e32 v45, v7
.LBB230_3472:
	s_mov_b64 s[6:7], 0
.LBB230_3473:
	s_andn2_b64 vcc, exec, s[6:7]
	s_cbranch_vccnz .LBB230_3479
; %bb.3474:
	v_cmp_lt_i16_e32 vcc, 0, v6
	s_cbranch_vccz .LBB230_3476
; %bb.3475:
	global_load_sbyte v6, v[4:5], off
	s_mov_b64 s[6:7], 0
	s_waitcnt vmcnt(0)
	v_cvt_f32_i32_e32 v45, v6
	s_branch .LBB230_3477
.LBB230_3476:
	s_mov_b64 s[6:7], -1
                                        ; implicit-def: $vgpr45
.LBB230_3477:
	s_andn2_b64 vcc, exec, s[6:7]
	s_cbranch_vccnz .LBB230_3479
; %bb.3478:
	global_load_ubyte v4, v[4:5], off
	s_waitcnt vmcnt(0)
	v_cvt_f32_ubyte0_e32 v45, v4
.LBB230_3479:
	s_mov_b64 s[10:11], -1
.LBB230_3480:
	s_andn2_b64 vcc, exec, s[10:11]
	s_cbranch_vccnz .LBB230_4064
; %bb.3481:
	v_add_u32_e32 v3, s18, v3
	v_ashrrev_i32_e32 v5, 31, v3
	v_mov_b32_e32 v6, s43
	v_add_co_u32_e32 v4, vcc, s42, v3
	v_addc_co_u32_e32 v5, vcc, v6, v5, vcc
	s_and_b64 vcc, exec, s[4:5]
	s_cbranch_vccnz .LBB230_3488
; %bb.3482:
	v_cmp_lt_i16_e32 vcc, 25, v49
	s_mov_b64 s[6:7], 0
	s_cbranch_vccz .LBB230_3489
; %bb.3483:
	v_cmp_lt_i16_e32 vcc, 28, v49
	s_cbranch_vccz .LBB230_3490
; %bb.3484:
	v_cmp_lt_i16_e32 vcc, 43, v49
	s_cbranch_vccz .LBB230_3491
; %bb.3485:
	v_cmp_lt_i16_e32 vcc, 45, v49
	s_cbranch_vccz .LBB230_3493
; %bb.3486:
	v_cmp_eq_u16_e32 vcc, 46, v49
	s_mov_b64 s[10:11], 0
	s_cbranch_vccz .LBB230_3494
; %bb.3487:
	global_load_dword v3, v[4:5], off
	s_mov_b64 s[4:5], 0
	s_mov_b64 s[8:9], -1
	s_waitcnt vmcnt(0)
	v_lshlrev_b32_e32 v46, 16, v3
	s_branch .LBB230_3495
.LBB230_3488:
	s_mov_b64 s[4:5], -1
	s_mov_b64 s[8:9], 0
                                        ; implicit-def: $vgpr46
	s_branch .LBB230_3561
.LBB230_3489:
	s_mov_b64 s[10:11], -1
	s_mov_b64 s[8:9], 0
	s_mov_b64 s[4:5], 0
                                        ; implicit-def: $vgpr46
	s_branch .LBB230_3524
.LBB230_3490:
	s_mov_b64 s[10:11], -1
	s_mov_b64 s[8:9], 0
	s_mov_b64 s[4:5], 0
                                        ; implicit-def: $vgpr46
	s_branch .LBB230_3505
.LBB230_3491:
	s_mov_b64 s[10:11], -1
	s_mov_b64 s[8:9], 0
	s_mov_b64 s[4:5], 0
                                        ; implicit-def: $vgpr46
	s_branch .LBB230_3500
.LBB230_3492:
	s_trap 2
	s_or_b64 s[50:51], s[50:51], exec
                                        ; implicit-def: $vgpr45
	s_cbranch_execz .LBB230_3429
	s_branch .LBB230_3430
.LBB230_3493:
	s_mov_b64 s[10:11], -1
	s_mov_b64 s[8:9], 0
	s_mov_b64 s[4:5], 0
                                        ; implicit-def: $vgpr46
	s_branch .LBB230_3495
.LBB230_3494:
	s_mov_b64 s[4:5], -1
                                        ; implicit-def: $vgpr46
	s_mov_b64 s[8:9], 0
.LBB230_3495:
	s_and_b64 vcc, exec, s[10:11]
	s_cbranch_vccz .LBB230_3499
; %bb.3496:
	v_cmp_eq_u16_e32 vcc, 44, v49
	s_cbranch_vccz .LBB230_3498
; %bb.3497:
	global_load_ubyte v3, v[4:5], off
	s_movk_i32 s8, 0xff
	v_mov_b32_e32 v6, 0x7f800001
	v_mov_b32_e32 v7, 0x400000
	s_mov_b64 s[4:5], 0
	s_waitcnt vmcnt(0)
	v_lshlrev_b32_e32 v8, 23, v3
	v_cmp_ne_u32_e32 vcc, s8, v3
	v_cndmask_b32_e32 v6, v6, v8, vcc
	v_cmp_ne_u32_e32 vcc, 0, v3
	v_cndmask_b32_e32 v46, v7, v6, vcc
	s_mov_b64 s[8:9], -1
	s_branch .LBB230_3499
.LBB230_3498:
	s_mov_b64 s[4:5], -1
                                        ; implicit-def: $vgpr46
.LBB230_3499:
	s_mov_b64 s[10:11], 0
.LBB230_3500:
	s_and_b64 vcc, exec, s[10:11]
	s_cbranch_vccz .LBB230_3504
; %bb.3501:
	v_cmp_eq_u16_e32 vcc, 29, v49
	s_cbranch_vccz .LBB230_3503
; %bb.3502:
	global_load_dwordx2 v[6:7], v[4:5], off
	s_mov_b64 s[4:5], 0
	s_mov_b64 s[8:9], -1
	s_mov_b64 s[10:11], 0
	s_waitcnt vmcnt(0)
	v_ffbh_u32_e32 v3, v7
	v_min_u32_e32 v3, 32, v3
	v_lshlrev_b64 v[6:7], v3, v[6:7]
	v_min_u32_e32 v6, 1, v6
	v_or_b32_e32 v6, v7, v6
	v_cvt_f32_u32_e32 v6, v6
	v_sub_u32_e32 v3, 32, v3
	v_ldexp_f32 v46, v6, v3
	s_branch .LBB230_3505
.LBB230_3503:
	s_mov_b64 s[4:5], -1
                                        ; implicit-def: $vgpr46
.LBB230_3504:
	s_mov_b64 s[10:11], 0
.LBB230_3505:
	s_and_b64 vcc, exec, s[10:11]
	s_cbranch_vccz .LBB230_3523
; %bb.3506:
	v_cmp_gt_i16_e32 vcc, 27, v49
	s_cbranch_vccnz .LBB230_3509
; %bb.3507:
	v_cmp_lt_i16_e32 vcc, 27, v49
	s_cbranch_vccz .LBB230_3510
; %bb.3508:
	global_load_dword v3, v[4:5], off
	s_mov_b64 s[8:9], 0
	s_waitcnt vmcnt(0)
	v_cvt_f32_u32_e32 v46, v3
	s_branch .LBB230_3511
.LBB230_3509:
	s_mov_b64 s[8:9], -1
                                        ; implicit-def: $vgpr46
	s_branch .LBB230_3514
.LBB230_3510:
	s_mov_b64 s[8:9], -1
                                        ; implicit-def: $vgpr46
.LBB230_3511:
	s_andn2_b64 vcc, exec, s[8:9]
	s_cbranch_vccnz .LBB230_3513
; %bb.3512:
	global_load_ushort v3, v[4:5], off
	s_waitcnt vmcnt(0)
	v_cvt_f32_u32_e32 v46, v3
.LBB230_3513:
	s_mov_b64 s[8:9], 0
.LBB230_3514:
	s_andn2_b64 vcc, exec, s[8:9]
	s_cbranch_vccnz .LBB230_3522
; %bb.3515:
	global_load_ubyte v3, v[4:5], off
	s_movk_i32 s8, 0x7f
                                        ; implicit-def: $sgpr14
	s_waitcnt vmcnt(0)
	v_cmp_lt_i16_e32 vcc, s8, v3
	s_mov_b64 s[8:9], 0
	s_and_saveexec_b64 s[10:11], vcc
	s_xor_b64 s[10:11], exec, s[10:11]
	s_cbranch_execz .LBB230_3536
; %bb.3516:
	s_movk_i32 s8, 0x80
	v_cmp_eq_u16_e32 vcc, s8, v3
	s_mov_b64 s[8:9], -1
                                        ; implicit-def: $sgpr14
	s_and_saveexec_b64 s[12:13], vcc
; %bb.3517:
	s_mov_b32 s14, 0x7f800001
	s_xor_b64 s[8:9], exec, -1
; %bb.3518:
	s_or_b64 exec, exec, s[12:13]
	s_and_b64 s[8:9], s[8:9], exec
	s_or_saveexec_b64 s[10:11], s[10:11]
	v_mov_b32_e32 v46, s14
	s_xor_b64 exec, exec, s[10:11]
	s_cbranch_execnz .LBB230_3537
.LBB230_3519:
	s_or_b64 exec, exec, s[10:11]
	s_and_saveexec_b64 s[10:11], s[8:9]
	s_cbranch_execz .LBB230_3521
.LBB230_3520:
	v_lshlrev_b32_e32 v6, 24, v3
	v_and_b32_e32 v3, 0xffff, v3
	v_and_b32_e32 v7, 7, v3
	v_ffbh_u32_e32 v9, v7
	v_min_u32_e32 v9, 32, v9
	v_subrev_u32_e32 v10, 28, v9
	v_bfe_u32 v8, v3, 3, 4
	v_lshlrev_b32_e32 v3, v10, v3
	v_sub_u32_e32 v9, 29, v9
	v_and_b32_e32 v3, 7, v3
	v_cmp_eq_u32_e32 vcc, 0, v8
	v_cndmask_b32_e32 v8, v8, v9, vcc
	v_cndmask_b32_e32 v3, v7, v3, vcc
	v_mov_b32_e32 v7, 0x3b800000
	v_lshlrev_b32_e32 v3, 20, v3
	v_and_b32_e32 v6, 0x80000000, v6
	v_lshl_add_u32 v7, v8, 23, v7
	v_or3_b32 v46, v6, v7, v3
.LBB230_3521:
	s_or_b64 exec, exec, s[10:11]
.LBB230_3522:
	s_mov_b64 s[8:9], -1
.LBB230_3523:
	s_mov_b64 s[10:11], 0
.LBB230_3524:
	s_and_b64 vcc, exec, s[10:11]
	s_cbranch_vccz .LBB230_3557
; %bb.3525:
	v_cmp_lt_i16_e32 vcc, 22, v49
	s_cbranch_vccz .LBB230_3535
; %bb.3526:
	v_cmp_gt_i16_e32 vcc, 24, v49
	s_cbranch_vccnz .LBB230_3538
; %bb.3527:
	v_cmp_lt_i16_e32 vcc, 24, v49
	s_cbranch_vccz .LBB230_3539
; %bb.3528:
	global_load_ubyte v3, v[4:5], off
	s_movk_i32 s6, 0x7f
                                        ; implicit-def: $sgpr12
	s_waitcnt vmcnt(0)
	v_cmp_lt_i16_e32 vcc, s6, v3
	s_mov_b64 s[6:7], 0
	s_and_saveexec_b64 s[8:9], vcc
	s_xor_b64 s[8:9], exec, s[8:9]
	s_cbranch_execz .LBB230_3551
; %bb.3529:
	s_movk_i32 s6, 0x80
	v_cmp_eq_u16_e32 vcc, s6, v3
	s_mov_b64 s[6:7], -1
                                        ; implicit-def: $sgpr12
	s_and_saveexec_b64 s[10:11], vcc
; %bb.3530:
	s_mov_b32 s12, 0x7f800001
	s_xor_b64 s[6:7], exec, -1
; %bb.3531:
	s_or_b64 exec, exec, s[10:11]
	s_and_b64 s[6:7], s[6:7], exec
	s_or_saveexec_b64 s[8:9], s[8:9]
	v_mov_b32_e32 v46, s12
	s_xor_b64 exec, exec, s[8:9]
	s_cbranch_execnz .LBB230_3552
.LBB230_3532:
	s_or_b64 exec, exec, s[8:9]
	s_and_saveexec_b64 s[8:9], s[6:7]
	s_cbranch_execz .LBB230_3534
.LBB230_3533:
	v_lshlrev_b32_e32 v6, 24, v3
	v_and_b32_e32 v3, 0xffff, v3
	v_and_b32_e32 v7, 3, v3
	v_ffbh_u32_e32 v9, v7
	v_min_u32_e32 v9, 32, v9
	v_subrev_u32_e32 v10, 29, v9
	v_bfe_u32 v8, v3, 2, 5
	v_lshlrev_b32_e32 v3, v10, v3
	v_sub_u32_e32 v9, 30, v9
	v_and_b32_e32 v3, 3, v3
	v_cmp_eq_u32_e32 vcc, 0, v8
	v_cndmask_b32_e32 v8, v8, v9, vcc
	v_cndmask_b32_e32 v3, v7, v3, vcc
	v_mov_b32_e32 v7, 0x37800000
	v_lshlrev_b32_e32 v3, 21, v3
	v_and_b32_e32 v6, 0x80000000, v6
	v_lshl_add_u32 v7, v8, 23, v7
	v_or3_b32 v46, v6, v7, v3
.LBB230_3534:
	s_or_b64 exec, exec, s[8:9]
	s_mov_b64 s[6:7], 0
	s_branch .LBB230_3540
.LBB230_3535:
	s_mov_b64 s[6:7], -1
                                        ; implicit-def: $vgpr46
	s_branch .LBB230_3546
.LBB230_3536:
	s_or_saveexec_b64 s[10:11], s[10:11]
	v_mov_b32_e32 v46, s14
	s_xor_b64 exec, exec, s[10:11]
	s_cbranch_execz .LBB230_3519
.LBB230_3537:
	v_cmp_ne_u16_e32 vcc, 0, v3
	s_andn2_b64 s[8:9], s[8:9], exec
	s_and_b64 s[12:13], vcc, exec
	v_mov_b32_e32 v46, 0
	s_or_b64 s[8:9], s[8:9], s[12:13]
	s_or_b64 exec, exec, s[10:11]
	s_and_saveexec_b64 s[10:11], s[8:9]
	s_cbranch_execnz .LBB230_3520
	s_branch .LBB230_3521
.LBB230_3538:
	s_mov_b64 s[6:7], -1
                                        ; implicit-def: $vgpr46
	s_branch .LBB230_3543
.LBB230_3539:
	s_mov_b64 s[6:7], -1
                                        ; implicit-def: $vgpr46
.LBB230_3540:
	s_and_b64 vcc, exec, s[6:7]
	s_cbranch_vccz .LBB230_3542
; %bb.3541:
	global_load_ubyte v3, v[4:5], off
	s_mov_b32 s6, 0x7f800000
	s_waitcnt vmcnt(0)
	v_lshlrev_b32_e32 v3, 24, v3
	v_and_b32_e32 v6, 0x7f000000, v3
	v_ffbh_u32_e32 v7, v6
	v_min_u32_e32 v7, 32, v7
	v_sub_u32_e64 v7, v7, 4 clamp
	v_lshlrev_b32_e32 v9, v7, v6
	v_lshlrev_b32_e32 v7, 23, v7
	v_lshrrev_b32_e32 v9, 4, v9
	v_add_u32_e32 v8, 0x1000000, v6
	v_sub_u32_e32 v7, v9, v7
	v_ashrrev_i32_e32 v8, 8, v8
	v_add_u32_e32 v7, 0x3c000000, v7
	v_and_or_b32 v7, v8, s6, v7
	v_cmp_ne_u32_e32 vcc, 0, v6
	v_cndmask_b32_e32 v6, 0, v7, vcc
	s_brev_b32 s6, 1
	v_and_or_b32 v46, v3, s6, v6
.LBB230_3542:
	s_mov_b64 s[6:7], 0
.LBB230_3543:
	s_andn2_b64 vcc, exec, s[6:7]
	s_cbranch_vccnz .LBB230_3545
; %bb.3544:
	global_load_ubyte v3, v[4:5], off
	s_movk_i32 s6, 0x7f00
	s_brev_b32 s7, 16
	s_waitcnt vmcnt(0)
	v_lshlrev_b16_e32 v6, 8, v3
	v_lshlrev_b32_e32 v3, 25, v3
	v_lshrrev_b32_e32 v7, 4, v3
	v_and_or_b32 v8, v6, s6, 0.5
	v_or_b32_e32 v7, 0x70000000, v7
	v_add_f32_e32 v8, -0.5, v8
	v_mul_f32_e32 v7, 0x7800000, v7
	v_cmp_gt_u32_e32 vcc, s7, v3
	v_bfe_i32 v6, v6, 0, 16
	v_cndmask_b32_e32 v3, v7, v8, vcc
	s_brev_b32 s6, 1
	v_and_or_b32 v46, v6, s6, v3
.LBB230_3545:
	s_mov_b64 s[6:7], 0
	s_mov_b64 s[8:9], -1
.LBB230_3546:
	s_andn2_b64 vcc, exec, s[6:7]
	s_mov_b64 s[6:7], 0
	s_cbranch_vccnz .LBB230_3557
; %bb.3547:
	v_cmp_lt_i16_e32 vcc, 14, v49
	s_cbranch_vccz .LBB230_3550
; %bb.3548:
	v_cmp_eq_u16_e32 vcc, 15, v49
	s_cbranch_vccz .LBB230_3553
; %bb.3549:
	global_load_ushort v3, v[4:5], off
	s_mov_b64 s[4:5], 0
	s_mov_b64 s[8:9], -1
	s_waitcnt vmcnt(0)
	v_lshlrev_b32_e32 v46, 16, v3
	s_branch .LBB230_3554
.LBB230_3550:
	s_mov_b64 s[10:11], -1
                                        ; implicit-def: $vgpr46
	s_branch .LBB230_3555
.LBB230_3551:
	s_or_saveexec_b64 s[8:9], s[8:9]
	v_mov_b32_e32 v46, s12
	s_xor_b64 exec, exec, s[8:9]
	s_cbranch_execz .LBB230_3532
.LBB230_3552:
	v_cmp_ne_u16_e32 vcc, 0, v3
	s_andn2_b64 s[6:7], s[6:7], exec
	s_and_b64 s[10:11], vcc, exec
	v_mov_b32_e32 v46, 0
	s_or_b64 s[6:7], s[6:7], s[10:11]
	s_or_b64 exec, exec, s[8:9]
	s_and_saveexec_b64 s[8:9], s[6:7]
	s_cbranch_execnz .LBB230_3533
	s_branch .LBB230_3534
.LBB230_3553:
	s_mov_b64 s[4:5], -1
                                        ; implicit-def: $vgpr46
.LBB230_3554:
	s_mov_b64 s[10:11], 0
.LBB230_3555:
	s_and_b64 vcc, exec, s[10:11]
	s_cbranch_vccz .LBB230_3557
; %bb.3556:
	v_cmp_ne_u16_e64 s[4:5], 11, v49
	s_mov_b64 s[6:7], -1
                                        ; implicit-def: $vgpr46
.LBB230_3557:
	s_and_b64 vcc, exec, s[4:5]
	s_cbranch_vccnz .LBB230_3621
; %bb.3558:
	s_andn2_b64 vcc, exec, s[6:7]
	s_cbranch_vccnz .LBB230_3560
.LBB230_3559:
	global_load_ubyte v3, v[4:5], off
	s_mov_b64 s[8:9], -1
	s_waitcnt vmcnt(0)
	v_cmp_ne_u16_e32 vcc, 0, v3
	v_cndmask_b32_e64 v46, 0, 1.0, vcc
.LBB230_3560:
	s_mov_b64 s[4:5], 0
.LBB230_3561:
	s_and_b64 vcc, exec, s[4:5]
	s_cbranch_vccz .LBB230_3610
; %bb.3562:
	v_cmp_gt_i16_e32 vcc, 5, v49
	s_cbranch_vccnz .LBB230_3567
; %bb.3563:
	v_cmp_gt_i16_e32 vcc, 8, v49
	s_cbranch_vccnz .LBB230_3568
	;; [unrolled: 3-line block ×3, first 2 shown]
; %bb.3565:
	v_cmp_lt_i16_e32 vcc, 9, v49
	s_cbranch_vccz .LBB230_3570
; %bb.3566:
	global_load_dwordx2 v[6:7], v[4:5], off
	s_mov_b64 s[4:5], 0
	s_waitcnt vmcnt(0)
	v_cvt_f32_f64_e32 v46, v[6:7]
	s_branch .LBB230_3571
.LBB230_3567:
	s_mov_b64 s[4:5], -1
                                        ; implicit-def: $vgpr46
	s_branch .LBB230_3589
.LBB230_3568:
	s_mov_b64 s[4:5], -1
                                        ; implicit-def: $vgpr46
	s_branch .LBB230_3577
.LBB230_3569:
	s_mov_b64 s[4:5], -1
                                        ; implicit-def: $vgpr46
	s_branch .LBB230_3574
.LBB230_3570:
	s_mov_b64 s[4:5], -1
                                        ; implicit-def: $vgpr46
.LBB230_3571:
	s_andn2_b64 vcc, exec, s[4:5]
	s_cbranch_vccnz .LBB230_3573
; %bb.3572:
	global_load_dword v46, v[4:5], off
.LBB230_3573:
	s_mov_b64 s[4:5], 0
.LBB230_3574:
	s_andn2_b64 vcc, exec, s[4:5]
	s_cbranch_vccnz .LBB230_3576
; %bb.3575:
	global_load_dword v3, v[4:5], off
	s_waitcnt vmcnt(0)
	v_cvt_f32_f16_e32 v46, v3
.LBB230_3576:
	s_mov_b64 s[4:5], 0
.LBB230_3577:
	s_andn2_b64 vcc, exec, s[4:5]
	s_cbranch_vccnz .LBB230_3588
; %bb.3578:
	v_cmp_gt_i16_e32 vcc, 6, v49
	s_cbranch_vccnz .LBB230_3581
; %bb.3579:
	v_cmp_lt_i16_e32 vcc, 6, v49
	s_cbranch_vccz .LBB230_3582
; %bb.3580:
	global_load_dwordx2 v[6:7], v[4:5], off
	s_mov_b64 s[4:5], 0
	s_waitcnt vmcnt(0)
	v_cvt_f32_f64_e32 v46, v[6:7]
	s_branch .LBB230_3583
.LBB230_3581:
	s_mov_b64 s[4:5], -1
                                        ; implicit-def: $vgpr46
	s_branch .LBB230_3586
.LBB230_3582:
	s_mov_b64 s[4:5], -1
                                        ; implicit-def: $vgpr46
.LBB230_3583:
	s_andn2_b64 vcc, exec, s[4:5]
	s_cbranch_vccnz .LBB230_3585
; %bb.3584:
	global_load_dword v46, v[4:5], off
.LBB230_3585:
	s_mov_b64 s[4:5], 0
.LBB230_3586:
	s_andn2_b64 vcc, exec, s[4:5]
	s_cbranch_vccnz .LBB230_3588
; %bb.3587:
	global_load_ushort v3, v[4:5], off
	s_waitcnt vmcnt(0)
	v_cvt_f32_f16_e32 v46, v3
.LBB230_3588:
	s_mov_b64 s[4:5], 0
.LBB230_3589:
	s_andn2_b64 vcc, exec, s[4:5]
	s_cbranch_vccnz .LBB230_3609
; %bb.3590:
	v_cmp_gt_i16_e32 vcc, 2, v49
	s_cbranch_vccnz .LBB230_3594
; %bb.3591:
	v_cmp_gt_i16_e32 vcc, 3, v49
	s_cbranch_vccnz .LBB230_3595
; %bb.3592:
	v_cmp_lt_i16_e32 vcc, 3, v49
	s_cbranch_vccz .LBB230_3596
; %bb.3593:
	global_load_dwordx2 v[6:7], v[4:5], off
	s_mov_b64 s[4:5], 0
	s_waitcnt vmcnt(0)
	v_xor_b32_e32 v8, v6, v7
	v_ffbh_i32_e32 v3, v7
	v_ashrrev_i32_e32 v8, 31, v8
	v_add_u32_e32 v3, -1, v3
	v_add_u32_e32 v8, 32, v8
	v_min_u32_e32 v3, v3, v8
	v_lshlrev_b64 v[6:7], v3, v[6:7]
	v_min_u32_e32 v6, 1, v6
	v_or_b32_e32 v6, v7, v6
	v_cvt_f32_i32_e32 v6, v6
	v_sub_u32_e32 v3, 32, v3
	v_ldexp_f32 v46, v6, v3
	s_branch .LBB230_3597
.LBB230_3594:
	s_mov_b64 s[4:5], -1
                                        ; implicit-def: $vgpr46
	s_branch .LBB230_3603
.LBB230_3595:
	s_mov_b64 s[4:5], -1
                                        ; implicit-def: $vgpr46
	s_branch .LBB230_3600
.LBB230_3596:
	s_mov_b64 s[4:5], -1
                                        ; implicit-def: $vgpr46
.LBB230_3597:
	s_andn2_b64 vcc, exec, s[4:5]
	s_cbranch_vccnz .LBB230_3599
; %bb.3598:
	global_load_dword v3, v[4:5], off
	s_waitcnt vmcnt(0)
	v_cvt_f32_i32_e32 v46, v3
.LBB230_3599:
	s_mov_b64 s[4:5], 0
.LBB230_3600:
	s_andn2_b64 vcc, exec, s[4:5]
	s_cbranch_vccnz .LBB230_3602
; %bb.3601:
	global_load_sshort v3, v[4:5], off
	s_waitcnt vmcnt(0)
	v_cvt_f32_i32_e32 v46, v3
.LBB230_3602:
	s_mov_b64 s[4:5], 0
.LBB230_3603:
	s_andn2_b64 vcc, exec, s[4:5]
	s_cbranch_vccnz .LBB230_3609
; %bb.3604:
	v_cmp_lt_i16_e32 vcc, 0, v49
	s_cbranch_vccz .LBB230_3606
; %bb.3605:
	global_load_sbyte v3, v[4:5], off
	s_mov_b64 s[4:5], 0
	s_waitcnt vmcnt(0)
	v_cvt_f32_i32_e32 v46, v3
	s_branch .LBB230_3607
.LBB230_3606:
	s_mov_b64 s[4:5], -1
                                        ; implicit-def: $vgpr46
.LBB230_3607:
	s_andn2_b64 vcc, exec, s[4:5]
	s_cbranch_vccnz .LBB230_3609
; %bb.3608:
	global_load_ubyte v3, v[4:5], off
	s_waitcnt vmcnt(0)
	v_cvt_f32_ubyte0_e32 v46, v3
.LBB230_3609:
	s_mov_b64 s[8:9], -1
.LBB230_3610:
	s_andn2_b64 vcc, exec, s[8:9]
	s_cbranch_vccnz .LBB230_4064
; %bb.3611:
	s_getpc_b64 s[4:5]
	s_add_u32 s4, s4, _ZZZZN2at6native28launch_dirichlet_grad_kernelERNS_18TensorIteratorBaseEENKUlvE_clEvENKUlvE0_clEvENKUlfffE_clEfff@rel32@lo+4
	s_addc_u32 s5, s5, _ZZZZN2at6native28launch_dirichlet_grad_kernelERNS_18TensorIteratorBaseEENKUlvE_clEvENKUlvE0_clEvENKUlfffE_clEfff@rel32@hi+12
	s_swappc_b64 s[30:31], s[4:5]
	v_mul_lo_u32 v48, s44, v48
	v_ashrrev_i32_e32 v1, 31, v48
	v_mov_b32_e32 v3, s37
	v_add_co_u32_e32 v2, vcc, s36, v48
	v_addc_co_u32_e32 v3, vcc, v3, v1, vcc
	v_mov_b32_e32 v1, 11
	v_cmp_lt_i16_sdwa s[4:5], v47, v1 src0_sel:BYTE_0 src1_sel:DWORD
	s_and_b64 vcc, exec, s[4:5]
	s_cbranch_vccnz .LBB230_3618
; %bb.3612:
	v_mov_b32_e32 v1, 25
	v_cmp_gt_i16_sdwa s[4:5], v47, v1 src0_sel:BYTE_0 src1_sel:DWORD
	s_mov_b64 s[10:11], -1
	s_mov_b64 s[6:7], 0
	s_and_b64 vcc, exec, s[4:5]
	s_mov_b64 s[8:9], 0
	s_mov_b64 s[4:5], 0
	s_cbranch_vccz .LBB230_3650
; %bb.3613:
	v_mov_b32_e32 v1, 28
	v_cmp_gt_i16_sdwa s[4:5], v47, v1 src0_sel:BYTE_0 src1_sel:DWORD
	s_and_b64 vcc, exec, s[4:5]
	s_cbranch_vccz .LBB230_3619
; %bb.3614:
	v_mov_b32_e32 v1, 43
	v_cmp_gt_i16_sdwa s[4:5], v47, v1 src0_sel:BYTE_0 src1_sel:DWORD
	s_and_b64 vcc, exec, s[4:5]
	;; [unrolled: 5-line block ×3, first 2 shown]
	s_cbranch_vccz .LBB230_3622
; %bb.3616:
	v_mov_b32_e32 v1, 46
	v_cmp_eq_u16_sdwa s[8:9], v47, v1 src0_sel:BYTE_0 src1_sel:DWORD
	s_mov_b64 s[4:5], -1
	s_mov_b64 s[10:11], 0
	s_and_b64 vcc, exec, s[8:9]
	s_mov_b64 s[8:9], 0
	s_cbranch_vccz .LBB230_3623
; %bb.3617:
	v_bfe_u32 v1, v0, 16, 1
	s_movk_i32 s4, 0x7fff
	v_add3_u32 v1, v0, v1, s4
	v_lshrrev_b32_e32 v1, 16, v1
	v_mov_b32_e32 v4, 0x7fc0
	v_cmp_o_f32_e32 vcc, v0, v0
	v_cndmask_b32_e32 v1, v4, v1, vcc
	global_store_dword v[2:3], v1, off
	s_mov_b64 s[4:5], 0
	s_mov_b64 s[8:9], -1
	s_branch .LBB230_3623
.LBB230_3618:
	s_mov_b64 s[4:5], -1
	s_mov_b64 s[8:9], 0
	s_branch .LBB230_3694
.LBB230_3619:
	s_mov_b64 s[4:5], 0
	s_branch .LBB230_3633
.LBB230_3620:
	s_mov_b64 s[4:5], 0
	s_branch .LBB230_3629
.LBB230_3621:
	s_trap 2
	s_or_b64 s[50:51], s[50:51], exec
                                        ; implicit-def: $vgpr46
	s_cbranch_execz .LBB230_3559
	s_branch .LBB230_3560
.LBB230_3622:
	s_mov_b64 s[4:5], 0
.LBB230_3623:
	s_and_b64 vcc, exec, s[10:11]
	s_cbranch_vccz .LBB230_3628
; %bb.3624:
	v_mov_b32_e32 v1, 44
	v_cmp_eq_u16_sdwa s[10:11], v47, v1 src0_sel:BYTE_0 src1_sel:DWORD
	s_mov_b64 s[4:5], -1
	s_and_b64 vcc, exec, s[10:11]
	s_cbranch_vccz .LBB230_3628
; %bb.3625:
	v_bfe_u32 v1, v0, 23, 8
	s_movk_i32 s4, 0xff
	v_cmp_ne_u32_e32 vcc, s4, v1
	v_mov_b32_e32 v4, 0xff
	s_and_saveexec_b64 s[8:9], vcc
; %bb.3626:
	s_mov_b32 s4, 0x3fffff
	v_and_b32_e32 v5, 0x400000, v0
	v_and_or_b32 v1, v0, s4, v1
	v_cmp_ne_u32_e32 vcc, 0, v5
	v_cmp_ne_u32_e64 s[4:5], 0, v1
	s_and_b64 s[4:5], vcc, s[4:5]
	v_lshrrev_b32_e32 v4, 23, v0
	v_cndmask_b32_e64 v1, 0, 1, s[4:5]
	v_add_u32_e32 v4, v4, v1
; %bb.3627:
	s_or_b64 exec, exec, s[8:9]
	s_mov_b64 s[4:5], 0
	s_mov_b64 s[8:9], -1
	global_store_byte v[2:3], v4, off
.LBB230_3628:
	s_mov_b64 s[10:11], 0
.LBB230_3629:
	s_and_b64 vcc, exec, s[10:11]
	s_cbranch_vccz .LBB230_3632
; %bb.3630:
	v_mov_b32_e32 v1, 29
	v_cmp_eq_u16_sdwa s[10:11], v47, v1 src0_sel:BYTE_0 src1_sel:DWORD
	s_mov_b64 s[4:5], -1
	s_and_b64 vcc, exec, s[10:11]
	s_cbranch_vccz .LBB230_3632
; %bb.3631:
	v_trunc_f32_e32 v1, v0
	v_mul_f32_e32 v4, 0x2f800000, v1
	v_floor_f32_e32 v4, v4
	v_fmac_f32_e32 v1, 0xcf800000, v4
	v_cvt_u32_f32_e32 v5, v4
	v_cvt_u32_f32_e32 v4, v1
	s_mov_b64 s[4:5], 0
	s_mov_b64 s[8:9], -1
	s_mov_b64 s[10:11], 0
	global_store_dwordx2 v[2:3], v[4:5], off
	s_branch .LBB230_3633
.LBB230_3632:
	s_mov_b64 s[10:11], 0
.LBB230_3633:
	s_and_b64 vcc, exec, s[10:11]
	s_cbranch_vccz .LBB230_3649
; %bb.3634:
	v_mov_b32_e32 v1, 27
	v_cmp_lt_i16_sdwa s[10:11], v47, v1 src0_sel:BYTE_0 src1_sel:DWORD
	s_mov_b64 s[8:9], -1
	s_and_b64 vcc, exec, s[10:11]
	s_cbranch_vccnz .LBB230_3640
; %bb.3635:
	v_cmp_gt_i16_sdwa s[10:11], v47, v1 src0_sel:BYTE_0 src1_sel:DWORD
	v_cvt_u32_f32_e32 v1, v0
	s_and_b64 vcc, exec, s[10:11]
	s_cbranch_vccz .LBB230_3637
; %bb.3636:
	s_mov_b64 s[8:9], 0
	global_store_dword v[2:3], v1, off
.LBB230_3637:
	s_andn2_b64 vcc, exec, s[8:9]
	s_cbranch_vccnz .LBB230_3639
; %bb.3638:
	global_store_short v[2:3], v1, off
.LBB230_3639:
	s_mov_b64 s[8:9], 0
.LBB230_3640:
	s_andn2_b64 vcc, exec, s[8:9]
	s_cbranch_vccnz .LBB230_3648
; %bb.3641:
	v_and_b32_e32 v1, 0x7fffffff, v0
	s_mov_b32 s8, 0x43800000
	v_cmp_gt_u32_e32 vcc, s8, v1
	v_mov_b32_e32 v4, 0x80
	s_and_saveexec_b64 s[8:9], vcc
	s_cbranch_execz .LBB230_3647
; %bb.3642:
	s_mov_b32 s10, 0x3bffffff
	v_cmp_lt_u32_e32 vcc, s10, v1
	s_mov_b64 s[10:11], 0
                                        ; implicit-def: $vgpr1
	s_and_saveexec_b64 s[12:13], vcc
	s_xor_b64 s[12:13], exec, s[12:13]
	s_cbranch_execz .LBB230_3743
; %bb.3643:
	v_bfe_u32 v1, v0, 20, 1
	s_mov_b32 s14, 0x487ffff
	v_add3_u32 v1, v0, v1, s14
	s_mov_b64 s[10:11], exec
	v_lshrrev_b32_e32 v1, 20, v1
	s_or_saveexec_b64 s[12:13], s[12:13]
                                        ; implicit-def: $sgpr14
	s_xor_b64 exec, exec, s[12:13]
	s_cbranch_execnz .LBB230_3744
.LBB230_3644:
	s_or_b64 exec, exec, s[12:13]
	v_mov_b32_e32 v4, s14
	s_and_saveexec_b64 s[12:13], s[10:11]
.LBB230_3645:
	v_lshrrev_b32_e32 v4, 24, v0
	s_movk_i32 s10, 0x80
	v_and_or_b32 v4, v4, s10, v1
.LBB230_3646:
	s_or_b64 exec, exec, s[12:13]
.LBB230_3647:
	s_or_b64 exec, exec, s[8:9]
	global_store_byte v[2:3], v4, off
.LBB230_3648:
	s_mov_b64 s[8:9], -1
.LBB230_3649:
	s_mov_b64 s[10:11], 0
.LBB230_3650:
	s_and_b64 vcc, exec, s[10:11]
	s_cbranch_vccz .LBB230_3690
; %bb.3651:
	v_mov_b32_e32 v1, 22
	v_cmp_gt_i16_sdwa s[10:11], v47, v1 src0_sel:BYTE_0 src1_sel:DWORD
	s_mov_b64 s[6:7], -1
	s_and_b64 vcc, exec, s[10:11]
	s_cbranch_vccz .LBB230_3683
; %bb.3652:
	v_mov_b32_e32 v1, 24
	v_cmp_lt_i16_sdwa s[8:9], v47, v1 src0_sel:BYTE_0 src1_sel:DWORD
	s_and_b64 vcc, exec, s[8:9]
	s_cbranch_vccnz .LBB230_3672
; %bb.3653:
	v_cmp_gt_i16_sdwa s[8:9], v47, v1 src0_sel:BYTE_0 src1_sel:DWORD
	s_and_b64 vcc, exec, s[8:9]
	s_cbranch_vccz .LBB230_3661
; %bb.3654:
	v_and_b32_e32 v1, 0x7fffffff, v0
	s_mov_b32 s6, 0x47800000
	v_cmp_gt_u32_e32 vcc, s6, v1
	v_mov_b32_e32 v4, 0x80
	s_and_saveexec_b64 s[6:7], vcc
	s_cbranch_execz .LBB230_3660
; %bb.3655:
	s_mov_b32 s8, 0x37ffffff
	v_cmp_lt_u32_e32 vcc, s8, v1
	s_mov_b64 s[8:9], 0
                                        ; implicit-def: $vgpr1
	s_and_saveexec_b64 s[10:11], vcc
	s_xor_b64 s[10:11], exec, s[10:11]
	s_cbranch_execz .LBB230_3747
; %bb.3656:
	v_bfe_u32 v1, v0, 21, 1
	s_mov_b32 s12, 0x88fffff
	v_add3_u32 v1, v0, v1, s12
	s_mov_b64 s[8:9], exec
	v_lshrrev_b32_e32 v1, 21, v1
	s_or_saveexec_b64 s[10:11], s[10:11]
                                        ; implicit-def: $sgpr12
	s_xor_b64 exec, exec, s[10:11]
	s_cbranch_execnz .LBB230_3748
.LBB230_3657:
	s_or_b64 exec, exec, s[10:11]
	v_mov_b32_e32 v4, s12
	s_and_saveexec_b64 s[10:11], s[8:9]
.LBB230_3658:
	v_lshrrev_b32_e32 v4, 24, v0
	s_movk_i32 s8, 0x80
	v_and_or_b32 v4, v4, s8, v1
.LBB230_3659:
	s_or_b64 exec, exec, s[10:11]
.LBB230_3660:
	s_or_b64 exec, exec, s[6:7]
	s_mov_b64 s[6:7], 0
	global_store_byte v[2:3], v4, off
.LBB230_3661:
	s_and_b64 vcc, exec, s[6:7]
	s_cbranch_vccz .LBB230_3671
; %bb.3662:
	v_and_b32_e32 v4, 0x7fffffff, v0
	s_mov_b32 s6, 0x43f00000
	v_cmp_gt_u32_e32 vcc, s6, v4
                                        ; implicit-def: $vgpr1
	s_and_saveexec_b64 s[6:7], vcc
	s_xor_b64 s[6:7], exec, s[6:7]
	s_cbranch_execz .LBB230_3668
; %bb.3663:
	s_mov_b32 s8, 0x3c7fffff
	v_cmp_lt_u32_e32 vcc, s8, v4
                                        ; implicit-def: $vgpr1
	s_and_saveexec_b64 s[8:9], vcc
	s_xor_b64 s[8:9], exec, s[8:9]
; %bb.3664:
	v_bfe_u32 v1, v0, 20, 1
	s_mov_b32 s10, 0x407ffff
	v_add3_u32 v1, v0, v1, s10
	v_lshrrev_b32_e32 v4, 20, v1
	v_and_b32_e32 v1, 0xff00000, v1
	s_mov_b32 s10, 0x7f00000
	v_mov_b32_e32 v5, 0x7e
	v_cmp_ne_u32_e32 vcc, s10, v1
	v_cndmask_b32_e32 v1, v5, v4, vcc
; %bb.3665:
	s_andn2_saveexec_b64 s[8:9], s[8:9]
; %bb.3666:
	s_mov_b32 s10, 0x46800000
	v_add_f32_e64 v1, |v0|, s10
; %bb.3667:
	s_or_b64 exec, exec, s[8:9]
                                        ; implicit-def: $vgpr4
.LBB230_3668:
	s_andn2_saveexec_b64 s[6:7], s[6:7]
; %bb.3669:
	s_mov_b32 s8, 0x7f800000
	v_mov_b32_e32 v1, 0x7e
	v_mov_b32_e32 v5, 0x7f
	v_cmp_lt_u32_e32 vcc, s8, v4
	v_cndmask_b32_e32 v1, v1, v5, vcc
; %bb.3670:
	s_or_b64 exec, exec, s[6:7]
	v_lshrrev_b32_e32 v4, 24, v0
	s_movk_i32 s6, 0x80
	v_and_or_b32 v1, v4, s6, v1
	global_store_byte v[2:3], v1, off
.LBB230_3671:
	s_mov_b64 s[6:7], 0
.LBB230_3672:
	s_andn2_b64 vcc, exec, s[6:7]
	s_cbranch_vccnz .LBB230_3682
; %bb.3673:
	v_and_b32_e32 v4, 0x7fffffff, v0
	s_mov_b32 s6, 0x47800000
	v_cmp_gt_u32_e32 vcc, s6, v4
                                        ; implicit-def: $vgpr1
	s_and_saveexec_b64 s[6:7], vcc
	s_xor_b64 s[6:7], exec, s[6:7]
	s_cbranch_execz .LBB230_3679
; %bb.3674:
	s_mov_b32 s8, 0x387fffff
	v_cmp_lt_u32_e32 vcc, s8, v4
                                        ; implicit-def: $vgpr1
	s_and_saveexec_b64 s[8:9], vcc
	s_xor_b64 s[8:9], exec, s[8:9]
; %bb.3675:
	v_bfe_u32 v1, v0, 21, 1
	s_mov_b32 s10, 0x80fffff
	v_add3_u32 v1, v0, v1, s10
	v_lshrrev_b32_e32 v1, 21, v1
; %bb.3676:
	s_andn2_saveexec_b64 s[8:9], s[8:9]
; %bb.3677:
	s_mov_b32 s10, 0x43000000
	v_add_f32_e64 v1, |v0|, s10
; %bb.3678:
	s_or_b64 exec, exec, s[8:9]
                                        ; implicit-def: $vgpr4
.LBB230_3679:
	s_andn2_saveexec_b64 s[6:7], s[6:7]
; %bb.3680:
	s_mov_b32 s8, 0x7f800000
	v_mov_b32_e32 v1, 0x7c
	v_mov_b32_e32 v5, 0x7f
	v_cmp_lt_u32_e32 vcc, s8, v4
	v_cndmask_b32_e32 v1, v1, v5, vcc
; %bb.3681:
	s_or_b64 exec, exec, s[6:7]
	v_lshrrev_b32_e32 v4, 24, v0
	s_movk_i32 s6, 0x80
	v_and_or_b32 v1, v4, s6, v1
	global_store_byte v[2:3], v1, off
.LBB230_3682:
	s_mov_b64 s[6:7], 0
	s_mov_b64 s[8:9], -1
.LBB230_3683:
	s_andn2_b64 vcc, exec, s[6:7]
	s_mov_b64 s[6:7], 0
	s_cbranch_vccnz .LBB230_3690
; %bb.3684:
	v_mov_b32_e32 v1, 14
	v_cmp_gt_i16_sdwa s[6:7], v47, v1 src0_sel:BYTE_0 src1_sel:DWORD
	s_mov_b64 s[10:11], -1
	s_and_b64 vcc, exec, s[6:7]
	s_cbranch_vccz .LBB230_3688
; %bb.3685:
	v_mov_b32_e32 v1, 15
	v_cmp_eq_u16_sdwa s[6:7], v47, v1 src0_sel:BYTE_0 src1_sel:DWORD
	s_mov_b64 s[4:5], -1
	s_and_b64 vcc, exec, s[6:7]
	s_cbranch_vccz .LBB230_3687
; %bb.3686:
	v_bfe_u32 v1, v0, 16, 1
	s_movk_i32 s4, 0x7fff
	v_add3_u32 v1, v0, v1, s4
	v_lshrrev_b32_e32 v1, 16, v1
	v_mov_b32_e32 v4, 0x7fc0
	v_cmp_o_f32_e32 vcc, v0, v0
	v_cndmask_b32_e32 v1, v4, v1, vcc
	global_store_short v[2:3], v1, off
	s_mov_b64 s[4:5], 0
	s_mov_b64 s[8:9], -1
.LBB230_3687:
	s_mov_b64 s[10:11], 0
.LBB230_3688:
	s_mov_b64 s[6:7], 0
	s_and_b64 vcc, exec, s[10:11]
	s_cbranch_vccz .LBB230_3690
; %bb.3689:
	v_mov_b32_e32 v1, 11
	v_cmp_ne_u16_sdwa s[4:5], v47, v1 src0_sel:BYTE_0 src1_sel:DWORD
	s_mov_b64 s[6:7], -1
.LBB230_3690:
	s_and_b64 vcc, exec, s[4:5]
	s_cbranch_vccnz .LBB230_3746
; %bb.3691:
	s_andn2_b64 vcc, exec, s[6:7]
	s_cbranch_vccnz .LBB230_3693
.LBB230_3692:
	v_cmp_neq_f32_e32 vcc, 0, v0
	v_cndmask_b32_e64 v1, 0, 1, vcc
	s_mov_b64 s[8:9], -1
	global_store_byte v[2:3], v1, off
.LBB230_3693:
	s_mov_b64 s[4:5], 0
.LBB230_3694:
	s_and_b64 vcc, exec, s[4:5]
	s_cbranch_vccz .LBB230_3733
; %bb.3695:
	v_mov_b32_e32 v1, 5
	v_cmp_lt_i16_sdwa s[6:7], v47, v1 src0_sel:BYTE_0 src1_sel:DWORD
	s_mov_b64 s[4:5], -1
	s_and_b64 vcc, exec, s[6:7]
	s_cbranch_vccnz .LBB230_3716
; %bb.3696:
	v_mov_b32_e32 v1, 8
	v_cmp_lt_i16_sdwa s[6:7], v47, v1 src0_sel:BYTE_0 src1_sel:DWORD
	s_and_b64 vcc, exec, s[6:7]
	s_cbranch_vccnz .LBB230_3706
; %bb.3697:
	v_mov_b32_e32 v1, 9
	v_cmp_lt_i16_sdwa s[6:7], v47, v1 src0_sel:BYTE_0 src1_sel:DWORD
	s_and_b64 vcc, exec, s[6:7]
	s_cbranch_vccnz .LBB230_3703
; %bb.3698:
	v_cmp_gt_i16_sdwa s[6:7], v47, v1 src0_sel:BYTE_0 src1_sel:DWORD
	s_and_b64 vcc, exec, s[6:7]
	s_cbranch_vccz .LBB230_3700
; %bb.3699:
	v_mov_b32_e32 v6, 0
	v_cvt_f64_f32_e32 v[4:5], v0
	v_mov_b32_e32 v7, v6
	global_store_dwordx4 v[2:3], v[4:7], off
	s_mov_b64 s[4:5], 0
.LBB230_3700:
	s_andn2_b64 vcc, exec, s[4:5]
	s_cbranch_vccnz .LBB230_3702
; %bb.3701:
	v_mov_b32_e32 v1, 0
	global_store_dwordx2 v[2:3], v[0:1], off
.LBB230_3702:
	s_mov_b64 s[4:5], 0
.LBB230_3703:
	s_andn2_b64 vcc, exec, s[4:5]
	s_cbranch_vccnz .LBB230_3705
; %bb.3704:
	v_cvt_f16_f32_e32 v1, v0
	global_store_dword v[2:3], v1, off
.LBB230_3705:
	s_mov_b64 s[4:5], 0
.LBB230_3706:
	s_andn2_b64 vcc, exec, s[4:5]
	s_cbranch_vccnz .LBB230_3715
; %bb.3707:
	v_mov_b32_e32 v1, 6
	v_cmp_lt_i16_sdwa s[6:7], v47, v1 src0_sel:BYTE_0 src1_sel:DWORD
	s_mov_b64 s[4:5], -1
	s_and_b64 vcc, exec, s[6:7]
	s_cbranch_vccnz .LBB230_3713
; %bb.3708:
	v_cmp_gt_i16_sdwa s[6:7], v47, v1 src0_sel:BYTE_0 src1_sel:DWORD
	s_and_b64 vcc, exec, s[6:7]
	s_cbranch_vccz .LBB230_3710
; %bb.3709:
	v_cvt_f64_f32_e32 v[4:5], v0
	global_store_dwordx2 v[2:3], v[4:5], off
	s_mov_b64 s[4:5], 0
.LBB230_3710:
	s_andn2_b64 vcc, exec, s[4:5]
	s_cbranch_vccnz .LBB230_3712
; %bb.3711:
	global_store_dword v[2:3], v0, off
.LBB230_3712:
	s_mov_b64 s[4:5], 0
.LBB230_3713:
	s_andn2_b64 vcc, exec, s[4:5]
	s_cbranch_vccnz .LBB230_3715
; %bb.3714:
	v_cvt_f16_f32_e32 v1, v0
	global_store_short v[2:3], v1, off
.LBB230_3715:
	s_mov_b64 s[4:5], 0
.LBB230_3716:
	s_andn2_b64 vcc, exec, s[4:5]
	s_cbranch_vccnz .LBB230_3732
; %bb.3717:
	v_mov_b32_e32 v1, 2
	v_cmp_lt_i16_sdwa s[6:7], v47, v1 src0_sel:BYTE_0 src1_sel:DWORD
	s_mov_b64 s[4:5], -1
	s_and_b64 vcc, exec, s[6:7]
	s_cbranch_vccnz .LBB230_3727
; %bb.3718:
	v_mov_b32_e32 v1, 3
	v_cmp_lt_i16_sdwa s[6:7], v47, v1 src0_sel:BYTE_0 src1_sel:DWORD
	s_and_b64 vcc, exec, s[6:7]
	s_cbranch_vccnz .LBB230_3724
; %bb.3719:
	v_cmp_gt_i16_sdwa s[6:7], v47, v1 src0_sel:BYTE_0 src1_sel:DWORD
	s_and_b64 vcc, exec, s[6:7]
	s_cbranch_vccz .LBB230_3721
; %bb.3720:
	v_trunc_f32_e32 v1, v0
	s_mov_b32 s4, 0x2f800000
	v_mul_f32_e64 v4, |v1|, s4
	v_floor_f32_e32 v4, v4
	s_mov_b32 s4, 0xcf800000
	v_cvt_u32_f32_e32 v5, v4
	v_fma_f32 v4, v4, s4, |v1|
	v_cvt_u32_f32_e32 v4, v4
	v_ashrrev_i32_e32 v1, 31, v1
	v_xor_b32_e32 v5, v5, v1
	s_mov_b64 s[4:5], 0
	v_xor_b32_e32 v4, v4, v1
	v_sub_co_u32_e32 v4, vcc, v4, v1
	v_subb_co_u32_e32 v5, vcc, v5, v1, vcc
	global_store_dwordx2 v[2:3], v[4:5], off
.LBB230_3721:
	s_andn2_b64 vcc, exec, s[4:5]
	s_cbranch_vccnz .LBB230_3723
; %bb.3722:
	v_cvt_i32_f32_e32 v1, v0
	global_store_dword v[2:3], v1, off
.LBB230_3723:
	s_mov_b64 s[4:5], 0
.LBB230_3724:
	s_andn2_b64 vcc, exec, s[4:5]
	s_cbranch_vccnz .LBB230_3726
; %bb.3725:
	v_cvt_i32_f32_e32 v1, v0
	global_store_short v[2:3], v1, off
.LBB230_3726:
	s_mov_b64 s[4:5], 0
.LBB230_3727:
	s_andn2_b64 vcc, exec, s[4:5]
	s_cbranch_vccnz .LBB230_3732
; %bb.3728:
	v_mov_b32_e32 v1, 0
	v_cmp_gt_i16_sdwa s[6:7], v47, v1 src0_sel:BYTE_0 src1_sel:DWORD
	s_mov_b64 s[4:5], -1
	s_and_b64 vcc, exec, s[6:7]
	s_cbranch_vccz .LBB230_3730
; %bb.3729:
	v_cvt_i32_f32_e32 v1, v0
	s_mov_b64 s[4:5], 0
	global_store_byte v[2:3], v1, off
.LBB230_3730:
	s_andn2_b64 vcc, exec, s[4:5]
	s_cbranch_vccnz .LBB230_3732
; %bb.3731:
	v_trunc_f32_e32 v0, v0
	s_mov_b32 s4, 0x2f800000
	v_mul_f32_e64 v1, |v0|, s4
	v_floor_f32_e32 v1, v1
	s_mov_b32 s4, 0xcf800000
	v_fma_f32 v1, v1, s4, |v0|
	v_cvt_u32_f32_e32 v1, v1
	v_ashrrev_i32_e32 v0, 31, v0
	v_xor_b32_e32 v1, v1, v0
	v_sub_u32_e32 v0, v1, v0
	global_store_byte v[2:3], v0, off
.LBB230_3732:
	s_mov_b64 s[8:9], -1
.LBB230_3733:
	s_andn2_b64 vcc, exec, s[8:9]
	s_cbranch_vccnz .LBB230_4064
; %bb.3734:
	v_mov_b32_e32 v0, v38
	v_mov_b32_e32 v1, v39
	;; [unrolled: 1-line block ×3, first 2 shown]
	s_getpc_b64 s[4:5]
	s_add_u32 s4, s4, _ZZZZN2at6native28launch_dirichlet_grad_kernelERNS_18TensorIteratorBaseEENKUlvE_clEvENKUlvE0_clEvENKUlfffE_clEfff@rel32@lo+4
	s_addc_u32 s5, s5, _ZZZZN2at6native28launch_dirichlet_grad_kernelERNS_18TensorIteratorBaseEENKUlvE_clEvENKUlvE0_clEvENKUlfffE_clEfff@rel32@hi+12
	s_swappc_b64 s[30:31], s[4:5]
	s_lshl_b32 s28, s44, 7
	v_add_u32_e32 v38, s28, v48
	v_ashrrev_i32_e32 v1, 31, v38
	v_mov_b32_e32 v3, s37
	v_add_co_u32_e32 v2, vcc, s36, v38
	v_addc_co_u32_e32 v3, vcc, v3, v1, vcc
	v_mov_b32_e32 v1, 11
	v_cmp_lt_i16_sdwa s[4:5], v47, v1 src0_sel:BYTE_0 src1_sel:DWORD
	s_and_b64 vcc, exec, s[4:5]
	s_cbranch_vccnz .LBB230_3741
; %bb.3735:
	v_mov_b32_e32 v1, 25
	v_cmp_gt_i16_sdwa s[4:5], v47, v1 src0_sel:BYTE_0 src1_sel:DWORD
	s_mov_b64 s[10:11], -1
	s_mov_b64 s[6:7], 0
	s_and_b64 vcc, exec, s[4:5]
	s_mov_b64 s[8:9], 0
	s_mov_b64 s[4:5], 0
	s_cbranch_vccz .LBB230_3777
; %bb.3736:
	v_mov_b32_e32 v1, 28
	v_cmp_gt_i16_sdwa s[4:5], v47, v1 src0_sel:BYTE_0 src1_sel:DWORD
	s_and_b64 vcc, exec, s[4:5]
	s_cbranch_vccz .LBB230_3742
; %bb.3737:
	v_mov_b32_e32 v1, 43
	v_cmp_gt_i16_sdwa s[4:5], v47, v1 src0_sel:BYTE_0 src1_sel:DWORD
	s_and_b64 vcc, exec, s[4:5]
	;; [unrolled: 5-line block ×3, first 2 shown]
	s_cbranch_vccz .LBB230_3749
; %bb.3739:
	v_mov_b32_e32 v1, 46
	v_cmp_eq_u16_sdwa s[8:9], v47, v1 src0_sel:BYTE_0 src1_sel:DWORD
	s_mov_b64 s[4:5], -1
	s_mov_b64 s[10:11], 0
	s_and_b64 vcc, exec, s[8:9]
	s_mov_b64 s[8:9], 0
	s_cbranch_vccz .LBB230_3750
; %bb.3740:
	v_bfe_u32 v1, v0, 16, 1
	s_movk_i32 s4, 0x7fff
	v_add3_u32 v1, v0, v1, s4
	v_lshrrev_b32_e32 v1, 16, v1
	v_mov_b32_e32 v4, 0x7fc0
	v_cmp_o_f32_e32 vcc, v0, v0
	v_cndmask_b32_e32 v1, v4, v1, vcc
	global_store_dword v[2:3], v1, off
	s_mov_b64 s[4:5], 0
	s_mov_b64 s[8:9], -1
	s_branch .LBB230_3750
.LBB230_3741:
	s_mov_b64 s[4:5], -1
	s_mov_b64 s[8:9], 0
	s_branch .LBB230_3821
.LBB230_3742:
	s_mov_b64 s[4:5], 0
	s_branch .LBB230_3760
.LBB230_3743:
	s_or_saveexec_b64 s[12:13], s[12:13]
                                        ; implicit-def: $sgpr14
	s_xor_b64 exec, exec, s[12:13]
	s_cbranch_execz .LBB230_3644
.LBB230_3744:
	s_mov_b32 s14, 0x46000000
	v_add_f32_e64 v1, |v0|, s14
	v_and_b32_e32 v1, 0xff, v1
	v_cmp_ne_u32_e32 vcc, 0, v1
	s_andn2_b64 s[10:11], s[10:11], exec
	s_and_b64 s[16:17], vcc, exec
	s_mov_b32 s14, 0
	s_or_b64 s[10:11], s[10:11], s[16:17]
	s_or_b64 exec, exec, s[12:13]
	v_mov_b32_e32 v4, s14
	s_and_saveexec_b64 s[12:13], s[10:11]
	s_cbranch_execnz .LBB230_3645
	s_branch .LBB230_3646
.LBB230_3745:
	s_mov_b64 s[4:5], 0
	s_branch .LBB230_3756
.LBB230_3746:
	s_trap 2
	s_or_b64 s[50:51], s[50:51], exec
	s_cbranch_execz .LBB230_3692
	s_branch .LBB230_3693
.LBB230_3747:
	s_or_saveexec_b64 s[10:11], s[10:11]
                                        ; implicit-def: $sgpr12
	s_xor_b64 exec, exec, s[10:11]
	s_cbranch_execz .LBB230_3657
.LBB230_3748:
	s_mov_b32 s12, 0x42800000
	v_add_f32_e64 v1, |v0|, s12
	v_and_b32_e32 v1, 0xff, v1
	v_cmp_ne_u32_e32 vcc, 0, v1
	s_andn2_b64 s[8:9], s[8:9], exec
	s_and_b64 s[14:15], vcc, exec
	s_mov_b32 s12, 0
	s_or_b64 s[8:9], s[8:9], s[14:15]
	s_or_b64 exec, exec, s[10:11]
	v_mov_b32_e32 v4, s12
	s_and_saveexec_b64 s[10:11], s[8:9]
	s_cbranch_execnz .LBB230_3658
	s_branch .LBB230_3659
.LBB230_3749:
	s_mov_b64 s[4:5], 0
.LBB230_3750:
	s_and_b64 vcc, exec, s[10:11]
	s_cbranch_vccz .LBB230_3755
; %bb.3751:
	v_mov_b32_e32 v1, 44
	v_cmp_eq_u16_sdwa s[10:11], v47, v1 src0_sel:BYTE_0 src1_sel:DWORD
	s_mov_b64 s[4:5], -1
	s_and_b64 vcc, exec, s[10:11]
	s_cbranch_vccz .LBB230_3755
; %bb.3752:
	v_bfe_u32 v1, v0, 23, 8
	s_movk_i32 s4, 0xff
	v_cmp_ne_u32_e32 vcc, s4, v1
	v_mov_b32_e32 v4, 0xff
	s_and_saveexec_b64 s[8:9], vcc
; %bb.3753:
	s_mov_b32 s4, 0x3fffff
	v_and_b32_e32 v5, 0x400000, v0
	v_and_or_b32 v1, v0, s4, v1
	v_cmp_ne_u32_e32 vcc, 0, v5
	v_cmp_ne_u32_e64 s[4:5], 0, v1
	s_and_b64 s[4:5], vcc, s[4:5]
	v_lshrrev_b32_e32 v4, 23, v0
	v_cndmask_b32_e64 v1, 0, 1, s[4:5]
	v_add_u32_e32 v4, v4, v1
; %bb.3754:
	s_or_b64 exec, exec, s[8:9]
	s_mov_b64 s[4:5], 0
	s_mov_b64 s[8:9], -1
	global_store_byte v[2:3], v4, off
.LBB230_3755:
	s_mov_b64 s[10:11], 0
.LBB230_3756:
	s_and_b64 vcc, exec, s[10:11]
	s_cbranch_vccz .LBB230_3759
; %bb.3757:
	v_mov_b32_e32 v1, 29
	v_cmp_eq_u16_sdwa s[10:11], v47, v1 src0_sel:BYTE_0 src1_sel:DWORD
	s_mov_b64 s[4:5], -1
	s_and_b64 vcc, exec, s[10:11]
	s_cbranch_vccz .LBB230_3759
; %bb.3758:
	v_trunc_f32_e32 v1, v0
	v_mul_f32_e32 v4, 0x2f800000, v1
	v_floor_f32_e32 v4, v4
	v_fmac_f32_e32 v1, 0xcf800000, v4
	v_cvt_u32_f32_e32 v5, v4
	v_cvt_u32_f32_e32 v4, v1
	s_mov_b64 s[4:5], 0
	s_mov_b64 s[8:9], -1
	s_mov_b64 s[10:11], 0
	global_store_dwordx2 v[2:3], v[4:5], off
	s_branch .LBB230_3760
.LBB230_3759:
	s_mov_b64 s[10:11], 0
.LBB230_3760:
	s_and_b64 vcc, exec, s[10:11]
	s_cbranch_vccz .LBB230_3776
; %bb.3761:
	v_mov_b32_e32 v1, 27
	v_cmp_lt_i16_sdwa s[10:11], v47, v1 src0_sel:BYTE_0 src1_sel:DWORD
	s_mov_b64 s[8:9], -1
	s_and_b64 vcc, exec, s[10:11]
	s_cbranch_vccnz .LBB230_3767
; %bb.3762:
	v_cmp_gt_i16_sdwa s[10:11], v47, v1 src0_sel:BYTE_0 src1_sel:DWORD
	v_cvt_u32_f32_e32 v1, v0
	s_and_b64 vcc, exec, s[10:11]
	s_cbranch_vccz .LBB230_3764
; %bb.3763:
	s_mov_b64 s[8:9], 0
	global_store_dword v[2:3], v1, off
.LBB230_3764:
	s_andn2_b64 vcc, exec, s[8:9]
	s_cbranch_vccnz .LBB230_3766
; %bb.3765:
	global_store_short v[2:3], v1, off
.LBB230_3766:
	s_mov_b64 s[8:9], 0
.LBB230_3767:
	s_andn2_b64 vcc, exec, s[8:9]
	s_cbranch_vccnz .LBB230_3775
; %bb.3768:
	v_and_b32_e32 v1, 0x7fffffff, v0
	s_mov_b32 s8, 0x43800000
	v_cmp_gt_u32_e32 vcc, s8, v1
	v_mov_b32_e32 v4, 0x80
	s_and_saveexec_b64 s[8:9], vcc
	s_cbranch_execz .LBB230_3774
; %bb.3769:
	s_mov_b32 s10, 0x3bffffff
	v_cmp_lt_u32_e32 vcc, s10, v1
	s_mov_b64 s[10:11], 0
                                        ; implicit-def: $vgpr1
	s_and_saveexec_b64 s[12:13], vcc
	s_xor_b64 s[12:13], exec, s[12:13]
	s_cbranch_execz .LBB230_3870
; %bb.3770:
	v_bfe_u32 v1, v0, 20, 1
	s_mov_b32 s14, 0x487ffff
	v_add3_u32 v1, v0, v1, s14
	s_mov_b64 s[10:11], exec
	v_lshrrev_b32_e32 v1, 20, v1
	s_or_saveexec_b64 s[12:13], s[12:13]
                                        ; implicit-def: $sgpr14
	s_xor_b64 exec, exec, s[12:13]
	s_cbranch_execnz .LBB230_3871
.LBB230_3771:
	s_or_b64 exec, exec, s[12:13]
	v_mov_b32_e32 v4, s14
	s_and_saveexec_b64 s[12:13], s[10:11]
.LBB230_3772:
	v_lshrrev_b32_e32 v4, 24, v0
	s_movk_i32 s10, 0x80
	v_and_or_b32 v4, v4, s10, v1
.LBB230_3773:
	s_or_b64 exec, exec, s[12:13]
.LBB230_3774:
	s_or_b64 exec, exec, s[8:9]
	global_store_byte v[2:3], v4, off
.LBB230_3775:
	s_mov_b64 s[8:9], -1
.LBB230_3776:
	s_mov_b64 s[10:11], 0
.LBB230_3777:
	s_and_b64 vcc, exec, s[10:11]
	s_cbranch_vccz .LBB230_3817
; %bb.3778:
	v_mov_b32_e32 v1, 22
	v_cmp_gt_i16_sdwa s[10:11], v47, v1 src0_sel:BYTE_0 src1_sel:DWORD
	s_mov_b64 s[6:7], -1
	s_and_b64 vcc, exec, s[10:11]
	s_cbranch_vccz .LBB230_3810
; %bb.3779:
	v_mov_b32_e32 v1, 24
	v_cmp_lt_i16_sdwa s[8:9], v47, v1 src0_sel:BYTE_0 src1_sel:DWORD
	s_and_b64 vcc, exec, s[8:9]
	s_cbranch_vccnz .LBB230_3799
; %bb.3780:
	v_cmp_gt_i16_sdwa s[8:9], v47, v1 src0_sel:BYTE_0 src1_sel:DWORD
	s_and_b64 vcc, exec, s[8:9]
	s_cbranch_vccz .LBB230_3788
; %bb.3781:
	v_and_b32_e32 v1, 0x7fffffff, v0
	s_mov_b32 s6, 0x47800000
	v_cmp_gt_u32_e32 vcc, s6, v1
	v_mov_b32_e32 v4, 0x80
	s_and_saveexec_b64 s[6:7], vcc
	s_cbranch_execz .LBB230_3787
; %bb.3782:
	s_mov_b32 s8, 0x37ffffff
	v_cmp_lt_u32_e32 vcc, s8, v1
	s_mov_b64 s[8:9], 0
                                        ; implicit-def: $vgpr1
	s_and_saveexec_b64 s[10:11], vcc
	s_xor_b64 s[10:11], exec, s[10:11]
	s_cbranch_execz .LBB230_3874
; %bb.3783:
	v_bfe_u32 v1, v0, 21, 1
	s_mov_b32 s12, 0x88fffff
	v_add3_u32 v1, v0, v1, s12
	s_mov_b64 s[8:9], exec
	v_lshrrev_b32_e32 v1, 21, v1
	s_or_saveexec_b64 s[10:11], s[10:11]
                                        ; implicit-def: $sgpr12
	s_xor_b64 exec, exec, s[10:11]
	s_cbranch_execnz .LBB230_3875
.LBB230_3784:
	s_or_b64 exec, exec, s[10:11]
	v_mov_b32_e32 v4, s12
	s_and_saveexec_b64 s[10:11], s[8:9]
.LBB230_3785:
	v_lshrrev_b32_e32 v4, 24, v0
	s_movk_i32 s8, 0x80
	v_and_or_b32 v4, v4, s8, v1
.LBB230_3786:
	s_or_b64 exec, exec, s[10:11]
.LBB230_3787:
	s_or_b64 exec, exec, s[6:7]
	s_mov_b64 s[6:7], 0
	global_store_byte v[2:3], v4, off
.LBB230_3788:
	s_and_b64 vcc, exec, s[6:7]
	s_cbranch_vccz .LBB230_3798
; %bb.3789:
	v_and_b32_e32 v4, 0x7fffffff, v0
	s_mov_b32 s6, 0x43f00000
	v_cmp_gt_u32_e32 vcc, s6, v4
                                        ; implicit-def: $vgpr1
	s_and_saveexec_b64 s[6:7], vcc
	s_xor_b64 s[6:7], exec, s[6:7]
	s_cbranch_execz .LBB230_3795
; %bb.3790:
	s_mov_b32 s8, 0x3c7fffff
	v_cmp_lt_u32_e32 vcc, s8, v4
                                        ; implicit-def: $vgpr1
	s_and_saveexec_b64 s[8:9], vcc
	s_xor_b64 s[8:9], exec, s[8:9]
; %bb.3791:
	v_bfe_u32 v1, v0, 20, 1
	s_mov_b32 s10, 0x407ffff
	v_add3_u32 v1, v0, v1, s10
	v_lshrrev_b32_e32 v4, 20, v1
	v_and_b32_e32 v1, 0xff00000, v1
	s_mov_b32 s10, 0x7f00000
	v_mov_b32_e32 v5, 0x7e
	v_cmp_ne_u32_e32 vcc, s10, v1
	v_cndmask_b32_e32 v1, v5, v4, vcc
; %bb.3792:
	s_andn2_saveexec_b64 s[8:9], s[8:9]
; %bb.3793:
	s_mov_b32 s10, 0x46800000
	v_add_f32_e64 v1, |v0|, s10
; %bb.3794:
	s_or_b64 exec, exec, s[8:9]
                                        ; implicit-def: $vgpr4
.LBB230_3795:
	s_andn2_saveexec_b64 s[6:7], s[6:7]
; %bb.3796:
	s_mov_b32 s8, 0x7f800000
	v_mov_b32_e32 v1, 0x7e
	v_mov_b32_e32 v5, 0x7f
	v_cmp_lt_u32_e32 vcc, s8, v4
	v_cndmask_b32_e32 v1, v1, v5, vcc
; %bb.3797:
	s_or_b64 exec, exec, s[6:7]
	v_lshrrev_b32_e32 v4, 24, v0
	s_movk_i32 s6, 0x80
	v_and_or_b32 v1, v4, s6, v1
	global_store_byte v[2:3], v1, off
.LBB230_3798:
	s_mov_b64 s[6:7], 0
.LBB230_3799:
	s_andn2_b64 vcc, exec, s[6:7]
	s_cbranch_vccnz .LBB230_3809
; %bb.3800:
	v_and_b32_e32 v4, 0x7fffffff, v0
	s_mov_b32 s6, 0x47800000
	v_cmp_gt_u32_e32 vcc, s6, v4
                                        ; implicit-def: $vgpr1
	s_and_saveexec_b64 s[6:7], vcc
	s_xor_b64 s[6:7], exec, s[6:7]
	s_cbranch_execz .LBB230_3806
; %bb.3801:
	s_mov_b32 s8, 0x387fffff
	v_cmp_lt_u32_e32 vcc, s8, v4
                                        ; implicit-def: $vgpr1
	s_and_saveexec_b64 s[8:9], vcc
	s_xor_b64 s[8:9], exec, s[8:9]
; %bb.3802:
	v_bfe_u32 v1, v0, 21, 1
	s_mov_b32 s10, 0x80fffff
	v_add3_u32 v1, v0, v1, s10
	v_lshrrev_b32_e32 v1, 21, v1
; %bb.3803:
	s_andn2_saveexec_b64 s[8:9], s[8:9]
; %bb.3804:
	s_mov_b32 s10, 0x43000000
	v_add_f32_e64 v1, |v0|, s10
; %bb.3805:
	s_or_b64 exec, exec, s[8:9]
                                        ; implicit-def: $vgpr4
.LBB230_3806:
	s_andn2_saveexec_b64 s[6:7], s[6:7]
; %bb.3807:
	s_mov_b32 s8, 0x7f800000
	v_mov_b32_e32 v1, 0x7c
	v_mov_b32_e32 v5, 0x7f
	v_cmp_lt_u32_e32 vcc, s8, v4
	v_cndmask_b32_e32 v1, v1, v5, vcc
; %bb.3808:
	s_or_b64 exec, exec, s[6:7]
	v_lshrrev_b32_e32 v4, 24, v0
	s_movk_i32 s6, 0x80
	v_and_or_b32 v1, v4, s6, v1
	global_store_byte v[2:3], v1, off
.LBB230_3809:
	s_mov_b64 s[6:7], 0
	s_mov_b64 s[8:9], -1
.LBB230_3810:
	s_andn2_b64 vcc, exec, s[6:7]
	s_mov_b64 s[6:7], 0
	s_cbranch_vccnz .LBB230_3817
; %bb.3811:
	v_mov_b32_e32 v1, 14
	v_cmp_gt_i16_sdwa s[6:7], v47, v1 src0_sel:BYTE_0 src1_sel:DWORD
	s_mov_b64 s[10:11], -1
	s_and_b64 vcc, exec, s[6:7]
	s_cbranch_vccz .LBB230_3815
; %bb.3812:
	v_mov_b32_e32 v1, 15
	v_cmp_eq_u16_sdwa s[6:7], v47, v1 src0_sel:BYTE_0 src1_sel:DWORD
	s_mov_b64 s[4:5], -1
	s_and_b64 vcc, exec, s[6:7]
	s_cbranch_vccz .LBB230_3814
; %bb.3813:
	v_bfe_u32 v1, v0, 16, 1
	s_movk_i32 s4, 0x7fff
	v_add3_u32 v1, v0, v1, s4
	v_lshrrev_b32_e32 v1, 16, v1
	v_mov_b32_e32 v4, 0x7fc0
	v_cmp_o_f32_e32 vcc, v0, v0
	v_cndmask_b32_e32 v1, v4, v1, vcc
	global_store_short v[2:3], v1, off
	s_mov_b64 s[4:5], 0
	s_mov_b64 s[8:9], -1
.LBB230_3814:
	s_mov_b64 s[10:11], 0
.LBB230_3815:
	s_mov_b64 s[6:7], 0
	s_and_b64 vcc, exec, s[10:11]
	s_cbranch_vccz .LBB230_3817
; %bb.3816:
	v_mov_b32_e32 v1, 11
	v_cmp_ne_u16_sdwa s[4:5], v47, v1 src0_sel:BYTE_0 src1_sel:DWORD
	s_mov_b64 s[6:7], -1
.LBB230_3817:
	s_and_b64 vcc, exec, s[4:5]
	s_cbranch_vccnz .LBB230_3873
; %bb.3818:
	s_andn2_b64 vcc, exec, s[6:7]
	s_cbranch_vccnz .LBB230_3820
.LBB230_3819:
	v_cmp_neq_f32_e32 vcc, 0, v0
	v_cndmask_b32_e64 v1, 0, 1, vcc
	s_mov_b64 s[8:9], -1
	global_store_byte v[2:3], v1, off
.LBB230_3820:
	s_mov_b64 s[4:5], 0
.LBB230_3821:
	s_and_b64 vcc, exec, s[4:5]
	s_cbranch_vccz .LBB230_3860
; %bb.3822:
	v_mov_b32_e32 v1, 5
	v_cmp_lt_i16_sdwa s[6:7], v47, v1 src0_sel:BYTE_0 src1_sel:DWORD
	s_mov_b64 s[4:5], -1
	s_and_b64 vcc, exec, s[6:7]
	s_cbranch_vccnz .LBB230_3843
; %bb.3823:
	v_mov_b32_e32 v1, 8
	v_cmp_lt_i16_sdwa s[6:7], v47, v1 src0_sel:BYTE_0 src1_sel:DWORD
	s_and_b64 vcc, exec, s[6:7]
	s_cbranch_vccnz .LBB230_3833
; %bb.3824:
	v_mov_b32_e32 v1, 9
	v_cmp_lt_i16_sdwa s[6:7], v47, v1 src0_sel:BYTE_0 src1_sel:DWORD
	s_and_b64 vcc, exec, s[6:7]
	s_cbranch_vccnz .LBB230_3830
; %bb.3825:
	v_cmp_gt_i16_sdwa s[6:7], v47, v1 src0_sel:BYTE_0 src1_sel:DWORD
	s_and_b64 vcc, exec, s[6:7]
	s_cbranch_vccz .LBB230_3827
; %bb.3826:
	v_mov_b32_e32 v6, 0
	v_cvt_f64_f32_e32 v[4:5], v0
	v_mov_b32_e32 v7, v6
	global_store_dwordx4 v[2:3], v[4:7], off
	s_mov_b64 s[4:5], 0
.LBB230_3827:
	s_andn2_b64 vcc, exec, s[4:5]
	s_cbranch_vccnz .LBB230_3829
; %bb.3828:
	v_mov_b32_e32 v1, 0
	global_store_dwordx2 v[2:3], v[0:1], off
.LBB230_3829:
	s_mov_b64 s[4:5], 0
.LBB230_3830:
	s_andn2_b64 vcc, exec, s[4:5]
	s_cbranch_vccnz .LBB230_3832
; %bb.3831:
	v_cvt_f16_f32_e32 v1, v0
	global_store_dword v[2:3], v1, off
.LBB230_3832:
	s_mov_b64 s[4:5], 0
.LBB230_3833:
	s_andn2_b64 vcc, exec, s[4:5]
	s_cbranch_vccnz .LBB230_3842
; %bb.3834:
	v_mov_b32_e32 v1, 6
	v_cmp_lt_i16_sdwa s[6:7], v47, v1 src0_sel:BYTE_0 src1_sel:DWORD
	s_mov_b64 s[4:5], -1
	s_and_b64 vcc, exec, s[6:7]
	s_cbranch_vccnz .LBB230_3840
; %bb.3835:
	v_cmp_gt_i16_sdwa s[6:7], v47, v1 src0_sel:BYTE_0 src1_sel:DWORD
	s_and_b64 vcc, exec, s[6:7]
	s_cbranch_vccz .LBB230_3837
; %bb.3836:
	v_cvt_f64_f32_e32 v[4:5], v0
	global_store_dwordx2 v[2:3], v[4:5], off
	s_mov_b64 s[4:5], 0
.LBB230_3837:
	s_andn2_b64 vcc, exec, s[4:5]
	s_cbranch_vccnz .LBB230_3839
; %bb.3838:
	global_store_dword v[2:3], v0, off
.LBB230_3839:
	s_mov_b64 s[4:5], 0
.LBB230_3840:
	s_andn2_b64 vcc, exec, s[4:5]
	s_cbranch_vccnz .LBB230_3842
; %bb.3841:
	v_cvt_f16_f32_e32 v1, v0
	global_store_short v[2:3], v1, off
.LBB230_3842:
	s_mov_b64 s[4:5], 0
.LBB230_3843:
	s_andn2_b64 vcc, exec, s[4:5]
	s_cbranch_vccnz .LBB230_3859
; %bb.3844:
	v_mov_b32_e32 v1, 2
	v_cmp_lt_i16_sdwa s[6:7], v47, v1 src0_sel:BYTE_0 src1_sel:DWORD
	s_mov_b64 s[4:5], -1
	s_and_b64 vcc, exec, s[6:7]
	s_cbranch_vccnz .LBB230_3854
; %bb.3845:
	v_mov_b32_e32 v1, 3
	v_cmp_lt_i16_sdwa s[6:7], v47, v1 src0_sel:BYTE_0 src1_sel:DWORD
	s_and_b64 vcc, exec, s[6:7]
	s_cbranch_vccnz .LBB230_3851
; %bb.3846:
	v_cmp_gt_i16_sdwa s[6:7], v47, v1 src0_sel:BYTE_0 src1_sel:DWORD
	s_and_b64 vcc, exec, s[6:7]
	s_cbranch_vccz .LBB230_3848
; %bb.3847:
	v_trunc_f32_e32 v1, v0
	s_mov_b32 s4, 0x2f800000
	v_mul_f32_e64 v4, |v1|, s4
	v_floor_f32_e32 v4, v4
	s_mov_b32 s4, 0xcf800000
	v_cvt_u32_f32_e32 v5, v4
	v_fma_f32 v4, v4, s4, |v1|
	v_cvt_u32_f32_e32 v4, v4
	v_ashrrev_i32_e32 v1, 31, v1
	v_xor_b32_e32 v5, v5, v1
	s_mov_b64 s[4:5], 0
	v_xor_b32_e32 v4, v4, v1
	v_sub_co_u32_e32 v4, vcc, v4, v1
	v_subb_co_u32_e32 v5, vcc, v5, v1, vcc
	global_store_dwordx2 v[2:3], v[4:5], off
.LBB230_3848:
	s_andn2_b64 vcc, exec, s[4:5]
	s_cbranch_vccnz .LBB230_3850
; %bb.3849:
	v_cvt_i32_f32_e32 v1, v0
	global_store_dword v[2:3], v1, off
.LBB230_3850:
	s_mov_b64 s[4:5], 0
.LBB230_3851:
	s_andn2_b64 vcc, exec, s[4:5]
	s_cbranch_vccnz .LBB230_3853
; %bb.3852:
	v_cvt_i32_f32_e32 v1, v0
	global_store_short v[2:3], v1, off
.LBB230_3853:
	s_mov_b64 s[4:5], 0
.LBB230_3854:
	s_andn2_b64 vcc, exec, s[4:5]
	s_cbranch_vccnz .LBB230_3859
; %bb.3855:
	v_mov_b32_e32 v1, 0
	v_cmp_gt_i16_sdwa s[6:7], v47, v1 src0_sel:BYTE_0 src1_sel:DWORD
	s_mov_b64 s[4:5], -1
	s_and_b64 vcc, exec, s[6:7]
	s_cbranch_vccz .LBB230_3857
; %bb.3856:
	v_cvt_i32_f32_e32 v1, v0
	s_mov_b64 s[4:5], 0
	global_store_byte v[2:3], v1, off
.LBB230_3857:
	s_andn2_b64 vcc, exec, s[4:5]
	s_cbranch_vccnz .LBB230_3859
; %bb.3858:
	v_trunc_f32_e32 v0, v0
	s_mov_b32 s4, 0x2f800000
	v_mul_f32_e64 v1, |v0|, s4
	v_floor_f32_e32 v1, v1
	s_mov_b32 s4, 0xcf800000
	v_fma_f32 v1, v1, s4, |v0|
	v_cvt_u32_f32_e32 v1, v1
	v_ashrrev_i32_e32 v0, 31, v0
	v_xor_b32_e32 v1, v1, v0
	v_sub_u32_e32 v0, v1, v0
	global_store_byte v[2:3], v0, off
.LBB230_3859:
	s_mov_b64 s[8:9], -1
.LBB230_3860:
	s_andn2_b64 vcc, exec, s[8:9]
	s_cbranch_vccnz .LBB230_4064
; %bb.3861:
	v_mov_b32_e32 v0, v41
	v_mov_b32_e32 v1, v42
	;; [unrolled: 1-line block ×3, first 2 shown]
	s_getpc_b64 s[4:5]
	s_add_u32 s4, s4, _ZZZZN2at6native28launch_dirichlet_grad_kernelERNS_18TensorIteratorBaseEENKUlvE_clEvENKUlvE0_clEvENKUlfffE_clEfff@rel32@lo+4
	s_addc_u32 s5, s5, _ZZZZN2at6native28launch_dirichlet_grad_kernelERNS_18TensorIteratorBaseEENKUlvE_clEvENKUlvE0_clEvENKUlfffE_clEfff@rel32@hi+12
	s_swappc_b64 s[30:31], s[4:5]
	v_add_u32_e32 v38, s28, v38
	v_ashrrev_i32_e32 v1, 31, v38
	v_mov_b32_e32 v3, s37
	v_add_co_u32_e32 v2, vcc, s36, v38
	v_addc_co_u32_e32 v3, vcc, v3, v1, vcc
	v_mov_b32_e32 v1, 11
	v_cmp_lt_i16_sdwa s[4:5], v47, v1 src0_sel:BYTE_0 src1_sel:DWORD
	s_and_b64 vcc, exec, s[4:5]
	s_cbranch_vccnz .LBB230_3868
; %bb.3862:
	v_mov_b32_e32 v1, 25
	v_cmp_gt_i16_sdwa s[4:5], v47, v1 src0_sel:BYTE_0 src1_sel:DWORD
	s_mov_b64 s[10:11], -1
	s_mov_b64 s[6:7], 0
	s_and_b64 vcc, exec, s[4:5]
	s_mov_b64 s[8:9], 0
	s_mov_b64 s[4:5], 0
	s_cbranch_vccz .LBB230_3904
; %bb.3863:
	v_mov_b32_e32 v1, 28
	v_cmp_gt_i16_sdwa s[4:5], v47, v1 src0_sel:BYTE_0 src1_sel:DWORD
	s_and_b64 vcc, exec, s[4:5]
	s_cbranch_vccz .LBB230_3869
; %bb.3864:
	v_mov_b32_e32 v1, 43
	v_cmp_gt_i16_sdwa s[4:5], v47, v1 src0_sel:BYTE_0 src1_sel:DWORD
	s_and_b64 vcc, exec, s[4:5]
	;; [unrolled: 5-line block ×3, first 2 shown]
	s_cbranch_vccz .LBB230_3876
; %bb.3866:
	v_mov_b32_e32 v1, 46
	v_cmp_eq_u16_sdwa s[8:9], v47, v1 src0_sel:BYTE_0 src1_sel:DWORD
	s_mov_b64 s[4:5], -1
	s_mov_b64 s[10:11], 0
	s_and_b64 vcc, exec, s[8:9]
	s_mov_b64 s[8:9], 0
	s_cbranch_vccz .LBB230_3877
; %bb.3867:
	v_bfe_u32 v1, v0, 16, 1
	s_movk_i32 s4, 0x7fff
	v_add3_u32 v1, v0, v1, s4
	v_lshrrev_b32_e32 v1, 16, v1
	v_mov_b32_e32 v4, 0x7fc0
	v_cmp_o_f32_e32 vcc, v0, v0
	v_cndmask_b32_e32 v1, v4, v1, vcc
	global_store_dword v[2:3], v1, off
	s_mov_b64 s[4:5], 0
	s_mov_b64 s[8:9], -1
	s_branch .LBB230_3877
.LBB230_3868:
	s_mov_b64 s[4:5], -1
	s_mov_b64 s[8:9], 0
	s_branch .LBB230_3948
.LBB230_3869:
	s_mov_b64 s[4:5], 0
	s_branch .LBB230_3887
.LBB230_3870:
	s_or_saveexec_b64 s[12:13], s[12:13]
                                        ; implicit-def: $sgpr14
	s_xor_b64 exec, exec, s[12:13]
	s_cbranch_execz .LBB230_3771
.LBB230_3871:
	s_mov_b32 s14, 0x46000000
	v_add_f32_e64 v1, |v0|, s14
	v_and_b32_e32 v1, 0xff, v1
	v_cmp_ne_u32_e32 vcc, 0, v1
	s_andn2_b64 s[10:11], s[10:11], exec
	s_and_b64 s[16:17], vcc, exec
	s_mov_b32 s14, 0
	s_or_b64 s[10:11], s[10:11], s[16:17]
	s_or_b64 exec, exec, s[12:13]
	v_mov_b32_e32 v4, s14
	s_and_saveexec_b64 s[12:13], s[10:11]
	s_cbranch_execnz .LBB230_3772
	s_branch .LBB230_3773
.LBB230_3872:
	s_mov_b64 s[4:5], 0
	s_branch .LBB230_3883
.LBB230_3873:
	s_trap 2
	s_or_b64 s[50:51], s[50:51], exec
	s_cbranch_execz .LBB230_3819
	s_branch .LBB230_3820
.LBB230_3874:
	s_or_saveexec_b64 s[10:11], s[10:11]
                                        ; implicit-def: $sgpr12
	s_xor_b64 exec, exec, s[10:11]
	s_cbranch_execz .LBB230_3784
.LBB230_3875:
	s_mov_b32 s12, 0x42800000
	v_add_f32_e64 v1, |v0|, s12
	v_and_b32_e32 v1, 0xff, v1
	v_cmp_ne_u32_e32 vcc, 0, v1
	s_andn2_b64 s[8:9], s[8:9], exec
	s_and_b64 s[14:15], vcc, exec
	s_mov_b32 s12, 0
	s_or_b64 s[8:9], s[8:9], s[14:15]
	s_or_b64 exec, exec, s[10:11]
	v_mov_b32_e32 v4, s12
	s_and_saveexec_b64 s[10:11], s[8:9]
	s_cbranch_execnz .LBB230_3785
	s_branch .LBB230_3786
.LBB230_3876:
	s_mov_b64 s[4:5], 0
.LBB230_3877:
	s_and_b64 vcc, exec, s[10:11]
	s_cbranch_vccz .LBB230_3882
; %bb.3878:
	v_mov_b32_e32 v1, 44
	v_cmp_eq_u16_sdwa s[10:11], v47, v1 src0_sel:BYTE_0 src1_sel:DWORD
	s_mov_b64 s[4:5], -1
	s_and_b64 vcc, exec, s[10:11]
	s_cbranch_vccz .LBB230_3882
; %bb.3879:
	v_bfe_u32 v1, v0, 23, 8
	s_movk_i32 s4, 0xff
	v_cmp_ne_u32_e32 vcc, s4, v1
	v_mov_b32_e32 v4, 0xff
	s_and_saveexec_b64 s[8:9], vcc
; %bb.3880:
	s_mov_b32 s4, 0x3fffff
	v_and_b32_e32 v5, 0x400000, v0
	v_and_or_b32 v1, v0, s4, v1
	v_cmp_ne_u32_e32 vcc, 0, v5
	v_cmp_ne_u32_e64 s[4:5], 0, v1
	s_and_b64 s[4:5], vcc, s[4:5]
	v_lshrrev_b32_e32 v4, 23, v0
	v_cndmask_b32_e64 v1, 0, 1, s[4:5]
	v_add_u32_e32 v4, v4, v1
; %bb.3881:
	s_or_b64 exec, exec, s[8:9]
	s_mov_b64 s[4:5], 0
	s_mov_b64 s[8:9], -1
	global_store_byte v[2:3], v4, off
.LBB230_3882:
	s_mov_b64 s[10:11], 0
.LBB230_3883:
	s_and_b64 vcc, exec, s[10:11]
	s_cbranch_vccz .LBB230_3886
; %bb.3884:
	v_mov_b32_e32 v1, 29
	v_cmp_eq_u16_sdwa s[10:11], v47, v1 src0_sel:BYTE_0 src1_sel:DWORD
	s_mov_b64 s[4:5], -1
	s_and_b64 vcc, exec, s[10:11]
	s_cbranch_vccz .LBB230_3886
; %bb.3885:
	v_trunc_f32_e32 v1, v0
	v_mul_f32_e32 v4, 0x2f800000, v1
	v_floor_f32_e32 v4, v4
	v_fmac_f32_e32 v1, 0xcf800000, v4
	v_cvt_u32_f32_e32 v5, v4
	v_cvt_u32_f32_e32 v4, v1
	s_mov_b64 s[4:5], 0
	s_mov_b64 s[8:9], -1
	s_mov_b64 s[10:11], 0
	global_store_dwordx2 v[2:3], v[4:5], off
	s_branch .LBB230_3887
.LBB230_3886:
	s_mov_b64 s[10:11], 0
.LBB230_3887:
	s_and_b64 vcc, exec, s[10:11]
	s_cbranch_vccz .LBB230_3903
; %bb.3888:
	v_mov_b32_e32 v1, 27
	v_cmp_lt_i16_sdwa s[10:11], v47, v1 src0_sel:BYTE_0 src1_sel:DWORD
	s_mov_b64 s[8:9], -1
	s_and_b64 vcc, exec, s[10:11]
	s_cbranch_vccnz .LBB230_3894
; %bb.3889:
	v_cmp_gt_i16_sdwa s[10:11], v47, v1 src0_sel:BYTE_0 src1_sel:DWORD
	v_cvt_u32_f32_e32 v1, v0
	s_and_b64 vcc, exec, s[10:11]
	s_cbranch_vccz .LBB230_3891
; %bb.3890:
	s_mov_b64 s[8:9], 0
	global_store_dword v[2:3], v1, off
.LBB230_3891:
	s_andn2_b64 vcc, exec, s[8:9]
	s_cbranch_vccnz .LBB230_3893
; %bb.3892:
	global_store_short v[2:3], v1, off
.LBB230_3893:
	s_mov_b64 s[8:9], 0
.LBB230_3894:
	s_andn2_b64 vcc, exec, s[8:9]
	s_cbranch_vccnz .LBB230_3902
; %bb.3895:
	v_and_b32_e32 v1, 0x7fffffff, v0
	s_mov_b32 s8, 0x43800000
	v_cmp_gt_u32_e32 vcc, s8, v1
	v_mov_b32_e32 v4, 0x80
	s_and_saveexec_b64 s[8:9], vcc
	s_cbranch_execz .LBB230_3901
; %bb.3896:
	s_mov_b32 s10, 0x3bffffff
	v_cmp_lt_u32_e32 vcc, s10, v1
	s_mov_b64 s[10:11], 0
                                        ; implicit-def: $vgpr1
	s_and_saveexec_b64 s[12:13], vcc
	s_xor_b64 s[12:13], exec, s[12:13]
	s_cbranch_execz .LBB230_4110
; %bb.3897:
	v_bfe_u32 v1, v0, 20, 1
	s_mov_b32 s14, 0x487ffff
	v_add3_u32 v1, v0, v1, s14
	s_mov_b64 s[10:11], exec
	v_lshrrev_b32_e32 v1, 20, v1
	s_or_saveexec_b64 s[12:13], s[12:13]
                                        ; implicit-def: $sgpr14
	s_xor_b64 exec, exec, s[12:13]
	s_cbranch_execnz .LBB230_4111
.LBB230_3898:
	s_or_b64 exec, exec, s[12:13]
	v_mov_b32_e32 v4, s14
	s_and_saveexec_b64 s[12:13], s[10:11]
.LBB230_3899:
	v_lshrrev_b32_e32 v4, 24, v0
	s_movk_i32 s10, 0x80
	v_and_or_b32 v4, v4, s10, v1
.LBB230_3900:
	s_or_b64 exec, exec, s[12:13]
.LBB230_3901:
	s_or_b64 exec, exec, s[8:9]
	global_store_byte v[2:3], v4, off
.LBB230_3902:
	s_mov_b64 s[8:9], -1
.LBB230_3903:
	s_mov_b64 s[10:11], 0
.LBB230_3904:
	s_and_b64 vcc, exec, s[10:11]
	s_cbranch_vccz .LBB230_3944
; %bb.3905:
	v_mov_b32_e32 v1, 22
	v_cmp_gt_i16_sdwa s[10:11], v47, v1 src0_sel:BYTE_0 src1_sel:DWORD
	s_mov_b64 s[6:7], -1
	s_and_b64 vcc, exec, s[10:11]
	s_cbranch_vccz .LBB230_3937
; %bb.3906:
	v_mov_b32_e32 v1, 24
	v_cmp_lt_i16_sdwa s[8:9], v47, v1 src0_sel:BYTE_0 src1_sel:DWORD
	s_and_b64 vcc, exec, s[8:9]
	s_cbranch_vccnz .LBB230_3926
; %bb.3907:
	v_cmp_gt_i16_sdwa s[8:9], v47, v1 src0_sel:BYTE_0 src1_sel:DWORD
	s_and_b64 vcc, exec, s[8:9]
	s_cbranch_vccz .LBB230_3915
; %bb.3908:
	v_and_b32_e32 v1, 0x7fffffff, v0
	s_mov_b32 s6, 0x47800000
	v_cmp_gt_u32_e32 vcc, s6, v1
	v_mov_b32_e32 v4, 0x80
	s_and_saveexec_b64 s[6:7], vcc
	s_cbranch_execz .LBB230_3914
; %bb.3909:
	s_mov_b32 s8, 0x37ffffff
	v_cmp_lt_u32_e32 vcc, s8, v1
	s_mov_b64 s[8:9], 0
                                        ; implicit-def: $vgpr1
	s_and_saveexec_b64 s[10:11], vcc
	s_xor_b64 s[10:11], exec, s[10:11]
	s_cbranch_execz .LBB230_4113
; %bb.3910:
	v_bfe_u32 v1, v0, 21, 1
	s_mov_b32 s12, 0x88fffff
	v_add3_u32 v1, v0, v1, s12
	s_mov_b64 s[8:9], exec
	v_lshrrev_b32_e32 v1, 21, v1
	s_or_saveexec_b64 s[10:11], s[10:11]
                                        ; implicit-def: $sgpr12
	s_xor_b64 exec, exec, s[10:11]
	s_cbranch_execnz .LBB230_4114
.LBB230_3911:
	s_or_b64 exec, exec, s[10:11]
	v_mov_b32_e32 v4, s12
	s_and_saveexec_b64 s[10:11], s[8:9]
.LBB230_3912:
	v_lshrrev_b32_e32 v4, 24, v0
	s_movk_i32 s8, 0x80
	v_and_or_b32 v4, v4, s8, v1
.LBB230_3913:
	s_or_b64 exec, exec, s[10:11]
.LBB230_3914:
	s_or_b64 exec, exec, s[6:7]
	s_mov_b64 s[6:7], 0
	global_store_byte v[2:3], v4, off
.LBB230_3915:
	s_and_b64 vcc, exec, s[6:7]
	s_cbranch_vccz .LBB230_3925
; %bb.3916:
	v_and_b32_e32 v4, 0x7fffffff, v0
	s_mov_b32 s6, 0x43f00000
	v_cmp_gt_u32_e32 vcc, s6, v4
                                        ; implicit-def: $vgpr1
	s_and_saveexec_b64 s[6:7], vcc
	s_xor_b64 s[6:7], exec, s[6:7]
	s_cbranch_execz .LBB230_3922
; %bb.3917:
	s_mov_b32 s8, 0x3c7fffff
	v_cmp_lt_u32_e32 vcc, s8, v4
                                        ; implicit-def: $vgpr1
	s_and_saveexec_b64 s[8:9], vcc
	s_xor_b64 s[8:9], exec, s[8:9]
; %bb.3918:
	v_bfe_u32 v1, v0, 20, 1
	s_mov_b32 s10, 0x407ffff
	v_add3_u32 v1, v0, v1, s10
	v_lshrrev_b32_e32 v4, 20, v1
	v_and_b32_e32 v1, 0xff00000, v1
	s_mov_b32 s10, 0x7f00000
	v_mov_b32_e32 v5, 0x7e
	v_cmp_ne_u32_e32 vcc, s10, v1
	v_cndmask_b32_e32 v1, v5, v4, vcc
; %bb.3919:
	s_andn2_saveexec_b64 s[8:9], s[8:9]
; %bb.3920:
	s_mov_b32 s10, 0x46800000
	v_add_f32_e64 v1, |v0|, s10
; %bb.3921:
	s_or_b64 exec, exec, s[8:9]
                                        ; implicit-def: $vgpr4
.LBB230_3922:
	s_andn2_saveexec_b64 s[6:7], s[6:7]
; %bb.3923:
	s_mov_b32 s8, 0x7f800000
	v_mov_b32_e32 v1, 0x7e
	v_mov_b32_e32 v5, 0x7f
	v_cmp_lt_u32_e32 vcc, s8, v4
	v_cndmask_b32_e32 v1, v1, v5, vcc
; %bb.3924:
	s_or_b64 exec, exec, s[6:7]
	v_lshrrev_b32_e32 v4, 24, v0
	s_movk_i32 s6, 0x80
	v_and_or_b32 v1, v4, s6, v1
	global_store_byte v[2:3], v1, off
.LBB230_3925:
	s_mov_b64 s[6:7], 0
.LBB230_3926:
	s_andn2_b64 vcc, exec, s[6:7]
	s_cbranch_vccnz .LBB230_3936
; %bb.3927:
	v_and_b32_e32 v4, 0x7fffffff, v0
	s_mov_b32 s6, 0x47800000
	v_cmp_gt_u32_e32 vcc, s6, v4
                                        ; implicit-def: $vgpr1
	s_and_saveexec_b64 s[6:7], vcc
	s_xor_b64 s[6:7], exec, s[6:7]
	s_cbranch_execz .LBB230_3933
; %bb.3928:
	s_mov_b32 s8, 0x387fffff
	v_cmp_lt_u32_e32 vcc, s8, v4
                                        ; implicit-def: $vgpr1
	s_and_saveexec_b64 s[8:9], vcc
	s_xor_b64 s[8:9], exec, s[8:9]
; %bb.3929:
	v_bfe_u32 v1, v0, 21, 1
	s_mov_b32 s10, 0x80fffff
	v_add3_u32 v1, v0, v1, s10
	v_lshrrev_b32_e32 v1, 21, v1
; %bb.3930:
	s_andn2_saveexec_b64 s[8:9], s[8:9]
; %bb.3931:
	s_mov_b32 s10, 0x43000000
	v_add_f32_e64 v1, |v0|, s10
; %bb.3932:
	s_or_b64 exec, exec, s[8:9]
                                        ; implicit-def: $vgpr4
.LBB230_3933:
	s_andn2_saveexec_b64 s[6:7], s[6:7]
; %bb.3934:
	s_mov_b32 s8, 0x7f800000
	v_mov_b32_e32 v1, 0x7c
	v_mov_b32_e32 v5, 0x7f
	v_cmp_lt_u32_e32 vcc, s8, v4
	v_cndmask_b32_e32 v1, v1, v5, vcc
; %bb.3935:
	s_or_b64 exec, exec, s[6:7]
	v_lshrrev_b32_e32 v4, 24, v0
	s_movk_i32 s6, 0x80
	v_and_or_b32 v1, v4, s6, v1
	global_store_byte v[2:3], v1, off
.LBB230_3936:
	s_mov_b64 s[6:7], 0
	s_mov_b64 s[8:9], -1
.LBB230_3937:
	s_andn2_b64 vcc, exec, s[6:7]
	s_mov_b64 s[6:7], 0
	s_cbranch_vccnz .LBB230_3944
; %bb.3938:
	v_mov_b32_e32 v1, 14
	v_cmp_gt_i16_sdwa s[6:7], v47, v1 src0_sel:BYTE_0 src1_sel:DWORD
	s_mov_b64 s[10:11], -1
	s_and_b64 vcc, exec, s[6:7]
	s_cbranch_vccz .LBB230_3942
; %bb.3939:
	v_mov_b32_e32 v1, 15
	v_cmp_eq_u16_sdwa s[6:7], v47, v1 src0_sel:BYTE_0 src1_sel:DWORD
	s_mov_b64 s[4:5], -1
	s_and_b64 vcc, exec, s[6:7]
	s_cbranch_vccz .LBB230_3941
; %bb.3940:
	v_bfe_u32 v1, v0, 16, 1
	s_movk_i32 s4, 0x7fff
	v_add3_u32 v1, v0, v1, s4
	v_lshrrev_b32_e32 v1, 16, v1
	v_mov_b32_e32 v4, 0x7fc0
	v_cmp_o_f32_e32 vcc, v0, v0
	v_cndmask_b32_e32 v1, v4, v1, vcc
	global_store_short v[2:3], v1, off
	s_mov_b64 s[4:5], 0
	s_mov_b64 s[8:9], -1
.LBB230_3941:
	s_mov_b64 s[10:11], 0
.LBB230_3942:
	s_mov_b64 s[6:7], 0
	s_and_b64 vcc, exec, s[10:11]
	s_cbranch_vccz .LBB230_3944
; %bb.3943:
	v_mov_b32_e32 v1, 11
	v_cmp_ne_u16_sdwa s[4:5], v47, v1 src0_sel:BYTE_0 src1_sel:DWORD
	s_mov_b64 s[6:7], -1
.LBB230_3944:
	s_and_b64 vcc, exec, s[4:5]
	s_cbranch_vccnz .LBB230_4112
; %bb.3945:
	s_andn2_b64 vcc, exec, s[6:7]
	s_cbranch_vccnz .LBB230_3947
.LBB230_3946:
	v_cmp_neq_f32_e32 vcc, 0, v0
	v_cndmask_b32_e64 v1, 0, 1, vcc
	s_mov_b64 s[8:9], -1
	global_store_byte v[2:3], v1, off
.LBB230_3947:
	s_mov_b64 s[4:5], 0
.LBB230_3948:
	s_and_b64 vcc, exec, s[4:5]
	s_cbranch_vccz .LBB230_3987
; %bb.3949:
	v_mov_b32_e32 v1, 5
	v_cmp_lt_i16_sdwa s[6:7], v47, v1 src0_sel:BYTE_0 src1_sel:DWORD
	s_mov_b64 s[4:5], -1
	s_and_b64 vcc, exec, s[6:7]
	s_cbranch_vccnz .LBB230_3970
; %bb.3950:
	v_mov_b32_e32 v1, 8
	v_cmp_lt_i16_sdwa s[6:7], v47, v1 src0_sel:BYTE_0 src1_sel:DWORD
	s_and_b64 vcc, exec, s[6:7]
	s_cbranch_vccnz .LBB230_3960
; %bb.3951:
	v_mov_b32_e32 v1, 9
	v_cmp_lt_i16_sdwa s[6:7], v47, v1 src0_sel:BYTE_0 src1_sel:DWORD
	s_and_b64 vcc, exec, s[6:7]
	s_cbranch_vccnz .LBB230_3957
; %bb.3952:
	v_cmp_gt_i16_sdwa s[6:7], v47, v1 src0_sel:BYTE_0 src1_sel:DWORD
	s_and_b64 vcc, exec, s[6:7]
	s_cbranch_vccz .LBB230_3954
; %bb.3953:
	v_mov_b32_e32 v6, 0
	v_cvt_f64_f32_e32 v[4:5], v0
	v_mov_b32_e32 v7, v6
	global_store_dwordx4 v[2:3], v[4:7], off
	s_mov_b64 s[4:5], 0
.LBB230_3954:
	s_andn2_b64 vcc, exec, s[4:5]
	s_cbranch_vccnz .LBB230_3956
; %bb.3955:
	v_mov_b32_e32 v1, 0
	global_store_dwordx2 v[2:3], v[0:1], off
.LBB230_3956:
	s_mov_b64 s[4:5], 0
.LBB230_3957:
	s_andn2_b64 vcc, exec, s[4:5]
	s_cbranch_vccnz .LBB230_3959
; %bb.3958:
	v_cvt_f16_f32_e32 v1, v0
	global_store_dword v[2:3], v1, off
.LBB230_3959:
	s_mov_b64 s[4:5], 0
.LBB230_3960:
	s_andn2_b64 vcc, exec, s[4:5]
	s_cbranch_vccnz .LBB230_3969
; %bb.3961:
	v_mov_b32_e32 v1, 6
	v_cmp_lt_i16_sdwa s[6:7], v47, v1 src0_sel:BYTE_0 src1_sel:DWORD
	s_mov_b64 s[4:5], -1
	s_and_b64 vcc, exec, s[6:7]
	s_cbranch_vccnz .LBB230_3967
; %bb.3962:
	v_cmp_gt_i16_sdwa s[6:7], v47, v1 src0_sel:BYTE_0 src1_sel:DWORD
	s_and_b64 vcc, exec, s[6:7]
	s_cbranch_vccz .LBB230_3964
; %bb.3963:
	v_cvt_f64_f32_e32 v[4:5], v0
	global_store_dwordx2 v[2:3], v[4:5], off
	s_mov_b64 s[4:5], 0
.LBB230_3964:
	s_andn2_b64 vcc, exec, s[4:5]
	s_cbranch_vccnz .LBB230_3966
; %bb.3965:
	global_store_dword v[2:3], v0, off
.LBB230_3966:
	s_mov_b64 s[4:5], 0
.LBB230_3967:
	s_andn2_b64 vcc, exec, s[4:5]
	s_cbranch_vccnz .LBB230_3969
; %bb.3968:
	v_cvt_f16_f32_e32 v1, v0
	global_store_short v[2:3], v1, off
.LBB230_3969:
	s_mov_b64 s[4:5], 0
.LBB230_3970:
	s_andn2_b64 vcc, exec, s[4:5]
	s_cbranch_vccnz .LBB230_3986
; %bb.3971:
	v_mov_b32_e32 v1, 2
	v_cmp_lt_i16_sdwa s[6:7], v47, v1 src0_sel:BYTE_0 src1_sel:DWORD
	s_mov_b64 s[4:5], -1
	s_and_b64 vcc, exec, s[6:7]
	s_cbranch_vccnz .LBB230_3981
; %bb.3972:
	v_mov_b32_e32 v1, 3
	v_cmp_lt_i16_sdwa s[6:7], v47, v1 src0_sel:BYTE_0 src1_sel:DWORD
	s_and_b64 vcc, exec, s[6:7]
	s_cbranch_vccnz .LBB230_3978
; %bb.3973:
	v_cmp_gt_i16_sdwa s[6:7], v47, v1 src0_sel:BYTE_0 src1_sel:DWORD
	s_and_b64 vcc, exec, s[6:7]
	s_cbranch_vccz .LBB230_3975
; %bb.3974:
	v_trunc_f32_e32 v1, v0
	s_mov_b32 s4, 0x2f800000
	v_mul_f32_e64 v4, |v1|, s4
	v_floor_f32_e32 v4, v4
	s_mov_b32 s4, 0xcf800000
	v_cvt_u32_f32_e32 v5, v4
	v_fma_f32 v4, v4, s4, |v1|
	v_cvt_u32_f32_e32 v4, v4
	v_ashrrev_i32_e32 v1, 31, v1
	v_xor_b32_e32 v5, v5, v1
	s_mov_b64 s[4:5], 0
	v_xor_b32_e32 v4, v4, v1
	v_sub_co_u32_e32 v4, vcc, v4, v1
	v_subb_co_u32_e32 v5, vcc, v5, v1, vcc
	global_store_dwordx2 v[2:3], v[4:5], off
.LBB230_3975:
	s_andn2_b64 vcc, exec, s[4:5]
	s_cbranch_vccnz .LBB230_3977
; %bb.3976:
	v_cvt_i32_f32_e32 v1, v0
	global_store_dword v[2:3], v1, off
.LBB230_3977:
	s_mov_b64 s[4:5], 0
.LBB230_3978:
	s_andn2_b64 vcc, exec, s[4:5]
	s_cbranch_vccnz .LBB230_3980
; %bb.3979:
	v_cvt_i32_f32_e32 v1, v0
	global_store_short v[2:3], v1, off
.LBB230_3980:
	s_mov_b64 s[4:5], 0
.LBB230_3981:
	s_andn2_b64 vcc, exec, s[4:5]
	s_cbranch_vccnz .LBB230_3986
; %bb.3982:
	v_mov_b32_e32 v1, 0
	v_cmp_gt_i16_sdwa s[6:7], v47, v1 src0_sel:BYTE_0 src1_sel:DWORD
	s_mov_b64 s[4:5], -1
	s_and_b64 vcc, exec, s[6:7]
	s_cbranch_vccz .LBB230_3984
; %bb.3983:
	v_cvt_i32_f32_e32 v1, v0
	s_mov_b64 s[4:5], 0
	global_store_byte v[2:3], v1, off
.LBB230_3984:
	s_andn2_b64 vcc, exec, s[4:5]
	s_cbranch_vccnz .LBB230_3986
; %bb.3985:
	v_trunc_f32_e32 v0, v0
	s_mov_b32 s4, 0x2f800000
	v_mul_f32_e64 v1, |v0|, s4
	v_floor_f32_e32 v1, v1
	s_mov_b32 s4, 0xcf800000
	v_fma_f32 v1, v1, s4, |v0|
	v_cvt_u32_f32_e32 v1, v1
	v_ashrrev_i32_e32 v0, 31, v0
	v_xor_b32_e32 v1, v1, v0
	v_sub_u32_e32 v0, v1, v0
	global_store_byte v[2:3], v0, off
.LBB230_3986:
	s_mov_b64 s[8:9], -1
.LBB230_3987:
	s_andn2_b64 vcc, exec, s[8:9]
	s_cbranch_vccnz .LBB230_4064
; %bb.3988:
	v_mov_b32_e32 v0, v44
	v_mov_b32_e32 v1, v45
	;; [unrolled: 1-line block ×3, first 2 shown]
	s_getpc_b64 s[4:5]
	s_add_u32 s4, s4, _ZZZZN2at6native28launch_dirichlet_grad_kernelERNS_18TensorIteratorBaseEENKUlvE_clEvENKUlvE0_clEvENKUlfffE_clEfff@rel32@lo+4
	s_addc_u32 s5, s5, _ZZZZN2at6native28launch_dirichlet_grad_kernelERNS_18TensorIteratorBaseEENKUlvE_clEvENKUlvE0_clEvENKUlfffE_clEfff@rel32@hi+12
	s_swappc_b64 s[30:31], s[4:5]
	v_add_u32_e32 v1, s28, v38
	v_ashrrev_i32_e32 v3, 31, v1
	v_mov_b32_e32 v4, s37
	v_add_co_u32_e32 v2, vcc, s36, v1
	v_addc_co_u32_e32 v3, vcc, v4, v3, vcc
	v_and_b32_e32 v4, 0xff, v47
	v_cmp_gt_i16_e32 vcc, 11, v4
	s_cbranch_vccnz .LBB230_4109
; %bb.3989:
	v_cmp_lt_i16_e32 vcc, 25, v4
	s_mov_b64 s[8:9], -1
	s_mov_b64 s[6:7], 0
	s_mov_b64 s[4:5], 0
	s_cbranch_vccz .LBB230_4022
; %bb.3990:
	v_cmp_lt_i16_e32 vcc, 28, v4
	s_cbranch_vccz .LBB230_4006
; %bb.3991:
	v_cmp_lt_i16_e32 vcc, 43, v4
	;; [unrolled: 3-line block ×3, first 2 shown]
	s_cbranch_vccz .LBB230_3996
; %bb.3993:
	v_cmp_eq_u16_e32 vcc, 46, v4
	s_mov_b64 s[4:5], -1
	s_cbranch_vccz .LBB230_3995
; %bb.3994:
	v_bfe_u32 v1, v0, 16, 1
	s_movk_i32 s4, 0x7fff
	v_add3_u32 v1, v0, v1, s4
	v_lshrrev_b32_e32 v1, 16, v1
	v_mov_b32_e32 v5, 0x7fc0
	v_cmp_o_f32_e32 vcc, v0, v0
	v_cndmask_b32_e32 v1, v5, v1, vcc
	global_store_dword v[2:3], v1, off
	s_mov_b64 s[4:5], 0
.LBB230_3995:
	s_mov_b64 s[8:9], 0
.LBB230_3996:
	s_and_b64 vcc, exec, s[8:9]
	s_cbranch_vccz .LBB230_4001
; %bb.3997:
	v_cmp_eq_u16_e32 vcc, 44, v4
	s_mov_b64 s[4:5], -1
	s_cbranch_vccz .LBB230_4001
; %bb.3998:
	v_bfe_u32 v1, v0, 23, 8
	s_movk_i32 s4, 0xff
	v_cmp_ne_u32_e32 vcc, s4, v1
	v_mov_b32_e32 v5, 0xff
	s_and_saveexec_b64 s[8:9], vcc
; %bb.3999:
	s_mov_b32 s4, 0x3fffff
	v_and_b32_e32 v6, 0x400000, v0
	v_and_or_b32 v1, v0, s4, v1
	v_cmp_ne_u32_e32 vcc, 0, v6
	v_cmp_ne_u32_e64 s[4:5], 0, v1
	s_and_b64 s[4:5], vcc, s[4:5]
	v_lshrrev_b32_e32 v5, 23, v0
	v_cndmask_b32_e64 v1, 0, 1, s[4:5]
	v_add_u32_e32 v5, v5, v1
; %bb.4000:
	s_or_b64 exec, exec, s[8:9]
	s_mov_b64 s[4:5], 0
	global_store_byte v[2:3], v5, off
.LBB230_4001:
	s_mov_b64 s[8:9], 0
.LBB230_4002:
	s_and_b64 vcc, exec, s[8:9]
	s_cbranch_vccz .LBB230_4005
; %bb.4003:
	v_cmp_eq_u16_e32 vcc, 29, v4
	s_mov_b64 s[4:5], -1
	s_cbranch_vccz .LBB230_4005
; %bb.4004:
	v_trunc_f32_e32 v1, v0
	v_mul_f32_e32 v5, 0x2f800000, v1
	v_floor_f32_e32 v5, v5
	v_fmac_f32_e32 v1, 0xcf800000, v5
	v_cvt_u32_f32_e32 v7, v5
	v_cvt_u32_f32_e32 v6, v1
	s_mov_b64 s[4:5], 0
	global_store_dwordx2 v[2:3], v[6:7], off
.LBB230_4005:
	s_mov_b64 s[8:9], 0
.LBB230_4006:
	s_and_b64 vcc, exec, s[8:9]
	s_cbranch_vccz .LBB230_4021
; %bb.4007:
	v_cmp_gt_i16_e32 vcc, 27, v4
	s_mov_b64 s[8:9], -1
	s_cbranch_vccnz .LBB230_4013
; %bb.4008:
	v_cvt_u32_f32_e32 v1, v0
	v_cmp_lt_i16_e32 vcc, 27, v4
	s_cbranch_vccz .LBB230_4010
; %bb.4009:
	global_store_dword v[2:3], v1, off
	s_mov_b64 s[8:9], 0
.LBB230_4010:
	s_andn2_b64 vcc, exec, s[8:9]
	s_cbranch_vccnz .LBB230_4012
; %bb.4011:
	global_store_short v[2:3], v1, off
.LBB230_4012:
	s_mov_b64 s[8:9], 0
.LBB230_4013:
	s_andn2_b64 vcc, exec, s[8:9]
	s_cbranch_vccnz .LBB230_4021
; %bb.4014:
	v_and_b32_e32 v1, 0x7fffffff, v0
	s_mov_b32 s8, 0x43800000
	v_cmp_gt_u32_e32 vcc, s8, v1
	v_mov_b32_e32 v5, 0x80
	s_and_saveexec_b64 s[8:9], vcc
	s_cbranch_execz .LBB230_4020
; %bb.4015:
	s_mov_b32 s10, 0x3bffffff
	v_cmp_lt_u32_e32 vcc, s10, v1
	s_mov_b64 s[10:11], 0
                                        ; implicit-def: $vgpr1
	s_and_saveexec_b64 s[12:13], vcc
	s_xor_b64 s[12:13], exec, s[12:13]
	s_cbranch_execz .LBB230_4115
; %bb.4016:
	v_bfe_u32 v1, v0, 20, 1
	s_mov_b32 s14, 0x487ffff
	v_add3_u32 v1, v0, v1, s14
	s_mov_b64 s[10:11], exec
	v_lshrrev_b32_e32 v1, 20, v1
	s_or_saveexec_b64 s[12:13], s[12:13]
                                        ; implicit-def: $sgpr14
	s_xor_b64 exec, exec, s[12:13]
	s_cbranch_execnz .LBB230_4116
.LBB230_4017:
	s_or_b64 exec, exec, s[12:13]
	v_mov_b32_e32 v5, s14
	s_and_saveexec_b64 s[12:13], s[10:11]
.LBB230_4018:
	v_lshrrev_b32_e32 v5, 24, v0
	s_movk_i32 s10, 0x80
	v_and_or_b32 v5, v5, s10, v1
.LBB230_4019:
	s_or_b64 exec, exec, s[12:13]
.LBB230_4020:
	s_or_b64 exec, exec, s[8:9]
	global_store_byte v[2:3], v5, off
.LBB230_4021:
	s_mov_b64 s[8:9], 0
.LBB230_4022:
	s_and_b64 vcc, exec, s[8:9]
	s_cbranch_vccz .LBB230_4062
; %bb.4023:
	v_cmp_lt_i16_e32 vcc, 22, v4
	s_mov_b64 s[6:7], -1
	s_cbranch_vccz .LBB230_4055
; %bb.4024:
	v_cmp_gt_i16_e32 vcc, 24, v4
	s_cbranch_vccnz .LBB230_4044
; %bb.4025:
	v_cmp_lt_i16_e32 vcc, 24, v4
	s_cbranch_vccz .LBB230_4033
; %bb.4026:
	v_and_b32_e32 v1, 0x7fffffff, v0
	s_mov_b32 s6, 0x47800000
	v_cmp_gt_u32_e32 vcc, s6, v1
	v_mov_b32_e32 v5, 0x80
	s_and_saveexec_b64 s[6:7], vcc
	s_cbranch_execz .LBB230_4032
; %bb.4027:
	s_mov_b32 s8, 0x37ffffff
	v_cmp_lt_u32_e32 vcc, s8, v1
	s_mov_b64 s[8:9], 0
                                        ; implicit-def: $vgpr1
	s_and_saveexec_b64 s[10:11], vcc
	s_xor_b64 s[10:11], exec, s[10:11]
	s_cbranch_execz .LBB230_4118
; %bb.4028:
	v_bfe_u32 v1, v0, 21, 1
	s_mov_b32 s12, 0x88fffff
	v_add3_u32 v1, v0, v1, s12
	s_mov_b64 s[8:9], exec
	v_lshrrev_b32_e32 v1, 21, v1
	s_or_saveexec_b64 s[10:11], s[10:11]
                                        ; implicit-def: $sgpr12
	s_xor_b64 exec, exec, s[10:11]
	s_cbranch_execnz .LBB230_4119
.LBB230_4029:
	s_or_b64 exec, exec, s[10:11]
	v_mov_b32_e32 v5, s12
	s_and_saveexec_b64 s[10:11], s[8:9]
.LBB230_4030:
	v_lshrrev_b32_e32 v5, 24, v0
	s_movk_i32 s8, 0x80
	v_and_or_b32 v5, v5, s8, v1
.LBB230_4031:
	s_or_b64 exec, exec, s[10:11]
.LBB230_4032:
	s_or_b64 exec, exec, s[6:7]
	s_mov_b64 s[6:7], 0
	global_store_byte v[2:3], v5, off
.LBB230_4033:
	s_and_b64 vcc, exec, s[6:7]
	s_cbranch_vccz .LBB230_4043
; %bb.4034:
	v_and_b32_e32 v5, 0x7fffffff, v0
	s_mov_b32 s6, 0x43f00000
	v_cmp_gt_u32_e32 vcc, s6, v5
                                        ; implicit-def: $vgpr1
	s_and_saveexec_b64 s[6:7], vcc
	s_xor_b64 s[6:7], exec, s[6:7]
	s_cbranch_execz .LBB230_4040
; %bb.4035:
	s_mov_b32 s8, 0x3c7fffff
	v_cmp_lt_u32_e32 vcc, s8, v5
                                        ; implicit-def: $vgpr1
	s_and_saveexec_b64 s[8:9], vcc
	s_xor_b64 s[8:9], exec, s[8:9]
; %bb.4036:
	v_bfe_u32 v1, v0, 20, 1
	s_mov_b32 s10, 0x407ffff
	v_add3_u32 v1, v0, v1, s10
	v_lshrrev_b32_e32 v5, 20, v1
	v_and_b32_e32 v1, 0xff00000, v1
	s_mov_b32 s10, 0x7f00000
	v_mov_b32_e32 v6, 0x7e
	v_cmp_ne_u32_e32 vcc, s10, v1
	v_cndmask_b32_e32 v1, v6, v5, vcc
; %bb.4037:
	s_andn2_saveexec_b64 s[8:9], s[8:9]
; %bb.4038:
	s_mov_b32 s10, 0x46800000
	v_add_f32_e64 v1, |v0|, s10
; %bb.4039:
	s_or_b64 exec, exec, s[8:9]
                                        ; implicit-def: $vgpr5
.LBB230_4040:
	s_andn2_saveexec_b64 s[6:7], s[6:7]
; %bb.4041:
	s_mov_b32 s8, 0x7f800000
	v_mov_b32_e32 v1, 0x7e
	v_mov_b32_e32 v6, 0x7f
	v_cmp_lt_u32_e32 vcc, s8, v5
	v_cndmask_b32_e32 v1, v1, v6, vcc
; %bb.4042:
	s_or_b64 exec, exec, s[6:7]
	v_lshrrev_b32_e32 v5, 24, v0
	s_movk_i32 s6, 0x80
	v_and_or_b32 v1, v5, s6, v1
	global_store_byte v[2:3], v1, off
.LBB230_4043:
	s_mov_b64 s[6:7], 0
.LBB230_4044:
	s_andn2_b64 vcc, exec, s[6:7]
	s_cbranch_vccnz .LBB230_4054
; %bb.4045:
	v_and_b32_e32 v5, 0x7fffffff, v0
	s_mov_b32 s6, 0x47800000
	v_cmp_gt_u32_e32 vcc, s6, v5
                                        ; implicit-def: $vgpr1
	s_and_saveexec_b64 s[6:7], vcc
	s_xor_b64 s[6:7], exec, s[6:7]
	s_cbranch_execz .LBB230_4051
; %bb.4046:
	s_mov_b32 s8, 0x387fffff
	v_cmp_lt_u32_e32 vcc, s8, v5
                                        ; implicit-def: $vgpr1
	s_and_saveexec_b64 s[8:9], vcc
	s_xor_b64 s[8:9], exec, s[8:9]
; %bb.4047:
	v_bfe_u32 v1, v0, 21, 1
	s_mov_b32 s10, 0x80fffff
	v_add3_u32 v1, v0, v1, s10
	v_lshrrev_b32_e32 v1, 21, v1
; %bb.4048:
	s_andn2_saveexec_b64 s[8:9], s[8:9]
; %bb.4049:
	s_mov_b32 s10, 0x43000000
	v_add_f32_e64 v1, |v0|, s10
; %bb.4050:
	s_or_b64 exec, exec, s[8:9]
                                        ; implicit-def: $vgpr5
.LBB230_4051:
	s_andn2_saveexec_b64 s[6:7], s[6:7]
; %bb.4052:
	s_mov_b32 s8, 0x7f800000
	v_mov_b32_e32 v1, 0x7c
	v_mov_b32_e32 v6, 0x7f
	v_cmp_lt_u32_e32 vcc, s8, v5
	v_cndmask_b32_e32 v1, v1, v6, vcc
; %bb.4053:
	s_or_b64 exec, exec, s[6:7]
	v_lshrrev_b32_e32 v5, 24, v0
	s_movk_i32 s6, 0x80
	v_and_or_b32 v1, v5, s6, v1
	global_store_byte v[2:3], v1, off
.LBB230_4054:
	s_mov_b64 s[6:7], 0
.LBB230_4055:
	s_andn2_b64 vcc, exec, s[6:7]
	s_mov_b64 s[6:7], 0
	s_cbranch_vccnz .LBB230_4062
; %bb.4056:
	v_cmp_lt_i16_e32 vcc, 14, v4
	s_mov_b64 s[8:9], -1
	s_cbranch_vccz .LBB230_4060
; %bb.4057:
	v_cmp_eq_u16_e32 vcc, 15, v4
	s_mov_b64 s[4:5], -1
	s_cbranch_vccz .LBB230_4059
; %bb.4058:
	v_bfe_u32 v1, v0, 16, 1
	s_movk_i32 s4, 0x7fff
	v_add3_u32 v1, v0, v1, s4
	v_lshrrev_b32_e32 v1, 16, v1
	v_mov_b32_e32 v5, 0x7fc0
	v_cmp_o_f32_e32 vcc, v0, v0
	v_cndmask_b32_e32 v1, v5, v1, vcc
	global_store_short v[2:3], v1, off
	s_mov_b64 s[4:5], 0
.LBB230_4059:
	s_mov_b64 s[8:9], 0
.LBB230_4060:
	s_and_b64 vcc, exec, s[8:9]
	s_cbranch_vccz .LBB230_4062
; %bb.4061:
	v_cmp_ne_u16_e64 s[4:5], 11, v4
	s_mov_b64 s[6:7], -1
.LBB230_4062:
	s_and_b64 vcc, exec, s[4:5]
	s_cbranch_vccnz .LBB230_4117
.LBB230_4063:
	s_mov_b64 s[4:5], 0
	s_branch .LBB230_4065
.LBB230_4064:
	s_mov_b64 s[4:5], 0
	s_mov_b64 s[6:7], 0
                                        ; implicit-def: $vgpr4
                                        ; implicit-def: $vgpr2_vgpr3
                                        ; implicit-def: $vgpr0
.LBB230_4065:
	s_and_b64 s[28:29], s[6:7], exec
	s_andn2_b64 s[6:7], s[48:49], exec
	s_and_b64 s[8:9], s[50:51], exec
	s_and_b64 s[4:5], s[4:5], exec
	s_or_b64 s[48:49], s[6:7], s[8:9]
.LBB230_4066:
	s_or_b64 exec, exec, s[34:35]
	s_and_saveexec_b64 s[6:7], s[48:49]
	s_cbranch_execz .LBB230_4069
; %bb.4067:
	; divergent unreachable
	s_or_b64 exec, exec, s[6:7]
	s_and_saveexec_b64 s[6:7], s[28:29]
	s_xor_b64 s[6:7], exec, s[6:7]
	s_cbranch_execnz .LBB230_4070
.LBB230_4068:
	s_or_b64 exec, exec, s[6:7]
	s_and_saveexec_b64 s[6:7], s[4:5]
	s_cbranch_execnz .LBB230_4071
	s_branch .LBB230_4108
.LBB230_4069:
	s_or_b64 exec, exec, s[6:7]
	s_and_saveexec_b64 s[6:7], s[28:29]
	s_xor_b64 s[6:7], exec, s[6:7]
	s_cbranch_execz .LBB230_4068
.LBB230_4070:
	s_waitcnt vmcnt(0)
	v_cmp_neq_f32_e32 vcc, 0, v0
	v_cndmask_b32_e64 v1, 0, 1, vcc
	global_store_byte v[2:3], v1, off
	s_or_b64 exec, exec, s[6:7]
	s_and_saveexec_b64 s[6:7], s[4:5]
	s_cbranch_execz .LBB230_4108
.LBB230_4071:
	v_cmp_gt_i16_e32 vcc, 5, v4
	s_mov_b64 s[4:5], -1
	s_cbranch_vccnz .LBB230_4092
; %bb.4072:
	v_cmp_gt_i16_e32 vcc, 8, v4
	s_cbranch_vccnz .LBB230_4082
; %bb.4073:
	v_cmp_gt_i16_e32 vcc, 9, v4
	s_cbranch_vccnz .LBB230_4079
; %bb.4074:
	v_cmp_lt_i16_e32 vcc, 9, v4
	s_cbranch_vccz .LBB230_4076
; %bb.4075:
	v_mov_b32_e32 v8, 0
	s_waitcnt vmcnt(0)
	v_cvt_f64_f32_e32 v[6:7], v0
	v_mov_b32_e32 v9, v8
	global_store_dwordx4 v[2:3], v[6:9], off
	s_mov_b64 s[4:5], 0
.LBB230_4076:
	s_andn2_b64 vcc, exec, s[4:5]
	s_cbranch_vccnz .LBB230_4078
; %bb.4077:
	s_waitcnt vmcnt(0)
	v_mov_b32_e32 v1, 0
	global_store_dwordx2 v[2:3], v[0:1], off
.LBB230_4078:
	s_mov_b64 s[4:5], 0
.LBB230_4079:
	s_andn2_b64 vcc, exec, s[4:5]
	s_cbranch_vccnz .LBB230_4081
; %bb.4080:
	s_waitcnt vmcnt(0)
	v_cvt_f16_f32_e32 v1, v0
	global_store_dword v[2:3], v1, off
.LBB230_4081:
	s_mov_b64 s[4:5], 0
.LBB230_4082:
	s_andn2_b64 vcc, exec, s[4:5]
	s_cbranch_vccnz .LBB230_4091
; %bb.4083:
	v_cmp_gt_i16_e32 vcc, 6, v4
	s_mov_b64 s[4:5], -1
	s_cbranch_vccnz .LBB230_4089
; %bb.4084:
	v_cmp_lt_i16_e32 vcc, 6, v4
	s_cbranch_vccz .LBB230_4086
; %bb.4085:
	s_waitcnt vmcnt(0)
	v_cvt_f64_f32_e32 v[6:7], v0
	global_store_dwordx2 v[2:3], v[6:7], off
	s_mov_b64 s[4:5], 0
.LBB230_4086:
	s_andn2_b64 vcc, exec, s[4:5]
	s_cbranch_vccnz .LBB230_4088
; %bb.4087:
	s_waitcnt vmcnt(0)
	global_store_dword v[2:3], v0, off
.LBB230_4088:
	s_mov_b64 s[4:5], 0
.LBB230_4089:
	s_andn2_b64 vcc, exec, s[4:5]
	s_cbranch_vccnz .LBB230_4091
; %bb.4090:
	s_waitcnt vmcnt(0)
	v_cvt_f16_f32_e32 v1, v0
	global_store_short v[2:3], v1, off
.LBB230_4091:
	s_mov_b64 s[4:5], 0
.LBB230_4092:
	s_andn2_b64 vcc, exec, s[4:5]
	s_cbranch_vccnz .LBB230_4108
; %bb.4093:
	v_cmp_gt_i16_e32 vcc, 2, v4
	s_mov_b64 s[4:5], -1
	s_cbranch_vccnz .LBB230_4103
; %bb.4094:
	v_cmp_gt_i16_e32 vcc, 3, v4
	s_cbranch_vccnz .LBB230_4100
; %bb.4095:
	v_cmp_lt_i16_e32 vcc, 3, v4
	s_cbranch_vccz .LBB230_4097
; %bb.4096:
	s_waitcnt vmcnt(0)
	v_trunc_f32_e32 v1, v0
	s_mov_b32 s4, 0x2f800000
	v_mul_f32_e64 v5, |v1|, s4
	v_floor_f32_e32 v5, v5
	s_mov_b32 s4, 0xcf800000
	v_cvt_u32_f32_e32 v6, v5
	v_fma_f32 v5, v5, s4, |v1|
	v_cvt_u32_f32_e32 v5, v5
	v_ashrrev_i32_e32 v1, 31, v1
	v_xor_b32_e32 v7, v6, v1
	s_mov_b64 s[4:5], 0
	v_xor_b32_e32 v5, v5, v1
	v_sub_co_u32_e32 v6, vcc, v5, v1
	v_subb_co_u32_e32 v7, vcc, v7, v1, vcc
	global_store_dwordx2 v[2:3], v[6:7], off
.LBB230_4097:
	s_andn2_b64 vcc, exec, s[4:5]
	s_cbranch_vccnz .LBB230_4099
; %bb.4098:
	s_waitcnt vmcnt(0)
	v_cvt_i32_f32_e32 v1, v0
	global_store_dword v[2:3], v1, off
.LBB230_4099:
	s_mov_b64 s[4:5], 0
.LBB230_4100:
	s_andn2_b64 vcc, exec, s[4:5]
	s_cbranch_vccnz .LBB230_4102
; %bb.4101:
	s_waitcnt vmcnt(0)
	v_cvt_i32_f32_e32 v1, v0
	global_store_short v[2:3], v1, off
.LBB230_4102:
	s_mov_b64 s[4:5], 0
.LBB230_4103:
	s_andn2_b64 vcc, exec, s[4:5]
	s_cbranch_vccnz .LBB230_4108
; %bb.4104:
	v_cmp_lt_i16_e32 vcc, 0, v4
	s_mov_b64 s[4:5], -1
	s_cbranch_vccz .LBB230_4106
; %bb.4105:
	s_waitcnt vmcnt(0)
	v_cvt_i32_f32_e32 v1, v0
	s_mov_b64 s[4:5], 0
	global_store_byte v[2:3], v1, off
.LBB230_4106:
	s_andn2_b64 vcc, exec, s[4:5]
	s_cbranch_vccnz .LBB230_4108
; %bb.4107:
	s_waitcnt vmcnt(0)
	v_trunc_f32_e32 v0, v0
	s_mov_b32 s4, 0x2f800000
	v_mul_f32_e64 v1, |v0|, s4
	v_floor_f32_e32 v1, v1
	s_mov_b32 s4, 0xcf800000
	v_fma_f32 v1, v1, s4, |v0|
	v_cvt_u32_f32_e32 v1, v1
	v_ashrrev_i32_e32 v0, 31, v0
	v_xor_b32_e32 v1, v1, v0
	v_sub_u32_e32 v0, v1, v0
	global_store_byte v[2:3], v0, off
	s_endpgm
.LBB230_4108:
	s_endpgm
.LBB230_4109:
	s_mov_b64 s[6:7], 0
	s_mov_b64 s[4:5], -1
	s_branch .LBB230_4065
.LBB230_4110:
	s_or_saveexec_b64 s[12:13], s[12:13]
                                        ; implicit-def: $sgpr14
	s_xor_b64 exec, exec, s[12:13]
	s_cbranch_execz .LBB230_3898
.LBB230_4111:
	s_mov_b32 s14, 0x46000000
	v_add_f32_e64 v1, |v0|, s14
	v_and_b32_e32 v1, 0xff, v1
	v_cmp_ne_u32_e32 vcc, 0, v1
	s_andn2_b64 s[10:11], s[10:11], exec
	s_and_b64 s[16:17], vcc, exec
	s_mov_b32 s14, 0
	s_or_b64 s[10:11], s[10:11], s[16:17]
	s_or_b64 exec, exec, s[12:13]
	v_mov_b32_e32 v4, s14
	s_and_saveexec_b64 s[12:13], s[10:11]
	s_cbranch_execnz .LBB230_3899
	s_branch .LBB230_3900
.LBB230_4112:
	s_trap 2
	s_or_b64 s[50:51], s[50:51], exec
	s_cbranch_execz .LBB230_3946
	s_branch .LBB230_3947
.LBB230_4113:
	s_or_saveexec_b64 s[10:11], s[10:11]
                                        ; implicit-def: $sgpr12
	s_xor_b64 exec, exec, s[10:11]
	s_cbranch_execz .LBB230_3911
.LBB230_4114:
	s_mov_b32 s12, 0x42800000
	v_add_f32_e64 v1, |v0|, s12
	v_and_b32_e32 v1, 0xff, v1
	v_cmp_ne_u32_e32 vcc, 0, v1
	s_andn2_b64 s[8:9], s[8:9], exec
	s_and_b64 s[14:15], vcc, exec
	s_mov_b32 s12, 0
	s_or_b64 s[8:9], s[8:9], s[14:15]
	s_or_b64 exec, exec, s[10:11]
	v_mov_b32_e32 v4, s12
	s_and_saveexec_b64 s[10:11], s[8:9]
	s_cbranch_execnz .LBB230_3912
	s_branch .LBB230_3913
.LBB230_4115:
	s_or_saveexec_b64 s[12:13], s[12:13]
                                        ; implicit-def: $sgpr14
	s_xor_b64 exec, exec, s[12:13]
	s_cbranch_execz .LBB230_4017
.LBB230_4116:
	s_mov_b32 s14, 0x46000000
	v_add_f32_e64 v1, |v0|, s14
	v_and_b32_e32 v1, 0xff, v1
	v_cmp_ne_u32_e32 vcc, 0, v1
	s_andn2_b64 s[10:11], s[10:11], exec
	s_and_b64 s[16:17], vcc, exec
	s_mov_b32 s14, 0
	s_or_b64 s[10:11], s[10:11], s[16:17]
	s_or_b64 exec, exec, s[12:13]
	v_mov_b32_e32 v5, s14
	s_and_saveexec_b64 s[12:13], s[10:11]
	s_cbranch_execnz .LBB230_4018
	s_branch .LBB230_4019
.LBB230_4117:
	s_mov_b64 s[6:7], 0
	s_or_b64 s[50:51], s[50:51], exec
	s_trap 2
	s_branch .LBB230_4063
.LBB230_4118:
	s_or_saveexec_b64 s[10:11], s[10:11]
                                        ; implicit-def: $sgpr12
	s_xor_b64 exec, exec, s[10:11]
	s_cbranch_execz .LBB230_4029
.LBB230_4119:
	s_mov_b32 s12, 0x42800000
	v_add_f32_e64 v1, |v0|, s12
	v_and_b32_e32 v1, 0xff, v1
	v_cmp_ne_u32_e32 vcc, 0, v1
	s_andn2_b64 s[8:9], s[8:9], exec
	s_and_b64 s[14:15], vcc, exec
	s_mov_b32 s12, 0
	s_or_b64 s[8:9], s[8:9], s[14:15]
	s_or_b64 exec, exec, s[10:11]
	v_mov_b32_e32 v5, s12
	s_and_saveexec_b64 s[10:11], s[8:9]
	s_cbranch_execnz .LBB230_4030
	s_branch .LBB230_4031
	.section	.rodata,"a",@progbits
	.p2align	6, 0x0
	.amdhsa_kernel _ZN2at6native32elementwise_kernel_manual_unrollILi128ELi4EZNS0_15gpu_kernel_implIZZZNS0_28launch_dirichlet_grad_kernelERNS_18TensorIteratorBaseEENKUlvE_clEvENKUlvE0_clEvEUlfffE_EEvS4_RKT_EUlibE_EEviT1_
		.amdhsa_group_segment_fixed_size 0
		.amdhsa_private_segment_fixed_size 0
		.amdhsa_kernarg_size 64
		.amdhsa_user_sgpr_count 8
		.amdhsa_user_sgpr_private_segment_buffer 1
		.amdhsa_user_sgpr_dispatch_ptr 0
		.amdhsa_user_sgpr_queue_ptr 0
		.amdhsa_user_sgpr_kernarg_segment_ptr 1
		.amdhsa_user_sgpr_dispatch_id 0
		.amdhsa_user_sgpr_flat_scratch_init 1
		.amdhsa_user_sgpr_kernarg_preload_length 0
		.amdhsa_user_sgpr_kernarg_preload_offset 0
		.amdhsa_user_sgpr_private_segment_size 0
		.amdhsa_uses_dynamic_stack 0
		.amdhsa_system_sgpr_private_segment_wavefront_offset 0
		.amdhsa_system_sgpr_workgroup_id_x 1
		.amdhsa_system_sgpr_workgroup_id_y 0
		.amdhsa_system_sgpr_workgroup_id_z 0
		.amdhsa_system_sgpr_workgroup_info 0
		.amdhsa_system_vgpr_workitem_id 0
		.amdhsa_next_free_vgpr 50
		.amdhsa_next_free_sgpr 76
		.amdhsa_accum_offset 52
		.amdhsa_reserve_vcc 1
		.amdhsa_reserve_flat_scratch 1
		.amdhsa_float_round_mode_32 0
		.amdhsa_float_round_mode_16_64 0
		.amdhsa_float_denorm_mode_32 3
		.amdhsa_float_denorm_mode_16_64 3
		.amdhsa_dx10_clamp 1
		.amdhsa_ieee_mode 1
		.amdhsa_fp16_overflow 0
		.amdhsa_tg_split 0
		.amdhsa_exception_fp_ieee_invalid_op 0
		.amdhsa_exception_fp_denorm_src 0
		.amdhsa_exception_fp_ieee_div_zero 0
		.amdhsa_exception_fp_ieee_overflow 0
		.amdhsa_exception_fp_ieee_underflow 0
		.amdhsa_exception_fp_ieee_inexact 0
		.amdhsa_exception_int_div_zero 0
	.end_amdhsa_kernel
	.section	.text._ZN2at6native32elementwise_kernel_manual_unrollILi128ELi4EZNS0_15gpu_kernel_implIZZZNS0_28launch_dirichlet_grad_kernelERNS_18TensorIteratorBaseEENKUlvE_clEvENKUlvE0_clEvEUlfffE_EEvS4_RKT_EUlibE_EEviT1_,"axG",@progbits,_ZN2at6native32elementwise_kernel_manual_unrollILi128ELi4EZNS0_15gpu_kernel_implIZZZNS0_28launch_dirichlet_grad_kernelERNS_18TensorIteratorBaseEENKUlvE_clEvENKUlvE0_clEvEUlfffE_EEvS4_RKT_EUlibE_EEviT1_,comdat
.Lfunc_end230:
	.size	_ZN2at6native32elementwise_kernel_manual_unrollILi128ELi4EZNS0_15gpu_kernel_implIZZZNS0_28launch_dirichlet_grad_kernelERNS_18TensorIteratorBaseEENKUlvE_clEvENKUlvE0_clEvEUlfffE_EEvS4_RKT_EUlibE_EEviT1_, .Lfunc_end230-_ZN2at6native32elementwise_kernel_manual_unrollILi128ELi4EZNS0_15gpu_kernel_implIZZZNS0_28launch_dirichlet_grad_kernelERNS_18TensorIteratorBaseEENKUlvE_clEvENKUlvE0_clEvEUlfffE_EEvS4_RKT_EUlibE_EEviT1_
                                        ; -- End function
	.section	.AMDGPU.csdata,"",@progbits
; Kernel info:
; codeLenInByte = 67472
; NumSgprs: 82
; NumVgprs: 50
; NumAgprs: 0
; TotalNumVgprs: 50
; ScratchSize: 0
; MemoryBound: 1
; FloatMode: 240
; IeeeMode: 1
; LDSByteSize: 0 bytes/workgroup (compile time only)
; SGPRBlocks: 10
; VGPRBlocks: 6
; NumSGPRsForWavesPerEU: 82
; NumVGPRsForWavesPerEU: 50
; AccumOffset: 52
; Occupancy: 8
; WaveLimiterHint : 0
; COMPUTE_PGM_RSRC2:SCRATCH_EN: 0
; COMPUTE_PGM_RSRC2:USER_SGPR: 8
; COMPUTE_PGM_RSRC2:TRAP_HANDLER: 0
; COMPUTE_PGM_RSRC2:TGID_X_EN: 1
; COMPUTE_PGM_RSRC2:TGID_Y_EN: 0
; COMPUTE_PGM_RSRC2:TGID_Z_EN: 0
; COMPUTE_PGM_RSRC2:TIDIG_COMP_CNT: 0
; COMPUTE_PGM_RSRC3_GFX90A:ACCUM_OFFSET: 12
; COMPUTE_PGM_RSRC3_GFX90A:TG_SPLIT: 0
	.section	.text._ZN2at6native32elementwise_kernel_manual_unrollILi128ELi4EZNS0_15gpu_kernel_implIZZZNS0_28launch_dirichlet_grad_kernelERNS_18TensorIteratorBaseEENKUlvE_clEvENKUlvE0_clEvEUlfffE_EEvS4_RKT_EUlibE0_EEviT1_,"axG",@progbits,_ZN2at6native32elementwise_kernel_manual_unrollILi128ELi4EZNS0_15gpu_kernel_implIZZZNS0_28launch_dirichlet_grad_kernelERNS_18TensorIteratorBaseEENKUlvE_clEvENKUlvE0_clEvEUlfffE_EEvS4_RKT_EUlibE0_EEviT1_,comdat
	.globl	_ZN2at6native32elementwise_kernel_manual_unrollILi128ELi4EZNS0_15gpu_kernel_implIZZZNS0_28launch_dirichlet_grad_kernelERNS_18TensorIteratorBaseEENKUlvE_clEvENKUlvE0_clEvEUlfffE_EEvS4_RKT_EUlibE0_EEviT1_ ; -- Begin function _ZN2at6native32elementwise_kernel_manual_unrollILi128ELi4EZNS0_15gpu_kernel_implIZZZNS0_28launch_dirichlet_grad_kernelERNS_18TensorIteratorBaseEENKUlvE_clEvENKUlvE0_clEvEUlfffE_EEvS4_RKT_EUlibE0_EEviT1_
	.p2align	8
	.type	_ZN2at6native32elementwise_kernel_manual_unrollILi128ELi4EZNS0_15gpu_kernel_implIZZZNS0_28launch_dirichlet_grad_kernelERNS_18TensorIteratorBaseEENKUlvE_clEvENKUlvE0_clEvEUlfffE_EEvS4_RKT_EUlibE0_EEviT1_,@function
_ZN2at6native32elementwise_kernel_manual_unrollILi128ELi4EZNS0_15gpu_kernel_implIZZZNS0_28launch_dirichlet_grad_kernelERNS_18TensorIteratorBaseEENKUlvE_clEvENKUlvE0_clEvEUlfffE_EEvS4_RKT_EUlibE0_EEviT1_: ; @_ZN2at6native32elementwise_kernel_manual_unrollILi128ELi4EZNS0_15gpu_kernel_implIZZZNS0_28launch_dirichlet_grad_kernelERNS_18TensorIteratorBaseEENKUlvE_clEvENKUlvE0_clEvEUlfffE_EEvS4_RKT_EUlibE0_EEviT1_
; %bb.0:
	s_load_dword s60, s[4:5], 0x0
	s_load_dword s33, s[4:5], 0x8
	s_add_u32 flat_scratch_lo, s6, s9
	s_addc_u32 flat_scratch_hi, s7, 0
	s_add_u32 s0, s0, s9
	s_addc_u32 s1, s1, 0
	s_or_b32 s34, s4, 8
	v_lshl_or_b32 v42, s8, 9, v0
	s_waitcnt lgkmcnt(0)
	s_add_i32 s96, s33, -1
	v_or_b32_e32 v24, 0x180, v42
	s_cmp_gt_u32 s96, 1
	s_mov_b32 s35, s5
	v_cmp_le_i32_e32 vcc, s60, v24
	s_cselect_b64 s[56:57], -1, 0
	s_mov_b64 s[28:29], 0
	s_mov_b64 s[36:37], 0
	s_mov_b32 s32, 0
	s_and_saveexec_b64 s[6:7], vcc
	s_xor_b64 s[58:59], exec, s[6:7]
	s_cbranch_execz .LBB231_2099
; %bb.1:
	v_mov_b32_e32 v0, 0
	global_load_dword v40, v0, s[34:35] offset:489
	s_load_dwordx4 s[52:55], s[34:35], 0x4
	s_load_dwordx2 s[94:95], s[34:35], 0x14
	s_load_dwordx8 s[44:51], s[34:35], 0xc4
	s_load_dwordx8 s[36:43], s[34:35], 0x1c8
	s_cmp_lg_u32 s33, 0
	s_cselect_b64 s[64:65], -1, 0
	s_min_u32 s97, s96, 15
	s_cmp_gt_u32 s33, 1
	v_cmp_gt_i32_e32 vcc, s60, v42
	s_mov_b64 s[6:7], -1
	s_mov_b64 s[78:79], 0
	s_mov_b64 s[72:73], 0
	;; [unrolled: 1-line block ×4, first 2 shown]
	s_cselect_b64 s[62:63], -1, 0
	s_mov_b64 s[66:67], 0
	s_waitcnt vmcnt(0)
	v_lshrrev_b32_e32 v43, 8, v40
	v_lshrrev_b32_e32 v41, 24, v40
	s_and_saveexec_b64 s[74:75], vcc
	s_cbranch_execz .LBB231_283
; %bb.2:
	s_andn2_b64 vcc, exec, s[56:57]
	s_cbranch_vccnz .LBB231_9
; %bb.3:
	s_andn2_b64 vcc, exec, s[64:65]
	v_mov_b32_e32 v0, 0
	v_mov_b32_e32 v38, 0
	;; [unrolled: 1-line block ×4, first 2 shown]
	s_cbranch_vccnz .LBB231_8
; %bb.4:
	s_add_i32 s6, s97, 1
	s_and_b32 s22, s6, 30
	s_add_u32 s6, s34, 0xa4
	s_addc_u32 s7, s35, 0
	v_mov_b32_e32 v4, 0
	s_mov_b64 s[20:21], s[34:35]
	v_mov_b32_e32 v1, v42
	v_mov_b32_e32 v2, 0
	;; [unrolled: 1-line block ×4, first 2 shown]
.LBB231_5:                              ; =>This Inner Loop Header: Depth=1
	s_load_dwordx4 s[16:19], s[20:21], 0x4
	s_load_dwordx2 s[26:27], s[20:21], 0x14
	s_mov_b64 s[24:25], s[6:7]
	s_load_dwordx8 s[8:15], s[24:25], 0x20
	s_add_u32 s6, s24, 32
	s_waitcnt lgkmcnt(0)
	v_mul_hi_u32 v3, s17, v1
	v_add_u32_e32 v3, v1, v3
	v_lshrrev_b32_e32 v3, s18, v3
	v_mul_lo_u32 v5, v3, s16
	v_mul_hi_u32 v6, s26, v3
	v_sub_u32_e32 v1, v1, v5
	v_add_u32_e32 v5, v3, v6
	v_mul_lo_u32 v6, v1, s8
	v_mul_lo_u32 v7, v1, s9
	;; [unrolled: 1-line block ×4, first 2 shown]
	v_lshrrev_b32_e32 v1, s27, v5
	s_addc_u32 s7, s25, 0
	v_mul_lo_u32 v5, v1, s19
	s_add_u32 s20, s20, 24
	v_sub_u32_e32 v3, v3, v5
	s_addc_u32 s21, s21, 0
	s_add_i32 s22, s22, -2
	v_mul_lo_u32 v5, v3, s12
	v_mul_lo_u32 v10, v3, s13
	;; [unrolled: 1-line block ×4, first 2 shown]
	s_cmp_lg_u32 s22, 0
	v_add3_u32 v0, v7, v0, v10
	v_add3_u32 v38, v6, v38, v5
	;; [unrolled: 1-line block ×4, first 2 shown]
	s_cbranch_scc1 .LBB231_5
; %bb.6:
	s_bitcmp1_b32 s97, 0
	s_cselect_b64 s[8:9], -1, 0
	s_and_b64 vcc, exec, s[8:9]
	s_cbranch_vccnz .LBB231_8
; %bb.7:
	s_load_dwordx2 s[12:13], s[20:21], 0x4
	s_load_dword s14, s[20:21], 0xc
	s_load_dwordx4 s[8:11], s[6:7], 0x20
	s_waitcnt lgkmcnt(0)
	v_mul_hi_u32 v3, s13, v1
	v_add_u32_e32 v3, v1, v3
	v_lshrrev_b32_e32 v3, s14, v3
	v_mul_lo_u32 v3, v3, s12
	v_sub_u32_e32 v3, v1, v3
	v_mad_u64_u32 v[38:39], s[6:7], v3, s8, v[38:39]
	v_mad_u64_u32 v[0:1], s[6:7], v3, s9, v[0:1]
	;; [unrolled: 1-line block ×4, first 2 shown]
.LBB231_8:
	s_cbranch_execz .LBB231_10
	s_branch .LBB231_12
.LBB231_9:
                                        ; implicit-def: $vgpr0
                                        ; implicit-def: $vgpr38
                                        ; implicit-def: $vgpr2
                                        ; implicit-def: $vgpr4
	s_andn2_b64 vcc, exec, s[6:7]
	s_cbranch_vccnz .LBB231_12
.LBB231_10:
	s_waitcnt lgkmcnt(0)
	v_mul_hi_u32 v0, s53, v42
	v_add_u32_e32 v0, v42, v0
	v_lshrrev_b32_e32 v1, s54, v0
	v_mul_lo_u32 v0, v1, s52
	v_sub_u32_e32 v3, v42, v0
	v_mul_lo_u32 v0, v3, s45
	v_mul_lo_u32 v38, v3, s44
	;; [unrolled: 1-line block ×3, first 2 shown]
	s_andn2_b64 vcc, exec, s[62:63]
	v_mul_lo_u32 v4, v3, s46
	s_cbranch_vccnz .LBB231_12
; %bb.11:
	v_mul_hi_u32 v3, s94, v1
	v_add_u32_e32 v3, v1, v3
	v_lshrrev_b32_e32 v3, s95, v3
	v_mul_lo_u32 v3, v3, s55
	v_sub_u32_e32 v3, v1, v3
	v_mad_u64_u32 v[38:39], s[6:7], v3, s48, v[38:39]
	v_mad_u64_u32 v[0:1], s[6:7], v3, s49, v[0:1]
	;; [unrolled: 1-line block ×4, first 2 shown]
.LBB231_12:
	s_waitcnt lgkmcnt(0)
	v_mov_b32_e32 v1, s39
	v_add_co_u32_e32 v6, vcc, s38, v0
	v_mov_b32_e32 v0, 11
	v_addc_co_u32_e32 v7, vcc, 0, v1, vcc
	v_cmp_lt_i16_sdwa s[6:7], v43, v0 src0_sel:BYTE_0 src1_sel:DWORD
	s_and_b64 vcc, exec, s[6:7]
	s_cbranch_vccnz .LBB231_19
; %bb.13:
	v_mov_b32_e32 v0, 25
	v_cmp_gt_i16_sdwa s[6:7], v43, v0 src0_sel:BYTE_0 src1_sel:DWORD
	s_and_b64 vcc, exec, s[6:7]
	s_cbranch_vccz .LBB231_28
; %bb.14:
	v_mov_b32_e32 v0, 28
	v_cmp_gt_i16_sdwa s[6:7], v43, v0 src0_sel:BYTE_0 src1_sel:DWORD
	s_and_b64 vcc, exec, s[6:7]
	s_cbranch_vccz .LBB231_38
	;; [unrolled: 5-line block ×4, first 2 shown]
; %bb.17:
	v_mov_b32_e32 v0, 46
	v_cmp_eq_u16_sdwa s[6:7], v43, v0 src0_sel:BYTE_0 src1_sel:DWORD
	s_mov_b64 s[8:9], 0
	s_and_b64 vcc, exec, s[6:7]
	s_cbranch_vccz .LBB231_47
; %bb.18:
	global_load_dword v0, v[6:7], off
	s_mov_b64 s[6:7], -1
	s_mov_b64 s[72:73], 0
	s_waitcnt vmcnt(0)
	v_lshlrev_b32_e32 v0, 16, v0
	s_branch .LBB231_49
.LBB231_19:
	s_mov_b64 s[72:73], 0
                                        ; implicit-def: $vgpr0
	s_mov_b64 s[6:7], 0
	s_cbranch_execnz .LBB231_115
.LBB231_20:
	s_andn2_b64 vcc, exec, s[6:7]
	s_cbranch_vccnz .LBB231_162
.LBB231_21:
	v_mov_b32_e32 v1, s41
	v_add_co_u32_e32 v4, vcc, s40, v4
	s_movk_i32 s6, 0xff
	v_addc_co_u32_e32 v5, vcc, 0, v1, vcc
	v_and_b32_sdwa v3, v40, s6 dst_sel:DWORD dst_unused:UNUSED_PAD src0_sel:WORD_1 src1_sel:DWORD
	v_cmp_gt_i16_e32 vcc, 11, v3
	s_cbranch_vccnz .LBB231_29
; %bb.22:
	v_cmp_lt_i16_e32 vcc, 25, v3
	s_cbranch_vccz .LBB231_39
; %bb.23:
	v_cmp_lt_i16_e32 vcc, 28, v3
	s_cbranch_vccz .LBB231_42
	;; [unrolled: 3-line block ×4, first 2 shown]
; %bb.26:
	v_cmp_eq_u16_e32 vcc, 46, v3
	s_mov_b64 s[8:9], 0
	s_cbranch_vccz .LBB231_164
; %bb.27:
	global_load_dword v1, v[4:5], off
	s_mov_b64 s[6:7], -1
	s_mov_b64 s[70:71], 0
	s_waitcnt vmcnt(0)
	v_lshlrev_b32_e32 v1, 16, v1
	s_branch .LBB231_166
.LBB231_28:
	s_mov_b64 s[72:73], 0
	s_mov_b64 s[6:7], 0
                                        ; implicit-def: $vgpr0
	s_cbranch_execnz .LBB231_80
	s_branch .LBB231_114
.LBB231_29:
	s_mov_b64 s[70:71], 0
                                        ; implicit-def: $vgpr1
	s_mov_b64 s[6:7], 0
	s_cbranch_execnz .LBB231_232
.LBB231_30:
	s_andn2_b64 vcc, exec, s[6:7]
	s_cbranch_vccnz .LBB231_280
.LBB231_31:
	v_mov_b32_e32 v3, s43
	v_add_co_u32_e32 v4, vcc, s42, v2
	v_addc_co_u32_e32 v5, vcc, 0, v3, vcc
	v_cmp_gt_i16_e32 vcc, 11, v41
	s_cbranch_vccnz .LBB231_40
; %bb.32:
	v_cmp_lt_i16_e32 vcc, 25, v41
	s_cbranch_vccz .LBB231_43
; %bb.33:
	v_cmp_lt_i16_e32 vcc, 28, v41
	s_cbranch_vccz .LBB231_46
	;; [unrolled: 3-line block ×4, first 2 shown]
; %bb.36:
	v_cmp_eq_u16_e32 vcc, 46, v41
	s_mov_b64 s[8:9], 0
	s_cbranch_vccz .LBB231_439
; %bb.37:
	global_load_dword v2, v[4:5], off
	s_mov_b64 s[6:7], -1
	s_mov_b64 s[68:69], 0
	s_waitcnt vmcnt(0)
	v_lshlrev_b32_e32 v2, 16, v2
	s_branch .LBB231_441
.LBB231_38:
	s_mov_b64 s[8:9], -1
	s_mov_b64 s[72:73], 0
	s_mov_b64 s[6:7], 0
                                        ; implicit-def: $vgpr0
	s_branch .LBB231_61
.LBB231_39:
	s_mov_b64 s[8:9], -1
	s_mov_b64 s[70:71], 0
	s_mov_b64 s[6:7], 0
                                        ; implicit-def: $vgpr1
	s_branch .LBB231_196
.LBB231_40:
	s_mov_b64 s[8:9], -1
	s_mov_b64 s[68:69], 0
                                        ; implicit-def: $vgpr2
	s_mov_b64 s[6:7], 0
	s_branch .LBB231_510
.LBB231_41:
	s_mov_b64 s[8:9], -1
	s_mov_b64 s[72:73], 0
	s_mov_b64 s[6:7], 0
                                        ; implicit-def: $vgpr0
	s_branch .LBB231_56
.LBB231_42:
	s_mov_b64 s[8:9], -1
	s_mov_b64 s[70:71], 0
	s_mov_b64 s[6:7], 0
                                        ; implicit-def: $vgpr1
	s_branch .LBB231_177
.LBB231_43:
	s_mov_b64 s[8:9], -1
	s_mov_b64 s[68:69], 0
	s_mov_b64 s[6:7], 0
                                        ; implicit-def: $vgpr2
	s_branch .LBB231_474
.LBB231_44:
	s_mov_b64 s[8:9], -1
	s_mov_b64 s[72:73], 0
	s_branch .LBB231_48
.LBB231_45:
	s_mov_b64 s[8:9], -1
	s_mov_b64 s[70:71], 0
	s_mov_b64 s[6:7], 0
                                        ; implicit-def: $vgpr1
	s_branch .LBB231_172
.LBB231_46:
	s_mov_b64 s[8:9], -1
	s_mov_b64 s[68:69], 0
	s_mov_b64 s[6:7], 0
                                        ; implicit-def: $vgpr2
	s_branch .LBB231_455
.LBB231_47:
	s_mov_b64 s[72:73], -1
.LBB231_48:
	s_mov_b64 s[6:7], 0
                                        ; implicit-def: $vgpr0
.LBB231_49:
	s_and_b64 vcc, exec, s[8:9]
	s_cbranch_vccz .LBB231_55
; %bb.50:
	v_mov_b32_e32 v0, 44
	v_cmp_eq_u16_sdwa s[8:9], v43, v0 src0_sel:BYTE_0 src1_sel:DWORD
	s_and_b64 vcc, exec, s[8:9]
	s_cbranch_vccz .LBB231_54
; %bb.51:
	global_load_ubyte v0, v[6:7], off
	s_movk_i32 s8, 0xff
	v_mov_b32_e32 v1, 0x7f800001
	v_mov_b32_e32 v3, 0x400000
	s_mov_b64 s[6:7], -1
	s_mov_b64 s[72:73], 0
	s_waitcnt vmcnt(0)
	v_lshlrev_b32_e32 v5, 23, v0
	v_cmp_ne_u32_e32 vcc, s8, v0
	v_cndmask_b32_e32 v1, v1, v5, vcc
	v_cmp_ne_u32_e32 vcc, 0, v0
	v_cndmask_b32_e32 v0, v3, v1, vcc
	s_branch .LBB231_55
.LBB231_52:
	s_mov_b64 s[8:9], -1
	s_mov_b64 s[70:71], 0
	s_branch .LBB231_165
.LBB231_53:
	s_mov_b64 s[8:9], -1
	s_mov_b64 s[68:69], 0
	s_mov_b64 s[6:7], 0
                                        ; implicit-def: $vgpr2
	s_branch .LBB231_450
.LBB231_54:
	s_mov_b64 s[72:73], -1
                                        ; implicit-def: $vgpr0
.LBB231_55:
	s_mov_b64 s[8:9], 0
.LBB231_56:
	s_and_b64 vcc, exec, s[8:9]
	s_cbranch_vccz .LBB231_60
; %bb.57:
	v_mov_b32_e32 v0, 29
	v_cmp_eq_u16_sdwa s[8:9], v43, v0 src0_sel:BYTE_0 src1_sel:DWORD
	s_and_b64 vcc, exec, s[8:9]
	s_cbranch_vccz .LBB231_59
; %bb.58:
	global_load_dwordx2 v[0:1], v[6:7], off
	s_mov_b64 s[6:7], -1
	s_mov_b64 s[72:73], 0
	s_mov_b64 s[8:9], 0
	s_waitcnt vmcnt(0)
	v_ffbh_u32_e32 v3, v1
	v_min_u32_e32 v3, 32, v3
	v_lshlrev_b64 v[0:1], v3, v[0:1]
	v_min_u32_e32 v0, 1, v0
	v_or_b32_e32 v0, v1, v0
	v_cvt_f32_u32_e32 v0, v0
	v_sub_u32_e32 v1, 32, v3
	v_ldexp_f32 v0, v0, v1
	s_branch .LBB231_61
.LBB231_59:
	s_mov_b64 s[72:73], -1
                                        ; implicit-def: $vgpr0
.LBB231_60:
	s_mov_b64 s[8:9], 0
.LBB231_61:
	s_and_b64 vcc, exec, s[8:9]
	s_cbranch_vccz .LBB231_79
; %bb.62:
	v_mov_b32_e32 v0, 27
	v_cmp_lt_i16_sdwa s[6:7], v43, v0 src0_sel:BYTE_0 src1_sel:DWORD
	s_and_b64 vcc, exec, s[6:7]
	s_cbranch_vccnz .LBB231_65
; %bb.63:
	v_cmp_gt_i16_sdwa s[6:7], v43, v0 src0_sel:BYTE_0 src1_sel:DWORD
	s_and_b64 vcc, exec, s[6:7]
	s_cbranch_vccz .LBB231_66
; %bb.64:
	global_load_dword v0, v[6:7], off
	s_mov_b64 s[6:7], 0
	s_waitcnt vmcnt(0)
	v_cvt_f32_u32_e32 v0, v0
	s_branch .LBB231_67
.LBB231_65:
	s_mov_b64 s[6:7], -1
                                        ; implicit-def: $vgpr0
	s_branch .LBB231_70
.LBB231_66:
	s_mov_b64 s[6:7], -1
                                        ; implicit-def: $vgpr0
.LBB231_67:
	s_andn2_b64 vcc, exec, s[6:7]
	s_cbranch_vccnz .LBB231_69
; %bb.68:
	global_load_ushort v0, v[6:7], off
	s_waitcnt vmcnt(0)
	v_cvt_f32_u32_e32 v0, v0
.LBB231_69:
	s_mov_b64 s[6:7], 0
.LBB231_70:
	s_andn2_b64 vcc, exec, s[6:7]
	s_cbranch_vccnz .LBB231_78
; %bb.71:
	global_load_ubyte v1, v[6:7], off
	s_movk_i32 s6, 0x7f
                                        ; implicit-def: $sgpr12
	s_waitcnt vmcnt(0)
	v_cmp_lt_i16_e32 vcc, s6, v1
	s_mov_b64 s[6:7], 0
	s_and_saveexec_b64 s[8:9], vcc
	s_xor_b64 s[8:9], exec, s[8:9]
	s_cbranch_execz .LBB231_91
; %bb.72:
	s_movk_i32 s6, 0x80
	v_cmp_eq_u16_e32 vcc, s6, v1
	s_mov_b64 s[6:7], -1
                                        ; implicit-def: $sgpr12
	s_and_saveexec_b64 s[10:11], vcc
; %bb.73:
	s_mov_b32 s12, 0x7f800001
	s_xor_b64 s[6:7], exec, -1
; %bb.74:
	s_or_b64 exec, exec, s[10:11]
	s_and_b64 s[6:7], s[6:7], exec
	s_or_saveexec_b64 s[8:9], s[8:9]
	v_mov_b32_e32 v0, s12
	s_xor_b64 exec, exec, s[8:9]
	s_cbranch_execnz .LBB231_92
.LBB231_75:
	s_or_b64 exec, exec, s[8:9]
	s_and_saveexec_b64 s[8:9], s[6:7]
	s_cbranch_execz .LBB231_77
.LBB231_76:
	v_lshlrev_b32_e32 v0, 24, v1
	v_and_b32_e32 v1, 0xffff, v1
	v_and_b32_e32 v3, 7, v1
	v_ffbh_u32_e32 v8, v3
	v_min_u32_e32 v8, 32, v8
	v_subrev_u32_e32 v9, 28, v8
	v_bfe_u32 v5, v1, 3, 4
	v_lshlrev_b32_e32 v1, v9, v1
	v_sub_u32_e32 v8, 29, v8
	v_and_b32_e32 v1, 7, v1
	v_cmp_eq_u32_e32 vcc, 0, v5
	v_cndmask_b32_e32 v5, v5, v8, vcc
	v_cndmask_b32_e32 v1, v3, v1, vcc
	v_mov_b32_e32 v3, 0x3b800000
	v_lshlrev_b32_e32 v1, 20, v1
	v_and_b32_e32 v0, 0x80000000, v0
	v_lshl_add_u32 v3, v5, 23, v3
	v_or3_b32 v0, v0, v3, v1
.LBB231_77:
	s_or_b64 exec, exec, s[8:9]
.LBB231_78:
	s_mov_b64 s[6:7], -1
.LBB231_79:
	s_branch .LBB231_114
.LBB231_80:
	v_mov_b32_e32 v0, 22
	v_cmp_gt_i16_sdwa s[8:9], v43, v0 src0_sel:BYTE_0 src1_sel:DWORD
	s_and_b64 vcc, exec, s[8:9]
	s_cbranch_vccz .LBB231_90
; %bb.81:
	v_mov_b32_e32 v0, 24
	v_cmp_lt_i16_sdwa s[6:7], v43, v0 src0_sel:BYTE_0 src1_sel:DWORD
	s_and_b64 vcc, exec, s[6:7]
	s_cbranch_vccnz .LBB231_93
; %bb.82:
	v_cmp_gt_i16_sdwa s[6:7], v43, v0 src0_sel:BYTE_0 src1_sel:DWORD
	s_and_b64 vcc, exec, s[6:7]
	s_cbranch_vccz .LBB231_94
; %bb.83:
	global_load_ubyte v1, v[6:7], off
	s_movk_i32 s6, 0x7f
                                        ; implicit-def: $sgpr12
	s_waitcnt vmcnt(0)
	v_cmp_lt_i16_e32 vcc, s6, v1
	s_mov_b64 s[6:7], 0
	s_and_saveexec_b64 s[8:9], vcc
	s_xor_b64 s[8:9], exec, s[8:9]
	s_cbranch_execz .LBB231_106
; %bb.84:
	s_movk_i32 s6, 0x80
	v_cmp_eq_u16_e32 vcc, s6, v1
	s_mov_b64 s[6:7], -1
                                        ; implicit-def: $sgpr12
	s_and_saveexec_b64 s[10:11], vcc
; %bb.85:
	s_mov_b32 s12, 0x7f800001
	s_xor_b64 s[6:7], exec, -1
; %bb.86:
	s_or_b64 exec, exec, s[10:11]
	s_and_b64 s[6:7], s[6:7], exec
	s_or_saveexec_b64 s[8:9], s[8:9]
	v_mov_b32_e32 v0, s12
	s_xor_b64 exec, exec, s[8:9]
	s_cbranch_execnz .LBB231_107
.LBB231_87:
	s_or_b64 exec, exec, s[8:9]
	s_and_saveexec_b64 s[8:9], s[6:7]
	s_cbranch_execz .LBB231_89
.LBB231_88:
	v_lshlrev_b32_e32 v0, 24, v1
	v_and_b32_e32 v1, 0xffff, v1
	v_and_b32_e32 v3, 3, v1
	v_ffbh_u32_e32 v8, v3
	v_min_u32_e32 v8, 32, v8
	v_subrev_u32_e32 v9, 29, v8
	v_bfe_u32 v5, v1, 2, 5
	v_lshlrev_b32_e32 v1, v9, v1
	v_sub_u32_e32 v8, 30, v8
	v_and_b32_e32 v1, 3, v1
	v_cmp_eq_u32_e32 vcc, 0, v5
	v_cndmask_b32_e32 v5, v5, v8, vcc
	v_cndmask_b32_e32 v1, v3, v1, vcc
	v_mov_b32_e32 v3, 0x37800000
	v_lshlrev_b32_e32 v1, 21, v1
	v_and_b32_e32 v0, 0x80000000, v0
	v_lshl_add_u32 v3, v5, 23, v3
	v_or3_b32 v0, v0, v3, v1
.LBB231_89:
	s_or_b64 exec, exec, s[8:9]
	s_mov_b64 s[6:7], 0
	s_branch .LBB231_95
.LBB231_90:
	s_mov_b64 s[8:9], -1
                                        ; implicit-def: $vgpr0
	s_branch .LBB231_101
.LBB231_91:
	s_or_saveexec_b64 s[8:9], s[8:9]
	v_mov_b32_e32 v0, s12
	s_xor_b64 exec, exec, s[8:9]
	s_cbranch_execz .LBB231_75
.LBB231_92:
	v_cmp_ne_u16_e32 vcc, 0, v1
	s_andn2_b64 s[6:7], s[6:7], exec
	s_and_b64 s[10:11], vcc, exec
	v_mov_b32_e32 v0, 0
	s_or_b64 s[6:7], s[6:7], s[10:11]
	s_or_b64 exec, exec, s[8:9]
	s_and_saveexec_b64 s[8:9], s[6:7]
	s_cbranch_execnz .LBB231_76
	s_branch .LBB231_77
.LBB231_93:
	s_mov_b64 s[6:7], -1
                                        ; implicit-def: $vgpr0
	s_branch .LBB231_98
.LBB231_94:
	s_mov_b64 s[6:7], -1
                                        ; implicit-def: $vgpr0
.LBB231_95:
	s_and_b64 vcc, exec, s[6:7]
	s_cbranch_vccz .LBB231_97
; %bb.96:
	global_load_ubyte v0, v[6:7], off
	s_mov_b32 s6, 0x7f800000
	s_waitcnt vmcnt(0)
	v_lshlrev_b32_e32 v0, 24, v0
	v_and_b32_e32 v1, 0x7f000000, v0
	v_ffbh_u32_e32 v3, v1
	v_min_u32_e32 v3, 32, v3
	v_sub_u32_e64 v3, v3, 4 clamp
	v_lshlrev_b32_e32 v8, v3, v1
	v_lshlrev_b32_e32 v3, 23, v3
	v_lshrrev_b32_e32 v8, 4, v8
	v_add_u32_e32 v5, 0x1000000, v1
	v_sub_u32_e32 v3, v8, v3
	v_ashrrev_i32_e32 v5, 8, v5
	v_add_u32_e32 v3, 0x3c000000, v3
	v_and_or_b32 v3, v5, s6, v3
	v_cmp_ne_u32_e32 vcc, 0, v1
	v_cndmask_b32_e32 v1, 0, v3, vcc
	s_brev_b32 s6, 1
	v_and_or_b32 v0, v0, s6, v1
.LBB231_97:
	s_mov_b64 s[6:7], 0
.LBB231_98:
	s_andn2_b64 vcc, exec, s[6:7]
	s_cbranch_vccnz .LBB231_100
; %bb.99:
	global_load_ubyte v0, v[6:7], off
	s_movk_i32 s6, 0x7f00
	s_brev_b32 s7, 16
	s_waitcnt vmcnt(0)
	v_lshlrev_b16_e32 v1, 8, v0
	v_lshlrev_b32_e32 v0, 25, v0
	v_lshrrev_b32_e32 v3, 4, v0
	v_and_or_b32 v5, v1, s6, 0.5
	v_or_b32_e32 v3, 0x70000000, v3
	v_add_f32_e32 v5, -0.5, v5
	v_mul_f32_e32 v3, 0x7800000, v3
	v_cmp_gt_u32_e32 vcc, s7, v0
	v_bfe_i32 v1, v1, 0, 16
	v_cndmask_b32_e32 v0, v3, v5, vcc
	s_brev_b32 s6, 1
	v_and_or_b32 v0, v1, s6, v0
.LBB231_100:
	s_mov_b64 s[8:9], 0
	s_mov_b64 s[6:7], -1
.LBB231_101:
	s_andn2_b64 vcc, exec, s[8:9]
	s_cbranch_vccnz .LBB231_114
; %bb.102:
	v_mov_b32_e32 v0, 14
	v_cmp_gt_i16_sdwa s[8:9], v43, v0 src0_sel:BYTE_0 src1_sel:DWORD
	s_and_b64 vcc, exec, s[8:9]
	s_cbranch_vccz .LBB231_105
; %bb.103:
	v_mov_b32_e32 v0, 15
	v_cmp_eq_u16_sdwa s[8:9], v43, v0 src0_sel:BYTE_0 src1_sel:DWORD
	s_and_b64 vcc, exec, s[8:9]
	s_cbranch_vccz .LBB231_108
; %bb.104:
	global_load_ushort v0, v[6:7], off
	s_mov_b64 s[6:7], -1
	s_mov_b64 s[72:73], 0
	s_waitcnt vmcnt(0)
	v_lshlrev_b32_e32 v0, 16, v0
	s_branch .LBB231_109
.LBB231_105:
	s_mov_b64 s[8:9], -1
                                        ; implicit-def: $vgpr0
	s_branch .LBB231_110
.LBB231_106:
	s_or_saveexec_b64 s[8:9], s[8:9]
	v_mov_b32_e32 v0, s12
	s_xor_b64 exec, exec, s[8:9]
	s_cbranch_execz .LBB231_87
.LBB231_107:
	v_cmp_ne_u16_e32 vcc, 0, v1
	s_andn2_b64 s[6:7], s[6:7], exec
	s_and_b64 s[10:11], vcc, exec
	v_mov_b32_e32 v0, 0
	s_or_b64 s[6:7], s[6:7], s[10:11]
	s_or_b64 exec, exec, s[8:9]
	s_and_saveexec_b64 s[8:9], s[6:7]
	s_cbranch_execnz .LBB231_88
	s_branch .LBB231_89
.LBB231_108:
	s_mov_b64 s[72:73], -1
                                        ; implicit-def: $vgpr0
.LBB231_109:
	s_mov_b64 s[8:9], 0
.LBB231_110:
	s_and_b64 vcc, exec, s[8:9]
	s_cbranch_vccz .LBB231_114
; %bb.111:
	v_mov_b32_e32 v0, 11
	v_cmp_eq_u16_sdwa s[8:9], v43, v0 src0_sel:BYTE_0 src1_sel:DWORD
	s_and_b64 vcc, exec, s[8:9]
	s_cbranch_vccz .LBB231_113
; %bb.112:
	global_load_ubyte v0, v[6:7], off
	s_mov_b64 s[6:7], -1
	s_mov_b64 s[72:73], 0
	s_waitcnt vmcnt(0)
	v_cmp_ne_u16_e32 vcc, 0, v0
	v_cndmask_b32_e64 v0, 0, 1.0, vcc
	s_branch .LBB231_114
.LBB231_113:
	s_mov_b64 s[72:73], -1
                                        ; implicit-def: $vgpr0
.LBB231_114:
	s_branch .LBB231_20
.LBB231_115:
	v_mov_b32_e32 v0, 5
	v_cmp_lt_i16_sdwa s[6:7], v43, v0 src0_sel:BYTE_0 src1_sel:DWORD
	s_and_b64 vcc, exec, s[6:7]
	s_cbranch_vccnz .LBB231_120
; %bb.116:
	v_mov_b32_e32 v0, 8
	v_cmp_lt_i16_sdwa s[6:7], v43, v0 src0_sel:BYTE_0 src1_sel:DWORD
	s_and_b64 vcc, exec, s[6:7]
	s_cbranch_vccnz .LBB231_121
; %bb.117:
	;; [unrolled: 5-line block ×3, first 2 shown]
	v_cmp_gt_i16_sdwa s[6:7], v43, v0 src0_sel:BYTE_0 src1_sel:DWORD
	s_and_b64 vcc, exec, s[6:7]
	s_cbranch_vccz .LBB231_123
; %bb.119:
	global_load_dwordx2 v[0:1], v[6:7], off
	s_mov_b64 s[6:7], 0
	s_waitcnt vmcnt(0)
	v_cvt_f32_f64_e32 v0, v[0:1]
	s_branch .LBB231_124
.LBB231_120:
                                        ; implicit-def: $vgpr0
	s_branch .LBB231_142
.LBB231_121:
	s_mov_b64 s[6:7], -1
                                        ; implicit-def: $vgpr0
	s_branch .LBB231_130
.LBB231_122:
	s_mov_b64 s[6:7], -1
                                        ; implicit-def: $vgpr0
	s_branch .LBB231_127
.LBB231_123:
	s_mov_b64 s[6:7], -1
                                        ; implicit-def: $vgpr0
.LBB231_124:
	s_andn2_b64 vcc, exec, s[6:7]
	s_cbranch_vccnz .LBB231_126
; %bb.125:
	global_load_dword v0, v[6:7], off
.LBB231_126:
	s_mov_b64 s[6:7], 0
.LBB231_127:
	s_andn2_b64 vcc, exec, s[6:7]
	s_cbranch_vccnz .LBB231_129
; %bb.128:
	global_load_dword v0, v[6:7], off
	s_waitcnt vmcnt(0)
	v_cvt_f32_f16_e32 v0, v0
.LBB231_129:
	s_mov_b64 s[6:7], 0
.LBB231_130:
	s_andn2_b64 vcc, exec, s[6:7]
	s_cbranch_vccnz .LBB231_141
; %bb.131:
	s_waitcnt vmcnt(0)
	v_mov_b32_e32 v0, 6
	v_cmp_lt_i16_sdwa s[6:7], v43, v0 src0_sel:BYTE_0 src1_sel:DWORD
	s_and_b64 vcc, exec, s[6:7]
	s_cbranch_vccnz .LBB231_134
; %bb.132:
	v_cmp_gt_i16_sdwa s[6:7], v43, v0 src0_sel:BYTE_0 src1_sel:DWORD
	s_and_b64 vcc, exec, s[6:7]
	s_cbranch_vccz .LBB231_135
; %bb.133:
	global_load_dwordx2 v[0:1], v[6:7], off
	s_mov_b64 s[6:7], 0
	s_waitcnt vmcnt(0)
	v_cvt_f32_f64_e32 v0, v[0:1]
	s_branch .LBB231_136
.LBB231_134:
	s_mov_b64 s[6:7], -1
                                        ; implicit-def: $vgpr0
	s_branch .LBB231_139
.LBB231_135:
	s_mov_b64 s[6:7], -1
                                        ; implicit-def: $vgpr0
.LBB231_136:
	s_andn2_b64 vcc, exec, s[6:7]
	s_cbranch_vccnz .LBB231_138
; %bb.137:
	global_load_dword v0, v[6:7], off
.LBB231_138:
	s_mov_b64 s[6:7], 0
.LBB231_139:
	s_andn2_b64 vcc, exec, s[6:7]
	s_cbranch_vccnz .LBB231_141
; %bb.140:
	global_load_ushort v0, v[6:7], off
	s_waitcnt vmcnt(0)
	v_cvt_f32_f16_e32 v0, v0
.LBB231_141:
	s_cbranch_execnz .LBB231_161
.LBB231_142:
	s_waitcnt vmcnt(0)
	v_mov_b32_e32 v0, 2
	v_cmp_lt_i16_sdwa s[6:7], v43, v0 src0_sel:BYTE_0 src1_sel:DWORD
	s_and_b64 vcc, exec, s[6:7]
	s_cbranch_vccnz .LBB231_146
; %bb.143:
	v_mov_b32_e32 v0, 3
	v_cmp_lt_i16_sdwa s[6:7], v43, v0 src0_sel:BYTE_0 src1_sel:DWORD
	s_and_b64 vcc, exec, s[6:7]
	s_cbranch_vccnz .LBB231_147
; %bb.144:
	v_cmp_gt_i16_sdwa s[6:7], v43, v0 src0_sel:BYTE_0 src1_sel:DWORD
	s_and_b64 vcc, exec, s[6:7]
	s_cbranch_vccz .LBB231_148
; %bb.145:
	global_load_dwordx2 v[0:1], v[6:7], off
	s_mov_b64 s[6:7], 0
	s_waitcnt vmcnt(0)
	v_xor_b32_e32 v5, v0, v1
	v_ffbh_i32_e32 v3, v1
	v_ashrrev_i32_e32 v5, 31, v5
	v_add_u32_e32 v3, -1, v3
	v_add_u32_e32 v5, 32, v5
	v_min_u32_e32 v3, v3, v5
	v_lshlrev_b64 v[0:1], v3, v[0:1]
	v_min_u32_e32 v0, 1, v0
	v_or_b32_e32 v0, v1, v0
	v_cvt_f32_i32_e32 v0, v0
	v_sub_u32_e32 v1, 32, v3
	v_ldexp_f32 v0, v0, v1
	s_branch .LBB231_149
.LBB231_146:
	s_mov_b64 s[6:7], -1
                                        ; implicit-def: $vgpr0
	s_branch .LBB231_155
.LBB231_147:
	s_mov_b64 s[6:7], -1
                                        ; implicit-def: $vgpr0
	s_branch .LBB231_152
.LBB231_148:
	s_mov_b64 s[6:7], -1
                                        ; implicit-def: $vgpr0
.LBB231_149:
	s_andn2_b64 vcc, exec, s[6:7]
	s_cbranch_vccnz .LBB231_151
; %bb.150:
	global_load_dword v0, v[6:7], off
	s_waitcnt vmcnt(0)
	v_cvt_f32_i32_e32 v0, v0
.LBB231_151:
	s_mov_b64 s[6:7], 0
.LBB231_152:
	s_andn2_b64 vcc, exec, s[6:7]
	s_cbranch_vccnz .LBB231_154
; %bb.153:
	global_load_sshort v0, v[6:7], off
	s_waitcnt vmcnt(0)
	v_cvt_f32_i32_e32 v0, v0
.LBB231_154:
	s_mov_b64 s[6:7], 0
.LBB231_155:
	s_andn2_b64 vcc, exec, s[6:7]
	s_cbranch_vccnz .LBB231_161
; %bb.156:
	v_mov_b32_e32 v0, 0
	v_cmp_gt_i16_sdwa s[6:7], v43, v0 src0_sel:BYTE_0 src1_sel:DWORD
	s_and_b64 vcc, exec, s[6:7]
	s_cbranch_vccz .LBB231_158
; %bb.157:
	global_load_sbyte v0, v[6:7], off
	s_mov_b64 s[6:7], 0
	s_waitcnt vmcnt(0)
	v_cvt_f32_i32_e32 v0, v0
	s_branch .LBB231_159
.LBB231_158:
	s_mov_b64 s[6:7], -1
                                        ; implicit-def: $vgpr0
.LBB231_159:
	s_andn2_b64 vcc, exec, s[6:7]
	s_cbranch_vccnz .LBB231_161
; %bb.160:
	global_load_ubyte v0, v[6:7], off
	s_waitcnt vmcnt(0)
	v_cvt_f32_ubyte0_e32 v0, v0
.LBB231_161:
	s_branch .LBB231_21
.LBB231_162:
	s_mov_b64 s[6:7], 0
	s_mov_b64 s[68:69], 0
	;; [unrolled: 1-line block ×3, first 2 shown]
.LBB231_163:
                                        ; implicit-def: $vgpr42
	s_branch .LBB231_281
.LBB231_164:
	s_mov_b64 s[70:71], -1
.LBB231_165:
	s_mov_b64 s[6:7], 0
                                        ; implicit-def: $vgpr1
.LBB231_166:
	s_and_b64 vcc, exec, s[8:9]
	s_cbranch_vccz .LBB231_171
; %bb.167:
	v_cmp_eq_u16_e32 vcc, 44, v3
	s_cbranch_vccz .LBB231_170
; %bb.168:
	global_load_ubyte v1, v[4:5], off
	s_movk_i32 s8, 0xff
	v_mov_b32_e32 v6, 0x7f800001
	v_mov_b32_e32 v7, 0x400000
	s_mov_b64 s[6:7], -1
	s_mov_b64 s[70:71], 0
	s_waitcnt vmcnt(0)
	v_lshlrev_b32_e32 v8, 23, v1
	v_cmp_ne_u32_e32 vcc, s8, v1
	v_cndmask_b32_e32 v6, v6, v8, vcc
	v_cmp_ne_u32_e32 vcc, 0, v1
	v_cndmask_b32_e32 v1, v7, v6, vcc
	s_branch .LBB231_171
.LBB231_169:
	s_mov_b64 s[8:9], -1
	s_mov_b64 s[68:69], 0
	s_branch .LBB231_440
.LBB231_170:
	s_mov_b64 s[70:71], -1
                                        ; implicit-def: $vgpr1
.LBB231_171:
	s_mov_b64 s[8:9], 0
.LBB231_172:
	s_and_b64 vcc, exec, s[8:9]
	s_cbranch_vccz .LBB231_176
; %bb.173:
	v_cmp_eq_u16_e32 vcc, 29, v3
	s_cbranch_vccz .LBB231_175
; %bb.174:
	global_load_dwordx2 v[6:7], v[4:5], off
	s_mov_b64 s[6:7], -1
	s_mov_b64 s[70:71], 0
	s_mov_b64 s[8:9], 0
	s_waitcnt vmcnt(0)
	v_ffbh_u32_e32 v1, v7
	v_min_u32_e32 v1, 32, v1
	v_lshlrev_b64 v[6:7], v1, v[6:7]
	v_min_u32_e32 v6, 1, v6
	v_or_b32_e32 v6, v7, v6
	v_cvt_f32_u32_e32 v6, v6
	v_sub_u32_e32 v1, 32, v1
	v_ldexp_f32 v1, v6, v1
	s_branch .LBB231_177
.LBB231_175:
	s_mov_b64 s[70:71], -1
                                        ; implicit-def: $vgpr1
.LBB231_176:
	s_mov_b64 s[8:9], 0
.LBB231_177:
	s_and_b64 vcc, exec, s[8:9]
	s_cbranch_vccz .LBB231_195
; %bb.178:
	v_cmp_gt_i16_e32 vcc, 27, v3
	s_cbranch_vccnz .LBB231_181
; %bb.179:
	v_cmp_lt_i16_e32 vcc, 27, v3
	s_cbranch_vccz .LBB231_182
; %bb.180:
	global_load_dword v1, v[4:5], off
	s_mov_b64 s[6:7], 0
	s_waitcnt vmcnt(0)
	v_cvt_f32_u32_e32 v1, v1
	s_branch .LBB231_183
.LBB231_181:
	s_mov_b64 s[6:7], -1
                                        ; implicit-def: $vgpr1
	s_branch .LBB231_186
.LBB231_182:
	s_mov_b64 s[6:7], -1
                                        ; implicit-def: $vgpr1
.LBB231_183:
	s_andn2_b64 vcc, exec, s[6:7]
	s_cbranch_vccnz .LBB231_185
; %bb.184:
	global_load_ushort v1, v[4:5], off
	s_waitcnt vmcnt(0)
	v_cvt_f32_u32_e32 v1, v1
.LBB231_185:
	s_mov_b64 s[6:7], 0
.LBB231_186:
	s_andn2_b64 vcc, exec, s[6:7]
	s_cbranch_vccnz .LBB231_194
; %bb.187:
	global_load_ubyte v6, v[4:5], off
	s_movk_i32 s6, 0x7f
                                        ; implicit-def: $sgpr12
	s_waitcnt vmcnt(0)
	v_cmp_lt_i16_e32 vcc, s6, v6
	s_mov_b64 s[6:7], 0
	s_and_saveexec_b64 s[8:9], vcc
	s_xor_b64 s[8:9], exec, s[8:9]
	s_cbranch_execz .LBB231_208
; %bb.188:
	s_movk_i32 s6, 0x80
	v_cmp_eq_u16_e32 vcc, s6, v6
	s_mov_b64 s[6:7], -1
                                        ; implicit-def: $sgpr12
	s_and_saveexec_b64 s[10:11], vcc
; %bb.189:
	s_mov_b32 s12, 0x7f800001
	s_xor_b64 s[6:7], exec, -1
; %bb.190:
	s_or_b64 exec, exec, s[10:11]
	s_and_b64 s[6:7], s[6:7], exec
	s_or_saveexec_b64 s[8:9], s[8:9]
	v_mov_b32_e32 v1, s12
	s_xor_b64 exec, exec, s[8:9]
	s_cbranch_execnz .LBB231_209
.LBB231_191:
	s_or_b64 exec, exec, s[8:9]
	s_and_saveexec_b64 s[8:9], s[6:7]
	s_cbranch_execz .LBB231_193
.LBB231_192:
	v_lshlrev_b32_e32 v1, 24, v6
	v_and_b32_e32 v6, 0xffff, v6
	v_and_b32_e32 v7, 7, v6
	v_ffbh_u32_e32 v9, v7
	v_min_u32_e32 v9, 32, v9
	v_subrev_u32_e32 v10, 28, v9
	v_bfe_u32 v8, v6, 3, 4
	v_lshlrev_b32_e32 v6, v10, v6
	v_sub_u32_e32 v9, 29, v9
	v_and_b32_e32 v6, 7, v6
	v_cmp_eq_u32_e32 vcc, 0, v8
	v_cndmask_b32_e32 v8, v8, v9, vcc
	v_cndmask_b32_e32 v6, v7, v6, vcc
	v_mov_b32_e32 v7, 0x3b800000
	v_lshlrev_b32_e32 v6, 20, v6
	v_and_b32_e32 v1, 0x80000000, v1
	v_lshl_add_u32 v7, v8, 23, v7
	v_or3_b32 v1, v1, v7, v6
.LBB231_193:
	s_or_b64 exec, exec, s[8:9]
.LBB231_194:
	s_mov_b64 s[6:7], -1
.LBB231_195:
	s_mov_b64 s[8:9], 0
.LBB231_196:
	s_and_b64 vcc, exec, s[8:9]
	s_cbranch_vccz .LBB231_231
; %bb.197:
	v_cmp_lt_i16_e32 vcc, 22, v3
	s_cbranch_vccz .LBB231_207
; %bb.198:
	v_cmp_gt_i16_e32 vcc, 24, v3
	s_cbranch_vccnz .LBB231_210
; %bb.199:
	v_cmp_lt_i16_e32 vcc, 24, v3
	s_cbranch_vccz .LBB231_211
; %bb.200:
	global_load_ubyte v6, v[4:5], off
	s_movk_i32 s6, 0x7f
                                        ; implicit-def: $sgpr12
	s_waitcnt vmcnt(0)
	v_cmp_lt_i16_e32 vcc, s6, v6
	s_mov_b64 s[6:7], 0
	s_and_saveexec_b64 s[8:9], vcc
	s_xor_b64 s[8:9], exec, s[8:9]
	s_cbranch_execz .LBB231_223
; %bb.201:
	s_movk_i32 s6, 0x80
	v_cmp_eq_u16_e32 vcc, s6, v6
	s_mov_b64 s[6:7], -1
                                        ; implicit-def: $sgpr12
	s_and_saveexec_b64 s[10:11], vcc
; %bb.202:
	s_mov_b32 s12, 0x7f800001
	s_xor_b64 s[6:7], exec, -1
; %bb.203:
	s_or_b64 exec, exec, s[10:11]
	s_and_b64 s[6:7], s[6:7], exec
	s_or_saveexec_b64 s[8:9], s[8:9]
	v_mov_b32_e32 v1, s12
	s_xor_b64 exec, exec, s[8:9]
	s_cbranch_execnz .LBB231_224
.LBB231_204:
	s_or_b64 exec, exec, s[8:9]
	s_and_saveexec_b64 s[8:9], s[6:7]
	s_cbranch_execz .LBB231_206
.LBB231_205:
	v_lshlrev_b32_e32 v1, 24, v6
	v_and_b32_e32 v6, 0xffff, v6
	v_and_b32_e32 v7, 3, v6
	v_ffbh_u32_e32 v9, v7
	v_min_u32_e32 v9, 32, v9
	v_subrev_u32_e32 v10, 29, v9
	v_bfe_u32 v8, v6, 2, 5
	v_lshlrev_b32_e32 v6, v10, v6
	v_sub_u32_e32 v9, 30, v9
	v_and_b32_e32 v6, 3, v6
	v_cmp_eq_u32_e32 vcc, 0, v8
	v_cndmask_b32_e32 v8, v8, v9, vcc
	v_cndmask_b32_e32 v6, v7, v6, vcc
	v_mov_b32_e32 v7, 0x37800000
	v_lshlrev_b32_e32 v6, 21, v6
	v_and_b32_e32 v1, 0x80000000, v1
	v_lshl_add_u32 v7, v8, 23, v7
	v_or3_b32 v1, v1, v7, v6
.LBB231_206:
	s_or_b64 exec, exec, s[8:9]
	s_mov_b64 s[6:7], 0
	s_branch .LBB231_212
.LBB231_207:
	s_mov_b64 s[8:9], -1
                                        ; implicit-def: $vgpr1
	s_branch .LBB231_218
.LBB231_208:
	s_or_saveexec_b64 s[8:9], s[8:9]
	v_mov_b32_e32 v1, s12
	s_xor_b64 exec, exec, s[8:9]
	s_cbranch_execz .LBB231_191
.LBB231_209:
	v_cmp_ne_u16_e32 vcc, 0, v6
	s_andn2_b64 s[6:7], s[6:7], exec
	s_and_b64 s[10:11], vcc, exec
	v_mov_b32_e32 v1, 0
	s_or_b64 s[6:7], s[6:7], s[10:11]
	s_or_b64 exec, exec, s[8:9]
	s_and_saveexec_b64 s[8:9], s[6:7]
	s_cbranch_execnz .LBB231_192
	s_branch .LBB231_193
.LBB231_210:
	s_mov_b64 s[6:7], -1
                                        ; implicit-def: $vgpr1
	s_branch .LBB231_215
.LBB231_211:
	s_mov_b64 s[6:7], -1
                                        ; implicit-def: $vgpr1
.LBB231_212:
	s_and_b64 vcc, exec, s[6:7]
	s_cbranch_vccz .LBB231_214
; %bb.213:
	global_load_ubyte v1, v[4:5], off
	s_mov_b32 s6, 0x7f800000
	s_waitcnt vmcnt(0)
	v_lshlrev_b32_e32 v1, 24, v1
	v_and_b32_e32 v6, 0x7f000000, v1
	v_ffbh_u32_e32 v7, v6
	v_min_u32_e32 v7, 32, v7
	v_sub_u32_e64 v7, v7, 4 clamp
	v_lshlrev_b32_e32 v9, v7, v6
	v_lshlrev_b32_e32 v7, 23, v7
	v_lshrrev_b32_e32 v9, 4, v9
	v_add_u32_e32 v8, 0x1000000, v6
	v_sub_u32_e32 v7, v9, v7
	v_ashrrev_i32_e32 v8, 8, v8
	v_add_u32_e32 v7, 0x3c000000, v7
	v_and_or_b32 v7, v8, s6, v7
	v_cmp_ne_u32_e32 vcc, 0, v6
	v_cndmask_b32_e32 v6, 0, v7, vcc
	s_brev_b32 s6, 1
	v_and_or_b32 v1, v1, s6, v6
.LBB231_214:
	s_mov_b64 s[6:7], 0
.LBB231_215:
	s_andn2_b64 vcc, exec, s[6:7]
	s_cbranch_vccnz .LBB231_217
; %bb.216:
	global_load_ubyte v1, v[4:5], off
	s_movk_i32 s6, 0x7f00
	s_brev_b32 s7, 16
	s_waitcnt vmcnt(0)
	v_lshlrev_b16_e32 v6, 8, v1
	v_lshlrev_b32_e32 v1, 25, v1
	v_lshrrev_b32_e32 v7, 4, v1
	v_and_or_b32 v8, v6, s6, 0.5
	v_or_b32_e32 v7, 0x70000000, v7
	v_add_f32_e32 v8, -0.5, v8
	v_mul_f32_e32 v7, 0x7800000, v7
	v_cmp_gt_u32_e32 vcc, s7, v1
	v_bfe_i32 v6, v6, 0, 16
	v_cndmask_b32_e32 v1, v7, v8, vcc
	s_brev_b32 s6, 1
	v_and_or_b32 v1, v6, s6, v1
.LBB231_217:
	s_mov_b64 s[8:9], 0
	s_mov_b64 s[6:7], -1
.LBB231_218:
	s_andn2_b64 vcc, exec, s[8:9]
	s_cbranch_vccnz .LBB231_231
; %bb.219:
	v_cmp_lt_i16_e32 vcc, 14, v3
	s_cbranch_vccz .LBB231_222
; %bb.220:
	v_cmp_eq_u16_e32 vcc, 15, v3
	s_cbranch_vccz .LBB231_225
; %bb.221:
	global_load_ushort v1, v[4:5], off
	s_mov_b64 s[6:7], -1
	s_mov_b64 s[70:71], 0
	s_waitcnt vmcnt(0)
	v_lshlrev_b32_e32 v1, 16, v1
	s_branch .LBB231_226
.LBB231_222:
	s_mov_b64 s[8:9], -1
                                        ; implicit-def: $vgpr1
	s_branch .LBB231_227
.LBB231_223:
	s_or_saveexec_b64 s[8:9], s[8:9]
	v_mov_b32_e32 v1, s12
	s_xor_b64 exec, exec, s[8:9]
	s_cbranch_execz .LBB231_204
.LBB231_224:
	v_cmp_ne_u16_e32 vcc, 0, v6
	s_andn2_b64 s[6:7], s[6:7], exec
	s_and_b64 s[10:11], vcc, exec
	v_mov_b32_e32 v1, 0
	s_or_b64 s[6:7], s[6:7], s[10:11]
	s_or_b64 exec, exec, s[8:9]
	s_and_saveexec_b64 s[8:9], s[6:7]
	s_cbranch_execnz .LBB231_205
	s_branch .LBB231_206
.LBB231_225:
	s_mov_b64 s[70:71], -1
                                        ; implicit-def: $vgpr1
.LBB231_226:
	s_mov_b64 s[8:9], 0
.LBB231_227:
	s_and_b64 vcc, exec, s[8:9]
	s_cbranch_vccz .LBB231_231
; %bb.228:
	v_cmp_eq_u16_e32 vcc, 11, v3
	s_cbranch_vccz .LBB231_230
; %bb.229:
	global_load_ubyte v1, v[4:5], off
	s_mov_b64 s[6:7], -1
	s_mov_b64 s[70:71], 0
	s_waitcnt vmcnt(0)
	v_cmp_ne_u16_e32 vcc, 0, v1
	v_cndmask_b32_e64 v1, 0, 1.0, vcc
	s_branch .LBB231_231
.LBB231_230:
	s_mov_b64 s[70:71], -1
                                        ; implicit-def: $vgpr1
.LBB231_231:
	s_branch .LBB231_30
.LBB231_232:
	v_cmp_gt_i16_e32 vcc, 5, v3
	s_cbranch_vccnz .LBB231_237
; %bb.233:
	v_cmp_gt_i16_e32 vcc, 8, v3
	s_cbranch_vccnz .LBB231_238
; %bb.234:
	;; [unrolled: 3-line block ×3, first 2 shown]
	v_cmp_lt_i16_e32 vcc, 9, v3
	s_cbranch_vccz .LBB231_240
; %bb.236:
	global_load_dwordx2 v[6:7], v[4:5], off
	s_mov_b64 s[6:7], 0
	s_waitcnt vmcnt(0)
	v_cvt_f32_f64_e32 v1, v[6:7]
	s_branch .LBB231_241
.LBB231_237:
	s_mov_b64 s[6:7], -1
                                        ; implicit-def: $vgpr1
	s_branch .LBB231_259
.LBB231_238:
	s_mov_b64 s[6:7], -1
                                        ; implicit-def: $vgpr1
	s_branch .LBB231_247
.LBB231_239:
	s_mov_b64 s[6:7], -1
                                        ; implicit-def: $vgpr1
	s_branch .LBB231_244
.LBB231_240:
	s_mov_b64 s[6:7], -1
                                        ; implicit-def: $vgpr1
.LBB231_241:
	s_andn2_b64 vcc, exec, s[6:7]
	s_cbranch_vccnz .LBB231_243
; %bb.242:
	global_load_dword v1, v[4:5], off
.LBB231_243:
	s_mov_b64 s[6:7], 0
.LBB231_244:
	s_andn2_b64 vcc, exec, s[6:7]
	s_cbranch_vccnz .LBB231_246
; %bb.245:
	global_load_dword v1, v[4:5], off
	s_waitcnt vmcnt(0)
	v_cvt_f32_f16_e32 v1, v1
.LBB231_246:
	s_mov_b64 s[6:7], 0
.LBB231_247:
	s_andn2_b64 vcc, exec, s[6:7]
	s_cbranch_vccnz .LBB231_258
; %bb.248:
	v_cmp_gt_i16_e32 vcc, 6, v3
	s_cbranch_vccnz .LBB231_251
; %bb.249:
	v_cmp_lt_i16_e32 vcc, 6, v3
	s_cbranch_vccz .LBB231_252
; %bb.250:
	global_load_dwordx2 v[6:7], v[4:5], off
	s_mov_b64 s[6:7], 0
	s_waitcnt vmcnt(0)
	v_cvt_f32_f64_e32 v1, v[6:7]
	s_branch .LBB231_253
.LBB231_251:
	s_mov_b64 s[6:7], -1
                                        ; implicit-def: $vgpr1
	s_branch .LBB231_256
.LBB231_252:
	s_mov_b64 s[6:7], -1
                                        ; implicit-def: $vgpr1
.LBB231_253:
	s_andn2_b64 vcc, exec, s[6:7]
	s_cbranch_vccnz .LBB231_255
; %bb.254:
	global_load_dword v1, v[4:5], off
.LBB231_255:
	s_mov_b64 s[6:7], 0
.LBB231_256:
	s_andn2_b64 vcc, exec, s[6:7]
	s_cbranch_vccnz .LBB231_258
; %bb.257:
	global_load_ushort v1, v[4:5], off
	s_waitcnt vmcnt(0)
	v_cvt_f32_f16_e32 v1, v1
.LBB231_258:
	s_mov_b64 s[6:7], 0
.LBB231_259:
	s_andn2_b64 vcc, exec, s[6:7]
	s_cbranch_vccnz .LBB231_279
; %bb.260:
	v_cmp_gt_i16_e32 vcc, 2, v3
	s_cbranch_vccnz .LBB231_264
; %bb.261:
	v_cmp_gt_i16_e32 vcc, 3, v3
	s_cbranch_vccnz .LBB231_265
; %bb.262:
	v_cmp_lt_i16_e32 vcc, 3, v3
	s_cbranch_vccz .LBB231_266
; %bb.263:
	global_load_dwordx2 v[6:7], v[4:5], off
	s_mov_b64 s[6:7], 0
	s_waitcnt vmcnt(0)
	v_xor_b32_e32 v8, v6, v7
	v_ffbh_i32_e32 v1, v7
	v_ashrrev_i32_e32 v8, 31, v8
	v_add_u32_e32 v1, -1, v1
	v_add_u32_e32 v8, 32, v8
	v_min_u32_e32 v1, v1, v8
	v_lshlrev_b64 v[6:7], v1, v[6:7]
	v_min_u32_e32 v6, 1, v6
	v_or_b32_e32 v6, v7, v6
	v_cvt_f32_i32_e32 v6, v6
	v_sub_u32_e32 v1, 32, v1
	v_ldexp_f32 v1, v6, v1
	s_branch .LBB231_267
.LBB231_264:
	s_mov_b64 s[6:7], -1
                                        ; implicit-def: $vgpr1
	s_branch .LBB231_273
.LBB231_265:
	s_mov_b64 s[6:7], -1
                                        ; implicit-def: $vgpr1
	s_branch .LBB231_270
.LBB231_266:
	s_mov_b64 s[6:7], -1
                                        ; implicit-def: $vgpr1
.LBB231_267:
	s_andn2_b64 vcc, exec, s[6:7]
	s_cbranch_vccnz .LBB231_269
; %bb.268:
	global_load_dword v1, v[4:5], off
	s_waitcnt vmcnt(0)
	v_cvt_f32_i32_e32 v1, v1
.LBB231_269:
	s_mov_b64 s[6:7], 0
.LBB231_270:
	s_andn2_b64 vcc, exec, s[6:7]
	s_cbranch_vccnz .LBB231_272
; %bb.271:
	global_load_sshort v1, v[4:5], off
	s_waitcnt vmcnt(0)
	v_cvt_f32_i32_e32 v1, v1
.LBB231_272:
	s_mov_b64 s[6:7], 0
.LBB231_273:
	s_andn2_b64 vcc, exec, s[6:7]
	s_cbranch_vccnz .LBB231_279
; %bb.274:
	v_cmp_lt_i16_e32 vcc, 0, v3
	s_cbranch_vccz .LBB231_276
; %bb.275:
	global_load_sbyte v1, v[4:5], off
	s_mov_b64 s[6:7], 0
	s_waitcnt vmcnt(0)
	v_cvt_f32_i32_e32 v1, v1
	s_branch .LBB231_277
.LBB231_276:
	s_mov_b64 s[6:7], -1
                                        ; implicit-def: $vgpr1
.LBB231_277:
	s_andn2_b64 vcc, exec, s[6:7]
	s_cbranch_vccnz .LBB231_279
; %bb.278:
	global_load_ubyte v1, v[4:5], off
	s_waitcnt vmcnt(0)
	v_cvt_f32_ubyte0_e32 v1, v1
.LBB231_279:
	s_branch .LBB231_31
.LBB231_280:
	s_mov_b64 s[6:7], 0
                                        ; implicit-def: $vgpr42
	s_mov_b64 s[68:69], 0
.LBB231_281:
	s_mov_b64 s[8:9], 0
.LBB231_282:
	s_and_b64 s[66:67], s[6:7], exec
	s_and_b64 s[68:69], s[68:69], exec
	;; [unrolled: 1-line block ×4, first 2 shown]
	s_orn2_b64 s[6:7], s[8:9], exec
.LBB231_283:
	s_or_b64 exec, exec, s[74:75]
	s_mov_b64 s[10:11], 0
	s_mov_b64 s[8:9], 0
                                        ; implicit-def: $vgpr1
                                        ; implicit-def: $vgpr4_vgpr5
                                        ; implicit-def: $vgpr38
                                        ; implicit-def: $vgpr0
                                        ; implicit-def: $vgpr2
                                        ; implicit-def: $vgpr3
	s_and_saveexec_b64 s[74:75], s[6:7]
	s_cbranch_execz .LBB231_292
; %bb.284:
	v_cmp_gt_i32_e32 vcc, s60, v42
	s_mov_b64 s[6:7], -1
	s_mov_b64 s[76:77], s[72:73]
	s_mov_b64 s[78:79], s[70:71]
	;; [unrolled: 1-line block ×4, first 2 shown]
	s_and_saveexec_b64 s[84:85], vcc
	s_cbranch_execz .LBB231_1053
; %bb.285:
	s_andn2_b64 vcc, exec, s[56:57]
	s_cbranch_vccnz .LBB231_295
; %bb.286:
	s_andn2_b64 vcc, exec, s[64:65]
	s_waitcnt vmcnt(0)
	v_mov_b32_e32 v0, 0
	v_mov_b32_e32 v38, 0
	;; [unrolled: 1-line block ×4, first 2 shown]
	s_cbranch_vccnz .LBB231_291
; %bb.287:
	s_add_i32 s6, s97, 1
	s_and_b32 s22, s6, 30
	s_add_u32 s6, s34, 0xa4
	s_addc_u32 s7, s35, 0
	v_mov_b32_e32 v4, 0
	s_mov_b64 s[20:21], s[34:35]
	v_mov_b32_e32 v1, v42
	v_mov_b32_e32 v2, 0
	;; [unrolled: 1-line block ×4, first 2 shown]
.LBB231_288:                            ; =>This Inner Loop Header: Depth=1
	s_load_dwordx4 s[16:19], s[20:21], 0x4
	s_load_dwordx2 s[26:27], s[20:21], 0x14
	s_mov_b64 s[24:25], s[6:7]
	s_load_dwordx8 s[8:15], s[24:25], 0x20
	s_add_u32 s6, s24, 32
	s_waitcnt lgkmcnt(0)
	v_mul_hi_u32 v3, s17, v1
	v_add_u32_e32 v3, v1, v3
	v_lshrrev_b32_e32 v3, s18, v3
	v_mul_lo_u32 v5, v3, s16
	v_mul_hi_u32 v6, s26, v3
	v_sub_u32_e32 v1, v1, v5
	v_add_u32_e32 v5, v3, v6
	v_mul_lo_u32 v6, v1, s8
	v_mul_lo_u32 v7, v1, s9
	;; [unrolled: 1-line block ×4, first 2 shown]
	v_lshrrev_b32_e32 v1, s27, v5
	s_addc_u32 s7, s25, 0
	v_mul_lo_u32 v5, v1, s19
	s_add_u32 s20, s20, 24
	v_sub_u32_e32 v3, v3, v5
	s_addc_u32 s21, s21, 0
	s_add_i32 s22, s22, -2
	v_mul_lo_u32 v5, v3, s12
	v_mul_lo_u32 v10, v3, s13
	v_mul_lo_u32 v11, v3, s14
	v_mul_lo_u32 v3, v3, s15
	s_cmp_eq_u32 s22, 0
	v_add3_u32 v0, v7, v0, v10
	v_add3_u32 v38, v6, v38, v5
	;; [unrolled: 1-line block ×4, first 2 shown]
	s_cbranch_scc0 .LBB231_288
; %bb.289:
	s_bitcmp1_b32 s97, 0
	s_cselect_b64 s[8:9], -1, 0
	s_and_b64 vcc, exec, s[8:9]
	s_cbranch_vccnz .LBB231_291
; %bb.290:
	s_load_dwordx2 s[12:13], s[20:21], 0x4
	s_load_dword s14, s[20:21], 0xc
	s_load_dwordx4 s[8:11], s[6:7], 0x20
	s_waitcnt lgkmcnt(0)
	v_mul_hi_u32 v3, s13, v1
	v_add_u32_e32 v3, v1, v3
	v_lshrrev_b32_e32 v3, s14, v3
	v_mul_lo_u32 v3, v3, s12
	v_sub_u32_e32 v3, v1, v3
	v_mad_u64_u32 v[38:39], s[6:7], v3, s8, v[38:39]
	v_mad_u64_u32 v[0:1], s[6:7], v3, s9, v[0:1]
	;; [unrolled: 1-line block ×4, first 2 shown]
.LBB231_291:
	s_cbranch_execz .LBB231_296
	s_branch .LBB231_298
.LBB231_292:
	s_or_b64 exec, exec, s[74:75]
	s_waitcnt lgkmcnt(0)
	s_mov_b64 s[38:39], 0
	s_and_saveexec_b64 s[6:7], s[72:73]
	s_cbranch_execnz .LBB231_1676
.LBB231_293:
	s_or_b64 exec, exec, s[6:7]
	s_and_saveexec_b64 s[6:7], s[78:79]
	s_xor_b64 s[6:7], exec, s[6:7]
	s_cbranch_execz .LBB231_1677
.LBB231_294:
	global_load_ubyte v3, v[4:5], off
	s_or_b64 s[8:9], s[8:9], exec
	s_waitcnt vmcnt(0)
	v_cmp_ne_u16_e32 vcc, 0, v3
	v_cndmask_b32_e64 v3, 0, 1.0, vcc
	s_or_b64 exec, exec, s[6:7]
	s_and_saveexec_b64 s[6:7], s[10:11]
	s_cbranch_execz .LBB231_1723
	s_branch .LBB231_1678
.LBB231_295:
                                        ; implicit-def: $vgpr0
                                        ; implicit-def: $vgpr38
                                        ; implicit-def: $vgpr2
                                        ; implicit-def: $vgpr4
	s_andn2_b64 vcc, exec, s[6:7]
	s_cbranch_vccnz .LBB231_298
.LBB231_296:
	s_waitcnt vmcnt(0) lgkmcnt(0)
	v_mul_hi_u32 v0, s53, v42
	v_add_u32_e32 v0, v42, v0
	v_lshrrev_b32_e32 v1, s54, v0
	v_mul_lo_u32 v0, v1, s52
	v_sub_u32_e32 v3, v42, v0
	v_mul_lo_u32 v0, v3, s45
	v_mul_lo_u32 v38, v3, s44
	;; [unrolled: 1-line block ×3, first 2 shown]
	s_andn2_b64 vcc, exec, s[62:63]
	v_mul_lo_u32 v4, v3, s46
	s_cbranch_vccnz .LBB231_298
; %bb.297:
	v_mul_hi_u32 v3, s94, v1
	v_add_u32_e32 v3, v1, v3
	v_lshrrev_b32_e32 v3, s95, v3
	v_mul_lo_u32 v3, v3, s55
	v_sub_u32_e32 v3, v1, v3
	v_mad_u64_u32 v[38:39], s[6:7], v3, s48, v[38:39]
	v_mad_u64_u32 v[0:1], s[6:7], v3, s49, v[0:1]
	;; [unrolled: 1-line block ×4, first 2 shown]
.LBB231_298:
	s_waitcnt vmcnt(0) lgkmcnt(0)
	v_mov_b32_e32 v1, s39
	v_add_co_u32_e32 v6, vcc, s38, v0
	v_mov_b32_e32 v0, 11
	v_addc_co_u32_e32 v7, vcc, 0, v1, vcc
	v_cmp_lt_i16_sdwa s[6:7], v43, v0 src0_sel:BYTE_0 src1_sel:DWORD
	s_and_b64 vcc, exec, s[6:7]
	s_cbranch_vccnz .LBB231_305
; %bb.299:
	v_mov_b32_e32 v0, 25
	v_cmp_gt_i16_sdwa s[6:7], v43, v0 src0_sel:BYTE_0 src1_sel:DWORD
	s_and_b64 vcc, exec, s[6:7]
	s_cbranch_vccz .LBB231_314
; %bb.300:
	v_mov_b32_e32 v0, 28
	v_cmp_gt_i16_sdwa s[6:7], v43, v0 src0_sel:BYTE_0 src1_sel:DWORD
	s_and_b64 vcc, exec, s[6:7]
	s_cbranch_vccz .LBB231_316
	;; [unrolled: 5-line block ×4, first 2 shown]
; %bb.303:
	v_mov_b32_e32 v0, 46
	v_cmp_eq_u16_sdwa s[6:7], v43, v0 src0_sel:BYTE_0 src1_sel:DWORD
	s_mov_b64 s[8:9], 0
	s_and_b64 vcc, exec, s[6:7]
	s_cbranch_vccz .LBB231_322
; %bb.304:
	global_load_dword v0, v[6:7], off
	s_mov_b64 s[6:7], -1
	s_mov_b64 s[76:77], 0
	s_waitcnt vmcnt(0)
	v_lshlrev_b32_e32 v0, 16, v0
	s_branch .LBB231_323
.LBB231_305:
	s_mov_b64 s[6:7], 0
                                        ; implicit-def: $vgpr0
	s_mov_b64 s[76:77], s[72:73]
	s_cbranch_execnz .LBB231_389
.LBB231_306:
	s_andn2_b64 vcc, exec, s[6:7]
	s_cbranch_vccnz .LBB231_437
.LBB231_307:
	v_mov_b32_e32 v1, s41
	v_add_co_u32_e32 v4, vcc, s40, v4
	s_movk_i32 s6, 0xff
	v_addc_co_u32_e32 v5, vcc, 0, v1, vcc
	v_and_b32_sdwa v3, v40, s6 dst_sel:DWORD dst_unused:UNUSED_PAD src0_sel:WORD_1 src1_sel:DWORD
	v_cmp_gt_i16_e32 vcc, 11, v3
	s_cbranch_vccnz .LBB231_315
; %bb.308:
	v_cmp_lt_i16_e32 vcc, 25, v3
	s_cbranch_vccz .LBB231_317
; %bb.309:
	v_cmp_lt_i16_e32 vcc, 28, v3
	s_cbranch_vccz .LBB231_319
	;; [unrolled: 3-line block ×4, first 2 shown]
; %bb.312:
	v_cmp_eq_u16_e32 vcc, 46, v3
	s_mov_b64 s[8:9], 0
	s_cbranch_vccz .LBB231_444
; %bb.313:
	global_load_dword v1, v[4:5], off
	s_mov_b64 s[6:7], -1
	s_mov_b64 s[78:79], 0
	s_waitcnt vmcnt(0)
	v_lshlrev_b32_e32 v1, 16, v1
	s_branch .LBB231_445
.LBB231_314:
	s_mov_b64 s[8:9], -1
	s_mov_b64 s[6:7], 0
	s_mov_b64 s[76:77], s[72:73]
                                        ; implicit-def: $vgpr0
	s_branch .LBB231_353
.LBB231_315:
	s_mov_b64 s[8:9], -1
	s_mov_b64 s[6:7], 0
                                        ; implicit-def: $vgpr1
	s_mov_b64 s[78:79], s[70:71]
	s_branch .LBB231_634
.LBB231_316:
	s_mov_b64 s[8:9], -1
	s_mov_b64 s[6:7], 0
	s_mov_b64 s[76:77], s[72:73]
                                        ; implicit-def: $vgpr0
	s_branch .LBB231_334
.LBB231_317:
	s_mov_b64 s[8:9], -1
	s_mov_b64 s[6:7], 0
	s_mov_b64 s[78:79], s[70:71]
                                        ; implicit-def: $vgpr1
	s_branch .LBB231_598
.LBB231_318:
	s_mov_b64 s[8:9], -1
	s_mov_b64 s[6:7], 0
	s_mov_b64 s[76:77], s[72:73]
                                        ; implicit-def: $vgpr0
	s_branch .LBB231_329
.LBB231_319:
	s_mov_b64 s[8:9], -1
	s_mov_b64 s[6:7], 0
	s_mov_b64 s[78:79], s[70:71]
                                        ; implicit-def: $vgpr1
	s_branch .LBB231_579
.LBB231_320:
	s_mov_b64 s[8:9], -1
	s_mov_b64 s[6:7], 0
	s_mov_b64 s[76:77], s[72:73]
                                        ; implicit-def: $vgpr0
	s_branch .LBB231_323
.LBB231_321:
	s_mov_b64 s[8:9], -1
	s_mov_b64 s[6:7], 0
	s_mov_b64 s[78:79], s[70:71]
                                        ; implicit-def: $vgpr1
	s_branch .LBB231_574
.LBB231_322:
	s_mov_b64 s[76:77], -1
                                        ; implicit-def: $vgpr0
	s_mov_b64 s[6:7], 0
.LBB231_323:
	s_and_b64 vcc, exec, s[8:9]
	s_cbranch_vccz .LBB231_328
; %bb.324:
	v_mov_b32_e32 v0, 44
	v_cmp_eq_u16_sdwa s[8:9], v43, v0 src0_sel:BYTE_0 src1_sel:DWORD
	s_and_b64 vcc, exec, s[8:9]
	s_cbranch_vccz .LBB231_327
; %bb.325:
	global_load_ubyte v0, v[6:7], off
	s_movk_i32 s8, 0xff
	v_mov_b32_e32 v1, 0x7f800001
	v_mov_b32_e32 v3, 0x400000
	s_mov_b64 s[6:7], -1
	s_mov_b64 s[76:77], 0
	s_waitcnt vmcnt(0)
	v_lshlrev_b32_e32 v5, 23, v0
	v_cmp_ne_u32_e32 vcc, s8, v0
	v_cndmask_b32_e32 v1, v1, v5, vcc
	v_cmp_ne_u32_e32 vcc, 0, v0
	v_cndmask_b32_e32 v0, v3, v1, vcc
	s_branch .LBB231_328
.LBB231_326:
	s_mov_b64 s[8:9], -1
	s_mov_b64 s[6:7], 0
	s_mov_b64 s[78:79], s[70:71]
                                        ; implicit-def: $vgpr1
	s_branch .LBB231_445
.LBB231_327:
	s_mov_b64 s[76:77], -1
                                        ; implicit-def: $vgpr0
.LBB231_328:
	s_mov_b64 s[8:9], 0
.LBB231_329:
	s_and_b64 vcc, exec, s[8:9]
	s_cbranch_vccz .LBB231_333
; %bb.330:
	v_mov_b32_e32 v0, 29
	v_cmp_eq_u16_sdwa s[8:9], v43, v0 src0_sel:BYTE_0 src1_sel:DWORD
	s_and_b64 vcc, exec, s[8:9]
	s_cbranch_vccz .LBB231_332
; %bb.331:
	global_load_dwordx2 v[0:1], v[6:7], off
	s_mov_b64 s[6:7], -1
	s_mov_b64 s[76:77], 0
	s_mov_b64 s[8:9], 0
	s_waitcnt vmcnt(0)
	v_ffbh_u32_e32 v3, v1
	v_min_u32_e32 v3, 32, v3
	v_lshlrev_b64 v[0:1], v3, v[0:1]
	v_min_u32_e32 v0, 1, v0
	v_or_b32_e32 v0, v1, v0
	v_cvt_f32_u32_e32 v0, v0
	v_sub_u32_e32 v1, 32, v3
	v_ldexp_f32 v0, v0, v1
	s_branch .LBB231_334
.LBB231_332:
	s_mov_b64 s[76:77], -1
                                        ; implicit-def: $vgpr0
.LBB231_333:
	s_mov_b64 s[8:9], 0
.LBB231_334:
	s_and_b64 vcc, exec, s[8:9]
	s_cbranch_vccz .LBB231_352
; %bb.335:
	v_mov_b32_e32 v0, 27
	v_cmp_lt_i16_sdwa s[6:7], v43, v0 src0_sel:BYTE_0 src1_sel:DWORD
	s_and_b64 vcc, exec, s[6:7]
	s_cbranch_vccnz .LBB231_338
; %bb.336:
	v_cmp_gt_i16_sdwa s[6:7], v43, v0 src0_sel:BYTE_0 src1_sel:DWORD
	s_and_b64 vcc, exec, s[6:7]
	s_cbranch_vccz .LBB231_339
; %bb.337:
	global_load_dword v0, v[6:7], off
	s_mov_b64 s[6:7], 0
	s_waitcnt vmcnt(0)
	v_cvt_f32_u32_e32 v0, v0
	s_branch .LBB231_340
.LBB231_338:
	s_mov_b64 s[6:7], -1
                                        ; implicit-def: $vgpr0
	s_branch .LBB231_343
.LBB231_339:
	s_mov_b64 s[6:7], -1
                                        ; implicit-def: $vgpr0
.LBB231_340:
	s_andn2_b64 vcc, exec, s[6:7]
	s_cbranch_vccnz .LBB231_342
; %bb.341:
	global_load_ushort v0, v[6:7], off
	s_waitcnt vmcnt(0)
	v_cvt_f32_u32_e32 v0, v0
.LBB231_342:
	s_mov_b64 s[6:7], 0
.LBB231_343:
	s_andn2_b64 vcc, exec, s[6:7]
	s_cbranch_vccnz .LBB231_351
; %bb.344:
	global_load_ubyte v1, v[6:7], off
	s_movk_i32 s6, 0x7f
                                        ; implicit-def: $sgpr12
	s_waitcnt vmcnt(0)
	v_cmp_lt_i16_e32 vcc, s6, v1
	s_mov_b64 s[6:7], 0
	s_and_saveexec_b64 s[8:9], vcc
	s_xor_b64 s[8:9], exec, s[8:9]
	s_cbranch_execz .LBB231_365
; %bb.345:
	s_movk_i32 s6, 0x80
	v_cmp_eq_u16_e32 vcc, s6, v1
	s_mov_b64 s[6:7], -1
                                        ; implicit-def: $sgpr12
	s_and_saveexec_b64 s[10:11], vcc
; %bb.346:
	s_mov_b32 s12, 0x7f800001
	s_xor_b64 s[6:7], exec, -1
; %bb.347:
	s_or_b64 exec, exec, s[10:11]
	s_and_b64 s[6:7], s[6:7], exec
	s_or_saveexec_b64 s[8:9], s[8:9]
	v_mov_b32_e32 v0, s12
	s_xor_b64 exec, exec, s[8:9]
	s_cbranch_execnz .LBB231_366
.LBB231_348:
	s_or_b64 exec, exec, s[8:9]
	s_and_saveexec_b64 s[8:9], s[6:7]
	s_cbranch_execz .LBB231_350
.LBB231_349:
	v_lshlrev_b32_e32 v0, 24, v1
	v_and_b32_e32 v1, 0xffff, v1
	v_and_b32_e32 v3, 7, v1
	v_ffbh_u32_e32 v8, v3
	v_min_u32_e32 v8, 32, v8
	v_subrev_u32_e32 v9, 28, v8
	v_bfe_u32 v5, v1, 3, 4
	v_lshlrev_b32_e32 v1, v9, v1
	v_sub_u32_e32 v8, 29, v8
	v_and_b32_e32 v1, 7, v1
	v_cmp_eq_u32_e32 vcc, 0, v5
	v_cndmask_b32_e32 v5, v5, v8, vcc
	v_cndmask_b32_e32 v1, v3, v1, vcc
	v_mov_b32_e32 v3, 0x3b800000
	v_lshlrev_b32_e32 v1, 20, v1
	v_and_b32_e32 v0, 0x80000000, v0
	v_lshl_add_u32 v3, v5, 23, v3
	v_or3_b32 v0, v0, v3, v1
.LBB231_350:
	s_or_b64 exec, exec, s[8:9]
.LBB231_351:
	s_mov_b64 s[6:7], -1
.LBB231_352:
	s_mov_b64 s[8:9], 0
.LBB231_353:
	s_and_b64 vcc, exec, s[8:9]
	s_cbranch_vccz .LBB231_388
; %bb.354:
	v_mov_b32_e32 v0, 22
	v_cmp_gt_i16_sdwa s[8:9], v43, v0 src0_sel:BYTE_0 src1_sel:DWORD
	s_and_b64 vcc, exec, s[8:9]
	s_cbranch_vccz .LBB231_364
; %bb.355:
	v_mov_b32_e32 v0, 24
	v_cmp_lt_i16_sdwa s[6:7], v43, v0 src0_sel:BYTE_0 src1_sel:DWORD
	s_and_b64 vcc, exec, s[6:7]
	s_cbranch_vccnz .LBB231_367
; %bb.356:
	v_cmp_gt_i16_sdwa s[6:7], v43, v0 src0_sel:BYTE_0 src1_sel:DWORD
	s_and_b64 vcc, exec, s[6:7]
	s_cbranch_vccz .LBB231_368
; %bb.357:
	global_load_ubyte v1, v[6:7], off
	s_movk_i32 s6, 0x7f
                                        ; implicit-def: $sgpr12
	s_waitcnt vmcnt(0)
	v_cmp_lt_i16_e32 vcc, s6, v1
	s_mov_b64 s[6:7], 0
	s_and_saveexec_b64 s[8:9], vcc
	s_xor_b64 s[8:9], exec, s[8:9]
	s_cbranch_execz .LBB231_380
; %bb.358:
	s_movk_i32 s6, 0x80
	v_cmp_eq_u16_e32 vcc, s6, v1
	s_mov_b64 s[6:7], -1
                                        ; implicit-def: $sgpr12
	s_and_saveexec_b64 s[10:11], vcc
; %bb.359:
	s_mov_b32 s12, 0x7f800001
	s_xor_b64 s[6:7], exec, -1
; %bb.360:
	s_or_b64 exec, exec, s[10:11]
	s_and_b64 s[6:7], s[6:7], exec
	s_or_saveexec_b64 s[8:9], s[8:9]
	v_mov_b32_e32 v0, s12
	s_xor_b64 exec, exec, s[8:9]
	s_cbranch_execnz .LBB231_381
.LBB231_361:
	s_or_b64 exec, exec, s[8:9]
	s_and_saveexec_b64 s[8:9], s[6:7]
	s_cbranch_execz .LBB231_363
.LBB231_362:
	v_lshlrev_b32_e32 v0, 24, v1
	v_and_b32_e32 v1, 0xffff, v1
	v_and_b32_e32 v3, 3, v1
	v_ffbh_u32_e32 v8, v3
	v_min_u32_e32 v8, 32, v8
	v_subrev_u32_e32 v9, 29, v8
	v_bfe_u32 v5, v1, 2, 5
	v_lshlrev_b32_e32 v1, v9, v1
	v_sub_u32_e32 v8, 30, v8
	v_and_b32_e32 v1, 3, v1
	v_cmp_eq_u32_e32 vcc, 0, v5
	v_cndmask_b32_e32 v5, v5, v8, vcc
	v_cndmask_b32_e32 v1, v3, v1, vcc
	v_mov_b32_e32 v3, 0x37800000
	v_lshlrev_b32_e32 v1, 21, v1
	v_and_b32_e32 v0, 0x80000000, v0
	v_lshl_add_u32 v3, v5, 23, v3
	v_or3_b32 v0, v0, v3, v1
.LBB231_363:
	s_or_b64 exec, exec, s[8:9]
	s_mov_b64 s[6:7], 0
	s_branch .LBB231_369
.LBB231_364:
	s_mov_b64 s[8:9], -1
                                        ; implicit-def: $vgpr0
	s_branch .LBB231_375
.LBB231_365:
	s_or_saveexec_b64 s[8:9], s[8:9]
	v_mov_b32_e32 v0, s12
	s_xor_b64 exec, exec, s[8:9]
	s_cbranch_execz .LBB231_348
.LBB231_366:
	v_cmp_ne_u16_e32 vcc, 0, v1
	s_andn2_b64 s[6:7], s[6:7], exec
	s_and_b64 s[10:11], vcc, exec
	v_mov_b32_e32 v0, 0
	s_or_b64 s[6:7], s[6:7], s[10:11]
	s_or_b64 exec, exec, s[8:9]
	s_and_saveexec_b64 s[8:9], s[6:7]
	s_cbranch_execnz .LBB231_349
	s_branch .LBB231_350
.LBB231_367:
	s_mov_b64 s[6:7], -1
                                        ; implicit-def: $vgpr0
	s_branch .LBB231_372
.LBB231_368:
	s_mov_b64 s[6:7], -1
                                        ; implicit-def: $vgpr0
.LBB231_369:
	s_and_b64 vcc, exec, s[6:7]
	s_cbranch_vccz .LBB231_371
; %bb.370:
	global_load_ubyte v0, v[6:7], off
	s_mov_b32 s6, 0x7f800000
	s_waitcnt vmcnt(0)
	v_lshlrev_b32_e32 v0, 24, v0
	v_and_b32_e32 v1, 0x7f000000, v0
	v_ffbh_u32_e32 v3, v1
	v_min_u32_e32 v3, 32, v3
	v_sub_u32_e64 v3, v3, 4 clamp
	v_lshlrev_b32_e32 v8, v3, v1
	v_lshlrev_b32_e32 v3, 23, v3
	v_lshrrev_b32_e32 v8, 4, v8
	v_add_u32_e32 v5, 0x1000000, v1
	v_sub_u32_e32 v3, v8, v3
	v_ashrrev_i32_e32 v5, 8, v5
	v_add_u32_e32 v3, 0x3c000000, v3
	v_and_or_b32 v3, v5, s6, v3
	v_cmp_ne_u32_e32 vcc, 0, v1
	v_cndmask_b32_e32 v1, 0, v3, vcc
	s_brev_b32 s6, 1
	v_and_or_b32 v0, v0, s6, v1
.LBB231_371:
	s_mov_b64 s[6:7], 0
.LBB231_372:
	s_andn2_b64 vcc, exec, s[6:7]
	s_cbranch_vccnz .LBB231_374
; %bb.373:
	global_load_ubyte v0, v[6:7], off
	s_movk_i32 s6, 0x7f00
	s_brev_b32 s7, 16
	s_waitcnt vmcnt(0)
	v_lshlrev_b16_e32 v1, 8, v0
	v_lshlrev_b32_e32 v0, 25, v0
	v_lshrrev_b32_e32 v3, 4, v0
	v_and_or_b32 v5, v1, s6, 0.5
	v_or_b32_e32 v3, 0x70000000, v3
	v_add_f32_e32 v5, -0.5, v5
	v_mul_f32_e32 v3, 0x7800000, v3
	v_cmp_gt_u32_e32 vcc, s7, v0
	v_bfe_i32 v1, v1, 0, 16
	v_cndmask_b32_e32 v0, v3, v5, vcc
	s_brev_b32 s6, 1
	v_and_or_b32 v0, v1, s6, v0
.LBB231_374:
	s_mov_b64 s[8:9], 0
	s_mov_b64 s[6:7], -1
.LBB231_375:
	s_andn2_b64 vcc, exec, s[8:9]
	s_cbranch_vccnz .LBB231_388
; %bb.376:
	v_mov_b32_e32 v0, 14
	v_cmp_gt_i16_sdwa s[8:9], v43, v0 src0_sel:BYTE_0 src1_sel:DWORD
	s_and_b64 vcc, exec, s[8:9]
	s_cbranch_vccz .LBB231_379
; %bb.377:
	v_mov_b32_e32 v0, 15
	v_cmp_eq_u16_sdwa s[8:9], v43, v0 src0_sel:BYTE_0 src1_sel:DWORD
	s_and_b64 vcc, exec, s[8:9]
	s_cbranch_vccz .LBB231_382
; %bb.378:
	global_load_ushort v0, v[6:7], off
	s_mov_b64 s[6:7], -1
	s_mov_b64 s[76:77], 0
	s_waitcnt vmcnt(0)
	v_lshlrev_b32_e32 v0, 16, v0
	s_branch .LBB231_383
.LBB231_379:
	s_mov_b64 s[8:9], -1
                                        ; implicit-def: $vgpr0
	s_branch .LBB231_384
.LBB231_380:
	s_or_saveexec_b64 s[8:9], s[8:9]
	v_mov_b32_e32 v0, s12
	s_xor_b64 exec, exec, s[8:9]
	s_cbranch_execz .LBB231_361
.LBB231_381:
	v_cmp_ne_u16_e32 vcc, 0, v1
	s_andn2_b64 s[6:7], s[6:7], exec
	s_and_b64 s[10:11], vcc, exec
	v_mov_b32_e32 v0, 0
	s_or_b64 s[6:7], s[6:7], s[10:11]
	s_or_b64 exec, exec, s[8:9]
	s_and_saveexec_b64 s[8:9], s[6:7]
	s_cbranch_execnz .LBB231_362
	s_branch .LBB231_363
.LBB231_382:
	s_mov_b64 s[76:77], -1
                                        ; implicit-def: $vgpr0
.LBB231_383:
	s_mov_b64 s[8:9], 0
.LBB231_384:
	s_and_b64 vcc, exec, s[8:9]
	s_cbranch_vccz .LBB231_388
; %bb.385:
	v_mov_b32_e32 v0, 11
	v_cmp_eq_u16_sdwa s[8:9], v43, v0 src0_sel:BYTE_0 src1_sel:DWORD
	s_and_b64 vcc, exec, s[8:9]
	s_cbranch_vccz .LBB231_387
; %bb.386:
	global_load_ubyte v0, v[6:7], off
	s_mov_b64 s[6:7], -1
	s_mov_b64 s[76:77], 0
	s_waitcnt vmcnt(0)
	v_cmp_ne_u16_e32 vcc, 0, v0
	v_cndmask_b32_e64 v0, 0, 1.0, vcc
	s_branch .LBB231_388
.LBB231_387:
	s_mov_b64 s[76:77], -1
                                        ; implicit-def: $vgpr0
.LBB231_388:
	s_branch .LBB231_306
.LBB231_389:
	v_mov_b32_e32 v0, 5
	v_cmp_lt_i16_sdwa s[6:7], v43, v0 src0_sel:BYTE_0 src1_sel:DWORD
	s_and_b64 vcc, exec, s[6:7]
	s_cbranch_vccnz .LBB231_394
; %bb.390:
	v_mov_b32_e32 v0, 8
	v_cmp_lt_i16_sdwa s[6:7], v43, v0 src0_sel:BYTE_0 src1_sel:DWORD
	s_and_b64 vcc, exec, s[6:7]
	s_cbranch_vccnz .LBB231_395
; %bb.391:
	;; [unrolled: 5-line block ×3, first 2 shown]
	v_cmp_gt_i16_sdwa s[6:7], v43, v0 src0_sel:BYTE_0 src1_sel:DWORD
	s_and_b64 vcc, exec, s[6:7]
	s_cbranch_vccz .LBB231_397
; %bb.393:
	global_load_dwordx2 v[0:1], v[6:7], off
	s_mov_b64 s[6:7], 0
	s_waitcnt vmcnt(0)
	v_cvt_f32_f64_e32 v0, v[0:1]
	s_branch .LBB231_398
.LBB231_394:
	s_mov_b64 s[6:7], -1
                                        ; implicit-def: $vgpr0
	s_branch .LBB231_416
.LBB231_395:
	s_mov_b64 s[6:7], -1
                                        ; implicit-def: $vgpr0
	s_branch .LBB231_404
.LBB231_396:
	s_mov_b64 s[6:7], -1
                                        ; implicit-def: $vgpr0
	s_branch .LBB231_401
.LBB231_397:
	s_mov_b64 s[6:7], -1
                                        ; implicit-def: $vgpr0
.LBB231_398:
	s_andn2_b64 vcc, exec, s[6:7]
	s_cbranch_vccnz .LBB231_400
; %bb.399:
	global_load_dword v0, v[6:7], off
.LBB231_400:
	s_mov_b64 s[6:7], 0
.LBB231_401:
	s_andn2_b64 vcc, exec, s[6:7]
	s_cbranch_vccnz .LBB231_403
; %bb.402:
	global_load_dword v0, v[6:7], off
	s_waitcnt vmcnt(0)
	v_cvt_f32_f16_e32 v0, v0
.LBB231_403:
	s_mov_b64 s[6:7], 0
.LBB231_404:
	s_andn2_b64 vcc, exec, s[6:7]
	s_cbranch_vccnz .LBB231_415
; %bb.405:
	s_waitcnt vmcnt(0)
	v_mov_b32_e32 v0, 6
	v_cmp_lt_i16_sdwa s[6:7], v43, v0 src0_sel:BYTE_0 src1_sel:DWORD
	s_and_b64 vcc, exec, s[6:7]
	s_cbranch_vccnz .LBB231_408
; %bb.406:
	v_cmp_gt_i16_sdwa s[6:7], v43, v0 src0_sel:BYTE_0 src1_sel:DWORD
	s_and_b64 vcc, exec, s[6:7]
	s_cbranch_vccz .LBB231_409
; %bb.407:
	global_load_dwordx2 v[0:1], v[6:7], off
	s_mov_b64 s[6:7], 0
	s_waitcnt vmcnt(0)
	v_cvt_f32_f64_e32 v0, v[0:1]
	s_branch .LBB231_410
.LBB231_408:
	s_mov_b64 s[6:7], -1
                                        ; implicit-def: $vgpr0
	s_branch .LBB231_413
.LBB231_409:
	s_mov_b64 s[6:7], -1
                                        ; implicit-def: $vgpr0
.LBB231_410:
	s_andn2_b64 vcc, exec, s[6:7]
	s_cbranch_vccnz .LBB231_412
; %bb.411:
	global_load_dword v0, v[6:7], off
.LBB231_412:
	s_mov_b64 s[6:7], 0
.LBB231_413:
	s_andn2_b64 vcc, exec, s[6:7]
	s_cbranch_vccnz .LBB231_415
; %bb.414:
	global_load_ushort v0, v[6:7], off
	s_waitcnt vmcnt(0)
	v_cvt_f32_f16_e32 v0, v0
.LBB231_415:
	s_mov_b64 s[6:7], 0
.LBB231_416:
	s_andn2_b64 vcc, exec, s[6:7]
	s_cbranch_vccnz .LBB231_436
; %bb.417:
	s_waitcnt vmcnt(0)
	v_mov_b32_e32 v0, 2
	v_cmp_lt_i16_sdwa s[6:7], v43, v0 src0_sel:BYTE_0 src1_sel:DWORD
	s_and_b64 vcc, exec, s[6:7]
	s_cbranch_vccnz .LBB231_421
; %bb.418:
	v_mov_b32_e32 v0, 3
	v_cmp_lt_i16_sdwa s[6:7], v43, v0 src0_sel:BYTE_0 src1_sel:DWORD
	s_and_b64 vcc, exec, s[6:7]
	s_cbranch_vccnz .LBB231_422
; %bb.419:
	v_cmp_gt_i16_sdwa s[6:7], v43, v0 src0_sel:BYTE_0 src1_sel:DWORD
	s_and_b64 vcc, exec, s[6:7]
	s_cbranch_vccz .LBB231_423
; %bb.420:
	global_load_dwordx2 v[0:1], v[6:7], off
	s_mov_b64 s[6:7], 0
	s_waitcnt vmcnt(0)
	v_xor_b32_e32 v5, v0, v1
	v_ffbh_i32_e32 v3, v1
	v_ashrrev_i32_e32 v5, 31, v5
	v_add_u32_e32 v3, -1, v3
	v_add_u32_e32 v5, 32, v5
	v_min_u32_e32 v3, v3, v5
	v_lshlrev_b64 v[0:1], v3, v[0:1]
	v_min_u32_e32 v0, 1, v0
	v_or_b32_e32 v0, v1, v0
	v_cvt_f32_i32_e32 v0, v0
	v_sub_u32_e32 v1, 32, v3
	v_ldexp_f32 v0, v0, v1
	s_branch .LBB231_424
.LBB231_421:
	s_mov_b64 s[6:7], -1
                                        ; implicit-def: $vgpr0
	s_branch .LBB231_430
.LBB231_422:
	s_mov_b64 s[6:7], -1
                                        ; implicit-def: $vgpr0
	s_branch .LBB231_427
.LBB231_423:
	s_mov_b64 s[6:7], -1
                                        ; implicit-def: $vgpr0
.LBB231_424:
	s_andn2_b64 vcc, exec, s[6:7]
	s_cbranch_vccnz .LBB231_426
; %bb.425:
	global_load_dword v0, v[6:7], off
	s_waitcnt vmcnt(0)
	v_cvt_f32_i32_e32 v0, v0
.LBB231_426:
	s_mov_b64 s[6:7], 0
.LBB231_427:
	s_andn2_b64 vcc, exec, s[6:7]
	s_cbranch_vccnz .LBB231_429
; %bb.428:
	global_load_sshort v0, v[6:7], off
	s_waitcnt vmcnt(0)
	v_cvt_f32_i32_e32 v0, v0
.LBB231_429:
	s_mov_b64 s[6:7], 0
.LBB231_430:
	s_andn2_b64 vcc, exec, s[6:7]
	s_cbranch_vccnz .LBB231_436
; %bb.431:
	v_mov_b32_e32 v0, 0
	v_cmp_gt_i16_sdwa s[6:7], v43, v0 src0_sel:BYTE_0 src1_sel:DWORD
	s_and_b64 vcc, exec, s[6:7]
	s_cbranch_vccz .LBB231_433
; %bb.432:
	global_load_sbyte v0, v[6:7], off
	s_mov_b64 s[6:7], 0
	s_waitcnt vmcnt(0)
	v_cvt_f32_i32_e32 v0, v0
	s_branch .LBB231_434
.LBB231_433:
	s_mov_b64 s[6:7], -1
                                        ; implicit-def: $vgpr0
.LBB231_434:
	s_andn2_b64 vcc, exec, s[6:7]
	s_cbranch_vccnz .LBB231_436
; %bb.435:
	global_load_ubyte v0, v[6:7], off
	s_waitcnt vmcnt(0)
	v_cvt_f32_ubyte0_e32 v0, v0
.LBB231_436:
	s_branch .LBB231_307
.LBB231_437:
	s_mov_b64 s[8:9], 0
	s_mov_b64 s[6:7], s[66:67]
	;; [unrolled: 1-line block ×4, first 2 shown]
.LBB231_438:
                                        ; implicit-def: $vgpr42
	s_branch .LBB231_1052
.LBB231_439:
	s_mov_b64 s[68:69], -1
.LBB231_440:
	s_mov_b64 s[6:7], 0
                                        ; implicit-def: $vgpr2
.LBB231_441:
	s_and_b64 vcc, exec, s[8:9]
	s_cbranch_vccz .LBB231_449
; %bb.442:
	v_cmp_eq_u16_e32 vcc, 44, v41
	s_cbranch_vccz .LBB231_448
; %bb.443:
	global_load_ubyte v2, v[4:5], off
	s_movk_i32 s8, 0xff
	v_mov_b32_e32 v3, 0x7f800001
	v_mov_b32_e32 v6, 0x400000
	s_mov_b64 s[6:7], -1
	s_mov_b64 s[68:69], 0
	s_waitcnt vmcnt(0)
	v_lshlrev_b32_e32 v7, 23, v2
	v_cmp_ne_u32_e32 vcc, s8, v2
	v_cndmask_b32_e32 v3, v3, v7, vcc
	v_cmp_ne_u32_e32 vcc, 0, v2
	v_cndmask_b32_e32 v2, v6, v3, vcc
	s_branch .LBB231_449
.LBB231_444:
	s_mov_b64 s[78:79], -1
                                        ; implicit-def: $vgpr1
	s_mov_b64 s[6:7], 0
.LBB231_445:
	s_and_b64 vcc, exec, s[8:9]
	s_cbranch_vccz .LBB231_573
; %bb.446:
	v_cmp_eq_u16_e32 vcc, 44, v3
	s_cbranch_vccz .LBB231_572
; %bb.447:
	global_load_ubyte v1, v[4:5], off
	s_movk_i32 s8, 0xff
	v_mov_b32_e32 v6, 0x7f800001
	v_mov_b32_e32 v7, 0x400000
	s_mov_b64 s[6:7], -1
	s_mov_b64 s[78:79], 0
	s_waitcnt vmcnt(0)
	v_lshlrev_b32_e32 v8, 23, v1
	v_cmp_ne_u32_e32 vcc, s8, v1
	v_cndmask_b32_e32 v6, v6, v8, vcc
	v_cmp_ne_u32_e32 vcc, 0, v1
	v_cndmask_b32_e32 v1, v7, v6, vcc
	s_branch .LBB231_573
.LBB231_448:
	s_mov_b64 s[68:69], -1
                                        ; implicit-def: $vgpr2
.LBB231_449:
	s_mov_b64 s[8:9], 0
.LBB231_450:
	s_and_b64 vcc, exec, s[8:9]
	s_cbranch_vccz .LBB231_454
; %bb.451:
	v_cmp_eq_u16_e32 vcc, 29, v41
	s_cbranch_vccz .LBB231_453
; %bb.452:
	global_load_dwordx2 v[2:3], v[4:5], off
	s_mov_b64 s[6:7], -1
	s_mov_b64 s[68:69], 0
	s_mov_b64 s[8:9], 0
	s_waitcnt vmcnt(0)
	v_ffbh_u32_e32 v6, v3
	v_min_u32_e32 v6, 32, v6
	v_lshlrev_b64 v[2:3], v6, v[2:3]
	v_min_u32_e32 v2, 1, v2
	v_or_b32_e32 v2, v3, v2
	v_cvt_f32_u32_e32 v2, v2
	v_sub_u32_e32 v3, 32, v6
	v_ldexp_f32 v2, v2, v3
	s_branch .LBB231_455
.LBB231_453:
	s_mov_b64 s[68:69], -1
                                        ; implicit-def: $vgpr2
.LBB231_454:
	s_mov_b64 s[8:9], 0
.LBB231_455:
	s_and_b64 vcc, exec, s[8:9]
	s_cbranch_vccz .LBB231_473
; %bb.456:
	v_cmp_gt_i16_e32 vcc, 27, v41
	s_cbranch_vccnz .LBB231_459
; %bb.457:
	v_cmp_lt_i16_e32 vcc, 27, v41
	s_cbranch_vccz .LBB231_460
; %bb.458:
	global_load_dword v2, v[4:5], off
	s_mov_b64 s[6:7], 0
	s_waitcnt vmcnt(0)
	v_cvt_f32_u32_e32 v2, v2
	s_branch .LBB231_461
.LBB231_459:
	s_mov_b64 s[6:7], -1
                                        ; implicit-def: $vgpr2
	s_branch .LBB231_464
.LBB231_460:
	s_mov_b64 s[6:7], -1
                                        ; implicit-def: $vgpr2
.LBB231_461:
	s_andn2_b64 vcc, exec, s[6:7]
	s_cbranch_vccnz .LBB231_463
; %bb.462:
	global_load_ushort v2, v[4:5], off
	s_waitcnt vmcnt(0)
	v_cvt_f32_u32_e32 v2, v2
.LBB231_463:
	s_mov_b64 s[6:7], 0
.LBB231_464:
	s_andn2_b64 vcc, exec, s[6:7]
	s_cbranch_vccnz .LBB231_472
; %bb.465:
	global_load_ubyte v3, v[4:5], off
	s_movk_i32 s6, 0x7f
                                        ; implicit-def: $sgpr12
	s_waitcnt vmcnt(0)
	v_cmp_lt_i16_e32 vcc, s6, v3
	s_mov_b64 s[6:7], 0
	s_and_saveexec_b64 s[8:9], vcc
	s_xor_b64 s[8:9], exec, s[8:9]
	s_cbranch_execz .LBB231_486
; %bb.466:
	s_movk_i32 s6, 0x80
	v_cmp_eq_u16_e32 vcc, s6, v3
	s_mov_b64 s[6:7], -1
                                        ; implicit-def: $sgpr12
	s_and_saveexec_b64 s[10:11], vcc
; %bb.467:
	s_mov_b32 s12, 0x7f800001
	s_xor_b64 s[6:7], exec, -1
; %bb.468:
	s_or_b64 exec, exec, s[10:11]
	s_and_b64 s[6:7], s[6:7], exec
	s_or_saveexec_b64 s[8:9], s[8:9]
	v_mov_b32_e32 v2, s12
	s_xor_b64 exec, exec, s[8:9]
	s_cbranch_execnz .LBB231_487
.LBB231_469:
	s_or_b64 exec, exec, s[8:9]
	s_and_saveexec_b64 s[8:9], s[6:7]
	s_cbranch_execz .LBB231_471
.LBB231_470:
	v_lshlrev_b32_e32 v2, 24, v3
	v_and_b32_e32 v3, 0xffff, v3
	v_and_b32_e32 v6, 7, v3
	v_ffbh_u32_e32 v8, v6
	v_min_u32_e32 v8, 32, v8
	v_subrev_u32_e32 v9, 28, v8
	v_bfe_u32 v7, v3, 3, 4
	v_lshlrev_b32_e32 v3, v9, v3
	v_sub_u32_e32 v8, 29, v8
	v_and_b32_e32 v3, 7, v3
	v_cmp_eq_u32_e32 vcc, 0, v7
	v_cndmask_b32_e32 v7, v7, v8, vcc
	v_cndmask_b32_e32 v3, v6, v3, vcc
	v_mov_b32_e32 v6, 0x3b800000
	v_lshlrev_b32_e32 v3, 20, v3
	v_and_b32_e32 v2, 0x80000000, v2
	v_lshl_add_u32 v6, v7, 23, v6
	v_or3_b32 v2, v2, v6, v3
.LBB231_471:
	s_or_b64 exec, exec, s[8:9]
.LBB231_472:
	s_mov_b64 s[6:7], -1
.LBB231_473:
	s_mov_b64 s[8:9], 0
.LBB231_474:
	s_and_b64 vcc, exec, s[8:9]
	s_cbranch_vccz .LBB231_509
; %bb.475:
	v_cmp_lt_i16_e32 vcc, 22, v41
	s_cbranch_vccz .LBB231_485
; %bb.476:
	v_cmp_gt_i16_e32 vcc, 24, v41
	s_cbranch_vccnz .LBB231_488
; %bb.477:
	v_cmp_lt_i16_e32 vcc, 24, v41
	s_cbranch_vccz .LBB231_489
; %bb.478:
	global_load_ubyte v3, v[4:5], off
	s_movk_i32 s6, 0x7f
                                        ; implicit-def: $sgpr12
	s_waitcnt vmcnt(0)
	v_cmp_lt_i16_e32 vcc, s6, v3
	s_mov_b64 s[6:7], 0
	s_and_saveexec_b64 s[8:9], vcc
	s_xor_b64 s[8:9], exec, s[8:9]
	s_cbranch_execz .LBB231_501
; %bb.479:
	s_movk_i32 s6, 0x80
	v_cmp_eq_u16_e32 vcc, s6, v3
	s_mov_b64 s[6:7], -1
                                        ; implicit-def: $sgpr12
	s_and_saveexec_b64 s[10:11], vcc
; %bb.480:
	s_mov_b32 s12, 0x7f800001
	s_xor_b64 s[6:7], exec, -1
; %bb.481:
	s_or_b64 exec, exec, s[10:11]
	s_and_b64 s[6:7], s[6:7], exec
	s_or_saveexec_b64 s[8:9], s[8:9]
	v_mov_b32_e32 v2, s12
	s_xor_b64 exec, exec, s[8:9]
	s_cbranch_execnz .LBB231_502
.LBB231_482:
	s_or_b64 exec, exec, s[8:9]
	s_and_saveexec_b64 s[8:9], s[6:7]
	s_cbranch_execz .LBB231_484
.LBB231_483:
	v_lshlrev_b32_e32 v2, 24, v3
	v_and_b32_e32 v3, 0xffff, v3
	v_and_b32_e32 v6, 3, v3
	v_ffbh_u32_e32 v8, v6
	v_min_u32_e32 v8, 32, v8
	v_subrev_u32_e32 v9, 29, v8
	v_bfe_u32 v7, v3, 2, 5
	v_lshlrev_b32_e32 v3, v9, v3
	v_sub_u32_e32 v8, 30, v8
	v_and_b32_e32 v3, 3, v3
	v_cmp_eq_u32_e32 vcc, 0, v7
	v_cndmask_b32_e32 v7, v7, v8, vcc
	v_cndmask_b32_e32 v3, v6, v3, vcc
	v_mov_b32_e32 v6, 0x37800000
	v_lshlrev_b32_e32 v3, 21, v3
	v_and_b32_e32 v2, 0x80000000, v2
	v_lshl_add_u32 v6, v7, 23, v6
	v_or3_b32 v2, v2, v6, v3
.LBB231_484:
	s_or_b64 exec, exec, s[8:9]
	s_mov_b64 s[6:7], 0
	s_branch .LBB231_490
.LBB231_485:
	s_mov_b64 s[8:9], -1
                                        ; implicit-def: $vgpr2
	s_branch .LBB231_496
.LBB231_486:
	s_or_saveexec_b64 s[8:9], s[8:9]
	v_mov_b32_e32 v2, s12
	s_xor_b64 exec, exec, s[8:9]
	s_cbranch_execz .LBB231_469
.LBB231_487:
	v_cmp_ne_u16_e32 vcc, 0, v3
	s_andn2_b64 s[6:7], s[6:7], exec
	s_and_b64 s[10:11], vcc, exec
	v_mov_b32_e32 v2, 0
	s_or_b64 s[6:7], s[6:7], s[10:11]
	s_or_b64 exec, exec, s[8:9]
	s_and_saveexec_b64 s[8:9], s[6:7]
	s_cbranch_execnz .LBB231_470
	s_branch .LBB231_471
.LBB231_488:
	s_mov_b64 s[6:7], -1
                                        ; implicit-def: $vgpr2
	s_branch .LBB231_493
.LBB231_489:
	s_mov_b64 s[6:7], -1
                                        ; implicit-def: $vgpr2
.LBB231_490:
	s_and_b64 vcc, exec, s[6:7]
	s_cbranch_vccz .LBB231_492
; %bb.491:
	global_load_ubyte v2, v[4:5], off
	s_mov_b32 s6, 0x7f800000
	s_waitcnt vmcnt(0)
	v_lshlrev_b32_e32 v2, 24, v2
	v_and_b32_e32 v3, 0x7f000000, v2
	v_ffbh_u32_e32 v6, v3
	v_min_u32_e32 v6, 32, v6
	v_sub_u32_e64 v6, v6, 4 clamp
	v_lshlrev_b32_e32 v8, v6, v3
	v_lshlrev_b32_e32 v6, 23, v6
	v_lshrrev_b32_e32 v8, 4, v8
	v_add_u32_e32 v7, 0x1000000, v3
	v_sub_u32_e32 v6, v8, v6
	v_ashrrev_i32_e32 v7, 8, v7
	v_add_u32_e32 v6, 0x3c000000, v6
	v_and_or_b32 v6, v7, s6, v6
	v_cmp_ne_u32_e32 vcc, 0, v3
	v_cndmask_b32_e32 v3, 0, v6, vcc
	s_brev_b32 s6, 1
	v_and_or_b32 v2, v2, s6, v3
.LBB231_492:
	s_mov_b64 s[6:7], 0
.LBB231_493:
	s_andn2_b64 vcc, exec, s[6:7]
	s_cbranch_vccnz .LBB231_495
; %bb.494:
	global_load_ubyte v2, v[4:5], off
	s_movk_i32 s6, 0x7f00
	s_brev_b32 s7, 16
	s_waitcnt vmcnt(0)
	v_lshlrev_b16_e32 v3, 8, v2
	v_lshlrev_b32_e32 v2, 25, v2
	v_lshrrev_b32_e32 v6, 4, v2
	v_and_or_b32 v7, v3, s6, 0.5
	v_or_b32_e32 v6, 0x70000000, v6
	v_add_f32_e32 v7, -0.5, v7
	v_mul_f32_e32 v6, 0x7800000, v6
	v_cmp_gt_u32_e32 vcc, s7, v2
	v_bfe_i32 v3, v3, 0, 16
	v_cndmask_b32_e32 v2, v6, v7, vcc
	s_brev_b32 s6, 1
	v_and_or_b32 v2, v3, s6, v2
.LBB231_495:
	s_mov_b64 s[8:9], 0
	s_mov_b64 s[6:7], -1
.LBB231_496:
	s_andn2_b64 vcc, exec, s[8:9]
	s_cbranch_vccnz .LBB231_509
; %bb.497:
	v_cmp_lt_i16_e32 vcc, 14, v41
	s_cbranch_vccz .LBB231_500
; %bb.498:
	v_cmp_eq_u16_e32 vcc, 15, v41
	s_cbranch_vccz .LBB231_503
; %bb.499:
	global_load_ushort v2, v[4:5], off
	s_mov_b64 s[6:7], -1
	s_mov_b64 s[68:69], 0
	s_waitcnt vmcnt(0)
	v_lshlrev_b32_e32 v2, 16, v2
	s_branch .LBB231_504
.LBB231_500:
	s_mov_b64 s[8:9], -1
                                        ; implicit-def: $vgpr2
	s_branch .LBB231_505
.LBB231_501:
	s_or_saveexec_b64 s[8:9], s[8:9]
	v_mov_b32_e32 v2, s12
	s_xor_b64 exec, exec, s[8:9]
	s_cbranch_execz .LBB231_482
.LBB231_502:
	v_cmp_ne_u16_e32 vcc, 0, v3
	s_andn2_b64 s[6:7], s[6:7], exec
	s_and_b64 s[10:11], vcc, exec
	v_mov_b32_e32 v2, 0
	s_or_b64 s[6:7], s[6:7], s[10:11]
	s_or_b64 exec, exec, s[8:9]
	s_and_saveexec_b64 s[8:9], s[6:7]
	s_cbranch_execnz .LBB231_483
	s_branch .LBB231_484
.LBB231_503:
	s_mov_b64 s[68:69], -1
                                        ; implicit-def: $vgpr2
.LBB231_504:
	s_mov_b64 s[8:9], 0
.LBB231_505:
	s_and_b64 vcc, exec, s[8:9]
	s_cbranch_vccz .LBB231_509
; %bb.506:
	v_cmp_eq_u16_e32 vcc, 11, v41
	s_cbranch_vccz .LBB231_508
; %bb.507:
	global_load_ubyte v2, v[4:5], off
	s_mov_b64 s[6:7], -1
	s_mov_b64 s[68:69], 0
	s_waitcnt vmcnt(0)
	v_cmp_ne_u16_e32 vcc, 0, v2
	v_cndmask_b32_e64 v2, 0, 1.0, vcc
	s_branch .LBB231_509
.LBB231_508:
	s_mov_b64 s[68:69], -1
                                        ; implicit-def: $vgpr2
.LBB231_509:
	s_mov_b64 s[8:9], 0
.LBB231_510:
	s_and_b64 vcc, exec, s[8:9]
	s_cbranch_vccz .LBB231_559
; %bb.511:
	v_cmp_gt_i16_e32 vcc, 5, v41
	s_cbranch_vccnz .LBB231_516
; %bb.512:
	v_cmp_gt_i16_e32 vcc, 8, v41
	s_cbranch_vccnz .LBB231_517
	;; [unrolled: 3-line block ×3, first 2 shown]
; %bb.514:
	v_cmp_lt_i16_e32 vcc, 9, v41
	s_cbranch_vccz .LBB231_519
; %bb.515:
	global_load_dwordx2 v[2:3], v[4:5], off
	s_mov_b64 s[6:7], 0
	s_waitcnt vmcnt(0)
	v_cvt_f32_f64_e32 v2, v[2:3]
	s_branch .LBB231_520
.LBB231_516:
	s_mov_b64 s[6:7], -1
                                        ; implicit-def: $vgpr2
	s_branch .LBB231_538
.LBB231_517:
	s_mov_b64 s[6:7], -1
                                        ; implicit-def: $vgpr2
	s_branch .LBB231_526
.LBB231_518:
	s_mov_b64 s[6:7], -1
                                        ; implicit-def: $vgpr2
	s_branch .LBB231_523
.LBB231_519:
	s_mov_b64 s[6:7], -1
                                        ; implicit-def: $vgpr2
.LBB231_520:
	s_andn2_b64 vcc, exec, s[6:7]
	s_cbranch_vccnz .LBB231_522
; %bb.521:
	global_load_dword v2, v[4:5], off
.LBB231_522:
	s_mov_b64 s[6:7], 0
.LBB231_523:
	s_andn2_b64 vcc, exec, s[6:7]
	s_cbranch_vccnz .LBB231_525
; %bb.524:
	global_load_dword v2, v[4:5], off
	s_waitcnt vmcnt(0)
	v_cvt_f32_f16_e32 v2, v2
.LBB231_525:
	s_mov_b64 s[6:7], 0
.LBB231_526:
	s_andn2_b64 vcc, exec, s[6:7]
	s_cbranch_vccnz .LBB231_537
; %bb.527:
	v_cmp_gt_i16_e32 vcc, 6, v41
	s_cbranch_vccnz .LBB231_530
; %bb.528:
	v_cmp_lt_i16_e32 vcc, 6, v41
	s_cbranch_vccz .LBB231_531
; %bb.529:
	global_load_dwordx2 v[2:3], v[4:5], off
	s_mov_b64 s[6:7], 0
	s_waitcnt vmcnt(0)
	v_cvt_f32_f64_e32 v2, v[2:3]
	s_branch .LBB231_532
.LBB231_530:
	s_mov_b64 s[6:7], -1
                                        ; implicit-def: $vgpr2
	s_branch .LBB231_535
.LBB231_531:
	s_mov_b64 s[6:7], -1
                                        ; implicit-def: $vgpr2
.LBB231_532:
	s_andn2_b64 vcc, exec, s[6:7]
	s_cbranch_vccnz .LBB231_534
; %bb.533:
	global_load_dword v2, v[4:5], off
.LBB231_534:
	s_mov_b64 s[6:7], 0
.LBB231_535:
	s_andn2_b64 vcc, exec, s[6:7]
	s_cbranch_vccnz .LBB231_537
; %bb.536:
	global_load_ushort v2, v[4:5], off
	s_waitcnt vmcnt(0)
	v_cvt_f32_f16_e32 v2, v2
.LBB231_537:
	s_mov_b64 s[6:7], 0
.LBB231_538:
	s_andn2_b64 vcc, exec, s[6:7]
	s_cbranch_vccnz .LBB231_558
; %bb.539:
	v_cmp_gt_i16_e32 vcc, 2, v41
	s_cbranch_vccnz .LBB231_543
; %bb.540:
	v_cmp_gt_i16_e32 vcc, 3, v41
	s_cbranch_vccnz .LBB231_544
; %bb.541:
	v_cmp_lt_i16_e32 vcc, 3, v41
	s_cbranch_vccz .LBB231_545
; %bb.542:
	global_load_dwordx2 v[2:3], v[4:5], off
	s_mov_b64 s[6:7], 0
	s_waitcnt vmcnt(0)
	v_xor_b32_e32 v7, v2, v3
	v_ffbh_i32_e32 v6, v3
	v_ashrrev_i32_e32 v7, 31, v7
	v_add_u32_e32 v6, -1, v6
	v_add_u32_e32 v7, 32, v7
	v_min_u32_e32 v6, v6, v7
	v_lshlrev_b64 v[2:3], v6, v[2:3]
	v_min_u32_e32 v2, 1, v2
	v_or_b32_e32 v2, v3, v2
	v_cvt_f32_i32_e32 v2, v2
	v_sub_u32_e32 v3, 32, v6
	v_ldexp_f32 v2, v2, v3
	s_branch .LBB231_546
.LBB231_543:
	s_mov_b64 s[6:7], -1
                                        ; implicit-def: $vgpr2
	s_branch .LBB231_552
.LBB231_544:
	s_mov_b64 s[6:7], -1
                                        ; implicit-def: $vgpr2
	s_branch .LBB231_549
.LBB231_545:
	s_mov_b64 s[6:7], -1
                                        ; implicit-def: $vgpr2
.LBB231_546:
	s_andn2_b64 vcc, exec, s[6:7]
	s_cbranch_vccnz .LBB231_548
; %bb.547:
	global_load_dword v2, v[4:5], off
	s_waitcnt vmcnt(0)
	v_cvt_f32_i32_e32 v2, v2
.LBB231_548:
	s_mov_b64 s[6:7], 0
.LBB231_549:
	s_andn2_b64 vcc, exec, s[6:7]
	s_cbranch_vccnz .LBB231_551
; %bb.550:
	global_load_sshort v2, v[4:5], off
	s_waitcnt vmcnt(0)
	v_cvt_f32_i32_e32 v2, v2
.LBB231_551:
	s_mov_b64 s[6:7], 0
.LBB231_552:
	s_andn2_b64 vcc, exec, s[6:7]
	s_cbranch_vccnz .LBB231_558
; %bb.553:
	v_cmp_lt_i16_e32 vcc, 0, v41
	s_cbranch_vccz .LBB231_555
; %bb.554:
	global_load_sbyte v2, v[4:5], off
	s_mov_b64 s[6:7], 0
	s_waitcnt vmcnt(0)
	v_cvt_f32_i32_e32 v2, v2
	s_branch .LBB231_556
.LBB231_555:
	s_mov_b64 s[6:7], -1
                                        ; implicit-def: $vgpr2
.LBB231_556:
	s_andn2_b64 vcc, exec, s[6:7]
	s_cbranch_vccnz .LBB231_558
; %bb.557:
	global_load_ubyte v2, v[4:5], off
	s_waitcnt vmcnt(0)
	v_cvt_f32_ubyte0_e32 v2, v2
.LBB231_558:
	s_mov_b64 s[6:7], -1
.LBB231_559:
	s_andn2_b64 vcc, exec, s[6:7]
	s_cbranch_vccnz .LBB231_567
; %bb.560:
	s_mov_b64 s[66:67], s[4:5]
	s_getpc_b64 s[4:5]
	s_add_u32 s4, s4, _ZZZZN2at6native28launch_dirichlet_grad_kernelERNS_18TensorIteratorBaseEENKUlvE_clEvENKUlvE0_clEvENKUlfffE_clEfff@rel32@lo+4
	s_addc_u32 s5, s5, _ZZZZN2at6native28launch_dirichlet_grad_kernelERNS_18TensorIteratorBaseEENKUlvE_clEvENKUlvE0_clEvENKUlfffE_clEfff@rel32@hi+12
	s_swappc_b64 s[30:31], s[4:5]
	v_mov_b32_e32 v1, s37
	v_add_co_u32_e32 v2, vcc, s36, v38
	v_addc_co_u32_e32 v3, vcc, 0, v1, vcc
	v_mov_b32_e32 v1, 11
	v_cmp_lt_i16_sdwa s[4:5], v40, v1 src0_sel:BYTE_0 src1_sel:DWORD
	s_and_b64 vcc, exec, s[4:5]
	s_cbranch_vccnz .LBB231_568
; %bb.561:
	v_mov_b32_e32 v1, 25
	v_cmp_gt_i16_sdwa s[4:5], v40, v1 src0_sel:BYTE_0 src1_sel:DWORD
	s_and_b64 vcc, exec, s[4:5]
	s_cbranch_vccz .LBB231_569
; %bb.562:
	v_mov_b32_e32 v1, 28
	v_cmp_gt_i16_sdwa s[4:5], v40, v1 src0_sel:BYTE_0 src1_sel:DWORD
	s_and_b64 vcc, exec, s[4:5]
	s_mov_b64 s[4:5], s[66:67]
	s_cbranch_vccz .LBB231_570
; %bb.563:
	v_mov_b32_e32 v1, 43
	v_cmp_gt_i16_sdwa s[6:7], v40, v1 src0_sel:BYTE_0 src1_sel:DWORD
	s_and_b64 vcc, exec, s[6:7]
	s_cbranch_vccz .LBB231_571
; %bb.564:
	v_mov_b32_e32 v1, 45
	v_cmp_gt_i16_sdwa s[6:7], v40, v1 src0_sel:BYTE_0 src1_sel:DWORD
	s_and_b64 vcc, exec, s[6:7]
	s_cbranch_vccz .LBB231_696
; %bb.565:
	v_mov_b32_e32 v1, 46
	v_cmp_eq_u16_sdwa s[8:9], v40, v1 src0_sel:BYTE_0 src1_sel:DWORD
	s_mov_b64 s[10:11], 0
	s_mov_b64 s[6:7], -1
	s_and_b64 vcc, exec, s[8:9]
	s_mov_b64 s[8:9], 0
	s_cbranch_vccz .LBB231_697
; %bb.566:
	v_bfe_u32 v1, v0, 16, 1
	s_movk_i32 s6, 0x7fff
	v_add3_u32 v1, v0, v1, s6
	v_lshrrev_b32_e32 v1, 16, v1
	v_mov_b32_e32 v4, 0x7fc0
	v_cmp_o_f32_e32 vcc, v0, v0
	v_cndmask_b32_e32 v1, v4, v1, vcc
	global_store_dword v[2:3], v1, off
	s_mov_b64 s[8:9], -1
	s_mov_b64 s[6:7], 0
	s_branch .LBB231_697
.LBB231_567:
	s_mov_b64 s[6:7], 0
	s_branch .LBB231_163
.LBB231_568:
	s_mov_b64 s[10:11], -1
	s_mov_b64 s[6:7], 0
	s_mov_b64 s[8:9], 0
	;; [unrolled: 1-line block ×3, first 2 shown]
	s_branch .LBB231_766
.LBB231_569:
	s_mov_b64 s[10:11], -1
	s_mov_b64 s[6:7], 0
	s_mov_b64 s[8:9], 0
	;; [unrolled: 1-line block ×3, first 2 shown]
	s_branch .LBB231_724
.LBB231_570:
	s_mov_b64 s[10:11], -1
	s_mov_b64 s[6:7], 0
	s_mov_b64 s[8:9], 0
	s_branch .LBB231_707
.LBB231_571:
	s_mov_b64 s[10:11], -1
	s_mov_b64 s[6:7], 0
	s_mov_b64 s[8:9], 0
	s_branch .LBB231_703
.LBB231_572:
	s_mov_b64 s[78:79], -1
                                        ; implicit-def: $vgpr1
.LBB231_573:
	s_mov_b64 s[8:9], 0
.LBB231_574:
	s_and_b64 vcc, exec, s[8:9]
	s_cbranch_vccz .LBB231_578
; %bb.575:
	v_cmp_eq_u16_e32 vcc, 29, v3
	s_cbranch_vccz .LBB231_577
; %bb.576:
	global_load_dwordx2 v[6:7], v[4:5], off
	s_mov_b64 s[6:7], -1
	s_mov_b64 s[78:79], 0
	s_mov_b64 s[8:9], 0
	s_waitcnt vmcnt(0)
	v_ffbh_u32_e32 v1, v7
	v_min_u32_e32 v1, 32, v1
	v_lshlrev_b64 v[6:7], v1, v[6:7]
	v_min_u32_e32 v6, 1, v6
	v_or_b32_e32 v6, v7, v6
	v_cvt_f32_u32_e32 v6, v6
	v_sub_u32_e32 v1, 32, v1
	v_ldexp_f32 v1, v6, v1
	s_branch .LBB231_579
.LBB231_577:
	s_mov_b64 s[78:79], -1
                                        ; implicit-def: $vgpr1
.LBB231_578:
	s_mov_b64 s[8:9], 0
.LBB231_579:
	s_and_b64 vcc, exec, s[8:9]
	s_cbranch_vccz .LBB231_597
; %bb.580:
	v_cmp_gt_i16_e32 vcc, 27, v3
	s_cbranch_vccnz .LBB231_583
; %bb.581:
	v_cmp_lt_i16_e32 vcc, 27, v3
	s_cbranch_vccz .LBB231_584
; %bb.582:
	global_load_dword v1, v[4:5], off
	s_mov_b64 s[6:7], 0
	s_waitcnt vmcnt(0)
	v_cvt_f32_u32_e32 v1, v1
	s_branch .LBB231_585
.LBB231_583:
	s_mov_b64 s[6:7], -1
                                        ; implicit-def: $vgpr1
	s_branch .LBB231_588
.LBB231_584:
	s_mov_b64 s[6:7], -1
                                        ; implicit-def: $vgpr1
.LBB231_585:
	s_andn2_b64 vcc, exec, s[6:7]
	s_cbranch_vccnz .LBB231_587
; %bb.586:
	global_load_ushort v1, v[4:5], off
	s_waitcnt vmcnt(0)
	v_cvt_f32_u32_e32 v1, v1
.LBB231_587:
	s_mov_b64 s[6:7], 0
.LBB231_588:
	s_andn2_b64 vcc, exec, s[6:7]
	s_cbranch_vccnz .LBB231_596
; %bb.589:
	global_load_ubyte v6, v[4:5], off
	s_movk_i32 s6, 0x7f
                                        ; implicit-def: $sgpr12
	s_waitcnt vmcnt(0)
	v_cmp_lt_i16_e32 vcc, s6, v6
	s_mov_b64 s[6:7], 0
	s_and_saveexec_b64 s[8:9], vcc
	s_xor_b64 s[8:9], exec, s[8:9]
	s_cbranch_execz .LBB231_610
; %bb.590:
	s_movk_i32 s6, 0x80
	v_cmp_eq_u16_e32 vcc, s6, v6
	s_mov_b64 s[6:7], -1
                                        ; implicit-def: $sgpr12
	s_and_saveexec_b64 s[10:11], vcc
; %bb.591:
	s_mov_b32 s12, 0x7f800001
	s_xor_b64 s[6:7], exec, -1
; %bb.592:
	s_or_b64 exec, exec, s[10:11]
	s_and_b64 s[6:7], s[6:7], exec
	s_or_saveexec_b64 s[8:9], s[8:9]
	v_mov_b32_e32 v1, s12
	s_xor_b64 exec, exec, s[8:9]
	s_cbranch_execnz .LBB231_611
.LBB231_593:
	s_or_b64 exec, exec, s[8:9]
	s_and_saveexec_b64 s[8:9], s[6:7]
	s_cbranch_execz .LBB231_595
.LBB231_594:
	v_lshlrev_b32_e32 v1, 24, v6
	v_and_b32_e32 v6, 0xffff, v6
	v_and_b32_e32 v7, 7, v6
	v_ffbh_u32_e32 v9, v7
	v_min_u32_e32 v9, 32, v9
	v_subrev_u32_e32 v10, 28, v9
	v_bfe_u32 v8, v6, 3, 4
	v_lshlrev_b32_e32 v6, v10, v6
	v_sub_u32_e32 v9, 29, v9
	v_and_b32_e32 v6, 7, v6
	v_cmp_eq_u32_e32 vcc, 0, v8
	v_cndmask_b32_e32 v8, v8, v9, vcc
	v_cndmask_b32_e32 v6, v7, v6, vcc
	v_mov_b32_e32 v7, 0x3b800000
	v_lshlrev_b32_e32 v6, 20, v6
	v_and_b32_e32 v1, 0x80000000, v1
	v_lshl_add_u32 v7, v8, 23, v7
	v_or3_b32 v1, v1, v7, v6
.LBB231_595:
	s_or_b64 exec, exec, s[8:9]
.LBB231_596:
	s_mov_b64 s[6:7], -1
.LBB231_597:
	s_mov_b64 s[8:9], 0
.LBB231_598:
	s_and_b64 vcc, exec, s[8:9]
	s_cbranch_vccz .LBB231_633
; %bb.599:
	v_cmp_lt_i16_e32 vcc, 22, v3
	s_cbranch_vccz .LBB231_609
; %bb.600:
	v_cmp_gt_i16_e32 vcc, 24, v3
	s_cbranch_vccnz .LBB231_612
; %bb.601:
	v_cmp_lt_i16_e32 vcc, 24, v3
	s_cbranch_vccz .LBB231_613
; %bb.602:
	global_load_ubyte v6, v[4:5], off
	s_movk_i32 s6, 0x7f
                                        ; implicit-def: $sgpr12
	s_waitcnt vmcnt(0)
	v_cmp_lt_i16_e32 vcc, s6, v6
	s_mov_b64 s[6:7], 0
	s_and_saveexec_b64 s[8:9], vcc
	s_xor_b64 s[8:9], exec, s[8:9]
	s_cbranch_execz .LBB231_625
; %bb.603:
	s_movk_i32 s6, 0x80
	v_cmp_eq_u16_e32 vcc, s6, v6
	s_mov_b64 s[6:7], -1
                                        ; implicit-def: $sgpr12
	s_and_saveexec_b64 s[10:11], vcc
; %bb.604:
	s_mov_b32 s12, 0x7f800001
	s_xor_b64 s[6:7], exec, -1
; %bb.605:
	s_or_b64 exec, exec, s[10:11]
	s_and_b64 s[6:7], s[6:7], exec
	s_or_saveexec_b64 s[8:9], s[8:9]
	v_mov_b32_e32 v1, s12
	s_xor_b64 exec, exec, s[8:9]
	s_cbranch_execnz .LBB231_626
.LBB231_606:
	s_or_b64 exec, exec, s[8:9]
	s_and_saveexec_b64 s[8:9], s[6:7]
	s_cbranch_execz .LBB231_608
.LBB231_607:
	v_lshlrev_b32_e32 v1, 24, v6
	v_and_b32_e32 v6, 0xffff, v6
	v_and_b32_e32 v7, 3, v6
	v_ffbh_u32_e32 v9, v7
	v_min_u32_e32 v9, 32, v9
	v_subrev_u32_e32 v10, 29, v9
	v_bfe_u32 v8, v6, 2, 5
	v_lshlrev_b32_e32 v6, v10, v6
	v_sub_u32_e32 v9, 30, v9
	v_and_b32_e32 v6, 3, v6
	v_cmp_eq_u32_e32 vcc, 0, v8
	v_cndmask_b32_e32 v8, v8, v9, vcc
	v_cndmask_b32_e32 v6, v7, v6, vcc
	v_mov_b32_e32 v7, 0x37800000
	v_lshlrev_b32_e32 v6, 21, v6
	v_and_b32_e32 v1, 0x80000000, v1
	v_lshl_add_u32 v7, v8, 23, v7
	v_or3_b32 v1, v1, v7, v6
.LBB231_608:
	s_or_b64 exec, exec, s[8:9]
	s_mov_b64 s[6:7], 0
	s_branch .LBB231_614
.LBB231_609:
	s_mov_b64 s[8:9], -1
                                        ; implicit-def: $vgpr1
	s_branch .LBB231_620
.LBB231_610:
	s_or_saveexec_b64 s[8:9], s[8:9]
	v_mov_b32_e32 v1, s12
	s_xor_b64 exec, exec, s[8:9]
	s_cbranch_execz .LBB231_593
.LBB231_611:
	v_cmp_ne_u16_e32 vcc, 0, v6
	s_andn2_b64 s[6:7], s[6:7], exec
	s_and_b64 s[10:11], vcc, exec
	v_mov_b32_e32 v1, 0
	s_or_b64 s[6:7], s[6:7], s[10:11]
	s_or_b64 exec, exec, s[8:9]
	s_and_saveexec_b64 s[8:9], s[6:7]
	s_cbranch_execnz .LBB231_594
	s_branch .LBB231_595
.LBB231_612:
	s_mov_b64 s[6:7], -1
                                        ; implicit-def: $vgpr1
	s_branch .LBB231_617
.LBB231_613:
	s_mov_b64 s[6:7], -1
                                        ; implicit-def: $vgpr1
.LBB231_614:
	s_and_b64 vcc, exec, s[6:7]
	s_cbranch_vccz .LBB231_616
; %bb.615:
	global_load_ubyte v1, v[4:5], off
	s_mov_b32 s6, 0x7f800000
	s_waitcnt vmcnt(0)
	v_lshlrev_b32_e32 v1, 24, v1
	v_and_b32_e32 v6, 0x7f000000, v1
	v_ffbh_u32_e32 v7, v6
	v_min_u32_e32 v7, 32, v7
	v_sub_u32_e64 v7, v7, 4 clamp
	v_lshlrev_b32_e32 v9, v7, v6
	v_lshlrev_b32_e32 v7, 23, v7
	v_lshrrev_b32_e32 v9, 4, v9
	v_add_u32_e32 v8, 0x1000000, v6
	v_sub_u32_e32 v7, v9, v7
	v_ashrrev_i32_e32 v8, 8, v8
	v_add_u32_e32 v7, 0x3c000000, v7
	v_and_or_b32 v7, v8, s6, v7
	v_cmp_ne_u32_e32 vcc, 0, v6
	v_cndmask_b32_e32 v6, 0, v7, vcc
	s_brev_b32 s6, 1
	v_and_or_b32 v1, v1, s6, v6
.LBB231_616:
	s_mov_b64 s[6:7], 0
.LBB231_617:
	s_andn2_b64 vcc, exec, s[6:7]
	s_cbranch_vccnz .LBB231_619
; %bb.618:
	global_load_ubyte v1, v[4:5], off
	s_movk_i32 s6, 0x7f00
	s_brev_b32 s7, 16
	s_waitcnt vmcnt(0)
	v_lshlrev_b16_e32 v6, 8, v1
	v_lshlrev_b32_e32 v1, 25, v1
	v_lshrrev_b32_e32 v7, 4, v1
	v_and_or_b32 v8, v6, s6, 0.5
	v_or_b32_e32 v7, 0x70000000, v7
	v_add_f32_e32 v8, -0.5, v8
	v_mul_f32_e32 v7, 0x7800000, v7
	v_cmp_gt_u32_e32 vcc, s7, v1
	v_bfe_i32 v6, v6, 0, 16
	v_cndmask_b32_e32 v1, v7, v8, vcc
	s_brev_b32 s6, 1
	v_and_or_b32 v1, v6, s6, v1
.LBB231_619:
	s_mov_b64 s[8:9], 0
	s_mov_b64 s[6:7], -1
.LBB231_620:
	s_andn2_b64 vcc, exec, s[8:9]
	s_cbranch_vccnz .LBB231_633
; %bb.621:
	v_cmp_lt_i16_e32 vcc, 14, v3
	s_cbranch_vccz .LBB231_624
; %bb.622:
	v_cmp_eq_u16_e32 vcc, 15, v3
	s_cbranch_vccz .LBB231_627
; %bb.623:
	global_load_ushort v1, v[4:5], off
	s_mov_b64 s[6:7], -1
	s_mov_b64 s[78:79], 0
	s_waitcnt vmcnt(0)
	v_lshlrev_b32_e32 v1, 16, v1
	s_branch .LBB231_628
.LBB231_624:
	s_mov_b64 s[8:9], -1
                                        ; implicit-def: $vgpr1
	s_branch .LBB231_629
.LBB231_625:
	s_or_saveexec_b64 s[8:9], s[8:9]
	v_mov_b32_e32 v1, s12
	s_xor_b64 exec, exec, s[8:9]
	s_cbranch_execz .LBB231_606
.LBB231_626:
	v_cmp_ne_u16_e32 vcc, 0, v6
	s_andn2_b64 s[6:7], s[6:7], exec
	s_and_b64 s[10:11], vcc, exec
	v_mov_b32_e32 v1, 0
	s_or_b64 s[6:7], s[6:7], s[10:11]
	s_or_b64 exec, exec, s[8:9]
	s_and_saveexec_b64 s[8:9], s[6:7]
	s_cbranch_execnz .LBB231_607
	s_branch .LBB231_608
.LBB231_627:
	s_mov_b64 s[78:79], -1
                                        ; implicit-def: $vgpr1
.LBB231_628:
	s_mov_b64 s[8:9], 0
.LBB231_629:
	s_and_b64 vcc, exec, s[8:9]
	s_cbranch_vccz .LBB231_633
; %bb.630:
	v_cmp_eq_u16_e32 vcc, 11, v3
	s_cbranch_vccz .LBB231_632
; %bb.631:
	global_load_ubyte v1, v[4:5], off
	s_mov_b64 s[6:7], -1
	s_mov_b64 s[78:79], 0
	s_waitcnt vmcnt(0)
	v_cmp_ne_u16_e32 vcc, 0, v1
	v_cndmask_b32_e64 v1, 0, 1.0, vcc
	s_branch .LBB231_633
.LBB231_632:
	s_mov_b64 s[78:79], -1
                                        ; implicit-def: $vgpr1
.LBB231_633:
	s_mov_b64 s[8:9], 0
.LBB231_634:
	s_and_b64 vcc, exec, s[8:9]
	s_cbranch_vccz .LBB231_683
; %bb.635:
	v_cmp_gt_i16_e32 vcc, 5, v3
	s_cbranch_vccnz .LBB231_640
; %bb.636:
	v_cmp_gt_i16_e32 vcc, 8, v3
	s_cbranch_vccnz .LBB231_641
	;; [unrolled: 3-line block ×3, first 2 shown]
; %bb.638:
	v_cmp_lt_i16_e32 vcc, 9, v3
	s_cbranch_vccz .LBB231_643
; %bb.639:
	global_load_dwordx2 v[6:7], v[4:5], off
	s_mov_b64 s[6:7], 0
	s_waitcnt vmcnt(0)
	v_cvt_f32_f64_e32 v1, v[6:7]
	s_branch .LBB231_644
.LBB231_640:
	s_mov_b64 s[6:7], -1
                                        ; implicit-def: $vgpr1
	s_branch .LBB231_662
.LBB231_641:
	s_mov_b64 s[6:7], -1
                                        ; implicit-def: $vgpr1
	s_branch .LBB231_650
.LBB231_642:
	s_mov_b64 s[6:7], -1
                                        ; implicit-def: $vgpr1
	s_branch .LBB231_647
.LBB231_643:
	s_mov_b64 s[6:7], -1
                                        ; implicit-def: $vgpr1
.LBB231_644:
	s_andn2_b64 vcc, exec, s[6:7]
	s_cbranch_vccnz .LBB231_646
; %bb.645:
	global_load_dword v1, v[4:5], off
.LBB231_646:
	s_mov_b64 s[6:7], 0
.LBB231_647:
	s_andn2_b64 vcc, exec, s[6:7]
	s_cbranch_vccnz .LBB231_649
; %bb.648:
	global_load_dword v1, v[4:5], off
	s_waitcnt vmcnt(0)
	v_cvt_f32_f16_e32 v1, v1
.LBB231_649:
	s_mov_b64 s[6:7], 0
.LBB231_650:
	s_andn2_b64 vcc, exec, s[6:7]
	s_cbranch_vccnz .LBB231_661
; %bb.651:
	v_cmp_gt_i16_e32 vcc, 6, v3
	s_cbranch_vccnz .LBB231_654
; %bb.652:
	v_cmp_lt_i16_e32 vcc, 6, v3
	s_cbranch_vccz .LBB231_655
; %bb.653:
	global_load_dwordx2 v[6:7], v[4:5], off
	s_mov_b64 s[6:7], 0
	s_waitcnt vmcnt(0)
	v_cvt_f32_f64_e32 v1, v[6:7]
	s_branch .LBB231_656
.LBB231_654:
	s_mov_b64 s[6:7], -1
                                        ; implicit-def: $vgpr1
	s_branch .LBB231_659
.LBB231_655:
	s_mov_b64 s[6:7], -1
                                        ; implicit-def: $vgpr1
.LBB231_656:
	s_andn2_b64 vcc, exec, s[6:7]
	s_cbranch_vccnz .LBB231_658
; %bb.657:
	global_load_dword v1, v[4:5], off
.LBB231_658:
	s_mov_b64 s[6:7], 0
.LBB231_659:
	s_andn2_b64 vcc, exec, s[6:7]
	s_cbranch_vccnz .LBB231_661
; %bb.660:
	global_load_ushort v1, v[4:5], off
	s_waitcnt vmcnt(0)
	v_cvt_f32_f16_e32 v1, v1
.LBB231_661:
	s_mov_b64 s[6:7], 0
.LBB231_662:
	s_andn2_b64 vcc, exec, s[6:7]
	s_cbranch_vccnz .LBB231_682
; %bb.663:
	v_cmp_gt_i16_e32 vcc, 2, v3
	s_cbranch_vccnz .LBB231_667
; %bb.664:
	v_cmp_gt_i16_e32 vcc, 3, v3
	s_cbranch_vccnz .LBB231_668
; %bb.665:
	v_cmp_lt_i16_e32 vcc, 3, v3
	s_cbranch_vccz .LBB231_669
; %bb.666:
	global_load_dwordx2 v[6:7], v[4:5], off
	s_mov_b64 s[6:7], 0
	s_waitcnt vmcnt(0)
	v_xor_b32_e32 v8, v6, v7
	v_ffbh_i32_e32 v1, v7
	v_ashrrev_i32_e32 v8, 31, v8
	v_add_u32_e32 v1, -1, v1
	v_add_u32_e32 v8, 32, v8
	v_min_u32_e32 v1, v1, v8
	v_lshlrev_b64 v[6:7], v1, v[6:7]
	v_min_u32_e32 v6, 1, v6
	v_or_b32_e32 v6, v7, v6
	v_cvt_f32_i32_e32 v6, v6
	v_sub_u32_e32 v1, 32, v1
	v_ldexp_f32 v1, v6, v1
	s_branch .LBB231_670
.LBB231_667:
	s_mov_b64 s[6:7], -1
                                        ; implicit-def: $vgpr1
	s_branch .LBB231_676
.LBB231_668:
	s_mov_b64 s[6:7], -1
                                        ; implicit-def: $vgpr1
	s_branch .LBB231_673
.LBB231_669:
	s_mov_b64 s[6:7], -1
                                        ; implicit-def: $vgpr1
.LBB231_670:
	s_andn2_b64 vcc, exec, s[6:7]
	s_cbranch_vccnz .LBB231_672
; %bb.671:
	global_load_dword v1, v[4:5], off
	s_waitcnt vmcnt(0)
	v_cvt_f32_i32_e32 v1, v1
.LBB231_672:
	s_mov_b64 s[6:7], 0
.LBB231_673:
	s_andn2_b64 vcc, exec, s[6:7]
	s_cbranch_vccnz .LBB231_675
; %bb.674:
	global_load_sshort v1, v[4:5], off
	s_waitcnt vmcnt(0)
	v_cvt_f32_i32_e32 v1, v1
.LBB231_675:
	s_mov_b64 s[6:7], 0
.LBB231_676:
	s_andn2_b64 vcc, exec, s[6:7]
	s_cbranch_vccnz .LBB231_682
; %bb.677:
	v_cmp_lt_i16_e32 vcc, 0, v3
	s_cbranch_vccz .LBB231_679
; %bb.678:
	global_load_sbyte v1, v[4:5], off
	s_mov_b64 s[6:7], 0
	s_waitcnt vmcnt(0)
	v_cvt_f32_i32_e32 v1, v1
	s_branch .LBB231_680
.LBB231_679:
	s_mov_b64 s[6:7], -1
                                        ; implicit-def: $vgpr1
.LBB231_680:
	s_andn2_b64 vcc, exec, s[6:7]
	s_cbranch_vccnz .LBB231_682
; %bb.681:
	global_load_ubyte v1, v[4:5], off
	s_waitcnt vmcnt(0)
	v_cvt_f32_ubyte0_e32 v1, v1
.LBB231_682:
	s_mov_b64 s[6:7], -1
.LBB231_683:
	s_andn2_b64 vcc, exec, s[6:7]
	s_cbranch_vccnz .LBB231_691
; %bb.684:
	v_mov_b32_e32 v3, s43
	v_add_co_u32_e32 v4, vcc, s42, v2
	v_addc_co_u32_e32 v5, vcc, 0, v3, vcc
	v_cmp_gt_i16_e32 vcc, 11, v41
	s_cbranch_vccnz .LBB231_692
; %bb.685:
	v_cmp_lt_i16_e32 vcc, 25, v41
	s_cbranch_vccz .LBB231_693
; %bb.686:
	v_cmp_lt_i16_e32 vcc, 28, v41
	s_cbranch_vccz .LBB231_694
	;; [unrolled: 3-line block ×4, first 2 shown]
; %bb.689:
	v_cmp_eq_u16_e32 vcc, 46, v41
	s_mov_b64 s[8:9], 0
	s_cbranch_vccz .LBB231_811
; %bb.690:
	global_load_dword v2, v[4:5], off
	s_mov_b64 s[6:7], -1
	s_mov_b64 s[80:81], 0
	s_waitcnt vmcnt(0)
	v_lshlrev_b32_e32 v2, 16, v2
	s_branch .LBB231_812
.LBB231_691:
	s_mov_b64 s[8:9], 0
                                        ; implicit-def: $vgpr42
	s_mov_b64 s[6:7], s[66:67]
	s_mov_b64 s[80:81], s[68:69]
	s_branch .LBB231_1052
.LBB231_692:
	s_mov_b64 s[8:9], -1
	s_mov_b64 s[6:7], 0
                                        ; implicit-def: $vgpr2
	s_mov_b64 s[80:81], s[68:69]
	s_branch .LBB231_879
.LBB231_693:
	s_mov_b64 s[8:9], -1
	s_mov_b64 s[6:7], 0
	s_mov_b64 s[80:81], s[68:69]
                                        ; implicit-def: $vgpr2
	s_branch .LBB231_843
.LBB231_694:
	s_mov_b64 s[8:9], -1
	s_mov_b64 s[6:7], 0
	s_mov_b64 s[80:81], s[68:69]
                                        ; implicit-def: $vgpr2
	s_branch .LBB231_824
.LBB231_695:
	s_mov_b64 s[8:9], -1
	s_mov_b64 s[6:7], 0
	s_mov_b64 s[80:81], s[68:69]
                                        ; implicit-def: $vgpr2
	s_branch .LBB231_819
.LBB231_696:
	s_mov_b64 s[10:11], -1
	s_mov_b64 s[6:7], 0
	s_mov_b64 s[8:9], 0
.LBB231_697:
	s_and_b64 vcc, exec, s[10:11]
	s_cbranch_vccz .LBB231_702
; %bb.698:
	v_mov_b32_e32 v1, 44
	v_cmp_eq_u16_sdwa s[10:11], v40, v1 src0_sel:BYTE_0 src1_sel:DWORD
	s_mov_b64 s[6:7], -1
	s_and_b64 vcc, exec, s[10:11]
	s_cbranch_vccz .LBB231_702
; %bb.699:
	v_bfe_u32 v1, v0, 23, 8
	s_movk_i32 s6, 0xff
	v_cmp_ne_u32_e32 vcc, s6, v1
	v_mov_b32_e32 v4, 0xff
	s_and_saveexec_b64 s[8:9], vcc
; %bb.700:
	s_mov_b32 s6, 0x3fffff
	v_and_b32_e32 v5, 0x400000, v0
	v_and_or_b32 v1, v0, s6, v1
	v_cmp_ne_u32_e32 vcc, 0, v5
	v_cmp_ne_u32_e64 s[6:7], 0, v1
	s_and_b64 s[6:7], vcc, s[6:7]
	v_lshrrev_b32_e32 v4, 23, v0
	v_cndmask_b32_e64 v1, 0, 1, s[6:7]
	v_add_u32_e32 v4, v4, v1
; %bb.701:
	s_or_b64 exec, exec, s[8:9]
	s_mov_b64 s[8:9], -1
	s_mov_b64 s[6:7], 0
	global_store_byte v[2:3], v4, off
.LBB231_702:
	s_mov_b64 s[10:11], 0
.LBB231_703:
	s_and_b64 vcc, exec, s[10:11]
	s_cbranch_vccz .LBB231_706
; %bb.704:
	v_mov_b32_e32 v1, 29
	v_cmp_eq_u16_sdwa s[10:11], v40, v1 src0_sel:BYTE_0 src1_sel:DWORD
	s_mov_b64 s[6:7], -1
	s_and_b64 vcc, exec, s[10:11]
	s_cbranch_vccz .LBB231_706
; %bb.705:
	v_trunc_f32_e32 v1, v0
	v_mul_f32_e32 v4, 0x2f800000, v1
	v_floor_f32_e32 v4, v4
	v_fmac_f32_e32 v1, 0xcf800000, v4
	v_cvt_u32_f32_e32 v5, v4
	v_cvt_u32_f32_e32 v4, v1
	s_mov_b64 s[8:9], -1
	s_mov_b64 s[6:7], 0
	s_mov_b64 s[10:11], 0
	global_store_dwordx2 v[2:3], v[4:5], off
	s_branch .LBB231_707
.LBB231_706:
	s_mov_b64 s[10:11], 0
.LBB231_707:
	s_and_b64 vcc, exec, s[10:11]
	s_cbranch_vccz .LBB231_723
; %bb.708:
	v_mov_b32_e32 v1, 27
	v_cmp_lt_i16_sdwa s[10:11], v40, v1 src0_sel:BYTE_0 src1_sel:DWORD
	s_mov_b64 s[8:9], -1
	s_and_b64 vcc, exec, s[10:11]
	s_cbranch_vccnz .LBB231_714
; %bb.709:
	v_cmp_gt_i16_sdwa s[10:11], v40, v1 src0_sel:BYTE_0 src1_sel:DWORD
	v_cvt_u32_f32_e32 v1, v0
	s_and_b64 vcc, exec, s[10:11]
	s_cbranch_vccz .LBB231_711
; %bb.710:
	s_mov_b64 s[8:9], 0
	global_store_dword v[2:3], v1, off
.LBB231_711:
	s_andn2_b64 vcc, exec, s[8:9]
	s_cbranch_vccnz .LBB231_713
; %bb.712:
	global_store_short v[2:3], v1, off
.LBB231_713:
	s_mov_b64 s[8:9], 0
.LBB231_714:
	s_andn2_b64 vcc, exec, s[8:9]
	s_cbranch_vccnz .LBB231_722
; %bb.715:
	v_and_b32_e32 v1, 0x7fffffff, v0
	s_mov_b32 s8, 0x43800000
	v_cmp_gt_u32_e32 vcc, s8, v1
	v_mov_b32_e32 v4, 0x80
	s_and_saveexec_b64 s[8:9], vcc
	s_cbranch_execz .LBB231_721
; %bb.716:
	s_mov_b32 s10, 0x3bffffff
	v_cmp_lt_u32_e32 vcc, s10, v1
	s_mov_b64 s[10:11], 0
                                        ; implicit-def: $vgpr1
	s_and_saveexec_b64 s[12:13], vcc
	s_xor_b64 s[12:13], exec, s[12:13]
	s_cbranch_execz .LBB231_809
; %bb.717:
	v_bfe_u32 v1, v0, 20, 1
	s_mov_b32 s14, 0x487ffff
	v_add3_u32 v1, v0, v1, s14
	s_mov_b64 s[10:11], exec
	v_lshrrev_b32_e32 v1, 20, v1
	s_or_saveexec_b64 s[12:13], s[12:13]
                                        ; implicit-def: $sgpr14
	s_xor_b64 exec, exec, s[12:13]
	s_cbranch_execnz .LBB231_810
.LBB231_718:
	s_or_b64 exec, exec, s[12:13]
	v_mov_b32_e32 v4, s14
	s_and_saveexec_b64 s[12:13], s[10:11]
.LBB231_719:
	v_lshrrev_b32_e32 v4, 24, v0
	s_movk_i32 s10, 0x80
	v_and_or_b32 v4, v4, s10, v1
.LBB231_720:
	s_or_b64 exec, exec, s[12:13]
.LBB231_721:
	s_or_b64 exec, exec, s[8:9]
	global_store_byte v[2:3], v4, off
.LBB231_722:
	s_mov_b64 s[8:9], -1
.LBB231_723:
	s_mov_b64 s[10:11], 0
.LBB231_724:
	s_and_b64 vcc, exec, s[10:11]
	s_cbranch_vccz .LBB231_765
; %bb.725:
	v_mov_b32_e32 v1, 22
	v_cmp_gt_i16_sdwa s[12:13], v40, v1 src0_sel:BYTE_0 src1_sel:DWORD
	s_mov_b64 s[10:11], -1
	s_and_b64 vcc, exec, s[12:13]
	s_cbranch_vccz .LBB231_757
; %bb.726:
	v_mov_b32_e32 v1, 24
	v_cmp_lt_i16_sdwa s[10:11], v40, v1 src0_sel:BYTE_0 src1_sel:DWORD
	s_mov_b64 s[8:9], -1
	s_and_b64 vcc, exec, s[10:11]
	s_cbranch_vccnz .LBB231_746
; %bb.727:
	v_cmp_gt_i16_sdwa s[10:11], v40, v1 src0_sel:BYTE_0 src1_sel:DWORD
	s_and_b64 vcc, exec, s[10:11]
	s_cbranch_vccz .LBB231_735
; %bb.728:
	v_and_b32_e32 v1, 0x7fffffff, v0
	s_mov_b32 s8, 0x47800000
	v_cmp_gt_u32_e32 vcc, s8, v1
	v_mov_b32_e32 v4, 0x80
	s_and_saveexec_b64 s[8:9], vcc
	s_cbranch_execz .LBB231_734
; %bb.729:
	s_mov_b32 s10, 0x37ffffff
	v_cmp_lt_u32_e32 vcc, s10, v1
	s_mov_b64 s[10:11], 0
                                        ; implicit-def: $vgpr1
	s_and_saveexec_b64 s[12:13], vcc
	s_xor_b64 s[12:13], exec, s[12:13]
	s_cbranch_execz .LBB231_815
; %bb.730:
	v_bfe_u32 v1, v0, 21, 1
	s_mov_b32 s14, 0x88fffff
	v_add3_u32 v1, v0, v1, s14
	s_mov_b64 s[10:11], exec
	v_lshrrev_b32_e32 v1, 21, v1
	s_or_saveexec_b64 s[12:13], s[12:13]
                                        ; implicit-def: $sgpr14
	s_xor_b64 exec, exec, s[12:13]
	s_cbranch_execnz .LBB231_816
.LBB231_731:
	s_or_b64 exec, exec, s[12:13]
	v_mov_b32_e32 v4, s14
	s_and_saveexec_b64 s[12:13], s[10:11]
.LBB231_732:
	v_lshrrev_b32_e32 v4, 24, v0
	s_movk_i32 s10, 0x80
	v_and_or_b32 v4, v4, s10, v1
.LBB231_733:
	s_or_b64 exec, exec, s[12:13]
.LBB231_734:
	s_or_b64 exec, exec, s[8:9]
	s_mov_b64 s[8:9], 0
	global_store_byte v[2:3], v4, off
.LBB231_735:
	s_and_b64 vcc, exec, s[8:9]
	s_cbranch_vccz .LBB231_745
; %bb.736:
	v_and_b32_e32 v4, 0x7fffffff, v0
	s_mov_b32 s8, 0x43f00000
	v_cmp_gt_u32_e32 vcc, s8, v4
                                        ; implicit-def: $vgpr1
	s_and_saveexec_b64 s[8:9], vcc
	s_xor_b64 s[8:9], exec, s[8:9]
	s_cbranch_execz .LBB231_742
; %bb.737:
	s_mov_b32 s10, 0x3c7fffff
	v_cmp_lt_u32_e32 vcc, s10, v4
                                        ; implicit-def: $vgpr1
	s_and_saveexec_b64 s[10:11], vcc
	s_xor_b64 s[10:11], exec, s[10:11]
; %bb.738:
	v_bfe_u32 v1, v0, 20, 1
	s_mov_b32 s12, 0x407ffff
	v_add3_u32 v1, v0, v1, s12
	v_lshrrev_b32_e32 v4, 20, v1
	v_and_b32_e32 v1, 0xff00000, v1
	s_mov_b32 s12, 0x7f00000
	v_mov_b32_e32 v5, 0x7e
	v_cmp_ne_u32_e32 vcc, s12, v1
	v_cndmask_b32_e32 v1, v5, v4, vcc
; %bb.739:
	s_andn2_saveexec_b64 s[10:11], s[10:11]
; %bb.740:
	s_mov_b32 s12, 0x46800000
	v_add_f32_e64 v1, |v0|, s12
; %bb.741:
	s_or_b64 exec, exec, s[10:11]
                                        ; implicit-def: $vgpr4
.LBB231_742:
	s_andn2_saveexec_b64 s[8:9], s[8:9]
; %bb.743:
	s_mov_b32 s10, 0x7f800000
	v_mov_b32_e32 v1, 0x7e
	v_mov_b32_e32 v5, 0x7f
	v_cmp_lt_u32_e32 vcc, s10, v4
	v_cndmask_b32_e32 v1, v1, v5, vcc
; %bb.744:
	s_or_b64 exec, exec, s[8:9]
	v_lshrrev_b32_e32 v4, 24, v0
	s_movk_i32 s8, 0x80
	v_and_or_b32 v1, v4, s8, v1
	global_store_byte v[2:3], v1, off
.LBB231_745:
	s_mov_b64 s[8:9], 0
.LBB231_746:
	s_andn2_b64 vcc, exec, s[8:9]
	s_cbranch_vccnz .LBB231_756
; %bb.747:
	v_and_b32_e32 v4, 0x7fffffff, v0
	s_mov_b32 s8, 0x47800000
	v_cmp_gt_u32_e32 vcc, s8, v4
                                        ; implicit-def: $vgpr1
	s_and_saveexec_b64 s[8:9], vcc
	s_xor_b64 s[8:9], exec, s[8:9]
	s_cbranch_execz .LBB231_753
; %bb.748:
	s_mov_b32 s10, 0x387fffff
	v_cmp_lt_u32_e32 vcc, s10, v4
                                        ; implicit-def: $vgpr1
	s_and_saveexec_b64 s[10:11], vcc
	s_xor_b64 s[10:11], exec, s[10:11]
; %bb.749:
	v_bfe_u32 v1, v0, 21, 1
	s_mov_b32 s12, 0x80fffff
	v_add3_u32 v1, v0, v1, s12
	v_lshrrev_b32_e32 v1, 21, v1
; %bb.750:
	s_andn2_saveexec_b64 s[10:11], s[10:11]
; %bb.751:
	s_mov_b32 s12, 0x43000000
	v_add_f32_e64 v1, |v0|, s12
; %bb.752:
	s_or_b64 exec, exec, s[10:11]
                                        ; implicit-def: $vgpr4
.LBB231_753:
	s_andn2_saveexec_b64 s[8:9], s[8:9]
; %bb.754:
	s_mov_b32 s10, 0x7f800000
	v_mov_b32_e32 v1, 0x7c
	v_mov_b32_e32 v5, 0x7f
	v_cmp_lt_u32_e32 vcc, s10, v4
	v_cndmask_b32_e32 v1, v1, v5, vcc
; %bb.755:
	s_or_b64 exec, exec, s[8:9]
	v_lshrrev_b32_e32 v4, 24, v0
	s_movk_i32 s8, 0x80
	v_and_or_b32 v1, v4, s8, v1
	global_store_byte v[2:3], v1, off
.LBB231_756:
	s_mov_b64 s[10:11], 0
	s_mov_b64 s[8:9], -1
.LBB231_757:
	s_andn2_b64 vcc, exec, s[10:11]
	s_cbranch_vccnz .LBB231_765
; %bb.758:
	v_mov_b32_e32 v1, 14
	v_cmp_gt_i16_sdwa s[12:13], v40, v1 src0_sel:BYTE_0 src1_sel:DWORD
	s_mov_b64 s[10:11], -1
	s_and_b64 vcc, exec, s[12:13]
	s_cbranch_vccz .LBB231_762
; %bb.759:
	v_mov_b32_e32 v1, 15
	v_cmp_eq_u16_sdwa s[10:11], v40, v1 src0_sel:BYTE_0 src1_sel:DWORD
	s_mov_b64 s[6:7], -1
	s_and_b64 vcc, exec, s[10:11]
	s_cbranch_vccz .LBB231_761
; %bb.760:
	v_bfe_u32 v1, v0, 16, 1
	s_movk_i32 s6, 0x7fff
	v_add3_u32 v1, v0, v1, s6
	v_lshrrev_b32_e32 v1, 16, v1
	v_mov_b32_e32 v4, 0x7fc0
	v_cmp_o_f32_e32 vcc, v0, v0
	v_cndmask_b32_e32 v1, v4, v1, vcc
	global_store_short v[2:3], v1, off
	s_mov_b64 s[8:9], -1
	s_mov_b64 s[6:7], 0
.LBB231_761:
	s_mov_b64 s[10:11], 0
.LBB231_762:
	s_and_b64 vcc, exec, s[10:11]
	s_cbranch_vccz .LBB231_765
; %bb.763:
	v_mov_b32_e32 v1, 11
	v_cmp_eq_u16_sdwa s[10:11], v40, v1 src0_sel:BYTE_0 src1_sel:DWORD
	s_mov_b64 s[6:7], -1
	s_and_b64 vcc, exec, s[10:11]
	s_cbranch_vccz .LBB231_765
; %bb.764:
	v_cmp_neq_f32_e32 vcc, 0, v0
	v_cndmask_b32_e64 v1, 0, 1, vcc
	s_mov_b64 s[8:9], -1
	s_mov_b64 s[6:7], 0
	global_store_byte v[2:3], v1, off
.LBB231_765:
	s_mov_b64 s[10:11], 0
.LBB231_766:
	s_and_b64 vcc, exec, s[10:11]
	s_cbranch_vccz .LBB231_805
; %bb.767:
	v_mov_b32_e32 v1, 5
	v_cmp_lt_i16_sdwa s[10:11], v40, v1 src0_sel:BYTE_0 src1_sel:DWORD
	s_mov_b64 s[8:9], -1
	s_and_b64 vcc, exec, s[10:11]
	s_cbranch_vccnz .LBB231_788
; %bb.768:
	v_mov_b32_e32 v1, 8
	v_cmp_lt_i16_sdwa s[10:11], v40, v1 src0_sel:BYTE_0 src1_sel:DWORD
	s_and_b64 vcc, exec, s[10:11]
	s_cbranch_vccnz .LBB231_778
; %bb.769:
	v_mov_b32_e32 v1, 9
	v_cmp_lt_i16_sdwa s[10:11], v40, v1 src0_sel:BYTE_0 src1_sel:DWORD
	s_and_b64 vcc, exec, s[10:11]
	s_cbranch_vccnz .LBB231_775
; %bb.770:
	v_cmp_gt_i16_sdwa s[10:11], v40, v1 src0_sel:BYTE_0 src1_sel:DWORD
	s_and_b64 vcc, exec, s[10:11]
	s_cbranch_vccz .LBB231_772
; %bb.771:
	v_mov_b32_e32 v6, 0
	v_cvt_f64_f32_e32 v[4:5], v0
	v_mov_b32_e32 v7, v6
	global_store_dwordx4 v[2:3], v[4:7], off
	s_mov_b64 s[8:9], 0
.LBB231_772:
	s_andn2_b64 vcc, exec, s[8:9]
	s_cbranch_vccnz .LBB231_774
; %bb.773:
	v_mov_b32_e32 v1, 0
	global_store_dwordx2 v[2:3], v[0:1], off
.LBB231_774:
	s_mov_b64 s[8:9], 0
.LBB231_775:
	s_andn2_b64 vcc, exec, s[8:9]
	s_cbranch_vccnz .LBB231_777
; %bb.776:
	v_cvt_f16_f32_e32 v1, v0
	global_store_dword v[2:3], v1, off
.LBB231_777:
	s_mov_b64 s[8:9], 0
.LBB231_778:
	s_andn2_b64 vcc, exec, s[8:9]
	s_cbranch_vccnz .LBB231_787
; %bb.779:
	v_mov_b32_e32 v1, 6
	v_cmp_lt_i16_sdwa s[10:11], v40, v1 src0_sel:BYTE_0 src1_sel:DWORD
	s_mov_b64 s[8:9], -1
	s_and_b64 vcc, exec, s[10:11]
	s_cbranch_vccnz .LBB231_785
; %bb.780:
	v_cmp_gt_i16_sdwa s[10:11], v40, v1 src0_sel:BYTE_0 src1_sel:DWORD
	s_and_b64 vcc, exec, s[10:11]
	s_cbranch_vccz .LBB231_782
; %bb.781:
	v_cvt_f64_f32_e32 v[4:5], v0
	global_store_dwordx2 v[2:3], v[4:5], off
	s_mov_b64 s[8:9], 0
.LBB231_782:
	s_andn2_b64 vcc, exec, s[8:9]
	s_cbranch_vccnz .LBB231_784
; %bb.783:
	global_store_dword v[2:3], v0, off
.LBB231_784:
	s_mov_b64 s[8:9], 0
.LBB231_785:
	s_andn2_b64 vcc, exec, s[8:9]
	s_cbranch_vccnz .LBB231_787
; %bb.786:
	v_cvt_f16_f32_e32 v1, v0
	global_store_short v[2:3], v1, off
.LBB231_787:
	s_mov_b64 s[8:9], 0
.LBB231_788:
	s_andn2_b64 vcc, exec, s[8:9]
	s_cbranch_vccnz .LBB231_804
; %bb.789:
	v_mov_b32_e32 v1, 2
	v_cmp_lt_i16_sdwa s[10:11], v40, v1 src0_sel:BYTE_0 src1_sel:DWORD
	s_mov_b64 s[8:9], -1
	s_and_b64 vcc, exec, s[10:11]
	s_cbranch_vccnz .LBB231_799
; %bb.790:
	v_mov_b32_e32 v1, 3
	v_cmp_lt_i16_sdwa s[10:11], v40, v1 src0_sel:BYTE_0 src1_sel:DWORD
	s_and_b64 vcc, exec, s[10:11]
	s_cbranch_vccnz .LBB231_796
; %bb.791:
	v_cmp_gt_i16_sdwa s[10:11], v40, v1 src0_sel:BYTE_0 src1_sel:DWORD
	s_and_b64 vcc, exec, s[10:11]
	s_cbranch_vccz .LBB231_793
; %bb.792:
	v_trunc_f32_e32 v1, v0
	s_mov_b32 s8, 0x2f800000
	v_mul_f32_e64 v4, |v1|, s8
	v_floor_f32_e32 v4, v4
	s_mov_b32 s8, 0xcf800000
	v_cvt_u32_f32_e32 v5, v4
	v_fma_f32 v4, v4, s8, |v1|
	v_cvt_u32_f32_e32 v4, v4
	v_ashrrev_i32_e32 v1, 31, v1
	v_xor_b32_e32 v5, v5, v1
	s_mov_b64 s[8:9], 0
	v_xor_b32_e32 v4, v4, v1
	v_sub_co_u32_e32 v4, vcc, v4, v1
	v_subb_co_u32_e32 v5, vcc, v5, v1, vcc
	global_store_dwordx2 v[2:3], v[4:5], off
.LBB231_793:
	s_andn2_b64 vcc, exec, s[8:9]
	s_cbranch_vccnz .LBB231_795
; %bb.794:
	v_cvt_i32_f32_e32 v1, v0
	global_store_dword v[2:3], v1, off
.LBB231_795:
	s_mov_b64 s[8:9], 0
.LBB231_796:
	s_andn2_b64 vcc, exec, s[8:9]
	s_cbranch_vccnz .LBB231_798
; %bb.797:
	v_cvt_i32_f32_e32 v1, v0
	global_store_short v[2:3], v1, off
.LBB231_798:
	s_mov_b64 s[8:9], 0
.LBB231_799:
	s_andn2_b64 vcc, exec, s[8:9]
	s_cbranch_vccnz .LBB231_804
; %bb.800:
	v_mov_b32_e32 v1, 0
	v_cmp_gt_i16_sdwa s[10:11], v40, v1 src0_sel:BYTE_0 src1_sel:DWORD
	s_mov_b64 s[8:9], -1
	s_and_b64 vcc, exec, s[10:11]
	s_cbranch_vccz .LBB231_802
; %bb.801:
	v_cvt_i32_f32_e32 v1, v0
	s_mov_b64 s[8:9], 0
	global_store_byte v[2:3], v1, off
.LBB231_802:
	s_andn2_b64 vcc, exec, s[8:9]
	s_cbranch_vccnz .LBB231_804
; %bb.803:
	v_trunc_f32_e32 v0, v0
	s_mov_b32 s8, 0x2f800000
	v_mul_f32_e64 v1, |v0|, s8
	v_floor_f32_e32 v1, v1
	s_mov_b32 s8, 0xcf800000
	v_fma_f32 v1, v1, s8, |v0|
	v_cvt_u32_f32_e32 v1, v1
	v_ashrrev_i32_e32 v0, 31, v0
	v_xor_b32_e32 v1, v1, v0
	v_sub_u32_e32 v0, v1, v0
	global_store_byte v[2:3], v0, off
.LBB231_804:
	s_mov_b64 s[8:9], -1
.LBB231_805:
	s_andn2_b64 vcc, exec, s[8:9]
	s_cbranch_vccnz .LBB231_807
; %bb.806:
	v_add_u32_e32 v42, 0x80, v42
	s_mov_b64 s[8:9], -1
	s_branch .LBB231_282
.LBB231_807:
	s_mov_b64 s[8:9], 0
                                        ; implicit-def: $vgpr42
	s_branch .LBB231_282
.LBB231_808:
	s_mov_b64 s[8:9], -1
	s_mov_b64 s[6:7], 0
	s_mov_b64 s[80:81], s[68:69]
                                        ; implicit-def: $vgpr2
	s_branch .LBB231_812
.LBB231_809:
	s_or_saveexec_b64 s[12:13], s[12:13]
                                        ; implicit-def: $sgpr14
	s_xor_b64 exec, exec, s[12:13]
	s_cbranch_execz .LBB231_718
.LBB231_810:
	s_mov_b32 s14, 0x46000000
	v_add_f32_e64 v1, |v0|, s14
	v_and_b32_e32 v1, 0xff, v1
	v_cmp_ne_u32_e32 vcc, 0, v1
	s_andn2_b64 s[10:11], s[10:11], exec
	s_and_b64 s[16:17], vcc, exec
	s_mov_b32 s14, 0
	s_or_b64 s[10:11], s[10:11], s[16:17]
	s_or_b64 exec, exec, s[12:13]
	v_mov_b32_e32 v4, s14
	s_and_saveexec_b64 s[12:13], s[10:11]
	s_cbranch_execnz .LBB231_719
	s_branch .LBB231_720
.LBB231_811:
	s_mov_b64 s[80:81], -1
                                        ; implicit-def: $vgpr2
	s_mov_b64 s[6:7], 0
.LBB231_812:
	s_and_b64 vcc, exec, s[8:9]
	s_cbranch_vccz .LBB231_818
; %bb.813:
	v_cmp_eq_u16_e32 vcc, 44, v41
	s_cbranch_vccz .LBB231_817
; %bb.814:
	global_load_ubyte v2, v[4:5], off
	s_movk_i32 s8, 0xff
	v_mov_b32_e32 v3, 0x7f800001
	v_mov_b32_e32 v6, 0x400000
	s_mov_b64 s[6:7], -1
	s_mov_b64 s[80:81], 0
	s_waitcnt vmcnt(0)
	v_lshlrev_b32_e32 v7, 23, v2
	v_cmp_ne_u32_e32 vcc, s8, v2
	v_cndmask_b32_e32 v3, v3, v7, vcc
	v_cmp_ne_u32_e32 vcc, 0, v2
	v_cndmask_b32_e32 v2, v6, v3, vcc
	s_branch .LBB231_818
.LBB231_815:
	s_or_saveexec_b64 s[12:13], s[12:13]
                                        ; implicit-def: $sgpr14
	s_xor_b64 exec, exec, s[12:13]
	s_cbranch_execz .LBB231_731
.LBB231_816:
	s_mov_b32 s14, 0x42800000
	v_add_f32_e64 v1, |v0|, s14
	v_and_b32_e32 v1, 0xff, v1
	v_cmp_ne_u32_e32 vcc, 0, v1
	s_andn2_b64 s[10:11], s[10:11], exec
	s_and_b64 s[16:17], vcc, exec
	s_mov_b32 s14, 0
	s_or_b64 s[10:11], s[10:11], s[16:17]
	s_or_b64 exec, exec, s[12:13]
	v_mov_b32_e32 v4, s14
	s_and_saveexec_b64 s[12:13], s[10:11]
	s_cbranch_execnz .LBB231_732
	s_branch .LBB231_733
.LBB231_817:
	s_mov_b64 s[80:81], -1
                                        ; implicit-def: $vgpr2
.LBB231_818:
	s_mov_b64 s[8:9], 0
.LBB231_819:
	s_and_b64 vcc, exec, s[8:9]
	s_cbranch_vccz .LBB231_823
; %bb.820:
	v_cmp_eq_u16_e32 vcc, 29, v41
	s_cbranch_vccz .LBB231_822
; %bb.821:
	global_load_dwordx2 v[2:3], v[4:5], off
	s_mov_b64 s[6:7], -1
	s_mov_b64 s[80:81], 0
	s_mov_b64 s[8:9], 0
	s_waitcnt vmcnt(0)
	v_ffbh_u32_e32 v6, v3
	v_min_u32_e32 v6, 32, v6
	v_lshlrev_b64 v[2:3], v6, v[2:3]
	v_min_u32_e32 v2, 1, v2
	v_or_b32_e32 v2, v3, v2
	v_cvt_f32_u32_e32 v2, v2
	v_sub_u32_e32 v3, 32, v6
	v_ldexp_f32 v2, v2, v3
	s_branch .LBB231_824
.LBB231_822:
	s_mov_b64 s[80:81], -1
                                        ; implicit-def: $vgpr2
.LBB231_823:
	s_mov_b64 s[8:9], 0
.LBB231_824:
	s_and_b64 vcc, exec, s[8:9]
	s_cbranch_vccz .LBB231_842
; %bb.825:
	v_cmp_gt_i16_e32 vcc, 27, v41
	s_cbranch_vccnz .LBB231_828
; %bb.826:
	v_cmp_lt_i16_e32 vcc, 27, v41
	s_cbranch_vccz .LBB231_829
; %bb.827:
	global_load_dword v2, v[4:5], off
	s_mov_b64 s[6:7], 0
	s_waitcnt vmcnt(0)
	v_cvt_f32_u32_e32 v2, v2
	s_branch .LBB231_830
.LBB231_828:
	s_mov_b64 s[6:7], -1
                                        ; implicit-def: $vgpr2
	s_branch .LBB231_833
.LBB231_829:
	s_mov_b64 s[6:7], -1
                                        ; implicit-def: $vgpr2
.LBB231_830:
	s_andn2_b64 vcc, exec, s[6:7]
	s_cbranch_vccnz .LBB231_832
; %bb.831:
	global_load_ushort v2, v[4:5], off
	s_waitcnt vmcnt(0)
	v_cvt_f32_u32_e32 v2, v2
.LBB231_832:
	s_mov_b64 s[6:7], 0
.LBB231_833:
	s_andn2_b64 vcc, exec, s[6:7]
	s_cbranch_vccnz .LBB231_841
; %bb.834:
	global_load_ubyte v3, v[4:5], off
	s_movk_i32 s6, 0x7f
                                        ; implicit-def: $sgpr12
	s_waitcnt vmcnt(0)
	v_cmp_lt_i16_e32 vcc, s6, v3
	s_mov_b64 s[6:7], 0
	s_and_saveexec_b64 s[8:9], vcc
	s_xor_b64 s[8:9], exec, s[8:9]
	s_cbranch_execz .LBB231_855
; %bb.835:
	s_movk_i32 s6, 0x80
	v_cmp_eq_u16_e32 vcc, s6, v3
	s_mov_b64 s[6:7], -1
                                        ; implicit-def: $sgpr12
	s_and_saveexec_b64 s[10:11], vcc
; %bb.836:
	s_mov_b32 s12, 0x7f800001
	s_xor_b64 s[6:7], exec, -1
; %bb.837:
	s_or_b64 exec, exec, s[10:11]
	s_and_b64 s[6:7], s[6:7], exec
	s_or_saveexec_b64 s[8:9], s[8:9]
	v_mov_b32_e32 v2, s12
	s_xor_b64 exec, exec, s[8:9]
	s_cbranch_execnz .LBB231_856
.LBB231_838:
	s_or_b64 exec, exec, s[8:9]
	s_and_saveexec_b64 s[8:9], s[6:7]
	s_cbranch_execz .LBB231_840
.LBB231_839:
	v_lshlrev_b32_e32 v2, 24, v3
	v_and_b32_e32 v3, 0xffff, v3
	v_and_b32_e32 v6, 7, v3
	v_ffbh_u32_e32 v8, v6
	v_min_u32_e32 v8, 32, v8
	v_subrev_u32_e32 v9, 28, v8
	v_bfe_u32 v7, v3, 3, 4
	v_lshlrev_b32_e32 v3, v9, v3
	v_sub_u32_e32 v8, 29, v8
	v_and_b32_e32 v3, 7, v3
	v_cmp_eq_u32_e32 vcc, 0, v7
	v_cndmask_b32_e32 v7, v7, v8, vcc
	v_cndmask_b32_e32 v3, v6, v3, vcc
	v_mov_b32_e32 v6, 0x3b800000
	v_lshlrev_b32_e32 v3, 20, v3
	v_and_b32_e32 v2, 0x80000000, v2
	v_lshl_add_u32 v6, v7, 23, v6
	v_or3_b32 v2, v2, v6, v3
.LBB231_840:
	s_or_b64 exec, exec, s[8:9]
.LBB231_841:
	s_mov_b64 s[6:7], -1
.LBB231_842:
	s_mov_b64 s[8:9], 0
.LBB231_843:
	s_and_b64 vcc, exec, s[8:9]
	s_cbranch_vccz .LBB231_878
; %bb.844:
	v_cmp_lt_i16_e32 vcc, 22, v41
	s_cbranch_vccz .LBB231_854
; %bb.845:
	v_cmp_gt_i16_e32 vcc, 24, v41
	s_cbranch_vccnz .LBB231_857
; %bb.846:
	v_cmp_lt_i16_e32 vcc, 24, v41
	s_cbranch_vccz .LBB231_858
; %bb.847:
	global_load_ubyte v3, v[4:5], off
	s_movk_i32 s6, 0x7f
                                        ; implicit-def: $sgpr12
	s_waitcnt vmcnt(0)
	v_cmp_lt_i16_e32 vcc, s6, v3
	s_mov_b64 s[6:7], 0
	s_and_saveexec_b64 s[8:9], vcc
	s_xor_b64 s[8:9], exec, s[8:9]
	s_cbranch_execz .LBB231_870
; %bb.848:
	s_movk_i32 s6, 0x80
	v_cmp_eq_u16_e32 vcc, s6, v3
	s_mov_b64 s[6:7], -1
                                        ; implicit-def: $sgpr12
	s_and_saveexec_b64 s[10:11], vcc
; %bb.849:
	s_mov_b32 s12, 0x7f800001
	s_xor_b64 s[6:7], exec, -1
; %bb.850:
	s_or_b64 exec, exec, s[10:11]
	s_and_b64 s[6:7], s[6:7], exec
	s_or_saveexec_b64 s[8:9], s[8:9]
	v_mov_b32_e32 v2, s12
	s_xor_b64 exec, exec, s[8:9]
	s_cbranch_execnz .LBB231_871
.LBB231_851:
	s_or_b64 exec, exec, s[8:9]
	s_and_saveexec_b64 s[8:9], s[6:7]
	s_cbranch_execz .LBB231_853
.LBB231_852:
	v_lshlrev_b32_e32 v2, 24, v3
	v_and_b32_e32 v3, 0xffff, v3
	v_and_b32_e32 v6, 3, v3
	v_ffbh_u32_e32 v8, v6
	v_min_u32_e32 v8, 32, v8
	v_subrev_u32_e32 v9, 29, v8
	v_bfe_u32 v7, v3, 2, 5
	v_lshlrev_b32_e32 v3, v9, v3
	v_sub_u32_e32 v8, 30, v8
	v_and_b32_e32 v3, 3, v3
	v_cmp_eq_u32_e32 vcc, 0, v7
	v_cndmask_b32_e32 v7, v7, v8, vcc
	v_cndmask_b32_e32 v3, v6, v3, vcc
	v_mov_b32_e32 v6, 0x37800000
	v_lshlrev_b32_e32 v3, 21, v3
	v_and_b32_e32 v2, 0x80000000, v2
	v_lshl_add_u32 v6, v7, 23, v6
	v_or3_b32 v2, v2, v6, v3
.LBB231_853:
	s_or_b64 exec, exec, s[8:9]
	s_mov_b64 s[6:7], 0
	s_branch .LBB231_859
.LBB231_854:
	s_mov_b64 s[8:9], -1
                                        ; implicit-def: $vgpr2
	s_branch .LBB231_865
.LBB231_855:
	s_or_saveexec_b64 s[8:9], s[8:9]
	v_mov_b32_e32 v2, s12
	s_xor_b64 exec, exec, s[8:9]
	s_cbranch_execz .LBB231_838
.LBB231_856:
	v_cmp_ne_u16_e32 vcc, 0, v3
	s_andn2_b64 s[6:7], s[6:7], exec
	s_and_b64 s[10:11], vcc, exec
	v_mov_b32_e32 v2, 0
	s_or_b64 s[6:7], s[6:7], s[10:11]
	s_or_b64 exec, exec, s[8:9]
	s_and_saveexec_b64 s[8:9], s[6:7]
	s_cbranch_execnz .LBB231_839
	s_branch .LBB231_840
.LBB231_857:
	s_mov_b64 s[6:7], -1
                                        ; implicit-def: $vgpr2
	s_branch .LBB231_862
.LBB231_858:
	s_mov_b64 s[6:7], -1
                                        ; implicit-def: $vgpr2
.LBB231_859:
	s_and_b64 vcc, exec, s[6:7]
	s_cbranch_vccz .LBB231_861
; %bb.860:
	global_load_ubyte v2, v[4:5], off
	s_mov_b32 s6, 0x7f800000
	s_waitcnt vmcnt(0)
	v_lshlrev_b32_e32 v2, 24, v2
	v_and_b32_e32 v3, 0x7f000000, v2
	v_ffbh_u32_e32 v6, v3
	v_min_u32_e32 v6, 32, v6
	v_sub_u32_e64 v6, v6, 4 clamp
	v_lshlrev_b32_e32 v8, v6, v3
	v_lshlrev_b32_e32 v6, 23, v6
	v_lshrrev_b32_e32 v8, 4, v8
	v_add_u32_e32 v7, 0x1000000, v3
	v_sub_u32_e32 v6, v8, v6
	v_ashrrev_i32_e32 v7, 8, v7
	v_add_u32_e32 v6, 0x3c000000, v6
	v_and_or_b32 v6, v7, s6, v6
	v_cmp_ne_u32_e32 vcc, 0, v3
	v_cndmask_b32_e32 v3, 0, v6, vcc
	s_brev_b32 s6, 1
	v_and_or_b32 v2, v2, s6, v3
.LBB231_861:
	s_mov_b64 s[6:7], 0
.LBB231_862:
	s_andn2_b64 vcc, exec, s[6:7]
	s_cbranch_vccnz .LBB231_864
; %bb.863:
	global_load_ubyte v2, v[4:5], off
	s_movk_i32 s6, 0x7f00
	s_brev_b32 s7, 16
	s_waitcnt vmcnt(0)
	v_lshlrev_b16_e32 v3, 8, v2
	v_lshlrev_b32_e32 v2, 25, v2
	v_lshrrev_b32_e32 v6, 4, v2
	v_and_or_b32 v7, v3, s6, 0.5
	v_or_b32_e32 v6, 0x70000000, v6
	v_add_f32_e32 v7, -0.5, v7
	v_mul_f32_e32 v6, 0x7800000, v6
	v_cmp_gt_u32_e32 vcc, s7, v2
	v_bfe_i32 v3, v3, 0, 16
	v_cndmask_b32_e32 v2, v6, v7, vcc
	s_brev_b32 s6, 1
	v_and_or_b32 v2, v3, s6, v2
.LBB231_864:
	s_mov_b64 s[8:9], 0
	s_mov_b64 s[6:7], -1
.LBB231_865:
	s_andn2_b64 vcc, exec, s[8:9]
	s_cbranch_vccnz .LBB231_878
; %bb.866:
	v_cmp_lt_i16_e32 vcc, 14, v41
	s_cbranch_vccz .LBB231_869
; %bb.867:
	v_cmp_eq_u16_e32 vcc, 15, v41
	s_cbranch_vccz .LBB231_872
; %bb.868:
	global_load_ushort v2, v[4:5], off
	s_mov_b64 s[6:7], -1
	s_mov_b64 s[80:81], 0
	s_waitcnt vmcnt(0)
	v_lshlrev_b32_e32 v2, 16, v2
	s_branch .LBB231_873
.LBB231_869:
	s_mov_b64 s[8:9], -1
                                        ; implicit-def: $vgpr2
	s_branch .LBB231_874
.LBB231_870:
	s_or_saveexec_b64 s[8:9], s[8:9]
	v_mov_b32_e32 v2, s12
	s_xor_b64 exec, exec, s[8:9]
	s_cbranch_execz .LBB231_851
.LBB231_871:
	v_cmp_ne_u16_e32 vcc, 0, v3
	s_andn2_b64 s[6:7], s[6:7], exec
	s_and_b64 s[10:11], vcc, exec
	v_mov_b32_e32 v2, 0
	s_or_b64 s[6:7], s[6:7], s[10:11]
	s_or_b64 exec, exec, s[8:9]
	s_and_saveexec_b64 s[8:9], s[6:7]
	s_cbranch_execnz .LBB231_852
	s_branch .LBB231_853
.LBB231_872:
	s_mov_b64 s[80:81], -1
                                        ; implicit-def: $vgpr2
.LBB231_873:
	s_mov_b64 s[8:9], 0
.LBB231_874:
	s_and_b64 vcc, exec, s[8:9]
	s_cbranch_vccz .LBB231_878
; %bb.875:
	v_cmp_eq_u16_e32 vcc, 11, v41
	s_cbranch_vccz .LBB231_877
; %bb.876:
	global_load_ubyte v2, v[4:5], off
	s_mov_b64 s[6:7], -1
	s_mov_b64 s[80:81], 0
	s_waitcnt vmcnt(0)
	v_cmp_ne_u16_e32 vcc, 0, v2
	v_cndmask_b32_e64 v2, 0, 1.0, vcc
	s_branch .LBB231_878
.LBB231_877:
	s_mov_b64 s[80:81], -1
                                        ; implicit-def: $vgpr2
.LBB231_878:
	s_mov_b64 s[8:9], 0
.LBB231_879:
	s_and_b64 vcc, exec, s[8:9]
	s_cbranch_vccz .LBB231_928
; %bb.880:
	v_cmp_gt_i16_e32 vcc, 5, v41
	s_cbranch_vccnz .LBB231_885
; %bb.881:
	v_cmp_gt_i16_e32 vcc, 8, v41
	s_cbranch_vccnz .LBB231_886
	;; [unrolled: 3-line block ×3, first 2 shown]
; %bb.883:
	v_cmp_lt_i16_e32 vcc, 9, v41
	s_cbranch_vccz .LBB231_888
; %bb.884:
	global_load_dwordx2 v[2:3], v[4:5], off
	s_mov_b64 s[6:7], 0
	s_waitcnt vmcnt(0)
	v_cvt_f32_f64_e32 v2, v[2:3]
	s_branch .LBB231_889
.LBB231_885:
	s_mov_b64 s[6:7], -1
                                        ; implicit-def: $vgpr2
	s_branch .LBB231_907
.LBB231_886:
	s_mov_b64 s[6:7], -1
                                        ; implicit-def: $vgpr2
	s_branch .LBB231_895
.LBB231_887:
	s_mov_b64 s[6:7], -1
                                        ; implicit-def: $vgpr2
	s_branch .LBB231_892
.LBB231_888:
	s_mov_b64 s[6:7], -1
                                        ; implicit-def: $vgpr2
.LBB231_889:
	s_andn2_b64 vcc, exec, s[6:7]
	s_cbranch_vccnz .LBB231_891
; %bb.890:
	global_load_dword v2, v[4:5], off
.LBB231_891:
	s_mov_b64 s[6:7], 0
.LBB231_892:
	s_andn2_b64 vcc, exec, s[6:7]
	s_cbranch_vccnz .LBB231_894
; %bb.893:
	global_load_dword v2, v[4:5], off
	s_waitcnt vmcnt(0)
	v_cvt_f32_f16_e32 v2, v2
.LBB231_894:
	s_mov_b64 s[6:7], 0
.LBB231_895:
	s_andn2_b64 vcc, exec, s[6:7]
	s_cbranch_vccnz .LBB231_906
; %bb.896:
	v_cmp_gt_i16_e32 vcc, 6, v41
	s_cbranch_vccnz .LBB231_899
; %bb.897:
	v_cmp_lt_i16_e32 vcc, 6, v41
	s_cbranch_vccz .LBB231_900
; %bb.898:
	global_load_dwordx2 v[2:3], v[4:5], off
	s_mov_b64 s[6:7], 0
	s_waitcnt vmcnt(0)
	v_cvt_f32_f64_e32 v2, v[2:3]
	s_branch .LBB231_901
.LBB231_899:
	s_mov_b64 s[6:7], -1
                                        ; implicit-def: $vgpr2
	s_branch .LBB231_904
.LBB231_900:
	s_mov_b64 s[6:7], -1
                                        ; implicit-def: $vgpr2
.LBB231_901:
	s_andn2_b64 vcc, exec, s[6:7]
	s_cbranch_vccnz .LBB231_903
; %bb.902:
	global_load_dword v2, v[4:5], off
.LBB231_903:
	s_mov_b64 s[6:7], 0
.LBB231_904:
	s_andn2_b64 vcc, exec, s[6:7]
	s_cbranch_vccnz .LBB231_906
; %bb.905:
	global_load_ushort v2, v[4:5], off
	s_waitcnt vmcnt(0)
	v_cvt_f32_f16_e32 v2, v2
.LBB231_906:
	s_mov_b64 s[6:7], 0
.LBB231_907:
	s_andn2_b64 vcc, exec, s[6:7]
	s_cbranch_vccnz .LBB231_927
; %bb.908:
	v_cmp_gt_i16_e32 vcc, 2, v41
	s_cbranch_vccnz .LBB231_912
; %bb.909:
	v_cmp_gt_i16_e32 vcc, 3, v41
	s_cbranch_vccnz .LBB231_913
; %bb.910:
	v_cmp_lt_i16_e32 vcc, 3, v41
	s_cbranch_vccz .LBB231_914
; %bb.911:
	global_load_dwordx2 v[2:3], v[4:5], off
	s_mov_b64 s[6:7], 0
	s_waitcnt vmcnt(0)
	v_xor_b32_e32 v7, v2, v3
	v_ffbh_i32_e32 v6, v3
	v_ashrrev_i32_e32 v7, 31, v7
	v_add_u32_e32 v6, -1, v6
	v_add_u32_e32 v7, 32, v7
	v_min_u32_e32 v6, v6, v7
	v_lshlrev_b64 v[2:3], v6, v[2:3]
	v_min_u32_e32 v2, 1, v2
	v_or_b32_e32 v2, v3, v2
	v_cvt_f32_i32_e32 v2, v2
	v_sub_u32_e32 v3, 32, v6
	v_ldexp_f32 v2, v2, v3
	s_branch .LBB231_915
.LBB231_912:
	s_mov_b64 s[6:7], -1
                                        ; implicit-def: $vgpr2
	s_branch .LBB231_921
.LBB231_913:
	s_mov_b64 s[6:7], -1
                                        ; implicit-def: $vgpr2
	s_branch .LBB231_918
.LBB231_914:
	s_mov_b64 s[6:7], -1
                                        ; implicit-def: $vgpr2
.LBB231_915:
	s_andn2_b64 vcc, exec, s[6:7]
	s_cbranch_vccnz .LBB231_917
; %bb.916:
	global_load_dword v2, v[4:5], off
	s_waitcnt vmcnt(0)
	v_cvt_f32_i32_e32 v2, v2
.LBB231_917:
	s_mov_b64 s[6:7], 0
.LBB231_918:
	s_andn2_b64 vcc, exec, s[6:7]
	s_cbranch_vccnz .LBB231_920
; %bb.919:
	global_load_sshort v2, v[4:5], off
	s_waitcnt vmcnt(0)
	v_cvt_f32_i32_e32 v2, v2
.LBB231_920:
	s_mov_b64 s[6:7], 0
.LBB231_921:
	s_andn2_b64 vcc, exec, s[6:7]
	s_cbranch_vccnz .LBB231_927
; %bb.922:
	v_cmp_lt_i16_e32 vcc, 0, v41
	s_cbranch_vccz .LBB231_924
; %bb.923:
	global_load_sbyte v2, v[4:5], off
	s_mov_b64 s[6:7], 0
	s_waitcnt vmcnt(0)
	v_cvt_f32_i32_e32 v2, v2
	s_branch .LBB231_925
.LBB231_924:
	s_mov_b64 s[6:7], -1
                                        ; implicit-def: $vgpr2
.LBB231_925:
	s_andn2_b64 vcc, exec, s[6:7]
	s_cbranch_vccnz .LBB231_927
; %bb.926:
	global_load_ubyte v2, v[4:5], off
	s_waitcnt vmcnt(0)
	v_cvt_f32_ubyte0_e32 v2, v2
.LBB231_927:
	s_mov_b64 s[6:7], -1
.LBB231_928:
	s_andn2_b64 vcc, exec, s[6:7]
	s_cbranch_vccnz .LBB231_936
; %bb.929:
	s_mov_b64 s[82:83], s[4:5]
	s_getpc_b64 s[4:5]
	s_add_u32 s4, s4, _ZZZZN2at6native28launch_dirichlet_grad_kernelERNS_18TensorIteratorBaseEENKUlvE_clEvENKUlvE0_clEvENKUlfffE_clEfff@rel32@lo+4
	s_addc_u32 s5, s5, _ZZZZN2at6native28launch_dirichlet_grad_kernelERNS_18TensorIteratorBaseEENKUlvE_clEvENKUlvE0_clEvENKUlfffE_clEfff@rel32@hi+12
	s_swappc_b64 s[30:31], s[4:5]
	v_mov_b32_e32 v1, s37
	v_add_co_u32_e32 v2, vcc, s36, v38
	v_addc_co_u32_e32 v3, vcc, 0, v1, vcc
	v_mov_b32_e32 v1, 11
	v_cmp_lt_i16_sdwa s[4:5], v40, v1 src0_sel:BYTE_0 src1_sel:DWORD
	s_and_b64 vcc, exec, s[4:5]
	s_cbranch_vccnz .LBB231_937
; %bb.930:
	v_mov_b32_e32 v1, 25
	v_cmp_gt_i16_sdwa s[4:5], v40, v1 src0_sel:BYTE_0 src1_sel:DWORD
	s_and_b64 vcc, exec, s[4:5]
	s_cbranch_vccz .LBB231_938
; %bb.931:
	v_mov_b32_e32 v1, 28
	v_cmp_gt_i16_sdwa s[4:5], v40, v1 src0_sel:BYTE_0 src1_sel:DWORD
	s_and_b64 vcc, exec, s[4:5]
	s_mov_b64 s[4:5], s[82:83]
	s_cbranch_vccz .LBB231_939
; %bb.932:
	v_mov_b32_e32 v1, 43
	v_cmp_gt_i16_sdwa s[6:7], v40, v1 src0_sel:BYTE_0 src1_sel:DWORD
	s_and_b64 vcc, exec, s[6:7]
	s_cbranch_vccz .LBB231_940
; %bb.933:
	v_mov_b32_e32 v1, 45
	v_cmp_gt_i16_sdwa s[6:7], v40, v1 src0_sel:BYTE_0 src1_sel:DWORD
	s_and_b64 vcc, exec, s[6:7]
	s_cbranch_vccz .LBB231_941
; %bb.934:
	v_mov_b32_e32 v1, 46
	v_cmp_eq_u16_sdwa s[8:9], v40, v1 src0_sel:BYTE_0 src1_sel:DWORD
	s_mov_b64 s[10:11], 0
	s_mov_b64 s[6:7], -1
	s_and_b64 vcc, exec, s[8:9]
	s_mov_b64 s[8:9], 0
	s_cbranch_vccz .LBB231_942
; %bb.935:
	v_bfe_u32 v1, v0, 16, 1
	s_movk_i32 s6, 0x7fff
	v_add3_u32 v1, v0, v1, s6
	v_lshrrev_b32_e32 v1, 16, v1
	v_mov_b32_e32 v4, 0x7fc0
	v_cmp_o_f32_e32 vcc, v0, v0
	v_cndmask_b32_e32 v1, v4, v1, vcc
	global_store_dword v[2:3], v1, off
	s_mov_b64 s[8:9], -1
	s_mov_b64 s[6:7], 0
	s_branch .LBB231_942
.LBB231_936:
	s_mov_b64 s[8:9], 0
                                        ; implicit-def: $vgpr42
	s_mov_b64 s[6:7], s[66:67]
	s_branch .LBB231_1052
.LBB231_937:
	s_mov_b64 s[10:11], -1
	s_mov_b64 s[8:9], 0
	s_mov_b64 s[6:7], s[66:67]
	;; [unrolled: 1-line block ×3, first 2 shown]
	s_branch .LBB231_1011
.LBB231_938:
	s_mov_b64 s[10:11], -1
	s_mov_b64 s[8:9], 0
	s_mov_b64 s[6:7], s[66:67]
	;; [unrolled: 1-line block ×3, first 2 shown]
	s_branch .LBB231_969
.LBB231_939:
	s_mov_b64 s[10:11], -1
	s_mov_b64 s[8:9], 0
	s_mov_b64 s[6:7], s[66:67]
	s_branch .LBB231_952
.LBB231_940:
	s_mov_b64 s[10:11], -1
	s_mov_b64 s[8:9], 0
	s_mov_b64 s[6:7], s[66:67]
	s_branch .LBB231_948
.LBB231_941:
	s_mov_b64 s[10:11], -1
	s_mov_b64 s[8:9], 0
	s_mov_b64 s[6:7], s[66:67]
.LBB231_942:
	s_and_b64 vcc, exec, s[10:11]
	s_cbranch_vccz .LBB231_947
; %bb.943:
	v_mov_b32_e32 v1, 44
	v_cmp_eq_u16_sdwa s[10:11], v40, v1 src0_sel:BYTE_0 src1_sel:DWORD
	s_mov_b64 s[6:7], -1
	s_and_b64 vcc, exec, s[10:11]
	s_cbranch_vccz .LBB231_947
; %bb.944:
	v_bfe_u32 v1, v0, 23, 8
	s_movk_i32 s6, 0xff
	v_cmp_ne_u32_e32 vcc, s6, v1
	v_mov_b32_e32 v4, 0xff
	s_and_saveexec_b64 s[8:9], vcc
; %bb.945:
	s_mov_b32 s6, 0x3fffff
	v_and_b32_e32 v5, 0x400000, v0
	v_and_or_b32 v1, v0, s6, v1
	v_cmp_ne_u32_e32 vcc, 0, v5
	v_cmp_ne_u32_e64 s[6:7], 0, v1
	s_and_b64 s[6:7], vcc, s[6:7]
	v_lshrrev_b32_e32 v4, 23, v0
	v_cndmask_b32_e64 v1, 0, 1, s[6:7]
	v_add_u32_e32 v4, v4, v1
; %bb.946:
	s_or_b64 exec, exec, s[8:9]
	s_mov_b64 s[8:9], -1
	s_mov_b64 s[6:7], 0
	global_store_byte v[2:3], v4, off
.LBB231_947:
	s_mov_b64 s[10:11], 0
.LBB231_948:
	s_and_b64 vcc, exec, s[10:11]
	s_cbranch_vccz .LBB231_951
; %bb.949:
	v_mov_b32_e32 v1, 29
	v_cmp_eq_u16_sdwa s[10:11], v40, v1 src0_sel:BYTE_0 src1_sel:DWORD
	s_mov_b64 s[6:7], -1
	s_and_b64 vcc, exec, s[10:11]
	s_cbranch_vccz .LBB231_951
; %bb.950:
	v_trunc_f32_e32 v1, v0
	v_mul_f32_e32 v4, 0x2f800000, v1
	v_floor_f32_e32 v4, v4
	v_fmac_f32_e32 v1, 0xcf800000, v4
	v_cvt_u32_f32_e32 v5, v4
	v_cvt_u32_f32_e32 v4, v1
	s_mov_b64 s[8:9], -1
	s_mov_b64 s[6:7], 0
	s_mov_b64 s[10:11], 0
	global_store_dwordx2 v[2:3], v[4:5], off
	s_branch .LBB231_952
.LBB231_951:
	s_mov_b64 s[10:11], 0
.LBB231_952:
	s_and_b64 vcc, exec, s[10:11]
	s_cbranch_vccz .LBB231_968
; %bb.953:
	v_mov_b32_e32 v1, 27
	v_cmp_lt_i16_sdwa s[10:11], v40, v1 src0_sel:BYTE_0 src1_sel:DWORD
	s_mov_b64 s[8:9], -1
	s_and_b64 vcc, exec, s[10:11]
	s_cbranch_vccnz .LBB231_959
; %bb.954:
	v_cmp_gt_i16_sdwa s[10:11], v40, v1 src0_sel:BYTE_0 src1_sel:DWORD
	s_and_b64 vcc, exec, s[10:11]
	s_cbranch_vccz .LBB231_956
; %bb.955:
	v_cvt_u32_f32_e32 v1, v0
	s_mov_b64 s[8:9], 0
	global_store_dword v[2:3], v1, off
.LBB231_956:
	s_andn2_b64 vcc, exec, s[8:9]
	s_cbranch_vccnz .LBB231_958
; %bb.957:
	v_cvt_u32_f32_e32 v1, v0
	global_store_short v[2:3], v1, off
.LBB231_958:
	s_mov_b64 s[8:9], 0
.LBB231_959:
	s_andn2_b64 vcc, exec, s[8:9]
	s_cbranch_vccnz .LBB231_967
; %bb.960:
	v_and_b32_e32 v1, 0x7fffffff, v0
	s_mov_b32 s8, 0x43800000
	v_cmp_gt_u32_e32 vcc, s8, v1
	v_mov_b32_e32 v4, 0x80
	s_and_saveexec_b64 s[8:9], vcc
	s_cbranch_execz .LBB231_966
; %bb.961:
	s_mov_b32 s10, 0x3bffffff
	v_cmp_lt_u32_e32 vcc, s10, v1
	s_mov_b64 s[10:11], 0
                                        ; implicit-def: $vgpr1
	s_and_saveexec_b64 s[12:13], vcc
	s_xor_b64 s[12:13], exec, s[12:13]
	s_cbranch_execz .LBB231_1209
; %bb.962:
	v_bfe_u32 v1, v0, 20, 1
	s_mov_b32 s14, 0x487ffff
	v_add3_u32 v1, v0, v1, s14
	s_mov_b64 s[10:11], exec
	v_lshrrev_b32_e32 v1, 20, v1
	s_or_saveexec_b64 s[12:13], s[12:13]
                                        ; implicit-def: $sgpr14
	s_xor_b64 exec, exec, s[12:13]
	s_cbranch_execnz .LBB231_1210
.LBB231_963:
	s_or_b64 exec, exec, s[12:13]
	v_mov_b32_e32 v4, s14
	s_and_saveexec_b64 s[12:13], s[10:11]
.LBB231_964:
	v_lshrrev_b32_e32 v4, 24, v0
	s_movk_i32 s10, 0x80
	v_and_or_b32 v4, v4, s10, v1
.LBB231_965:
	s_or_b64 exec, exec, s[12:13]
.LBB231_966:
	s_or_b64 exec, exec, s[8:9]
	global_store_byte v[2:3], v4, off
.LBB231_967:
	s_mov_b64 s[8:9], -1
.LBB231_968:
	s_mov_b64 s[10:11], 0
.LBB231_969:
	s_and_b64 vcc, exec, s[10:11]
	s_cbranch_vccz .LBB231_1010
; %bb.970:
	v_mov_b32_e32 v1, 22
	v_cmp_gt_i16_sdwa s[12:13], v40, v1 src0_sel:BYTE_0 src1_sel:DWORD
	s_mov_b64 s[10:11], -1
	s_and_b64 vcc, exec, s[12:13]
	s_cbranch_vccz .LBB231_1002
; %bb.971:
	v_mov_b32_e32 v1, 24
	v_cmp_lt_i16_sdwa s[10:11], v40, v1 src0_sel:BYTE_0 src1_sel:DWORD
	s_mov_b64 s[8:9], -1
	s_and_b64 vcc, exec, s[10:11]
	s_cbranch_vccnz .LBB231_991
; %bb.972:
	v_cmp_gt_i16_sdwa s[10:11], v40, v1 src0_sel:BYTE_0 src1_sel:DWORD
	s_and_b64 vcc, exec, s[10:11]
	s_cbranch_vccz .LBB231_980
; %bb.973:
	v_and_b32_e32 v1, 0x7fffffff, v0
	s_mov_b32 s8, 0x47800000
	v_cmp_gt_u32_e32 vcc, s8, v1
	v_mov_b32_e32 v4, 0x80
	s_and_saveexec_b64 s[8:9], vcc
	s_cbranch_execz .LBB231_979
; %bb.974:
	s_mov_b32 s10, 0x37ffffff
	v_cmp_lt_u32_e32 vcc, s10, v1
	s_mov_b64 s[10:11], 0
                                        ; implicit-def: $vgpr1
	s_and_saveexec_b64 s[12:13], vcc
	s_xor_b64 s[12:13], exec, s[12:13]
	s_cbranch_execz .LBB231_1340
; %bb.975:
	v_bfe_u32 v1, v0, 21, 1
	s_mov_b32 s14, 0x88fffff
	v_add3_u32 v1, v0, v1, s14
	s_mov_b64 s[10:11], exec
	v_lshrrev_b32_e32 v1, 21, v1
	s_or_saveexec_b64 s[12:13], s[12:13]
                                        ; implicit-def: $sgpr14
	s_xor_b64 exec, exec, s[12:13]
	s_cbranch_execnz .LBB231_1341
.LBB231_976:
	s_or_b64 exec, exec, s[12:13]
	v_mov_b32_e32 v4, s14
	s_and_saveexec_b64 s[12:13], s[10:11]
.LBB231_977:
	v_lshrrev_b32_e32 v4, 24, v0
	s_movk_i32 s10, 0x80
	v_and_or_b32 v4, v4, s10, v1
.LBB231_978:
	s_or_b64 exec, exec, s[12:13]
.LBB231_979:
	s_or_b64 exec, exec, s[8:9]
	s_mov_b64 s[8:9], 0
	global_store_byte v[2:3], v4, off
.LBB231_980:
	s_and_b64 vcc, exec, s[8:9]
	s_cbranch_vccz .LBB231_990
; %bb.981:
	v_and_b32_e32 v4, 0x7fffffff, v0
	s_mov_b32 s8, 0x43f00000
	v_cmp_gt_u32_e32 vcc, s8, v4
                                        ; implicit-def: $vgpr1
	s_and_saveexec_b64 s[8:9], vcc
	s_xor_b64 s[8:9], exec, s[8:9]
	s_cbranch_execz .LBB231_987
; %bb.982:
	s_mov_b32 s10, 0x3c7fffff
	v_cmp_lt_u32_e32 vcc, s10, v4
                                        ; implicit-def: $vgpr1
	s_and_saveexec_b64 s[10:11], vcc
	s_xor_b64 s[10:11], exec, s[10:11]
; %bb.983:
	v_bfe_u32 v1, v0, 20, 1
	s_mov_b32 s12, 0x407ffff
	v_add3_u32 v1, v0, v1, s12
	v_lshrrev_b32_e32 v4, 20, v1
	v_and_b32_e32 v1, 0xff00000, v1
	s_mov_b32 s12, 0x7f00000
	v_mov_b32_e32 v5, 0x7e
	v_cmp_ne_u32_e32 vcc, s12, v1
	v_cndmask_b32_e32 v1, v5, v4, vcc
; %bb.984:
	s_andn2_saveexec_b64 s[10:11], s[10:11]
; %bb.985:
	s_mov_b32 s12, 0x46800000
	v_add_f32_e64 v1, |v0|, s12
; %bb.986:
	s_or_b64 exec, exec, s[10:11]
                                        ; implicit-def: $vgpr4
.LBB231_987:
	s_andn2_saveexec_b64 s[8:9], s[8:9]
; %bb.988:
	s_mov_b32 s10, 0x7f800000
	v_mov_b32_e32 v1, 0x7e
	v_mov_b32_e32 v5, 0x7f
	v_cmp_lt_u32_e32 vcc, s10, v4
	v_cndmask_b32_e32 v1, v1, v5, vcc
; %bb.989:
	s_or_b64 exec, exec, s[8:9]
	v_lshrrev_b32_e32 v4, 24, v0
	s_movk_i32 s8, 0x80
	v_and_or_b32 v1, v4, s8, v1
	global_store_byte v[2:3], v1, off
.LBB231_990:
	s_mov_b64 s[8:9], 0
.LBB231_991:
	s_andn2_b64 vcc, exec, s[8:9]
	s_cbranch_vccnz .LBB231_1001
; %bb.992:
	v_and_b32_e32 v4, 0x7fffffff, v0
	s_mov_b32 s8, 0x47800000
	v_cmp_gt_u32_e32 vcc, s8, v4
                                        ; implicit-def: $vgpr1
	s_and_saveexec_b64 s[8:9], vcc
	s_xor_b64 s[8:9], exec, s[8:9]
	s_cbranch_execz .LBB231_998
; %bb.993:
	s_mov_b32 s10, 0x387fffff
	v_cmp_lt_u32_e32 vcc, s10, v4
                                        ; implicit-def: $vgpr1
	s_and_saveexec_b64 s[10:11], vcc
	s_xor_b64 s[10:11], exec, s[10:11]
; %bb.994:
	v_bfe_u32 v1, v0, 21, 1
	s_mov_b32 s12, 0x80fffff
	v_add3_u32 v1, v0, v1, s12
	v_lshrrev_b32_e32 v1, 21, v1
; %bb.995:
	s_andn2_saveexec_b64 s[10:11], s[10:11]
; %bb.996:
	s_mov_b32 s12, 0x43000000
	v_add_f32_e64 v1, |v0|, s12
; %bb.997:
	s_or_b64 exec, exec, s[10:11]
                                        ; implicit-def: $vgpr4
.LBB231_998:
	s_andn2_saveexec_b64 s[8:9], s[8:9]
; %bb.999:
	s_mov_b32 s10, 0x7f800000
	v_mov_b32_e32 v1, 0x7c
	v_mov_b32_e32 v5, 0x7f
	v_cmp_lt_u32_e32 vcc, s10, v4
	v_cndmask_b32_e32 v1, v1, v5, vcc
; %bb.1000:
	s_or_b64 exec, exec, s[8:9]
	v_lshrrev_b32_e32 v4, 24, v0
	s_movk_i32 s8, 0x80
	v_and_or_b32 v1, v4, s8, v1
	global_store_byte v[2:3], v1, off
.LBB231_1001:
	s_mov_b64 s[10:11], 0
	s_mov_b64 s[8:9], -1
.LBB231_1002:
	s_andn2_b64 vcc, exec, s[10:11]
	s_cbranch_vccnz .LBB231_1010
; %bb.1003:
	v_mov_b32_e32 v1, 14
	v_cmp_gt_i16_sdwa s[12:13], v40, v1 src0_sel:BYTE_0 src1_sel:DWORD
	s_mov_b64 s[10:11], -1
	s_and_b64 vcc, exec, s[12:13]
	s_cbranch_vccz .LBB231_1007
; %bb.1004:
	v_mov_b32_e32 v1, 15
	v_cmp_eq_u16_sdwa s[10:11], v40, v1 src0_sel:BYTE_0 src1_sel:DWORD
	s_mov_b64 s[6:7], -1
	s_and_b64 vcc, exec, s[10:11]
	s_cbranch_vccz .LBB231_1006
; %bb.1005:
	v_bfe_u32 v1, v0, 16, 1
	s_movk_i32 s6, 0x7fff
	v_add3_u32 v1, v0, v1, s6
	v_lshrrev_b32_e32 v1, 16, v1
	v_mov_b32_e32 v4, 0x7fc0
	v_cmp_o_f32_e32 vcc, v0, v0
	v_cndmask_b32_e32 v1, v4, v1, vcc
	global_store_short v[2:3], v1, off
	s_mov_b64 s[8:9], -1
	s_mov_b64 s[6:7], 0
.LBB231_1006:
	s_mov_b64 s[10:11], 0
.LBB231_1007:
	s_and_b64 vcc, exec, s[10:11]
	s_cbranch_vccz .LBB231_1010
; %bb.1008:
	v_mov_b32_e32 v1, 11
	v_cmp_eq_u16_sdwa s[10:11], v40, v1 src0_sel:BYTE_0 src1_sel:DWORD
	s_mov_b64 s[6:7], -1
	s_and_b64 vcc, exec, s[10:11]
	s_cbranch_vccz .LBB231_1010
; %bb.1009:
	v_cmp_neq_f32_e32 vcc, 0, v0
	v_cndmask_b32_e64 v1, 0, 1, vcc
	s_mov_b64 s[8:9], -1
	s_mov_b64 s[6:7], 0
	global_store_byte v[2:3], v1, off
.LBB231_1010:
	s_mov_b64 s[10:11], 0
.LBB231_1011:
	s_and_b64 vcc, exec, s[10:11]
	s_cbranch_vccz .LBB231_1050
; %bb.1012:
	v_mov_b32_e32 v1, 5
	v_cmp_lt_i16_sdwa s[10:11], v40, v1 src0_sel:BYTE_0 src1_sel:DWORD
	s_mov_b64 s[8:9], -1
	s_and_b64 vcc, exec, s[10:11]
	s_cbranch_vccnz .LBB231_1033
; %bb.1013:
	v_mov_b32_e32 v1, 8
	v_cmp_lt_i16_sdwa s[10:11], v40, v1 src0_sel:BYTE_0 src1_sel:DWORD
	s_and_b64 vcc, exec, s[10:11]
	s_cbranch_vccnz .LBB231_1023
; %bb.1014:
	v_mov_b32_e32 v1, 9
	v_cmp_lt_i16_sdwa s[10:11], v40, v1 src0_sel:BYTE_0 src1_sel:DWORD
	s_and_b64 vcc, exec, s[10:11]
	s_cbranch_vccnz .LBB231_1020
; %bb.1015:
	v_cmp_gt_i16_sdwa s[10:11], v40, v1 src0_sel:BYTE_0 src1_sel:DWORD
	s_and_b64 vcc, exec, s[10:11]
	s_cbranch_vccz .LBB231_1017
; %bb.1016:
	v_mov_b32_e32 v6, 0
	v_cvt_f64_f32_e32 v[4:5], v0
	v_mov_b32_e32 v7, v6
	s_mov_b64 s[8:9], 0
	global_store_dwordx4 v[2:3], v[4:7], off
.LBB231_1017:
	s_andn2_b64 vcc, exec, s[8:9]
	s_cbranch_vccnz .LBB231_1019
; %bb.1018:
	v_mov_b32_e32 v1, 0
	global_store_dwordx2 v[2:3], v[0:1], off
.LBB231_1019:
	s_mov_b64 s[8:9], 0
.LBB231_1020:
	s_andn2_b64 vcc, exec, s[8:9]
	s_cbranch_vccnz .LBB231_1022
; %bb.1021:
	v_cvt_f16_f32_e32 v1, v0
	global_store_dword v[2:3], v1, off
.LBB231_1022:
	s_mov_b64 s[8:9], 0
.LBB231_1023:
	s_andn2_b64 vcc, exec, s[8:9]
	s_cbranch_vccnz .LBB231_1032
; %bb.1024:
	v_mov_b32_e32 v1, 6
	v_cmp_lt_i16_sdwa s[10:11], v40, v1 src0_sel:BYTE_0 src1_sel:DWORD
	s_mov_b64 s[8:9], -1
	s_and_b64 vcc, exec, s[10:11]
	s_cbranch_vccnz .LBB231_1030
; %bb.1025:
	v_cmp_gt_i16_sdwa s[10:11], v40, v1 src0_sel:BYTE_0 src1_sel:DWORD
	s_and_b64 vcc, exec, s[10:11]
	s_cbranch_vccz .LBB231_1027
; %bb.1026:
	v_cvt_f64_f32_e32 v[4:5], v0
	s_mov_b64 s[8:9], 0
	global_store_dwordx2 v[2:3], v[4:5], off
.LBB231_1027:
	s_andn2_b64 vcc, exec, s[8:9]
	s_cbranch_vccnz .LBB231_1029
; %bb.1028:
	global_store_dword v[2:3], v0, off
.LBB231_1029:
	s_mov_b64 s[8:9], 0
.LBB231_1030:
	s_andn2_b64 vcc, exec, s[8:9]
	s_cbranch_vccnz .LBB231_1032
; %bb.1031:
	v_cvt_f16_f32_e32 v1, v0
	global_store_short v[2:3], v1, off
.LBB231_1032:
	s_mov_b64 s[8:9], 0
.LBB231_1033:
	s_andn2_b64 vcc, exec, s[8:9]
	s_cbranch_vccnz .LBB231_1049
; %bb.1034:
	v_mov_b32_e32 v1, 2
	v_cmp_lt_i16_sdwa s[10:11], v40, v1 src0_sel:BYTE_0 src1_sel:DWORD
	s_mov_b64 s[8:9], -1
	s_and_b64 vcc, exec, s[10:11]
	s_cbranch_vccnz .LBB231_1044
; %bb.1035:
	v_mov_b32_e32 v1, 3
	v_cmp_lt_i16_sdwa s[10:11], v40, v1 src0_sel:BYTE_0 src1_sel:DWORD
	s_and_b64 vcc, exec, s[10:11]
	s_cbranch_vccnz .LBB231_1041
; %bb.1036:
	v_cmp_gt_i16_sdwa s[10:11], v40, v1 src0_sel:BYTE_0 src1_sel:DWORD
	s_and_b64 vcc, exec, s[10:11]
	s_cbranch_vccz .LBB231_1038
; %bb.1037:
	v_trunc_f32_e32 v1, v0
	s_mov_b32 s8, 0x2f800000
	v_mul_f32_e64 v4, |v1|, s8
	v_floor_f32_e32 v4, v4
	s_mov_b32 s8, 0xcf800000
	v_cvt_u32_f32_e32 v5, v4
	v_fma_f32 v4, v4, s8, |v1|
	v_cvt_u32_f32_e32 v4, v4
	v_ashrrev_i32_e32 v1, 31, v1
	v_xor_b32_e32 v5, v5, v1
	s_mov_b64 s[8:9], 0
	v_xor_b32_e32 v4, v4, v1
	v_sub_co_u32_e32 v4, vcc, v4, v1
	v_subb_co_u32_e32 v5, vcc, v5, v1, vcc
	global_store_dwordx2 v[2:3], v[4:5], off
.LBB231_1038:
	s_andn2_b64 vcc, exec, s[8:9]
	s_cbranch_vccnz .LBB231_1040
; %bb.1039:
	v_cvt_i32_f32_e32 v1, v0
	global_store_dword v[2:3], v1, off
.LBB231_1040:
	s_mov_b64 s[8:9], 0
.LBB231_1041:
	s_andn2_b64 vcc, exec, s[8:9]
	s_cbranch_vccnz .LBB231_1043
; %bb.1042:
	v_cvt_i32_f32_e32 v1, v0
	global_store_short v[2:3], v1, off
.LBB231_1043:
	s_mov_b64 s[8:9], 0
.LBB231_1044:
	s_andn2_b64 vcc, exec, s[8:9]
	s_cbranch_vccnz .LBB231_1049
; %bb.1045:
	v_mov_b32_e32 v1, 0
	v_cmp_gt_i16_sdwa s[10:11], v40, v1 src0_sel:BYTE_0 src1_sel:DWORD
	s_mov_b64 s[8:9], -1
	s_and_b64 vcc, exec, s[10:11]
	s_cbranch_vccz .LBB231_1047
; %bb.1046:
	v_cvt_i32_f32_e32 v1, v0
	s_mov_b64 s[8:9], 0
	global_store_byte v[2:3], v1, off
.LBB231_1047:
	s_andn2_b64 vcc, exec, s[8:9]
	s_cbranch_vccnz .LBB231_1049
; %bb.1048:
	v_trunc_f32_e32 v0, v0
	s_mov_b32 s8, 0x2f800000
	v_mul_f32_e64 v1, |v0|, s8
	v_floor_f32_e32 v1, v1
	s_mov_b32 s8, 0xcf800000
	v_fma_f32 v1, v1, s8, |v0|
	v_cvt_u32_f32_e32 v1, v1
	v_ashrrev_i32_e32 v0, 31, v0
	v_xor_b32_e32 v1, v1, v0
	v_sub_u32_e32 v0, v1, v0
	global_store_byte v[2:3], v0, off
.LBB231_1049:
	s_mov_b64 s[8:9], -1
.LBB231_1050:
	s_andn2_b64 vcc, exec, s[8:9]
	s_cbranch_vccnz .LBB231_1075
; %bb.1051:
	v_add_u32_e32 v42, 0x80, v42
	s_mov_b64 s[8:9], -1
.LBB231_1052:
	s_andn2_b64 s[10:11], s[66:67], exec
	s_and_b64 s[6:7], s[6:7], exec
	s_or_b64 s[82:83], s[10:11], s[6:7]
	s_andn2_b64 s[6:7], s[68:69], exec
	s_and_b64 s[10:11], s[80:81], exec
	s_or_b64 s[80:81], s[6:7], s[10:11]
	s_andn2_b64 s[6:7], s[70:71], exec
	s_and_b64 s[10:11], s[78:79], exec
	s_or_b64 s[78:79], s[6:7], s[10:11]
	s_andn2_b64 s[6:7], s[72:73], exec
	s_and_b64 s[10:11], s[76:77], exec
	s_or_b64 s[76:77], s[6:7], s[10:11]
	s_orn2_b64 s[6:7], s[8:9], exec
.LBB231_1053:
	s_or_b64 exec, exec, s[84:85]
	s_mov_b64 s[12:13], 0
	s_mov_b64 s[10:11], 0
	;; [unrolled: 1-line block ×3, first 2 shown]
                                        ; implicit-def: $vgpr1
                                        ; implicit-def: $vgpr4_vgpr5
                                        ; implicit-def: $vgpr38
                                        ; implicit-def: $vgpr0
                                        ; implicit-def: $vgpr2
                                        ; implicit-def: $vgpr3
	s_and_saveexec_b64 s[84:85], s[6:7]
	s_cbranch_execz .LBB231_1675
; %bb.1054:
	v_cmp_gt_i32_e32 vcc, s60, v42
	s_mov_b64 s[14:15], -1
	s_mov_b64 s[6:7], s[76:77]
	s_mov_b64 s[20:21], s[78:79]
	;; [unrolled: 1-line block ×4, first 2 shown]
	s_and_saveexec_b64 s[86:87], vcc
	s_cbranch_execz .LBB231_1582
; %bb.1055:
	s_andn2_b64 vcc, exec, s[56:57]
	s_cbranch_vccnz .LBB231_1062
; %bb.1056:
	s_andn2_b64 vcc, exec, s[64:65]
	s_waitcnt vmcnt(0)
	v_mov_b32_e32 v0, 0
	v_mov_b32_e32 v38, 0
	v_mov_b32_e32 v2, 0
	v_mov_b32_e32 v4, 0
	s_cbranch_vccnz .LBB231_1061
; %bb.1057:
	s_add_i32 s6, s97, 1
	s_and_b32 s22, s6, 30
	s_add_u32 s6, s34, 0xa4
	s_addc_u32 s7, s35, 0
	v_mov_b32_e32 v4, 0
	s_mov_b64 s[20:21], s[34:35]
	v_mov_b32_e32 v1, v42
	v_mov_b32_e32 v2, 0
	;; [unrolled: 1-line block ×4, first 2 shown]
.LBB231_1058:                           ; =>This Inner Loop Header: Depth=1
	s_load_dwordx4 s[16:19], s[20:21], 0x4
	s_load_dwordx2 s[26:27], s[20:21], 0x14
	s_mov_b64 s[24:25], s[6:7]
	s_load_dwordx8 s[8:15], s[24:25], 0x20
	s_add_u32 s6, s24, 32
	s_waitcnt lgkmcnt(0)
	v_mul_hi_u32 v3, s17, v1
	v_add_u32_e32 v3, v1, v3
	v_lshrrev_b32_e32 v3, s18, v3
	v_mul_lo_u32 v5, v3, s16
	v_mul_hi_u32 v6, s26, v3
	v_sub_u32_e32 v1, v1, v5
	v_add_u32_e32 v5, v3, v6
	v_mul_lo_u32 v6, v1, s8
	v_mul_lo_u32 v7, v1, s9
	;; [unrolled: 1-line block ×4, first 2 shown]
	v_lshrrev_b32_e32 v1, s27, v5
	s_addc_u32 s7, s25, 0
	v_mul_lo_u32 v5, v1, s19
	s_add_u32 s20, s20, 24
	v_sub_u32_e32 v3, v3, v5
	s_addc_u32 s21, s21, 0
	s_add_i32 s22, s22, -2
	v_mul_lo_u32 v5, v3, s12
	v_mul_lo_u32 v10, v3, s13
	;; [unrolled: 1-line block ×4, first 2 shown]
	s_cmp_eq_u32 s22, 0
	v_add3_u32 v0, v7, v0, v10
	v_add3_u32 v38, v6, v38, v5
	v_add3_u32 v2, v9, v2, v3
	v_add3_u32 v4, v8, v4, v11
	s_cbranch_scc0 .LBB231_1058
; %bb.1059:
	s_bitcmp1_b32 s97, 0
	s_cselect_b64 s[8:9], -1, 0
	s_and_b64 vcc, exec, s[8:9]
	s_cbranch_vccnz .LBB231_1061
; %bb.1060:
	s_load_dwordx2 s[12:13], s[20:21], 0x4
	s_load_dword s14, s[20:21], 0xc
	s_load_dwordx4 s[8:11], s[6:7], 0x20
	s_waitcnt lgkmcnt(0)
	v_mul_hi_u32 v3, s13, v1
	v_add_u32_e32 v3, v1, v3
	v_lshrrev_b32_e32 v3, s14, v3
	v_mul_lo_u32 v3, v3, s12
	v_sub_u32_e32 v3, v1, v3
	v_mad_u64_u32 v[38:39], s[6:7], v3, s8, v[38:39]
	v_mad_u64_u32 v[0:1], s[6:7], v3, s9, v[0:1]
	;; [unrolled: 1-line block ×4, first 2 shown]
.LBB231_1061:
	s_mov_b64 s[6:7], 0
	s_branch .LBB231_1063
.LBB231_1062:
	s_mov_b64 s[6:7], -1
                                        ; implicit-def: $vgpr0
                                        ; implicit-def: $vgpr38
                                        ; implicit-def: $vgpr2
                                        ; implicit-def: $vgpr4
.LBB231_1063:
	s_andn2_b64 vcc, exec, s[6:7]
	s_cbranch_vccnz .LBB231_1066
; %bb.1064:
	s_waitcnt vmcnt(0) lgkmcnt(0)
	v_mul_hi_u32 v0, s53, v42
	v_add_u32_e32 v0, v42, v0
	v_lshrrev_b32_e32 v1, s54, v0
	v_mul_lo_u32 v0, v1, s52
	v_sub_u32_e32 v3, v42, v0
	v_mul_lo_u32 v0, v3, s45
	v_mul_lo_u32 v38, v3, s44
	;; [unrolled: 1-line block ×3, first 2 shown]
	s_andn2_b64 vcc, exec, s[62:63]
	v_mul_lo_u32 v4, v3, s46
	s_cbranch_vccnz .LBB231_1066
; %bb.1065:
	v_mul_hi_u32 v3, s94, v1
	v_add_u32_e32 v3, v1, v3
	v_lshrrev_b32_e32 v3, s95, v3
	v_mul_lo_u32 v3, v3, s55
	v_sub_u32_e32 v3, v1, v3
	v_mad_u64_u32 v[38:39], s[6:7], v3, s48, v[38:39]
	v_mad_u64_u32 v[0:1], s[6:7], v3, s49, v[0:1]
	;; [unrolled: 1-line block ×4, first 2 shown]
.LBB231_1066:
	s_waitcnt vmcnt(0) lgkmcnt(0)
	v_mov_b32_e32 v1, s39
	v_add_co_u32_e32 v6, vcc, s38, v0
	v_mov_b32_e32 v0, 11
	v_addc_co_u32_e32 v7, vcc, 0, v1, vcc
	v_cmp_lt_i16_sdwa s[6:7], v43, v0 src0_sel:BYTE_0 src1_sel:DWORD
	s_and_b64 vcc, exec, s[6:7]
	s_cbranch_vccnz .LBB231_1073
; %bb.1067:
	v_mov_b32_e32 v0, 25
	v_cmp_gt_i16_sdwa s[6:7], v43, v0 src0_sel:BYTE_0 src1_sel:DWORD
	s_and_b64 vcc, exec, s[6:7]
	s_cbranch_vccz .LBB231_1074
; %bb.1068:
	v_mov_b32_e32 v0, 28
	v_cmp_gt_i16_sdwa s[6:7], v43, v0 src0_sel:BYTE_0 src1_sel:DWORD
	s_and_b64 vcc, exec, s[6:7]
	s_cbranch_vccz .LBB231_1076
	;; [unrolled: 5-line block ×4, first 2 shown]
; %bb.1071:
	v_mov_b32_e32 v0, 46
	v_cmp_eq_u16_sdwa s[6:7], v43, v0 src0_sel:BYTE_0 src1_sel:DWORD
	s_mov_b64 s[8:9], 0
	s_and_b64 vcc, exec, s[6:7]
	s_cbranch_vccz .LBB231_1079
; %bb.1072:
	global_load_dword v0, v[6:7], off
	s_mov_b64 s[6:7], -1
	s_mov_b64 s[90:91], 0
	s_waitcnt vmcnt(0)
	v_lshlrev_b32_e32 v0, 16, v0
	s_branch .LBB231_1080
.LBB231_1073:
	s_mov_b64 s[8:9], -1
	s_mov_b64 s[6:7], 0
                                        ; implicit-def: $vgpr0
	s_mov_b64 s[90:91], s[76:77]
	s_branch .LBB231_1145
.LBB231_1074:
	s_mov_b64 s[8:9], -1
	s_mov_b64 s[6:7], 0
	s_mov_b64 s[90:91], s[76:77]
                                        ; implicit-def: $vgpr0
	s_branch .LBB231_1109
.LBB231_1075:
	s_mov_b64 s[8:9], 0
	s_branch .LBB231_438
.LBB231_1076:
	s_mov_b64 s[8:9], -1
	s_mov_b64 s[6:7], 0
	s_mov_b64 s[90:91], s[76:77]
                                        ; implicit-def: $vgpr0
	s_branch .LBB231_1090
.LBB231_1077:
	s_mov_b64 s[8:9], -1
	s_mov_b64 s[6:7], 0
	s_mov_b64 s[90:91], s[76:77]
                                        ; implicit-def: $vgpr0
	s_branch .LBB231_1085
.LBB231_1078:
	s_mov_b64 s[8:9], -1
	s_mov_b64 s[6:7], 0
	s_mov_b64 s[90:91], s[76:77]
                                        ; implicit-def: $vgpr0
	s_branch .LBB231_1080
.LBB231_1079:
	s_mov_b64 s[90:91], -1
                                        ; implicit-def: $vgpr0
	s_mov_b64 s[6:7], 0
.LBB231_1080:
	s_and_b64 vcc, exec, s[8:9]
	s_cbranch_vccz .LBB231_1084
; %bb.1081:
	v_mov_b32_e32 v0, 44
	v_cmp_eq_u16_sdwa s[8:9], v43, v0 src0_sel:BYTE_0 src1_sel:DWORD
	s_and_b64 vcc, exec, s[8:9]
	s_cbranch_vccz .LBB231_1083
; %bb.1082:
	global_load_ubyte v0, v[6:7], off
	s_movk_i32 s8, 0xff
	v_mov_b32_e32 v1, 0x7f800001
	v_mov_b32_e32 v3, 0x400000
	s_mov_b64 s[6:7], -1
	s_mov_b64 s[90:91], 0
	s_waitcnt vmcnt(0)
	v_lshlrev_b32_e32 v5, 23, v0
	v_cmp_ne_u32_e32 vcc, s8, v0
	v_cndmask_b32_e32 v1, v1, v5, vcc
	v_cmp_ne_u32_e32 vcc, 0, v0
	v_cndmask_b32_e32 v0, v3, v1, vcc
	s_branch .LBB231_1084
.LBB231_1083:
	s_mov_b64 s[90:91], -1
                                        ; implicit-def: $vgpr0
.LBB231_1084:
	s_mov_b64 s[8:9], 0
.LBB231_1085:
	s_and_b64 vcc, exec, s[8:9]
	s_cbranch_vccz .LBB231_1089
; %bb.1086:
	v_mov_b32_e32 v0, 29
	v_cmp_eq_u16_sdwa s[8:9], v43, v0 src0_sel:BYTE_0 src1_sel:DWORD
	s_and_b64 vcc, exec, s[8:9]
	s_cbranch_vccz .LBB231_1088
; %bb.1087:
	global_load_dwordx2 v[0:1], v[6:7], off
	s_mov_b64 s[6:7], -1
	s_mov_b64 s[90:91], 0
	s_mov_b64 s[8:9], 0
	s_waitcnt vmcnt(0)
	v_ffbh_u32_e32 v3, v1
	v_min_u32_e32 v3, 32, v3
	v_lshlrev_b64 v[0:1], v3, v[0:1]
	v_min_u32_e32 v0, 1, v0
	v_or_b32_e32 v0, v1, v0
	v_cvt_f32_u32_e32 v0, v0
	v_sub_u32_e32 v1, 32, v3
	v_ldexp_f32 v0, v0, v1
	s_branch .LBB231_1090
.LBB231_1088:
	s_mov_b64 s[90:91], -1
                                        ; implicit-def: $vgpr0
.LBB231_1089:
	s_mov_b64 s[8:9], 0
.LBB231_1090:
	s_and_b64 vcc, exec, s[8:9]
	s_cbranch_vccz .LBB231_1108
; %bb.1091:
	v_mov_b32_e32 v0, 27
	v_cmp_lt_i16_sdwa s[6:7], v43, v0 src0_sel:BYTE_0 src1_sel:DWORD
	s_and_b64 vcc, exec, s[6:7]
	s_cbranch_vccnz .LBB231_1094
; %bb.1092:
	v_cmp_gt_i16_sdwa s[6:7], v43, v0 src0_sel:BYTE_0 src1_sel:DWORD
	s_and_b64 vcc, exec, s[6:7]
	s_cbranch_vccz .LBB231_1095
; %bb.1093:
	global_load_dword v0, v[6:7], off
	s_mov_b64 s[6:7], 0
	s_waitcnt vmcnt(0)
	v_cvt_f32_u32_e32 v0, v0
	s_branch .LBB231_1096
.LBB231_1094:
	s_mov_b64 s[6:7], -1
                                        ; implicit-def: $vgpr0
	s_branch .LBB231_1099
.LBB231_1095:
	s_mov_b64 s[6:7], -1
                                        ; implicit-def: $vgpr0
.LBB231_1096:
	s_andn2_b64 vcc, exec, s[6:7]
	s_cbranch_vccnz .LBB231_1098
; %bb.1097:
	global_load_ushort v0, v[6:7], off
	s_waitcnt vmcnt(0)
	v_cvt_f32_u32_e32 v0, v0
.LBB231_1098:
	s_mov_b64 s[6:7], 0
.LBB231_1099:
	s_andn2_b64 vcc, exec, s[6:7]
	s_cbranch_vccnz .LBB231_1107
; %bb.1100:
	global_load_ubyte v1, v[6:7], off
	s_movk_i32 s6, 0x7f
                                        ; implicit-def: $sgpr12
	s_waitcnt vmcnt(0)
	v_cmp_lt_i16_e32 vcc, s6, v1
	s_mov_b64 s[6:7], 0
	s_and_saveexec_b64 s[8:9], vcc
	s_xor_b64 s[8:9], exec, s[8:9]
	s_cbranch_execz .LBB231_1121
; %bb.1101:
	s_movk_i32 s6, 0x80
	v_cmp_eq_u16_e32 vcc, s6, v1
	s_mov_b64 s[6:7], -1
                                        ; implicit-def: $sgpr12
	s_and_saveexec_b64 s[10:11], vcc
; %bb.1102:
	s_mov_b32 s12, 0x7f800001
	s_xor_b64 s[6:7], exec, -1
; %bb.1103:
	s_or_b64 exec, exec, s[10:11]
	s_and_b64 s[6:7], s[6:7], exec
	s_or_saveexec_b64 s[8:9], s[8:9]
	v_mov_b32_e32 v0, s12
	s_xor_b64 exec, exec, s[8:9]
	s_cbranch_execnz .LBB231_1122
.LBB231_1104:
	s_or_b64 exec, exec, s[8:9]
	s_and_saveexec_b64 s[8:9], s[6:7]
	s_cbranch_execz .LBB231_1106
.LBB231_1105:
	v_lshlrev_b32_e32 v0, 24, v1
	v_and_b32_e32 v1, 0xffff, v1
	v_and_b32_e32 v3, 7, v1
	v_ffbh_u32_e32 v8, v3
	v_min_u32_e32 v8, 32, v8
	v_subrev_u32_e32 v9, 28, v8
	v_bfe_u32 v5, v1, 3, 4
	v_lshlrev_b32_e32 v1, v9, v1
	v_sub_u32_e32 v8, 29, v8
	v_and_b32_e32 v1, 7, v1
	v_cmp_eq_u32_e32 vcc, 0, v5
	v_cndmask_b32_e32 v5, v5, v8, vcc
	v_cndmask_b32_e32 v1, v3, v1, vcc
	v_mov_b32_e32 v3, 0x3b800000
	v_lshlrev_b32_e32 v1, 20, v1
	v_and_b32_e32 v0, 0x80000000, v0
	v_lshl_add_u32 v3, v5, 23, v3
	v_or3_b32 v0, v0, v3, v1
.LBB231_1106:
	s_or_b64 exec, exec, s[8:9]
.LBB231_1107:
	s_mov_b64 s[6:7], -1
.LBB231_1108:
	s_mov_b64 s[8:9], 0
.LBB231_1109:
	s_and_b64 vcc, exec, s[8:9]
	s_cbranch_vccz .LBB231_1144
; %bb.1110:
	v_mov_b32_e32 v0, 22
	v_cmp_gt_i16_sdwa s[8:9], v43, v0 src0_sel:BYTE_0 src1_sel:DWORD
	s_and_b64 vcc, exec, s[8:9]
	s_cbranch_vccz .LBB231_1120
; %bb.1111:
	v_mov_b32_e32 v0, 24
	v_cmp_lt_i16_sdwa s[6:7], v43, v0 src0_sel:BYTE_0 src1_sel:DWORD
	s_and_b64 vcc, exec, s[6:7]
	s_cbranch_vccnz .LBB231_1123
; %bb.1112:
	v_cmp_gt_i16_sdwa s[6:7], v43, v0 src0_sel:BYTE_0 src1_sel:DWORD
	s_and_b64 vcc, exec, s[6:7]
	s_cbranch_vccz .LBB231_1124
; %bb.1113:
	global_load_ubyte v1, v[6:7], off
	s_movk_i32 s6, 0x7f
                                        ; implicit-def: $sgpr12
	s_waitcnt vmcnt(0)
	v_cmp_lt_i16_e32 vcc, s6, v1
	s_mov_b64 s[6:7], 0
	s_and_saveexec_b64 s[8:9], vcc
	s_xor_b64 s[8:9], exec, s[8:9]
	s_cbranch_execz .LBB231_1136
; %bb.1114:
	s_movk_i32 s6, 0x80
	v_cmp_eq_u16_e32 vcc, s6, v1
	s_mov_b64 s[6:7], -1
                                        ; implicit-def: $sgpr12
	s_and_saveexec_b64 s[10:11], vcc
; %bb.1115:
	s_mov_b32 s12, 0x7f800001
	s_xor_b64 s[6:7], exec, -1
; %bb.1116:
	s_or_b64 exec, exec, s[10:11]
	s_and_b64 s[6:7], s[6:7], exec
	s_or_saveexec_b64 s[8:9], s[8:9]
	v_mov_b32_e32 v0, s12
	s_xor_b64 exec, exec, s[8:9]
	s_cbranch_execnz .LBB231_1137
.LBB231_1117:
	s_or_b64 exec, exec, s[8:9]
	s_and_saveexec_b64 s[8:9], s[6:7]
	s_cbranch_execz .LBB231_1119
.LBB231_1118:
	v_lshlrev_b32_e32 v0, 24, v1
	v_and_b32_e32 v1, 0xffff, v1
	v_and_b32_e32 v3, 3, v1
	v_ffbh_u32_e32 v8, v3
	v_min_u32_e32 v8, 32, v8
	v_subrev_u32_e32 v9, 29, v8
	v_bfe_u32 v5, v1, 2, 5
	v_lshlrev_b32_e32 v1, v9, v1
	v_sub_u32_e32 v8, 30, v8
	v_and_b32_e32 v1, 3, v1
	v_cmp_eq_u32_e32 vcc, 0, v5
	v_cndmask_b32_e32 v5, v5, v8, vcc
	v_cndmask_b32_e32 v1, v3, v1, vcc
	v_mov_b32_e32 v3, 0x37800000
	v_lshlrev_b32_e32 v1, 21, v1
	v_and_b32_e32 v0, 0x80000000, v0
	v_lshl_add_u32 v3, v5, 23, v3
	v_or3_b32 v0, v0, v3, v1
.LBB231_1119:
	s_or_b64 exec, exec, s[8:9]
	s_mov_b64 s[6:7], 0
	s_branch .LBB231_1125
.LBB231_1120:
	s_mov_b64 s[8:9], -1
                                        ; implicit-def: $vgpr0
	s_branch .LBB231_1131
.LBB231_1121:
	s_or_saveexec_b64 s[8:9], s[8:9]
	v_mov_b32_e32 v0, s12
	s_xor_b64 exec, exec, s[8:9]
	s_cbranch_execz .LBB231_1104
.LBB231_1122:
	v_cmp_ne_u16_e32 vcc, 0, v1
	s_andn2_b64 s[6:7], s[6:7], exec
	s_and_b64 s[10:11], vcc, exec
	v_mov_b32_e32 v0, 0
	s_or_b64 s[6:7], s[6:7], s[10:11]
	s_or_b64 exec, exec, s[8:9]
	s_and_saveexec_b64 s[8:9], s[6:7]
	s_cbranch_execnz .LBB231_1105
	s_branch .LBB231_1106
.LBB231_1123:
	s_mov_b64 s[6:7], -1
                                        ; implicit-def: $vgpr0
	s_branch .LBB231_1128
.LBB231_1124:
	s_mov_b64 s[6:7], -1
                                        ; implicit-def: $vgpr0
.LBB231_1125:
	s_and_b64 vcc, exec, s[6:7]
	s_cbranch_vccz .LBB231_1127
; %bb.1126:
	global_load_ubyte v0, v[6:7], off
	s_mov_b32 s6, 0x7f800000
	s_waitcnt vmcnt(0)
	v_lshlrev_b32_e32 v0, 24, v0
	v_and_b32_e32 v1, 0x7f000000, v0
	v_ffbh_u32_e32 v3, v1
	v_min_u32_e32 v3, 32, v3
	v_sub_u32_e64 v3, v3, 4 clamp
	v_lshlrev_b32_e32 v8, v3, v1
	v_lshlrev_b32_e32 v3, 23, v3
	v_lshrrev_b32_e32 v8, 4, v8
	v_add_u32_e32 v5, 0x1000000, v1
	v_sub_u32_e32 v3, v8, v3
	v_ashrrev_i32_e32 v5, 8, v5
	v_add_u32_e32 v3, 0x3c000000, v3
	v_and_or_b32 v3, v5, s6, v3
	v_cmp_ne_u32_e32 vcc, 0, v1
	v_cndmask_b32_e32 v1, 0, v3, vcc
	s_brev_b32 s6, 1
	v_and_or_b32 v0, v0, s6, v1
.LBB231_1127:
	s_mov_b64 s[6:7], 0
.LBB231_1128:
	s_andn2_b64 vcc, exec, s[6:7]
	s_cbranch_vccnz .LBB231_1130
; %bb.1129:
	global_load_ubyte v0, v[6:7], off
	s_movk_i32 s6, 0x7f00
	s_brev_b32 s7, 16
	s_waitcnt vmcnt(0)
	v_lshlrev_b16_e32 v1, 8, v0
	v_lshlrev_b32_e32 v0, 25, v0
	v_lshrrev_b32_e32 v3, 4, v0
	v_and_or_b32 v5, v1, s6, 0.5
	v_or_b32_e32 v3, 0x70000000, v3
	v_add_f32_e32 v5, -0.5, v5
	v_mul_f32_e32 v3, 0x7800000, v3
	v_cmp_gt_u32_e32 vcc, s7, v0
	v_bfe_i32 v1, v1, 0, 16
	v_cndmask_b32_e32 v0, v3, v5, vcc
	s_brev_b32 s6, 1
	v_and_or_b32 v0, v1, s6, v0
.LBB231_1130:
	s_mov_b64 s[8:9], 0
	s_mov_b64 s[6:7], -1
.LBB231_1131:
	s_andn2_b64 vcc, exec, s[8:9]
	s_cbranch_vccnz .LBB231_1144
; %bb.1132:
	v_mov_b32_e32 v0, 14
	v_cmp_gt_i16_sdwa s[8:9], v43, v0 src0_sel:BYTE_0 src1_sel:DWORD
	s_and_b64 vcc, exec, s[8:9]
	s_cbranch_vccz .LBB231_1135
; %bb.1133:
	v_mov_b32_e32 v0, 15
	v_cmp_eq_u16_sdwa s[8:9], v43, v0 src0_sel:BYTE_0 src1_sel:DWORD
	s_and_b64 vcc, exec, s[8:9]
	s_cbranch_vccz .LBB231_1138
; %bb.1134:
	global_load_ushort v0, v[6:7], off
	s_mov_b64 s[6:7], -1
	s_mov_b64 s[90:91], 0
	s_waitcnt vmcnt(0)
	v_lshlrev_b32_e32 v0, 16, v0
	s_branch .LBB231_1139
.LBB231_1135:
	s_mov_b64 s[8:9], -1
                                        ; implicit-def: $vgpr0
	s_branch .LBB231_1140
.LBB231_1136:
	s_or_saveexec_b64 s[8:9], s[8:9]
	v_mov_b32_e32 v0, s12
	s_xor_b64 exec, exec, s[8:9]
	s_cbranch_execz .LBB231_1117
.LBB231_1137:
	v_cmp_ne_u16_e32 vcc, 0, v1
	s_andn2_b64 s[6:7], s[6:7], exec
	s_and_b64 s[10:11], vcc, exec
	v_mov_b32_e32 v0, 0
	s_or_b64 s[6:7], s[6:7], s[10:11]
	s_or_b64 exec, exec, s[8:9]
	s_and_saveexec_b64 s[8:9], s[6:7]
	s_cbranch_execnz .LBB231_1118
	s_branch .LBB231_1119
.LBB231_1138:
	s_mov_b64 s[90:91], -1
                                        ; implicit-def: $vgpr0
.LBB231_1139:
	s_mov_b64 s[8:9], 0
.LBB231_1140:
	s_and_b64 vcc, exec, s[8:9]
	s_cbranch_vccz .LBB231_1144
; %bb.1141:
	v_mov_b32_e32 v0, 11
	v_cmp_eq_u16_sdwa s[8:9], v43, v0 src0_sel:BYTE_0 src1_sel:DWORD
	s_and_b64 vcc, exec, s[8:9]
	s_cbranch_vccz .LBB231_1143
; %bb.1142:
	global_load_ubyte v0, v[6:7], off
	s_mov_b64 s[6:7], -1
	s_mov_b64 s[90:91], 0
	s_waitcnt vmcnt(0)
	v_cmp_ne_u16_e32 vcc, 0, v0
	v_cndmask_b32_e64 v0, 0, 1.0, vcc
	s_branch .LBB231_1144
.LBB231_1143:
	s_mov_b64 s[90:91], -1
                                        ; implicit-def: $vgpr0
.LBB231_1144:
	s_mov_b64 s[8:9], 0
.LBB231_1145:
	s_and_b64 vcc, exec, s[8:9]
	s_cbranch_vccz .LBB231_1194
; %bb.1146:
	v_mov_b32_e32 v0, 5
	v_cmp_lt_i16_sdwa s[6:7], v43, v0 src0_sel:BYTE_0 src1_sel:DWORD
	s_and_b64 vcc, exec, s[6:7]
	s_cbranch_vccnz .LBB231_1151
; %bb.1147:
	v_mov_b32_e32 v0, 8
	v_cmp_lt_i16_sdwa s[6:7], v43, v0 src0_sel:BYTE_0 src1_sel:DWORD
	s_and_b64 vcc, exec, s[6:7]
	s_cbranch_vccnz .LBB231_1152
	;; [unrolled: 5-line block ×3, first 2 shown]
; %bb.1149:
	v_cmp_gt_i16_sdwa s[6:7], v43, v0 src0_sel:BYTE_0 src1_sel:DWORD
	s_and_b64 vcc, exec, s[6:7]
	s_cbranch_vccz .LBB231_1154
; %bb.1150:
	global_load_dwordx2 v[0:1], v[6:7], off
	s_mov_b64 s[6:7], 0
	s_waitcnt vmcnt(0)
	v_cvt_f32_f64_e32 v0, v[0:1]
	s_branch .LBB231_1155
.LBB231_1151:
	s_mov_b64 s[6:7], -1
                                        ; implicit-def: $vgpr0
	s_branch .LBB231_1173
.LBB231_1152:
	s_mov_b64 s[6:7], -1
                                        ; implicit-def: $vgpr0
	s_branch .LBB231_1161
.LBB231_1153:
	s_mov_b64 s[6:7], -1
                                        ; implicit-def: $vgpr0
	s_branch .LBB231_1158
.LBB231_1154:
	s_mov_b64 s[6:7], -1
                                        ; implicit-def: $vgpr0
.LBB231_1155:
	s_andn2_b64 vcc, exec, s[6:7]
	s_cbranch_vccnz .LBB231_1157
; %bb.1156:
	global_load_dword v0, v[6:7], off
.LBB231_1157:
	s_mov_b64 s[6:7], 0
.LBB231_1158:
	s_andn2_b64 vcc, exec, s[6:7]
	s_cbranch_vccnz .LBB231_1160
; %bb.1159:
	global_load_dword v0, v[6:7], off
	s_waitcnt vmcnt(0)
	v_cvt_f32_f16_e32 v0, v0
.LBB231_1160:
	s_mov_b64 s[6:7], 0
.LBB231_1161:
	s_andn2_b64 vcc, exec, s[6:7]
	s_cbranch_vccnz .LBB231_1172
; %bb.1162:
	s_waitcnt vmcnt(0)
	v_mov_b32_e32 v0, 6
	v_cmp_lt_i16_sdwa s[6:7], v43, v0 src0_sel:BYTE_0 src1_sel:DWORD
	s_and_b64 vcc, exec, s[6:7]
	s_cbranch_vccnz .LBB231_1165
; %bb.1163:
	v_cmp_gt_i16_sdwa s[6:7], v43, v0 src0_sel:BYTE_0 src1_sel:DWORD
	s_and_b64 vcc, exec, s[6:7]
	s_cbranch_vccz .LBB231_1166
; %bb.1164:
	global_load_dwordx2 v[0:1], v[6:7], off
	s_mov_b64 s[6:7], 0
	s_waitcnt vmcnt(0)
	v_cvt_f32_f64_e32 v0, v[0:1]
	s_branch .LBB231_1167
.LBB231_1165:
	s_mov_b64 s[6:7], -1
                                        ; implicit-def: $vgpr0
	s_branch .LBB231_1170
.LBB231_1166:
	s_mov_b64 s[6:7], -1
                                        ; implicit-def: $vgpr0
.LBB231_1167:
	s_andn2_b64 vcc, exec, s[6:7]
	s_cbranch_vccnz .LBB231_1169
; %bb.1168:
	global_load_dword v0, v[6:7], off
.LBB231_1169:
	s_mov_b64 s[6:7], 0
.LBB231_1170:
	s_andn2_b64 vcc, exec, s[6:7]
	s_cbranch_vccnz .LBB231_1172
; %bb.1171:
	global_load_ushort v0, v[6:7], off
	s_waitcnt vmcnt(0)
	v_cvt_f32_f16_e32 v0, v0
.LBB231_1172:
	s_mov_b64 s[6:7], 0
.LBB231_1173:
	s_andn2_b64 vcc, exec, s[6:7]
	s_cbranch_vccnz .LBB231_1193
; %bb.1174:
	s_waitcnt vmcnt(0)
	v_mov_b32_e32 v0, 2
	v_cmp_lt_i16_sdwa s[6:7], v43, v0 src0_sel:BYTE_0 src1_sel:DWORD
	s_and_b64 vcc, exec, s[6:7]
	s_cbranch_vccnz .LBB231_1178
; %bb.1175:
	v_mov_b32_e32 v0, 3
	v_cmp_lt_i16_sdwa s[6:7], v43, v0 src0_sel:BYTE_0 src1_sel:DWORD
	s_and_b64 vcc, exec, s[6:7]
	s_cbranch_vccnz .LBB231_1179
; %bb.1176:
	v_cmp_gt_i16_sdwa s[6:7], v43, v0 src0_sel:BYTE_0 src1_sel:DWORD
	s_and_b64 vcc, exec, s[6:7]
	s_cbranch_vccz .LBB231_1180
; %bb.1177:
	global_load_dwordx2 v[0:1], v[6:7], off
	s_mov_b64 s[6:7], 0
	s_waitcnt vmcnt(0)
	v_xor_b32_e32 v5, v0, v1
	v_ffbh_i32_e32 v3, v1
	v_ashrrev_i32_e32 v5, 31, v5
	v_add_u32_e32 v3, -1, v3
	v_add_u32_e32 v5, 32, v5
	v_min_u32_e32 v3, v3, v5
	v_lshlrev_b64 v[0:1], v3, v[0:1]
	v_min_u32_e32 v0, 1, v0
	v_or_b32_e32 v0, v1, v0
	v_cvt_f32_i32_e32 v0, v0
	v_sub_u32_e32 v1, 32, v3
	v_ldexp_f32 v0, v0, v1
	s_branch .LBB231_1181
.LBB231_1178:
	s_mov_b64 s[6:7], -1
                                        ; implicit-def: $vgpr0
	s_branch .LBB231_1187
.LBB231_1179:
	s_mov_b64 s[6:7], -1
                                        ; implicit-def: $vgpr0
	s_branch .LBB231_1184
.LBB231_1180:
	s_mov_b64 s[6:7], -1
                                        ; implicit-def: $vgpr0
.LBB231_1181:
	s_andn2_b64 vcc, exec, s[6:7]
	s_cbranch_vccnz .LBB231_1183
; %bb.1182:
	global_load_dword v0, v[6:7], off
	s_waitcnt vmcnt(0)
	v_cvt_f32_i32_e32 v0, v0
.LBB231_1183:
	s_mov_b64 s[6:7], 0
.LBB231_1184:
	s_andn2_b64 vcc, exec, s[6:7]
	s_cbranch_vccnz .LBB231_1186
; %bb.1185:
	global_load_sshort v0, v[6:7], off
	s_waitcnt vmcnt(0)
	v_cvt_f32_i32_e32 v0, v0
.LBB231_1186:
	s_mov_b64 s[6:7], 0
.LBB231_1187:
	s_andn2_b64 vcc, exec, s[6:7]
	s_cbranch_vccnz .LBB231_1193
; %bb.1188:
	v_mov_b32_e32 v0, 0
	v_cmp_gt_i16_sdwa s[6:7], v43, v0 src0_sel:BYTE_0 src1_sel:DWORD
	s_and_b64 vcc, exec, s[6:7]
	s_cbranch_vccz .LBB231_1190
; %bb.1189:
	global_load_sbyte v0, v[6:7], off
	s_mov_b64 s[6:7], 0
	s_waitcnt vmcnt(0)
	v_cvt_f32_i32_e32 v0, v0
	s_branch .LBB231_1191
.LBB231_1190:
	s_mov_b64 s[6:7], -1
                                        ; implicit-def: $vgpr0
.LBB231_1191:
	s_andn2_b64 vcc, exec, s[6:7]
	s_cbranch_vccnz .LBB231_1193
; %bb.1192:
	global_load_ubyte v0, v[6:7], off
	s_waitcnt vmcnt(0)
	v_cvt_f32_ubyte0_e32 v0, v0
.LBB231_1193:
	s_mov_b64 s[6:7], -1
.LBB231_1194:
	s_andn2_b64 vcc, exec, s[6:7]
	s_cbranch_vccnz .LBB231_1202
; %bb.1195:
	v_mov_b32_e32 v1, s41
	v_add_co_u32_e32 v4, vcc, s40, v4
	s_movk_i32 s6, 0xff
	v_addc_co_u32_e32 v5, vcc, 0, v1, vcc
	v_and_b32_sdwa v3, v40, s6 dst_sel:DWORD dst_unused:UNUSED_PAD src0_sel:WORD_1 src1_sel:DWORD
	v_cmp_gt_i16_e32 vcc, 11, v3
	s_cbranch_vccnz .LBB231_1204
; %bb.1196:
	v_cmp_lt_i16_e32 vcc, 25, v3
	s_cbranch_vccz .LBB231_1205
; %bb.1197:
	v_cmp_lt_i16_e32 vcc, 28, v3
	s_cbranch_vccz .LBB231_1206
	;; [unrolled: 3-line block ×4, first 2 shown]
; %bb.1200:
	v_cmp_eq_u16_e32 vcc, 46, v3
	s_mov_b64 s[8:9], 0
	s_cbranch_vccz .LBB231_1211
; %bb.1201:
	global_load_dword v1, v[4:5], off
	s_mov_b64 s[6:7], -1
	s_mov_b64 s[20:21], 0
	s_waitcnt vmcnt(0)
	v_lshlrev_b32_e32 v1, 16, v1
	s_branch .LBB231_1212
.LBB231_1202:
	s_mov_b64 s[8:9], 0
	s_mov_b64 s[6:7], s[82:83]
	s_mov_b64 s[92:93], s[80:81]
	s_mov_b64 s[20:21], s[78:79]
.LBB231_1203:
                                        ; implicit-def: $vgpr42
	s_branch .LBB231_1581
.LBB231_1204:
	s_mov_b64 s[8:9], -1
	s_mov_b64 s[6:7], 0
                                        ; implicit-def: $vgpr1
	s_mov_b64 s[20:21], s[78:79]
	s_branch .LBB231_1277
.LBB231_1205:
	s_mov_b64 s[8:9], -1
	s_mov_b64 s[6:7], 0
	s_mov_b64 s[20:21], s[78:79]
                                        ; implicit-def: $vgpr1
	s_branch .LBB231_1241
.LBB231_1206:
	s_mov_b64 s[8:9], -1
	s_mov_b64 s[6:7], 0
	s_mov_b64 s[20:21], s[78:79]
                                        ; implicit-def: $vgpr1
	s_branch .LBB231_1222
.LBB231_1207:
	s_mov_b64 s[8:9], -1
	s_mov_b64 s[6:7], 0
	s_mov_b64 s[20:21], s[78:79]
                                        ; implicit-def: $vgpr1
	s_branch .LBB231_1217
.LBB231_1208:
	s_mov_b64 s[8:9], -1
	s_mov_b64 s[6:7], 0
	s_mov_b64 s[20:21], s[78:79]
                                        ; implicit-def: $vgpr1
	s_branch .LBB231_1212
.LBB231_1209:
	s_or_saveexec_b64 s[12:13], s[12:13]
                                        ; implicit-def: $sgpr14
	s_xor_b64 exec, exec, s[12:13]
	s_cbranch_execz .LBB231_963
.LBB231_1210:
	s_mov_b32 s14, 0x46000000
	v_add_f32_e64 v1, |v0|, s14
	v_and_b32_e32 v1, 0xff, v1
	v_cmp_ne_u32_e32 vcc, 0, v1
	s_andn2_b64 s[10:11], s[10:11], exec
	s_and_b64 s[16:17], vcc, exec
	s_mov_b32 s14, 0
	s_or_b64 s[10:11], s[10:11], s[16:17]
	s_or_b64 exec, exec, s[12:13]
	v_mov_b32_e32 v4, s14
	s_and_saveexec_b64 s[12:13], s[10:11]
	s_cbranch_execnz .LBB231_964
	s_branch .LBB231_965
.LBB231_1211:
	s_mov_b64 s[20:21], -1
                                        ; implicit-def: $vgpr1
	s_mov_b64 s[6:7], 0
.LBB231_1212:
	s_and_b64 vcc, exec, s[8:9]
	s_cbranch_vccz .LBB231_1216
; %bb.1213:
	v_cmp_eq_u16_e32 vcc, 44, v3
	s_cbranch_vccz .LBB231_1215
; %bb.1214:
	global_load_ubyte v1, v[4:5], off
	s_movk_i32 s8, 0xff
	v_mov_b32_e32 v6, 0x7f800001
	v_mov_b32_e32 v7, 0x400000
	s_mov_b64 s[6:7], -1
	s_mov_b64 s[20:21], 0
	s_waitcnt vmcnt(0)
	v_lshlrev_b32_e32 v8, 23, v1
	v_cmp_ne_u32_e32 vcc, s8, v1
	v_cndmask_b32_e32 v6, v6, v8, vcc
	v_cmp_ne_u32_e32 vcc, 0, v1
	v_cndmask_b32_e32 v1, v7, v6, vcc
	s_branch .LBB231_1216
.LBB231_1215:
	s_mov_b64 s[20:21], -1
                                        ; implicit-def: $vgpr1
.LBB231_1216:
	s_mov_b64 s[8:9], 0
.LBB231_1217:
	s_and_b64 vcc, exec, s[8:9]
	s_cbranch_vccz .LBB231_1221
; %bb.1218:
	v_cmp_eq_u16_e32 vcc, 29, v3
	s_cbranch_vccz .LBB231_1220
; %bb.1219:
	global_load_dwordx2 v[6:7], v[4:5], off
	s_mov_b64 s[6:7], -1
	s_mov_b64 s[20:21], 0
	s_mov_b64 s[8:9], 0
	s_waitcnt vmcnt(0)
	v_ffbh_u32_e32 v1, v7
	v_min_u32_e32 v1, 32, v1
	v_lshlrev_b64 v[6:7], v1, v[6:7]
	v_min_u32_e32 v6, 1, v6
	v_or_b32_e32 v6, v7, v6
	v_cvt_f32_u32_e32 v6, v6
	v_sub_u32_e32 v1, 32, v1
	v_ldexp_f32 v1, v6, v1
	s_branch .LBB231_1222
.LBB231_1220:
	s_mov_b64 s[20:21], -1
                                        ; implicit-def: $vgpr1
.LBB231_1221:
	s_mov_b64 s[8:9], 0
.LBB231_1222:
	s_and_b64 vcc, exec, s[8:9]
	s_cbranch_vccz .LBB231_1240
; %bb.1223:
	v_cmp_gt_i16_e32 vcc, 27, v3
	s_cbranch_vccnz .LBB231_1226
; %bb.1224:
	v_cmp_lt_i16_e32 vcc, 27, v3
	s_cbranch_vccz .LBB231_1227
; %bb.1225:
	global_load_dword v1, v[4:5], off
	s_mov_b64 s[6:7], 0
	s_waitcnt vmcnt(0)
	v_cvt_f32_u32_e32 v1, v1
	s_branch .LBB231_1228
.LBB231_1226:
	s_mov_b64 s[6:7], -1
                                        ; implicit-def: $vgpr1
	s_branch .LBB231_1231
.LBB231_1227:
	s_mov_b64 s[6:7], -1
                                        ; implicit-def: $vgpr1
.LBB231_1228:
	s_andn2_b64 vcc, exec, s[6:7]
	s_cbranch_vccnz .LBB231_1230
; %bb.1229:
	global_load_ushort v1, v[4:5], off
	s_waitcnt vmcnt(0)
	v_cvt_f32_u32_e32 v1, v1
.LBB231_1230:
	s_mov_b64 s[6:7], 0
.LBB231_1231:
	s_andn2_b64 vcc, exec, s[6:7]
	s_cbranch_vccnz .LBB231_1239
; %bb.1232:
	global_load_ubyte v6, v[4:5], off
	s_movk_i32 s6, 0x7f
                                        ; implicit-def: $sgpr12
	s_waitcnt vmcnt(0)
	v_cmp_lt_i16_e32 vcc, s6, v6
	s_mov_b64 s[6:7], 0
	s_and_saveexec_b64 s[8:9], vcc
	s_xor_b64 s[8:9], exec, s[8:9]
	s_cbranch_execz .LBB231_1253
; %bb.1233:
	s_movk_i32 s6, 0x80
	v_cmp_eq_u16_e32 vcc, s6, v6
	s_mov_b64 s[6:7], -1
                                        ; implicit-def: $sgpr12
	s_and_saveexec_b64 s[10:11], vcc
; %bb.1234:
	s_mov_b32 s12, 0x7f800001
	s_xor_b64 s[6:7], exec, -1
; %bb.1235:
	s_or_b64 exec, exec, s[10:11]
	s_and_b64 s[6:7], s[6:7], exec
	s_or_saveexec_b64 s[8:9], s[8:9]
	v_mov_b32_e32 v1, s12
	s_xor_b64 exec, exec, s[8:9]
	s_cbranch_execnz .LBB231_1254
.LBB231_1236:
	s_or_b64 exec, exec, s[8:9]
	s_and_saveexec_b64 s[8:9], s[6:7]
	s_cbranch_execz .LBB231_1238
.LBB231_1237:
	v_lshlrev_b32_e32 v1, 24, v6
	v_and_b32_e32 v6, 0xffff, v6
	v_and_b32_e32 v7, 7, v6
	v_ffbh_u32_e32 v9, v7
	v_min_u32_e32 v9, 32, v9
	v_subrev_u32_e32 v10, 28, v9
	v_bfe_u32 v8, v6, 3, 4
	v_lshlrev_b32_e32 v6, v10, v6
	v_sub_u32_e32 v9, 29, v9
	v_and_b32_e32 v6, 7, v6
	v_cmp_eq_u32_e32 vcc, 0, v8
	v_cndmask_b32_e32 v8, v8, v9, vcc
	v_cndmask_b32_e32 v6, v7, v6, vcc
	v_mov_b32_e32 v7, 0x3b800000
	v_lshlrev_b32_e32 v6, 20, v6
	v_and_b32_e32 v1, 0x80000000, v1
	v_lshl_add_u32 v7, v8, 23, v7
	v_or3_b32 v1, v1, v7, v6
.LBB231_1238:
	s_or_b64 exec, exec, s[8:9]
.LBB231_1239:
	s_mov_b64 s[6:7], -1
.LBB231_1240:
	s_mov_b64 s[8:9], 0
.LBB231_1241:
	s_and_b64 vcc, exec, s[8:9]
	s_cbranch_vccz .LBB231_1276
; %bb.1242:
	v_cmp_lt_i16_e32 vcc, 22, v3
	s_cbranch_vccz .LBB231_1252
; %bb.1243:
	v_cmp_gt_i16_e32 vcc, 24, v3
	s_cbranch_vccnz .LBB231_1255
; %bb.1244:
	v_cmp_lt_i16_e32 vcc, 24, v3
	s_cbranch_vccz .LBB231_1256
; %bb.1245:
	global_load_ubyte v6, v[4:5], off
	s_movk_i32 s6, 0x7f
                                        ; implicit-def: $sgpr12
	s_waitcnt vmcnt(0)
	v_cmp_lt_i16_e32 vcc, s6, v6
	s_mov_b64 s[6:7], 0
	s_and_saveexec_b64 s[8:9], vcc
	s_xor_b64 s[8:9], exec, s[8:9]
	s_cbranch_execz .LBB231_1268
; %bb.1246:
	s_movk_i32 s6, 0x80
	v_cmp_eq_u16_e32 vcc, s6, v6
	s_mov_b64 s[6:7], -1
                                        ; implicit-def: $sgpr12
	s_and_saveexec_b64 s[10:11], vcc
; %bb.1247:
	s_mov_b32 s12, 0x7f800001
	s_xor_b64 s[6:7], exec, -1
; %bb.1248:
	s_or_b64 exec, exec, s[10:11]
	s_and_b64 s[6:7], s[6:7], exec
	s_or_saveexec_b64 s[8:9], s[8:9]
	v_mov_b32_e32 v1, s12
	s_xor_b64 exec, exec, s[8:9]
	s_cbranch_execnz .LBB231_1269
.LBB231_1249:
	s_or_b64 exec, exec, s[8:9]
	s_and_saveexec_b64 s[8:9], s[6:7]
	s_cbranch_execz .LBB231_1251
.LBB231_1250:
	v_lshlrev_b32_e32 v1, 24, v6
	v_and_b32_e32 v6, 0xffff, v6
	v_and_b32_e32 v7, 3, v6
	v_ffbh_u32_e32 v9, v7
	v_min_u32_e32 v9, 32, v9
	v_subrev_u32_e32 v10, 29, v9
	v_bfe_u32 v8, v6, 2, 5
	v_lshlrev_b32_e32 v6, v10, v6
	v_sub_u32_e32 v9, 30, v9
	v_and_b32_e32 v6, 3, v6
	v_cmp_eq_u32_e32 vcc, 0, v8
	v_cndmask_b32_e32 v8, v8, v9, vcc
	v_cndmask_b32_e32 v6, v7, v6, vcc
	v_mov_b32_e32 v7, 0x37800000
	v_lshlrev_b32_e32 v6, 21, v6
	v_and_b32_e32 v1, 0x80000000, v1
	v_lshl_add_u32 v7, v8, 23, v7
	v_or3_b32 v1, v1, v7, v6
.LBB231_1251:
	s_or_b64 exec, exec, s[8:9]
	s_mov_b64 s[6:7], 0
	s_branch .LBB231_1257
.LBB231_1252:
	s_mov_b64 s[8:9], -1
                                        ; implicit-def: $vgpr1
	s_branch .LBB231_1263
.LBB231_1253:
	s_or_saveexec_b64 s[8:9], s[8:9]
	v_mov_b32_e32 v1, s12
	s_xor_b64 exec, exec, s[8:9]
	s_cbranch_execz .LBB231_1236
.LBB231_1254:
	v_cmp_ne_u16_e32 vcc, 0, v6
	s_andn2_b64 s[6:7], s[6:7], exec
	s_and_b64 s[10:11], vcc, exec
	v_mov_b32_e32 v1, 0
	s_or_b64 s[6:7], s[6:7], s[10:11]
	s_or_b64 exec, exec, s[8:9]
	s_and_saveexec_b64 s[8:9], s[6:7]
	s_cbranch_execnz .LBB231_1237
	s_branch .LBB231_1238
.LBB231_1255:
	s_mov_b64 s[6:7], -1
                                        ; implicit-def: $vgpr1
	s_branch .LBB231_1260
.LBB231_1256:
	s_mov_b64 s[6:7], -1
                                        ; implicit-def: $vgpr1
.LBB231_1257:
	s_and_b64 vcc, exec, s[6:7]
	s_cbranch_vccz .LBB231_1259
; %bb.1258:
	global_load_ubyte v1, v[4:5], off
	s_mov_b32 s6, 0x7f800000
	s_waitcnt vmcnt(0)
	v_lshlrev_b32_e32 v1, 24, v1
	v_and_b32_e32 v6, 0x7f000000, v1
	v_ffbh_u32_e32 v7, v6
	v_min_u32_e32 v7, 32, v7
	v_sub_u32_e64 v7, v7, 4 clamp
	v_lshlrev_b32_e32 v9, v7, v6
	v_lshlrev_b32_e32 v7, 23, v7
	v_lshrrev_b32_e32 v9, 4, v9
	v_add_u32_e32 v8, 0x1000000, v6
	v_sub_u32_e32 v7, v9, v7
	v_ashrrev_i32_e32 v8, 8, v8
	v_add_u32_e32 v7, 0x3c000000, v7
	v_and_or_b32 v7, v8, s6, v7
	v_cmp_ne_u32_e32 vcc, 0, v6
	v_cndmask_b32_e32 v6, 0, v7, vcc
	s_brev_b32 s6, 1
	v_and_or_b32 v1, v1, s6, v6
.LBB231_1259:
	s_mov_b64 s[6:7], 0
.LBB231_1260:
	s_andn2_b64 vcc, exec, s[6:7]
	s_cbranch_vccnz .LBB231_1262
; %bb.1261:
	global_load_ubyte v1, v[4:5], off
	s_movk_i32 s6, 0x7f00
	s_brev_b32 s7, 16
	s_waitcnt vmcnt(0)
	v_lshlrev_b16_e32 v6, 8, v1
	v_lshlrev_b32_e32 v1, 25, v1
	v_lshrrev_b32_e32 v7, 4, v1
	v_and_or_b32 v8, v6, s6, 0.5
	v_or_b32_e32 v7, 0x70000000, v7
	v_add_f32_e32 v8, -0.5, v8
	v_mul_f32_e32 v7, 0x7800000, v7
	v_cmp_gt_u32_e32 vcc, s7, v1
	v_bfe_i32 v6, v6, 0, 16
	v_cndmask_b32_e32 v1, v7, v8, vcc
	s_brev_b32 s6, 1
	v_and_or_b32 v1, v6, s6, v1
.LBB231_1262:
	s_mov_b64 s[8:9], 0
	s_mov_b64 s[6:7], -1
.LBB231_1263:
	s_andn2_b64 vcc, exec, s[8:9]
	s_cbranch_vccnz .LBB231_1276
; %bb.1264:
	v_cmp_lt_i16_e32 vcc, 14, v3
	s_cbranch_vccz .LBB231_1267
; %bb.1265:
	v_cmp_eq_u16_e32 vcc, 15, v3
	s_cbranch_vccz .LBB231_1270
; %bb.1266:
	global_load_ushort v1, v[4:5], off
	s_mov_b64 s[6:7], -1
	s_mov_b64 s[20:21], 0
	s_waitcnt vmcnt(0)
	v_lshlrev_b32_e32 v1, 16, v1
	s_branch .LBB231_1271
.LBB231_1267:
	s_mov_b64 s[8:9], -1
                                        ; implicit-def: $vgpr1
	s_branch .LBB231_1272
.LBB231_1268:
	s_or_saveexec_b64 s[8:9], s[8:9]
	v_mov_b32_e32 v1, s12
	s_xor_b64 exec, exec, s[8:9]
	s_cbranch_execz .LBB231_1249
.LBB231_1269:
	v_cmp_ne_u16_e32 vcc, 0, v6
	s_andn2_b64 s[6:7], s[6:7], exec
	s_and_b64 s[10:11], vcc, exec
	v_mov_b32_e32 v1, 0
	s_or_b64 s[6:7], s[6:7], s[10:11]
	s_or_b64 exec, exec, s[8:9]
	s_and_saveexec_b64 s[8:9], s[6:7]
	s_cbranch_execnz .LBB231_1250
	s_branch .LBB231_1251
.LBB231_1270:
	s_mov_b64 s[20:21], -1
                                        ; implicit-def: $vgpr1
.LBB231_1271:
	s_mov_b64 s[8:9], 0
.LBB231_1272:
	s_and_b64 vcc, exec, s[8:9]
	s_cbranch_vccz .LBB231_1276
; %bb.1273:
	v_cmp_eq_u16_e32 vcc, 11, v3
	s_cbranch_vccz .LBB231_1275
; %bb.1274:
	global_load_ubyte v1, v[4:5], off
	s_mov_b64 s[6:7], -1
	s_mov_b64 s[20:21], 0
	s_waitcnt vmcnt(0)
	v_cmp_ne_u16_e32 vcc, 0, v1
	v_cndmask_b32_e64 v1, 0, 1.0, vcc
	s_branch .LBB231_1276
.LBB231_1275:
	s_mov_b64 s[20:21], -1
                                        ; implicit-def: $vgpr1
.LBB231_1276:
	s_mov_b64 s[8:9], 0
.LBB231_1277:
	s_and_b64 vcc, exec, s[8:9]
	s_cbranch_vccz .LBB231_1326
; %bb.1278:
	v_cmp_gt_i16_e32 vcc, 5, v3
	s_cbranch_vccnz .LBB231_1283
; %bb.1279:
	v_cmp_gt_i16_e32 vcc, 8, v3
	s_cbranch_vccnz .LBB231_1284
	;; [unrolled: 3-line block ×3, first 2 shown]
; %bb.1281:
	v_cmp_lt_i16_e32 vcc, 9, v3
	s_cbranch_vccz .LBB231_1286
; %bb.1282:
	global_load_dwordx2 v[6:7], v[4:5], off
	s_mov_b64 s[6:7], 0
	s_waitcnt vmcnt(0)
	v_cvt_f32_f64_e32 v1, v[6:7]
	s_branch .LBB231_1287
.LBB231_1283:
	s_mov_b64 s[6:7], -1
                                        ; implicit-def: $vgpr1
	s_branch .LBB231_1305
.LBB231_1284:
	s_mov_b64 s[6:7], -1
                                        ; implicit-def: $vgpr1
	s_branch .LBB231_1293
.LBB231_1285:
	s_mov_b64 s[6:7], -1
                                        ; implicit-def: $vgpr1
	s_branch .LBB231_1290
.LBB231_1286:
	s_mov_b64 s[6:7], -1
                                        ; implicit-def: $vgpr1
.LBB231_1287:
	s_andn2_b64 vcc, exec, s[6:7]
	s_cbranch_vccnz .LBB231_1289
; %bb.1288:
	global_load_dword v1, v[4:5], off
.LBB231_1289:
	s_mov_b64 s[6:7], 0
.LBB231_1290:
	s_andn2_b64 vcc, exec, s[6:7]
	s_cbranch_vccnz .LBB231_1292
; %bb.1291:
	global_load_dword v1, v[4:5], off
	s_waitcnt vmcnt(0)
	v_cvt_f32_f16_e32 v1, v1
.LBB231_1292:
	s_mov_b64 s[6:7], 0
.LBB231_1293:
	s_andn2_b64 vcc, exec, s[6:7]
	s_cbranch_vccnz .LBB231_1304
; %bb.1294:
	v_cmp_gt_i16_e32 vcc, 6, v3
	s_cbranch_vccnz .LBB231_1297
; %bb.1295:
	v_cmp_lt_i16_e32 vcc, 6, v3
	s_cbranch_vccz .LBB231_1298
; %bb.1296:
	global_load_dwordx2 v[6:7], v[4:5], off
	s_mov_b64 s[6:7], 0
	s_waitcnt vmcnt(0)
	v_cvt_f32_f64_e32 v1, v[6:7]
	s_branch .LBB231_1299
.LBB231_1297:
	s_mov_b64 s[6:7], -1
                                        ; implicit-def: $vgpr1
	s_branch .LBB231_1302
.LBB231_1298:
	s_mov_b64 s[6:7], -1
                                        ; implicit-def: $vgpr1
.LBB231_1299:
	s_andn2_b64 vcc, exec, s[6:7]
	s_cbranch_vccnz .LBB231_1301
; %bb.1300:
	global_load_dword v1, v[4:5], off
.LBB231_1301:
	s_mov_b64 s[6:7], 0
.LBB231_1302:
	s_andn2_b64 vcc, exec, s[6:7]
	s_cbranch_vccnz .LBB231_1304
; %bb.1303:
	global_load_ushort v1, v[4:5], off
	s_waitcnt vmcnt(0)
	v_cvt_f32_f16_e32 v1, v1
.LBB231_1304:
	s_mov_b64 s[6:7], 0
.LBB231_1305:
	s_andn2_b64 vcc, exec, s[6:7]
	s_cbranch_vccnz .LBB231_1325
; %bb.1306:
	v_cmp_gt_i16_e32 vcc, 2, v3
	s_cbranch_vccnz .LBB231_1310
; %bb.1307:
	v_cmp_gt_i16_e32 vcc, 3, v3
	s_cbranch_vccnz .LBB231_1311
; %bb.1308:
	v_cmp_lt_i16_e32 vcc, 3, v3
	s_cbranch_vccz .LBB231_1312
; %bb.1309:
	global_load_dwordx2 v[6:7], v[4:5], off
	s_mov_b64 s[6:7], 0
	s_waitcnt vmcnt(0)
	v_xor_b32_e32 v8, v6, v7
	v_ffbh_i32_e32 v1, v7
	v_ashrrev_i32_e32 v8, 31, v8
	v_add_u32_e32 v1, -1, v1
	v_add_u32_e32 v8, 32, v8
	v_min_u32_e32 v1, v1, v8
	v_lshlrev_b64 v[6:7], v1, v[6:7]
	v_min_u32_e32 v6, 1, v6
	v_or_b32_e32 v6, v7, v6
	v_cvt_f32_i32_e32 v6, v6
	v_sub_u32_e32 v1, 32, v1
	v_ldexp_f32 v1, v6, v1
	s_branch .LBB231_1313
.LBB231_1310:
	s_mov_b64 s[6:7], -1
                                        ; implicit-def: $vgpr1
	s_branch .LBB231_1319
.LBB231_1311:
	s_mov_b64 s[6:7], -1
                                        ; implicit-def: $vgpr1
	s_branch .LBB231_1316
.LBB231_1312:
	s_mov_b64 s[6:7], -1
                                        ; implicit-def: $vgpr1
.LBB231_1313:
	s_andn2_b64 vcc, exec, s[6:7]
	s_cbranch_vccnz .LBB231_1315
; %bb.1314:
	global_load_dword v1, v[4:5], off
	s_waitcnt vmcnt(0)
	v_cvt_f32_i32_e32 v1, v1
.LBB231_1315:
	s_mov_b64 s[6:7], 0
.LBB231_1316:
	s_andn2_b64 vcc, exec, s[6:7]
	s_cbranch_vccnz .LBB231_1318
; %bb.1317:
	global_load_sshort v1, v[4:5], off
	s_waitcnt vmcnt(0)
	v_cvt_f32_i32_e32 v1, v1
.LBB231_1318:
	s_mov_b64 s[6:7], 0
.LBB231_1319:
	s_andn2_b64 vcc, exec, s[6:7]
	s_cbranch_vccnz .LBB231_1325
; %bb.1320:
	v_cmp_lt_i16_e32 vcc, 0, v3
	s_cbranch_vccz .LBB231_1322
; %bb.1321:
	global_load_sbyte v1, v[4:5], off
	s_mov_b64 s[6:7], 0
	s_waitcnt vmcnt(0)
	v_cvt_f32_i32_e32 v1, v1
	s_branch .LBB231_1323
.LBB231_1322:
	s_mov_b64 s[6:7], -1
                                        ; implicit-def: $vgpr1
.LBB231_1323:
	s_andn2_b64 vcc, exec, s[6:7]
	s_cbranch_vccnz .LBB231_1325
; %bb.1324:
	global_load_ubyte v1, v[4:5], off
	s_waitcnt vmcnt(0)
	v_cvt_f32_ubyte0_e32 v1, v1
.LBB231_1325:
	s_mov_b64 s[6:7], -1
.LBB231_1326:
	s_andn2_b64 vcc, exec, s[6:7]
	s_cbranch_vccnz .LBB231_1334
; %bb.1327:
	v_mov_b32_e32 v3, s43
	v_add_co_u32_e32 v4, vcc, s42, v2
	v_addc_co_u32_e32 v5, vcc, 0, v3, vcc
	v_cmp_gt_i16_e32 vcc, 11, v41
	s_cbranch_vccnz .LBB231_1335
; %bb.1328:
	v_cmp_lt_i16_e32 vcc, 25, v41
	s_cbranch_vccz .LBB231_1336
; %bb.1329:
	v_cmp_lt_i16_e32 vcc, 28, v41
	s_cbranch_vccz .LBB231_1337
	;; [unrolled: 3-line block ×4, first 2 shown]
; %bb.1332:
	v_cmp_eq_u16_e32 vcc, 46, v41
	s_mov_b64 s[8:9], 0
	s_cbranch_vccz .LBB231_1342
; %bb.1333:
	global_load_dword v2, v[4:5], off
	s_mov_b64 s[6:7], -1
	s_mov_b64 s[92:93], 0
	s_waitcnt vmcnt(0)
	v_lshlrev_b32_e32 v2, 16, v2
	s_branch .LBB231_1343
.LBB231_1334:
	s_mov_b64 s[8:9], 0
                                        ; implicit-def: $vgpr42
	s_mov_b64 s[6:7], s[82:83]
	s_mov_b64 s[92:93], s[80:81]
	s_branch .LBB231_1581
.LBB231_1335:
	s_mov_b64 s[8:9], -1
	s_mov_b64 s[6:7], 0
                                        ; implicit-def: $vgpr2
	s_mov_b64 s[92:93], s[80:81]
	s_branch .LBB231_1408
.LBB231_1336:
	s_mov_b64 s[8:9], -1
	s_mov_b64 s[6:7], 0
	s_mov_b64 s[92:93], s[80:81]
                                        ; implicit-def: $vgpr2
	s_branch .LBB231_1372
.LBB231_1337:
	s_mov_b64 s[8:9], -1
	s_mov_b64 s[6:7], 0
	s_mov_b64 s[92:93], s[80:81]
                                        ; implicit-def: $vgpr2
	s_branch .LBB231_1353
.LBB231_1338:
	s_mov_b64 s[8:9], -1
	s_mov_b64 s[6:7], 0
	s_mov_b64 s[92:93], s[80:81]
                                        ; implicit-def: $vgpr2
	s_branch .LBB231_1348
.LBB231_1339:
	s_mov_b64 s[8:9], -1
	s_mov_b64 s[6:7], 0
	s_mov_b64 s[92:93], s[80:81]
                                        ; implicit-def: $vgpr2
	s_branch .LBB231_1343
.LBB231_1340:
	s_or_saveexec_b64 s[12:13], s[12:13]
                                        ; implicit-def: $sgpr14
	s_xor_b64 exec, exec, s[12:13]
	s_cbranch_execz .LBB231_976
.LBB231_1341:
	s_mov_b32 s14, 0x42800000
	v_add_f32_e64 v1, |v0|, s14
	v_and_b32_e32 v1, 0xff, v1
	v_cmp_ne_u32_e32 vcc, 0, v1
	s_andn2_b64 s[10:11], s[10:11], exec
	s_and_b64 s[16:17], vcc, exec
	s_mov_b32 s14, 0
	s_or_b64 s[10:11], s[10:11], s[16:17]
	s_or_b64 exec, exec, s[12:13]
	v_mov_b32_e32 v4, s14
	s_and_saveexec_b64 s[12:13], s[10:11]
	s_cbranch_execnz .LBB231_977
	s_branch .LBB231_978
.LBB231_1342:
	s_mov_b64 s[92:93], -1
                                        ; implicit-def: $vgpr2
	s_mov_b64 s[6:7], 0
.LBB231_1343:
	s_and_b64 vcc, exec, s[8:9]
	s_cbranch_vccz .LBB231_1347
; %bb.1344:
	v_cmp_eq_u16_e32 vcc, 44, v41
	s_cbranch_vccz .LBB231_1346
; %bb.1345:
	global_load_ubyte v2, v[4:5], off
	s_movk_i32 s8, 0xff
	v_mov_b32_e32 v3, 0x7f800001
	v_mov_b32_e32 v6, 0x400000
	s_mov_b64 s[6:7], -1
	s_mov_b64 s[92:93], 0
	s_waitcnt vmcnt(0)
	v_lshlrev_b32_e32 v7, 23, v2
	v_cmp_ne_u32_e32 vcc, s8, v2
	v_cndmask_b32_e32 v3, v3, v7, vcc
	v_cmp_ne_u32_e32 vcc, 0, v2
	v_cndmask_b32_e32 v2, v6, v3, vcc
	s_branch .LBB231_1347
.LBB231_1346:
	s_mov_b64 s[92:93], -1
                                        ; implicit-def: $vgpr2
.LBB231_1347:
	s_mov_b64 s[8:9], 0
.LBB231_1348:
	s_and_b64 vcc, exec, s[8:9]
	s_cbranch_vccz .LBB231_1352
; %bb.1349:
	v_cmp_eq_u16_e32 vcc, 29, v41
	s_cbranch_vccz .LBB231_1351
; %bb.1350:
	global_load_dwordx2 v[2:3], v[4:5], off
	s_mov_b64 s[6:7], -1
	s_mov_b64 s[92:93], 0
	s_mov_b64 s[8:9], 0
	s_waitcnt vmcnt(0)
	v_ffbh_u32_e32 v6, v3
	v_min_u32_e32 v6, 32, v6
	v_lshlrev_b64 v[2:3], v6, v[2:3]
	v_min_u32_e32 v2, 1, v2
	v_or_b32_e32 v2, v3, v2
	v_cvt_f32_u32_e32 v2, v2
	v_sub_u32_e32 v3, 32, v6
	v_ldexp_f32 v2, v2, v3
	s_branch .LBB231_1353
.LBB231_1351:
	s_mov_b64 s[92:93], -1
                                        ; implicit-def: $vgpr2
.LBB231_1352:
	s_mov_b64 s[8:9], 0
.LBB231_1353:
	s_and_b64 vcc, exec, s[8:9]
	s_cbranch_vccz .LBB231_1371
; %bb.1354:
	v_cmp_gt_i16_e32 vcc, 27, v41
	s_cbranch_vccnz .LBB231_1357
; %bb.1355:
	v_cmp_lt_i16_e32 vcc, 27, v41
	s_cbranch_vccz .LBB231_1358
; %bb.1356:
	global_load_dword v2, v[4:5], off
	s_mov_b64 s[6:7], 0
	s_waitcnt vmcnt(0)
	v_cvt_f32_u32_e32 v2, v2
	s_branch .LBB231_1359
.LBB231_1357:
	s_mov_b64 s[6:7], -1
                                        ; implicit-def: $vgpr2
	s_branch .LBB231_1362
.LBB231_1358:
	s_mov_b64 s[6:7], -1
                                        ; implicit-def: $vgpr2
.LBB231_1359:
	s_andn2_b64 vcc, exec, s[6:7]
	s_cbranch_vccnz .LBB231_1361
; %bb.1360:
	global_load_ushort v2, v[4:5], off
	s_waitcnt vmcnt(0)
	v_cvt_f32_u32_e32 v2, v2
.LBB231_1361:
	s_mov_b64 s[6:7], 0
.LBB231_1362:
	s_andn2_b64 vcc, exec, s[6:7]
	s_cbranch_vccnz .LBB231_1370
; %bb.1363:
	global_load_ubyte v3, v[4:5], off
	s_movk_i32 s6, 0x7f
                                        ; implicit-def: $sgpr12
	s_waitcnt vmcnt(0)
	v_cmp_lt_i16_e32 vcc, s6, v3
	s_mov_b64 s[6:7], 0
	s_and_saveexec_b64 s[8:9], vcc
	s_xor_b64 s[8:9], exec, s[8:9]
	s_cbranch_execz .LBB231_1384
; %bb.1364:
	s_movk_i32 s6, 0x80
	v_cmp_eq_u16_e32 vcc, s6, v3
	s_mov_b64 s[6:7], -1
                                        ; implicit-def: $sgpr12
	s_and_saveexec_b64 s[10:11], vcc
; %bb.1365:
	s_mov_b32 s12, 0x7f800001
	s_xor_b64 s[6:7], exec, -1
; %bb.1366:
	s_or_b64 exec, exec, s[10:11]
	s_and_b64 s[6:7], s[6:7], exec
	s_or_saveexec_b64 s[8:9], s[8:9]
	v_mov_b32_e32 v2, s12
	s_xor_b64 exec, exec, s[8:9]
	s_cbranch_execnz .LBB231_1385
.LBB231_1367:
	s_or_b64 exec, exec, s[8:9]
	s_and_saveexec_b64 s[8:9], s[6:7]
	s_cbranch_execz .LBB231_1369
.LBB231_1368:
	v_lshlrev_b32_e32 v2, 24, v3
	v_and_b32_e32 v3, 0xffff, v3
	v_and_b32_e32 v6, 7, v3
	v_ffbh_u32_e32 v8, v6
	v_min_u32_e32 v8, 32, v8
	v_subrev_u32_e32 v9, 28, v8
	v_bfe_u32 v7, v3, 3, 4
	v_lshlrev_b32_e32 v3, v9, v3
	v_sub_u32_e32 v8, 29, v8
	v_and_b32_e32 v3, 7, v3
	v_cmp_eq_u32_e32 vcc, 0, v7
	v_cndmask_b32_e32 v7, v7, v8, vcc
	v_cndmask_b32_e32 v3, v6, v3, vcc
	v_mov_b32_e32 v6, 0x3b800000
	v_lshlrev_b32_e32 v3, 20, v3
	v_and_b32_e32 v2, 0x80000000, v2
	v_lshl_add_u32 v6, v7, 23, v6
	v_or3_b32 v2, v2, v6, v3
.LBB231_1369:
	s_or_b64 exec, exec, s[8:9]
.LBB231_1370:
	s_mov_b64 s[6:7], -1
.LBB231_1371:
	s_mov_b64 s[8:9], 0
.LBB231_1372:
	s_and_b64 vcc, exec, s[8:9]
	s_cbranch_vccz .LBB231_1407
; %bb.1373:
	v_cmp_lt_i16_e32 vcc, 22, v41
	s_cbranch_vccz .LBB231_1383
; %bb.1374:
	v_cmp_gt_i16_e32 vcc, 24, v41
	s_cbranch_vccnz .LBB231_1386
; %bb.1375:
	v_cmp_lt_i16_e32 vcc, 24, v41
	s_cbranch_vccz .LBB231_1387
; %bb.1376:
	global_load_ubyte v3, v[4:5], off
	s_movk_i32 s6, 0x7f
                                        ; implicit-def: $sgpr12
	s_waitcnt vmcnt(0)
	v_cmp_lt_i16_e32 vcc, s6, v3
	s_mov_b64 s[6:7], 0
	s_and_saveexec_b64 s[8:9], vcc
	s_xor_b64 s[8:9], exec, s[8:9]
	s_cbranch_execz .LBB231_1399
; %bb.1377:
	s_movk_i32 s6, 0x80
	v_cmp_eq_u16_e32 vcc, s6, v3
	s_mov_b64 s[6:7], -1
                                        ; implicit-def: $sgpr12
	s_and_saveexec_b64 s[10:11], vcc
; %bb.1378:
	s_mov_b32 s12, 0x7f800001
	s_xor_b64 s[6:7], exec, -1
; %bb.1379:
	s_or_b64 exec, exec, s[10:11]
	s_and_b64 s[6:7], s[6:7], exec
	s_or_saveexec_b64 s[8:9], s[8:9]
	v_mov_b32_e32 v2, s12
	s_xor_b64 exec, exec, s[8:9]
	s_cbranch_execnz .LBB231_1400
.LBB231_1380:
	s_or_b64 exec, exec, s[8:9]
	s_and_saveexec_b64 s[8:9], s[6:7]
	s_cbranch_execz .LBB231_1382
.LBB231_1381:
	v_lshlrev_b32_e32 v2, 24, v3
	v_and_b32_e32 v3, 0xffff, v3
	v_and_b32_e32 v6, 3, v3
	v_ffbh_u32_e32 v8, v6
	v_min_u32_e32 v8, 32, v8
	v_subrev_u32_e32 v9, 29, v8
	v_bfe_u32 v7, v3, 2, 5
	v_lshlrev_b32_e32 v3, v9, v3
	v_sub_u32_e32 v8, 30, v8
	v_and_b32_e32 v3, 3, v3
	v_cmp_eq_u32_e32 vcc, 0, v7
	v_cndmask_b32_e32 v7, v7, v8, vcc
	v_cndmask_b32_e32 v3, v6, v3, vcc
	v_mov_b32_e32 v6, 0x37800000
	v_lshlrev_b32_e32 v3, 21, v3
	v_and_b32_e32 v2, 0x80000000, v2
	v_lshl_add_u32 v6, v7, 23, v6
	v_or3_b32 v2, v2, v6, v3
.LBB231_1382:
	s_or_b64 exec, exec, s[8:9]
	s_mov_b64 s[6:7], 0
	s_branch .LBB231_1388
.LBB231_1383:
	s_mov_b64 s[8:9], -1
                                        ; implicit-def: $vgpr2
	s_branch .LBB231_1394
.LBB231_1384:
	s_or_saveexec_b64 s[8:9], s[8:9]
	v_mov_b32_e32 v2, s12
	s_xor_b64 exec, exec, s[8:9]
	s_cbranch_execz .LBB231_1367
.LBB231_1385:
	v_cmp_ne_u16_e32 vcc, 0, v3
	s_andn2_b64 s[6:7], s[6:7], exec
	s_and_b64 s[10:11], vcc, exec
	v_mov_b32_e32 v2, 0
	s_or_b64 s[6:7], s[6:7], s[10:11]
	s_or_b64 exec, exec, s[8:9]
	s_and_saveexec_b64 s[8:9], s[6:7]
	s_cbranch_execnz .LBB231_1368
	s_branch .LBB231_1369
.LBB231_1386:
	s_mov_b64 s[6:7], -1
                                        ; implicit-def: $vgpr2
	s_branch .LBB231_1391
.LBB231_1387:
	s_mov_b64 s[6:7], -1
                                        ; implicit-def: $vgpr2
.LBB231_1388:
	s_and_b64 vcc, exec, s[6:7]
	s_cbranch_vccz .LBB231_1390
; %bb.1389:
	global_load_ubyte v2, v[4:5], off
	s_mov_b32 s6, 0x7f800000
	s_waitcnt vmcnt(0)
	v_lshlrev_b32_e32 v2, 24, v2
	v_and_b32_e32 v3, 0x7f000000, v2
	v_ffbh_u32_e32 v6, v3
	v_min_u32_e32 v6, 32, v6
	v_sub_u32_e64 v6, v6, 4 clamp
	v_lshlrev_b32_e32 v8, v6, v3
	v_lshlrev_b32_e32 v6, 23, v6
	v_lshrrev_b32_e32 v8, 4, v8
	v_add_u32_e32 v7, 0x1000000, v3
	v_sub_u32_e32 v6, v8, v6
	v_ashrrev_i32_e32 v7, 8, v7
	v_add_u32_e32 v6, 0x3c000000, v6
	v_and_or_b32 v6, v7, s6, v6
	v_cmp_ne_u32_e32 vcc, 0, v3
	v_cndmask_b32_e32 v3, 0, v6, vcc
	s_brev_b32 s6, 1
	v_and_or_b32 v2, v2, s6, v3
.LBB231_1390:
	s_mov_b64 s[6:7], 0
.LBB231_1391:
	s_andn2_b64 vcc, exec, s[6:7]
	s_cbranch_vccnz .LBB231_1393
; %bb.1392:
	global_load_ubyte v2, v[4:5], off
	s_movk_i32 s6, 0x7f00
	s_brev_b32 s7, 16
	s_waitcnt vmcnt(0)
	v_lshlrev_b16_e32 v3, 8, v2
	v_lshlrev_b32_e32 v2, 25, v2
	v_lshrrev_b32_e32 v6, 4, v2
	v_and_or_b32 v7, v3, s6, 0.5
	v_or_b32_e32 v6, 0x70000000, v6
	v_add_f32_e32 v7, -0.5, v7
	v_mul_f32_e32 v6, 0x7800000, v6
	v_cmp_gt_u32_e32 vcc, s7, v2
	v_bfe_i32 v3, v3, 0, 16
	v_cndmask_b32_e32 v2, v6, v7, vcc
	s_brev_b32 s6, 1
	v_and_or_b32 v2, v3, s6, v2
.LBB231_1393:
	s_mov_b64 s[8:9], 0
	s_mov_b64 s[6:7], -1
.LBB231_1394:
	s_andn2_b64 vcc, exec, s[8:9]
	s_cbranch_vccnz .LBB231_1407
; %bb.1395:
	v_cmp_lt_i16_e32 vcc, 14, v41
	s_cbranch_vccz .LBB231_1398
; %bb.1396:
	v_cmp_eq_u16_e32 vcc, 15, v41
	s_cbranch_vccz .LBB231_1401
; %bb.1397:
	global_load_ushort v2, v[4:5], off
	s_mov_b64 s[6:7], -1
	s_mov_b64 s[92:93], 0
	s_waitcnt vmcnt(0)
	v_lshlrev_b32_e32 v2, 16, v2
	s_branch .LBB231_1402
.LBB231_1398:
	s_mov_b64 s[8:9], -1
                                        ; implicit-def: $vgpr2
	s_branch .LBB231_1403
.LBB231_1399:
	s_or_saveexec_b64 s[8:9], s[8:9]
	v_mov_b32_e32 v2, s12
	s_xor_b64 exec, exec, s[8:9]
	s_cbranch_execz .LBB231_1380
.LBB231_1400:
	v_cmp_ne_u16_e32 vcc, 0, v3
	s_andn2_b64 s[6:7], s[6:7], exec
	s_and_b64 s[10:11], vcc, exec
	v_mov_b32_e32 v2, 0
	s_or_b64 s[6:7], s[6:7], s[10:11]
	s_or_b64 exec, exec, s[8:9]
	s_and_saveexec_b64 s[8:9], s[6:7]
	s_cbranch_execnz .LBB231_1381
	s_branch .LBB231_1382
.LBB231_1401:
	s_mov_b64 s[92:93], -1
                                        ; implicit-def: $vgpr2
.LBB231_1402:
	s_mov_b64 s[8:9], 0
.LBB231_1403:
	s_and_b64 vcc, exec, s[8:9]
	s_cbranch_vccz .LBB231_1407
; %bb.1404:
	v_cmp_eq_u16_e32 vcc, 11, v41
	s_cbranch_vccz .LBB231_1406
; %bb.1405:
	global_load_ubyte v2, v[4:5], off
	s_mov_b64 s[6:7], -1
	s_mov_b64 s[92:93], 0
	s_waitcnt vmcnt(0)
	v_cmp_ne_u16_e32 vcc, 0, v2
	v_cndmask_b32_e64 v2, 0, 1.0, vcc
	s_branch .LBB231_1407
.LBB231_1406:
	s_mov_b64 s[92:93], -1
                                        ; implicit-def: $vgpr2
.LBB231_1407:
	s_mov_b64 s[8:9], 0
.LBB231_1408:
	s_and_b64 vcc, exec, s[8:9]
	s_cbranch_vccz .LBB231_1457
; %bb.1409:
	v_cmp_gt_i16_e32 vcc, 5, v41
	s_cbranch_vccnz .LBB231_1414
; %bb.1410:
	v_cmp_gt_i16_e32 vcc, 8, v41
	s_cbranch_vccnz .LBB231_1415
	;; [unrolled: 3-line block ×3, first 2 shown]
; %bb.1412:
	v_cmp_lt_i16_e32 vcc, 9, v41
	s_cbranch_vccz .LBB231_1417
; %bb.1413:
	global_load_dwordx2 v[2:3], v[4:5], off
	s_mov_b64 s[6:7], 0
	s_waitcnt vmcnt(0)
	v_cvt_f32_f64_e32 v2, v[2:3]
	s_branch .LBB231_1418
.LBB231_1414:
	s_mov_b64 s[6:7], -1
                                        ; implicit-def: $vgpr2
	s_branch .LBB231_1436
.LBB231_1415:
	s_mov_b64 s[6:7], -1
                                        ; implicit-def: $vgpr2
	s_branch .LBB231_1424
.LBB231_1416:
	s_mov_b64 s[6:7], -1
                                        ; implicit-def: $vgpr2
	s_branch .LBB231_1421
.LBB231_1417:
	s_mov_b64 s[6:7], -1
                                        ; implicit-def: $vgpr2
.LBB231_1418:
	s_andn2_b64 vcc, exec, s[6:7]
	s_cbranch_vccnz .LBB231_1420
; %bb.1419:
	global_load_dword v2, v[4:5], off
.LBB231_1420:
	s_mov_b64 s[6:7], 0
.LBB231_1421:
	s_andn2_b64 vcc, exec, s[6:7]
	s_cbranch_vccnz .LBB231_1423
; %bb.1422:
	global_load_dword v2, v[4:5], off
	s_waitcnt vmcnt(0)
	v_cvt_f32_f16_e32 v2, v2
.LBB231_1423:
	s_mov_b64 s[6:7], 0
.LBB231_1424:
	s_andn2_b64 vcc, exec, s[6:7]
	s_cbranch_vccnz .LBB231_1435
; %bb.1425:
	v_cmp_gt_i16_e32 vcc, 6, v41
	s_cbranch_vccnz .LBB231_1428
; %bb.1426:
	v_cmp_lt_i16_e32 vcc, 6, v41
	s_cbranch_vccz .LBB231_1429
; %bb.1427:
	global_load_dwordx2 v[2:3], v[4:5], off
	s_mov_b64 s[6:7], 0
	s_waitcnt vmcnt(0)
	v_cvt_f32_f64_e32 v2, v[2:3]
	s_branch .LBB231_1430
.LBB231_1428:
	s_mov_b64 s[6:7], -1
                                        ; implicit-def: $vgpr2
	s_branch .LBB231_1433
.LBB231_1429:
	s_mov_b64 s[6:7], -1
                                        ; implicit-def: $vgpr2
.LBB231_1430:
	s_andn2_b64 vcc, exec, s[6:7]
	s_cbranch_vccnz .LBB231_1432
; %bb.1431:
	global_load_dword v2, v[4:5], off
.LBB231_1432:
	s_mov_b64 s[6:7], 0
.LBB231_1433:
	s_andn2_b64 vcc, exec, s[6:7]
	s_cbranch_vccnz .LBB231_1435
; %bb.1434:
	global_load_ushort v2, v[4:5], off
	s_waitcnt vmcnt(0)
	v_cvt_f32_f16_e32 v2, v2
.LBB231_1435:
	s_mov_b64 s[6:7], 0
.LBB231_1436:
	s_andn2_b64 vcc, exec, s[6:7]
	s_cbranch_vccnz .LBB231_1456
; %bb.1437:
	v_cmp_gt_i16_e32 vcc, 2, v41
	s_cbranch_vccnz .LBB231_1441
; %bb.1438:
	v_cmp_gt_i16_e32 vcc, 3, v41
	s_cbranch_vccnz .LBB231_1442
; %bb.1439:
	v_cmp_lt_i16_e32 vcc, 3, v41
	s_cbranch_vccz .LBB231_1443
; %bb.1440:
	global_load_dwordx2 v[2:3], v[4:5], off
	s_mov_b64 s[6:7], 0
	s_waitcnt vmcnt(0)
	v_xor_b32_e32 v7, v2, v3
	v_ffbh_i32_e32 v6, v3
	v_ashrrev_i32_e32 v7, 31, v7
	v_add_u32_e32 v6, -1, v6
	v_add_u32_e32 v7, 32, v7
	v_min_u32_e32 v6, v6, v7
	v_lshlrev_b64 v[2:3], v6, v[2:3]
	v_min_u32_e32 v2, 1, v2
	v_or_b32_e32 v2, v3, v2
	v_cvt_f32_i32_e32 v2, v2
	v_sub_u32_e32 v3, 32, v6
	v_ldexp_f32 v2, v2, v3
	s_branch .LBB231_1444
.LBB231_1441:
	s_mov_b64 s[6:7], -1
                                        ; implicit-def: $vgpr2
	s_branch .LBB231_1450
.LBB231_1442:
	s_mov_b64 s[6:7], -1
                                        ; implicit-def: $vgpr2
	s_branch .LBB231_1447
.LBB231_1443:
	s_mov_b64 s[6:7], -1
                                        ; implicit-def: $vgpr2
.LBB231_1444:
	s_andn2_b64 vcc, exec, s[6:7]
	s_cbranch_vccnz .LBB231_1446
; %bb.1445:
	global_load_dword v2, v[4:5], off
	s_waitcnt vmcnt(0)
	v_cvt_f32_i32_e32 v2, v2
.LBB231_1446:
	s_mov_b64 s[6:7], 0
.LBB231_1447:
	s_andn2_b64 vcc, exec, s[6:7]
	s_cbranch_vccnz .LBB231_1449
; %bb.1448:
	global_load_sshort v2, v[4:5], off
	s_waitcnt vmcnt(0)
	v_cvt_f32_i32_e32 v2, v2
.LBB231_1449:
	s_mov_b64 s[6:7], 0
.LBB231_1450:
	s_andn2_b64 vcc, exec, s[6:7]
	s_cbranch_vccnz .LBB231_1456
; %bb.1451:
	v_cmp_lt_i16_e32 vcc, 0, v41
	s_cbranch_vccz .LBB231_1453
; %bb.1452:
	global_load_sbyte v2, v[4:5], off
	s_mov_b64 s[6:7], 0
	s_waitcnt vmcnt(0)
	v_cvt_f32_i32_e32 v2, v2
	s_branch .LBB231_1454
.LBB231_1453:
	s_mov_b64 s[6:7], -1
                                        ; implicit-def: $vgpr2
.LBB231_1454:
	s_andn2_b64 vcc, exec, s[6:7]
	s_cbranch_vccnz .LBB231_1456
; %bb.1455:
	global_load_ubyte v2, v[4:5], off
	s_waitcnt vmcnt(0)
	v_cvt_f32_ubyte0_e32 v2, v2
.LBB231_1456:
	s_mov_b64 s[6:7], -1
.LBB231_1457:
	s_andn2_b64 vcc, exec, s[6:7]
	s_cbranch_vccnz .LBB231_1465
; %bb.1458:
	s_mov_b64 s[52:53], s[20:21]
	s_mov_b64 s[88:89], s[94:95]
	;; [unrolled: 1-line block ×3, first 2 shown]
	s_getpc_b64 s[4:5]
	s_add_u32 s4, s4, _ZZZZN2at6native28launch_dirichlet_grad_kernelERNS_18TensorIteratorBaseEENKUlvE_clEvENKUlvE0_clEvENKUlfffE_clEfff@rel32@lo+4
	s_addc_u32 s5, s5, _ZZZZN2at6native28launch_dirichlet_grad_kernelERNS_18TensorIteratorBaseEENKUlvE_clEvENKUlvE0_clEvENKUlfffE_clEfff@rel32@hi+12
	s_swappc_b64 s[30:31], s[4:5]
	v_mov_b32_e32 v1, s37
	v_add_co_u32_e32 v2, vcc, s36, v38
	v_addc_co_u32_e32 v3, vcc, 0, v1, vcc
	v_mov_b32_e32 v1, 11
	v_cmp_lt_i16_sdwa s[4:5], v40, v1 src0_sel:BYTE_0 src1_sel:DWORD
	s_and_b64 vcc, exec, s[4:5]
	s_cbranch_vccnz .LBB231_1466
; %bb.1459:
	v_mov_b32_e32 v1, 25
	v_cmp_gt_i16_sdwa s[4:5], v40, v1 src0_sel:BYTE_0 src1_sel:DWORD
	s_and_b64 vcc, exec, s[4:5]
	s_cbranch_vccz .LBB231_1467
; %bb.1460:
	v_mov_b32_e32 v1, 28
	v_cmp_gt_i16_sdwa s[4:5], v40, v1 src0_sel:BYTE_0 src1_sel:DWORD
	s_and_b64 vcc, exec, s[4:5]
	s_mov_b64 s[4:5], s[94:95]
	s_cbranch_vccz .LBB231_1468
; %bb.1461:
	v_mov_b32_e32 v1, 43
	v_cmp_gt_i16_sdwa s[6:7], v40, v1 src0_sel:BYTE_0 src1_sel:DWORD
	s_and_b64 vcc, exec, s[6:7]
	s_mov_b64 s[94:95], s[88:89]
	s_cbranch_vccz .LBB231_1469
; %bb.1462:
	v_mov_b32_e32 v1, 45
	v_cmp_gt_i16_sdwa s[6:7], v40, v1 src0_sel:BYTE_0 src1_sel:DWORD
	s_and_b64 vcc, exec, s[6:7]
	s_cbranch_vccz .LBB231_1470
; %bb.1463:
	v_mov_b32_e32 v1, 46
	v_cmp_eq_u16_sdwa s[8:9], v40, v1 src0_sel:BYTE_0 src1_sel:DWORD
	s_mov_b64 s[10:11], 0
	s_mov_b64 s[6:7], -1
	s_and_b64 vcc, exec, s[8:9]
	s_mov_b64 s[8:9], 0
	s_mov_b64 s[20:21], s[52:53]
	s_cbranch_vccz .LBB231_1471
; %bb.1464:
	v_bfe_u32 v1, v0, 16, 1
	s_movk_i32 s6, 0x7fff
	v_add3_u32 v1, v0, v1, s6
	v_lshrrev_b32_e32 v1, 16, v1
	v_mov_b32_e32 v4, 0x7fc0
	v_cmp_o_f32_e32 vcc, v0, v0
	v_cndmask_b32_e32 v1, v4, v1, vcc
	global_store_dword v[2:3], v1, off
	s_mov_b64 s[8:9], -1
	s_mov_b64 s[6:7], 0
	s_branch .LBB231_1471
.LBB231_1465:
	s_mov_b64 s[8:9], 0
                                        ; implicit-def: $vgpr42
	s_mov_b64 s[6:7], s[82:83]
	s_branch .LBB231_1581
.LBB231_1466:
	s_mov_b64 s[20:21], s[52:53]
	s_load_dwordx4 s[52:55], s[34:35], 0x4
	s_mov_b64 s[10:11], -1
	s_mov_b64 s[8:9], 0
	s_mov_b64 s[6:7], s[82:83]
	;; [unrolled: 1-line block ×4, first 2 shown]
	s_branch .LBB231_1540
.LBB231_1467:
	s_mov_b64 s[20:21], s[52:53]
	s_load_dwordx4 s[52:55], s[34:35], 0x4
	s_mov_b64 s[10:11], -1
	s_mov_b64 s[8:9], 0
	s_mov_b64 s[6:7], s[82:83]
	;; [unrolled: 1-line block ×4, first 2 shown]
	s_branch .LBB231_1498
.LBB231_1468:
	s_mov_b64 s[20:21], s[52:53]
	s_load_dwordx4 s[52:55], s[34:35], 0x4
	s_mov_b64 s[10:11], -1
	s_mov_b64 s[8:9], 0
	s_mov_b64 s[6:7], s[82:83]
	;; [unrolled: 1-line block ×3, first 2 shown]
	s_branch .LBB231_1481
.LBB231_1469:
	s_mov_b64 s[20:21], s[52:53]
	s_load_dwordx4 s[52:55], s[34:35], 0x4
	s_mov_b64 s[10:11], -1
	s_mov_b64 s[8:9], 0
	s_mov_b64 s[6:7], s[82:83]
	s_branch .LBB231_1477
.LBB231_1470:
	s_mov_b64 s[10:11], -1
	s_mov_b64 s[8:9], 0
	s_mov_b64 s[6:7], s[82:83]
	;; [unrolled: 1-line block ×3, first 2 shown]
.LBB231_1471:
	s_load_dwordx4 s[52:55], s[34:35], 0x4
	s_and_b64 vcc, exec, s[10:11]
	s_cbranch_vccz .LBB231_1476
; %bb.1472:
	v_mov_b32_e32 v1, 44
	v_cmp_eq_u16_sdwa s[10:11], v40, v1 src0_sel:BYTE_0 src1_sel:DWORD
	s_mov_b64 s[6:7], -1
	s_and_b64 vcc, exec, s[10:11]
	s_cbranch_vccz .LBB231_1476
; %bb.1473:
	v_bfe_u32 v1, v0, 23, 8
	s_movk_i32 s6, 0xff
	v_cmp_ne_u32_e32 vcc, s6, v1
	v_mov_b32_e32 v4, 0xff
	s_and_saveexec_b64 s[8:9], vcc
; %bb.1474:
	s_mov_b32 s6, 0x3fffff
	v_and_b32_e32 v5, 0x400000, v0
	v_and_or_b32 v1, v0, s6, v1
	v_cmp_ne_u32_e32 vcc, 0, v5
	v_cmp_ne_u32_e64 s[6:7], 0, v1
	s_and_b64 s[6:7], vcc, s[6:7]
	v_lshrrev_b32_e32 v4, 23, v0
	v_cndmask_b32_e64 v1, 0, 1, s[6:7]
	v_add_u32_e32 v4, v4, v1
; %bb.1475:
	s_or_b64 exec, exec, s[8:9]
	s_mov_b64 s[8:9], -1
	s_mov_b64 s[6:7], 0
	global_store_byte v[2:3], v4, off
.LBB231_1476:
	s_mov_b64 s[10:11], 0
.LBB231_1477:
	s_and_b64 vcc, exec, s[10:11]
	s_cbranch_vccz .LBB231_1480
; %bb.1478:
	v_mov_b32_e32 v1, 29
	v_cmp_eq_u16_sdwa s[10:11], v40, v1 src0_sel:BYTE_0 src1_sel:DWORD
	s_mov_b64 s[6:7], -1
	s_and_b64 vcc, exec, s[10:11]
	s_cbranch_vccz .LBB231_1480
; %bb.1479:
	v_trunc_f32_e32 v1, v0
	v_mul_f32_e32 v4, 0x2f800000, v1
	v_floor_f32_e32 v4, v4
	v_fmac_f32_e32 v1, 0xcf800000, v4
	v_cvt_u32_f32_e32 v5, v4
	v_cvt_u32_f32_e32 v4, v1
	s_mov_b64 s[8:9], -1
	s_mov_b64 s[6:7], 0
	s_mov_b64 s[10:11], 0
	global_store_dwordx2 v[2:3], v[4:5], off
	s_branch .LBB231_1481
.LBB231_1480:
	s_mov_b64 s[10:11], 0
.LBB231_1481:
	s_and_b64 vcc, exec, s[10:11]
	s_cbranch_vccz .LBB231_1497
; %bb.1482:
	v_mov_b32_e32 v1, 27
	v_cmp_lt_i16_sdwa s[10:11], v40, v1 src0_sel:BYTE_0 src1_sel:DWORD
	s_mov_b64 s[8:9], -1
	s_and_b64 vcc, exec, s[10:11]
	s_cbranch_vccnz .LBB231_1488
; %bb.1483:
	v_cmp_gt_i16_sdwa s[10:11], v40, v1 src0_sel:BYTE_0 src1_sel:DWORD
	s_and_b64 vcc, exec, s[10:11]
	s_cbranch_vccz .LBB231_1485
; %bb.1484:
	v_cvt_u32_f32_e32 v1, v0
	s_mov_b64 s[8:9], 0
	global_store_dword v[2:3], v1, off
.LBB231_1485:
	s_andn2_b64 vcc, exec, s[8:9]
	s_cbranch_vccnz .LBB231_1487
; %bb.1486:
	v_cvt_u32_f32_e32 v1, v0
	global_store_short v[2:3], v1, off
.LBB231_1487:
	s_mov_b64 s[8:9], 0
.LBB231_1488:
	s_andn2_b64 vcc, exec, s[8:9]
	s_cbranch_vccnz .LBB231_1496
; %bb.1489:
	v_and_b32_e32 v1, 0x7fffffff, v0
	s_mov_b32 s8, 0x43800000
	v_cmp_gt_u32_e32 vcc, s8, v1
	v_mov_b32_e32 v4, 0x80
	s_and_saveexec_b64 s[8:9], vcc
	s_cbranch_execz .LBB231_1495
; %bb.1490:
	s_mov_b32 s10, 0x3bffffff
	v_cmp_lt_u32_e32 vcc, s10, v1
	s_mov_b64 s[10:11], 0
                                        ; implicit-def: $vgpr1
	s_and_saveexec_b64 s[12:13], vcc
	s_xor_b64 s[12:13], exec, s[12:13]
	s_cbranch_execz .LBB231_2795
; %bb.1491:
	v_bfe_u32 v1, v0, 20, 1
	s_mov_b32 s14, 0x487ffff
	v_add3_u32 v1, v0, v1, s14
	s_mov_b64 s[10:11], exec
	v_lshrrev_b32_e32 v1, 20, v1
	s_or_saveexec_b64 s[12:13], s[12:13]
                                        ; implicit-def: $sgpr14
	s_xor_b64 exec, exec, s[12:13]
	s_cbranch_execnz .LBB231_2796
.LBB231_1492:
	s_or_b64 exec, exec, s[12:13]
	v_mov_b32_e32 v4, s14
	s_and_saveexec_b64 s[12:13], s[10:11]
.LBB231_1493:
	v_lshrrev_b32_e32 v4, 24, v0
	s_movk_i32 s10, 0x80
	v_and_or_b32 v4, v4, s10, v1
.LBB231_1494:
	s_or_b64 exec, exec, s[12:13]
.LBB231_1495:
	s_or_b64 exec, exec, s[8:9]
	global_store_byte v[2:3], v4, off
.LBB231_1496:
	s_mov_b64 s[8:9], -1
.LBB231_1497:
	s_mov_b64 s[10:11], 0
.LBB231_1498:
	s_and_b64 vcc, exec, s[10:11]
	s_cbranch_vccz .LBB231_1539
; %bb.1499:
	v_mov_b32_e32 v1, 22
	v_cmp_gt_i16_sdwa s[12:13], v40, v1 src0_sel:BYTE_0 src1_sel:DWORD
	s_mov_b64 s[10:11], -1
	s_and_b64 vcc, exec, s[12:13]
	s_cbranch_vccz .LBB231_1531
; %bb.1500:
	v_mov_b32_e32 v1, 24
	v_cmp_lt_i16_sdwa s[10:11], v40, v1 src0_sel:BYTE_0 src1_sel:DWORD
	s_mov_b64 s[8:9], -1
	s_and_b64 vcc, exec, s[10:11]
	s_cbranch_vccnz .LBB231_1520
; %bb.1501:
	v_cmp_gt_i16_sdwa s[10:11], v40, v1 src0_sel:BYTE_0 src1_sel:DWORD
	s_and_b64 vcc, exec, s[10:11]
	s_cbranch_vccz .LBB231_1509
; %bb.1502:
	v_and_b32_e32 v1, 0x7fffffff, v0
	s_mov_b32 s8, 0x47800000
	v_cmp_gt_u32_e32 vcc, s8, v1
	v_mov_b32_e32 v4, 0x80
	s_and_saveexec_b64 s[8:9], vcc
	s_cbranch_execz .LBB231_1508
; %bb.1503:
	s_mov_b32 s10, 0x37ffffff
	v_cmp_lt_u32_e32 vcc, s10, v1
	s_mov_b64 s[10:11], 0
                                        ; implicit-def: $vgpr1
	s_and_saveexec_b64 s[12:13], vcc
	s_xor_b64 s[12:13], exec, s[12:13]
	s_cbranch_execz .LBB231_2927
; %bb.1504:
	v_bfe_u32 v1, v0, 21, 1
	s_mov_b32 s14, 0x88fffff
	v_add3_u32 v1, v0, v1, s14
	s_mov_b64 s[10:11], exec
	v_lshrrev_b32_e32 v1, 21, v1
	s_or_saveexec_b64 s[12:13], s[12:13]
                                        ; implicit-def: $sgpr14
	s_xor_b64 exec, exec, s[12:13]
	s_cbranch_execnz .LBB231_2928
.LBB231_1505:
	s_or_b64 exec, exec, s[12:13]
	v_mov_b32_e32 v4, s14
	s_and_saveexec_b64 s[12:13], s[10:11]
.LBB231_1506:
	v_lshrrev_b32_e32 v4, 24, v0
	s_movk_i32 s10, 0x80
	v_and_or_b32 v4, v4, s10, v1
.LBB231_1507:
	s_or_b64 exec, exec, s[12:13]
.LBB231_1508:
	s_or_b64 exec, exec, s[8:9]
	s_mov_b64 s[8:9], 0
	global_store_byte v[2:3], v4, off
.LBB231_1509:
	s_and_b64 vcc, exec, s[8:9]
	s_cbranch_vccz .LBB231_1519
; %bb.1510:
	v_and_b32_e32 v4, 0x7fffffff, v0
	s_mov_b32 s8, 0x43f00000
	v_cmp_gt_u32_e32 vcc, s8, v4
                                        ; implicit-def: $vgpr1
	s_and_saveexec_b64 s[8:9], vcc
	s_xor_b64 s[8:9], exec, s[8:9]
	s_cbranch_execz .LBB231_1516
; %bb.1511:
	s_mov_b32 s10, 0x3c7fffff
	v_cmp_lt_u32_e32 vcc, s10, v4
                                        ; implicit-def: $vgpr1
	s_and_saveexec_b64 s[10:11], vcc
	s_xor_b64 s[10:11], exec, s[10:11]
; %bb.1512:
	v_bfe_u32 v1, v0, 20, 1
	s_mov_b32 s12, 0x407ffff
	v_add3_u32 v1, v0, v1, s12
	v_lshrrev_b32_e32 v4, 20, v1
	v_and_b32_e32 v1, 0xff00000, v1
	s_mov_b32 s12, 0x7f00000
	v_mov_b32_e32 v5, 0x7e
	v_cmp_ne_u32_e32 vcc, s12, v1
	v_cndmask_b32_e32 v1, v5, v4, vcc
; %bb.1513:
	s_andn2_saveexec_b64 s[10:11], s[10:11]
; %bb.1514:
	s_mov_b32 s12, 0x46800000
	v_add_f32_e64 v1, |v0|, s12
; %bb.1515:
	s_or_b64 exec, exec, s[10:11]
                                        ; implicit-def: $vgpr4
.LBB231_1516:
	s_andn2_saveexec_b64 s[8:9], s[8:9]
; %bb.1517:
	s_mov_b32 s10, 0x7f800000
	v_mov_b32_e32 v1, 0x7e
	v_mov_b32_e32 v5, 0x7f
	v_cmp_lt_u32_e32 vcc, s10, v4
	v_cndmask_b32_e32 v1, v1, v5, vcc
; %bb.1518:
	s_or_b64 exec, exec, s[8:9]
	v_lshrrev_b32_e32 v4, 24, v0
	s_movk_i32 s8, 0x80
	v_and_or_b32 v1, v4, s8, v1
	global_store_byte v[2:3], v1, off
.LBB231_1519:
	s_mov_b64 s[8:9], 0
.LBB231_1520:
	s_andn2_b64 vcc, exec, s[8:9]
	s_cbranch_vccnz .LBB231_1530
; %bb.1521:
	v_and_b32_e32 v4, 0x7fffffff, v0
	s_mov_b32 s8, 0x47800000
	v_cmp_gt_u32_e32 vcc, s8, v4
                                        ; implicit-def: $vgpr1
	s_and_saveexec_b64 s[8:9], vcc
	s_xor_b64 s[8:9], exec, s[8:9]
	s_cbranch_execz .LBB231_1527
; %bb.1522:
	s_mov_b32 s10, 0x387fffff
	v_cmp_lt_u32_e32 vcc, s10, v4
                                        ; implicit-def: $vgpr1
	s_and_saveexec_b64 s[10:11], vcc
	s_xor_b64 s[10:11], exec, s[10:11]
; %bb.1523:
	v_bfe_u32 v1, v0, 21, 1
	s_mov_b32 s12, 0x80fffff
	v_add3_u32 v1, v0, v1, s12
	v_lshrrev_b32_e32 v1, 21, v1
; %bb.1524:
	s_andn2_saveexec_b64 s[10:11], s[10:11]
; %bb.1525:
	s_mov_b32 s12, 0x43000000
	v_add_f32_e64 v1, |v0|, s12
; %bb.1526:
	s_or_b64 exec, exec, s[10:11]
                                        ; implicit-def: $vgpr4
.LBB231_1527:
	s_andn2_saveexec_b64 s[8:9], s[8:9]
; %bb.1528:
	s_mov_b32 s10, 0x7f800000
	v_mov_b32_e32 v1, 0x7c
	v_mov_b32_e32 v5, 0x7f
	v_cmp_lt_u32_e32 vcc, s10, v4
	v_cndmask_b32_e32 v1, v1, v5, vcc
; %bb.1529:
	s_or_b64 exec, exec, s[8:9]
	v_lshrrev_b32_e32 v4, 24, v0
	s_movk_i32 s8, 0x80
	v_and_or_b32 v1, v4, s8, v1
	global_store_byte v[2:3], v1, off
.LBB231_1530:
	s_mov_b64 s[10:11], 0
	s_mov_b64 s[8:9], -1
.LBB231_1531:
	s_andn2_b64 vcc, exec, s[10:11]
	s_cbranch_vccnz .LBB231_1539
; %bb.1532:
	v_mov_b32_e32 v1, 14
	v_cmp_gt_i16_sdwa s[12:13], v40, v1 src0_sel:BYTE_0 src1_sel:DWORD
	s_mov_b64 s[10:11], -1
	s_and_b64 vcc, exec, s[12:13]
	s_cbranch_vccz .LBB231_1536
; %bb.1533:
	v_mov_b32_e32 v1, 15
	v_cmp_eq_u16_sdwa s[10:11], v40, v1 src0_sel:BYTE_0 src1_sel:DWORD
	s_mov_b64 s[6:7], -1
	s_and_b64 vcc, exec, s[10:11]
	s_cbranch_vccz .LBB231_1535
; %bb.1534:
	v_bfe_u32 v1, v0, 16, 1
	s_movk_i32 s6, 0x7fff
	v_add3_u32 v1, v0, v1, s6
	v_lshrrev_b32_e32 v1, 16, v1
	v_mov_b32_e32 v4, 0x7fc0
	v_cmp_o_f32_e32 vcc, v0, v0
	v_cndmask_b32_e32 v1, v4, v1, vcc
	global_store_short v[2:3], v1, off
	s_mov_b64 s[8:9], -1
	s_mov_b64 s[6:7], 0
.LBB231_1535:
	s_mov_b64 s[10:11], 0
.LBB231_1536:
	s_and_b64 vcc, exec, s[10:11]
	s_cbranch_vccz .LBB231_1539
; %bb.1537:
	v_mov_b32_e32 v1, 11
	v_cmp_eq_u16_sdwa s[10:11], v40, v1 src0_sel:BYTE_0 src1_sel:DWORD
	s_mov_b64 s[6:7], -1
	s_and_b64 vcc, exec, s[10:11]
	s_cbranch_vccz .LBB231_1539
; %bb.1538:
	v_cmp_neq_f32_e32 vcc, 0, v0
	v_cndmask_b32_e64 v1, 0, 1, vcc
	s_mov_b64 s[8:9], -1
	s_mov_b64 s[6:7], 0
	global_store_byte v[2:3], v1, off
.LBB231_1539:
	s_mov_b64 s[10:11], 0
.LBB231_1540:
	s_and_b64 vcc, exec, s[10:11]
	s_cbranch_vccz .LBB231_1579
; %bb.1541:
	v_mov_b32_e32 v1, 5
	v_cmp_lt_i16_sdwa s[10:11], v40, v1 src0_sel:BYTE_0 src1_sel:DWORD
	s_mov_b64 s[8:9], -1
	s_and_b64 vcc, exec, s[10:11]
	s_cbranch_vccnz .LBB231_1562
; %bb.1542:
	v_mov_b32_e32 v1, 8
	v_cmp_lt_i16_sdwa s[10:11], v40, v1 src0_sel:BYTE_0 src1_sel:DWORD
	s_and_b64 vcc, exec, s[10:11]
	s_cbranch_vccnz .LBB231_1552
; %bb.1543:
	v_mov_b32_e32 v1, 9
	v_cmp_lt_i16_sdwa s[10:11], v40, v1 src0_sel:BYTE_0 src1_sel:DWORD
	s_and_b64 vcc, exec, s[10:11]
	s_cbranch_vccnz .LBB231_1549
; %bb.1544:
	v_cmp_gt_i16_sdwa s[10:11], v40, v1 src0_sel:BYTE_0 src1_sel:DWORD
	s_and_b64 vcc, exec, s[10:11]
	s_cbranch_vccz .LBB231_1546
; %bb.1545:
	v_mov_b32_e32 v6, 0
	v_cvt_f64_f32_e32 v[4:5], v0
	v_mov_b32_e32 v7, v6
	s_mov_b64 s[8:9], 0
	global_store_dwordx4 v[2:3], v[4:7], off
.LBB231_1546:
	s_andn2_b64 vcc, exec, s[8:9]
	s_cbranch_vccnz .LBB231_1548
; %bb.1547:
	v_mov_b32_e32 v1, 0
	global_store_dwordx2 v[2:3], v[0:1], off
.LBB231_1548:
	s_mov_b64 s[8:9], 0
.LBB231_1549:
	s_andn2_b64 vcc, exec, s[8:9]
	s_cbranch_vccnz .LBB231_1551
; %bb.1550:
	v_cvt_f16_f32_e32 v1, v0
	global_store_dword v[2:3], v1, off
.LBB231_1551:
	s_mov_b64 s[8:9], 0
.LBB231_1552:
	s_andn2_b64 vcc, exec, s[8:9]
	s_cbranch_vccnz .LBB231_1561
; %bb.1553:
	v_mov_b32_e32 v1, 6
	v_cmp_lt_i16_sdwa s[10:11], v40, v1 src0_sel:BYTE_0 src1_sel:DWORD
	s_mov_b64 s[8:9], -1
	s_and_b64 vcc, exec, s[10:11]
	s_cbranch_vccnz .LBB231_1559
; %bb.1554:
	v_cmp_gt_i16_sdwa s[10:11], v40, v1 src0_sel:BYTE_0 src1_sel:DWORD
	s_and_b64 vcc, exec, s[10:11]
	s_cbranch_vccz .LBB231_1556
; %bb.1555:
	v_cvt_f64_f32_e32 v[4:5], v0
	s_mov_b64 s[8:9], 0
	global_store_dwordx2 v[2:3], v[4:5], off
.LBB231_1556:
	s_andn2_b64 vcc, exec, s[8:9]
	s_cbranch_vccnz .LBB231_1558
; %bb.1557:
	global_store_dword v[2:3], v0, off
.LBB231_1558:
	s_mov_b64 s[8:9], 0
.LBB231_1559:
	s_andn2_b64 vcc, exec, s[8:9]
	s_cbranch_vccnz .LBB231_1561
; %bb.1560:
	v_cvt_f16_f32_e32 v1, v0
	global_store_short v[2:3], v1, off
.LBB231_1561:
	s_mov_b64 s[8:9], 0
.LBB231_1562:
	s_andn2_b64 vcc, exec, s[8:9]
	s_cbranch_vccnz .LBB231_1578
; %bb.1563:
	v_mov_b32_e32 v1, 2
	v_cmp_lt_i16_sdwa s[10:11], v40, v1 src0_sel:BYTE_0 src1_sel:DWORD
	s_mov_b64 s[8:9], -1
	s_and_b64 vcc, exec, s[10:11]
	s_cbranch_vccnz .LBB231_1573
; %bb.1564:
	v_mov_b32_e32 v1, 3
	v_cmp_lt_i16_sdwa s[10:11], v40, v1 src0_sel:BYTE_0 src1_sel:DWORD
	s_and_b64 vcc, exec, s[10:11]
	s_cbranch_vccnz .LBB231_1570
; %bb.1565:
	v_cmp_gt_i16_sdwa s[10:11], v40, v1 src0_sel:BYTE_0 src1_sel:DWORD
	s_and_b64 vcc, exec, s[10:11]
	s_cbranch_vccz .LBB231_1567
; %bb.1566:
	v_trunc_f32_e32 v1, v0
	s_mov_b32 s8, 0x2f800000
	v_mul_f32_e64 v4, |v1|, s8
	v_floor_f32_e32 v4, v4
	s_mov_b32 s8, 0xcf800000
	v_cvt_u32_f32_e32 v5, v4
	v_fma_f32 v4, v4, s8, |v1|
	v_cvt_u32_f32_e32 v4, v4
	v_ashrrev_i32_e32 v1, 31, v1
	v_xor_b32_e32 v5, v5, v1
	s_mov_b64 s[8:9], 0
	v_xor_b32_e32 v4, v4, v1
	v_sub_co_u32_e32 v4, vcc, v4, v1
	v_subb_co_u32_e32 v5, vcc, v5, v1, vcc
	global_store_dwordx2 v[2:3], v[4:5], off
.LBB231_1567:
	s_andn2_b64 vcc, exec, s[8:9]
	s_cbranch_vccnz .LBB231_1569
; %bb.1568:
	v_cvt_i32_f32_e32 v1, v0
	global_store_dword v[2:3], v1, off
.LBB231_1569:
	s_mov_b64 s[8:9], 0
.LBB231_1570:
	s_andn2_b64 vcc, exec, s[8:9]
	s_cbranch_vccnz .LBB231_1572
; %bb.1571:
	v_cvt_i32_f32_e32 v1, v0
	global_store_short v[2:3], v1, off
.LBB231_1572:
	s_mov_b64 s[8:9], 0
.LBB231_1573:
	s_andn2_b64 vcc, exec, s[8:9]
	s_cbranch_vccnz .LBB231_1578
; %bb.1574:
	v_mov_b32_e32 v1, 0
	v_cmp_gt_i16_sdwa s[10:11], v40, v1 src0_sel:BYTE_0 src1_sel:DWORD
	s_mov_b64 s[8:9], -1
	s_and_b64 vcc, exec, s[10:11]
	s_cbranch_vccz .LBB231_1576
; %bb.1575:
	v_cvt_i32_f32_e32 v1, v0
	s_mov_b64 s[8:9], 0
	global_store_byte v[2:3], v1, off
.LBB231_1576:
	s_andn2_b64 vcc, exec, s[8:9]
	s_cbranch_vccnz .LBB231_1578
; %bb.1577:
	v_trunc_f32_e32 v0, v0
	s_mov_b32 s8, 0x2f800000
	v_mul_f32_e64 v1, |v0|, s8
	v_floor_f32_e32 v1, v1
	s_mov_b32 s8, 0xcf800000
	v_fma_f32 v1, v1, s8, |v0|
	v_cvt_u32_f32_e32 v1, v1
	v_ashrrev_i32_e32 v0, 31, v0
	v_xor_b32_e32 v1, v1, v0
	v_sub_u32_e32 v0, v1, v0
	global_store_byte v[2:3], v0, off
.LBB231_1578:
	s_mov_b64 s[8:9], -1
.LBB231_1579:
	s_andn2_b64 vcc, exec, s[8:9]
	s_cbranch_vccnz .LBB231_1604
; %bb.1580:
	v_add_u32_e32 v42, 0x80, v42
	s_mov_b64 s[8:9], -1
.LBB231_1581:
	s_andn2_b64 s[10:11], s[82:83], exec
	s_and_b64 s[6:7], s[6:7], exec
	s_or_b64 s[24:25], s[10:11], s[6:7]
	s_andn2_b64 s[6:7], s[80:81], exec
	s_and_b64 s[10:11], s[92:93], exec
	s_or_b64 s[22:23], s[6:7], s[10:11]
	;; [unrolled: 3-line block ×4, first 2 shown]
	s_orn2_b64 s[14:15], s[8:9], exec
.LBB231_1582:
	s_or_b64 exec, exec, s[86:87]
	s_mov_b64 s[12:13], 0
	s_mov_b64 s[10:11], 0
	;; [unrolled: 1-line block ×3, first 2 shown]
                                        ; implicit-def: $vgpr1
                                        ; implicit-def: $vgpr4_vgpr5
                                        ; implicit-def: $vgpr38
                                        ; implicit-def: $vgpr0
                                        ; implicit-def: $vgpr2
                                        ; implicit-def: $vgpr3
	s_and_saveexec_b64 s[26:27], s[14:15]
	s_cbranch_execz .LBB231_1674
; %bb.1583:
	v_cmp_gt_i32_e32 vcc, s60, v42
	s_mov_b64 s[14:15], s[6:7]
	s_mov_b64 s[16:17], 0
	;; [unrolled: 1-line block ×3, first 2 shown]
                                        ; implicit-def: $vgpr1
                                        ; implicit-def: $vgpr4_vgpr5
                                        ; implicit-def: $vgpr38
                                        ; implicit-def: $vgpr0
                                        ; implicit-def: $vgpr2
                                        ; implicit-def: $vgpr3
	s_and_saveexec_b64 s[30:31], vcc
	s_cbranch_execz .LBB231_1673
; %bb.1584:
	s_andn2_b64 vcc, exec, s[56:57]
	s_cbranch_vccnz .LBB231_1591
; %bb.1585:
	s_andn2_b64 vcc, exec, s[64:65]
	v_mov_b32_e32 v4, 0
	v_mov_b32_e32 v38, 0
	s_waitcnt vmcnt(0)
	v_mov_b32_e32 v0, 0
	v_mov_b32_e32 v2, 0
	s_cbranch_vccnz .LBB231_1590
; %bb.1586:
	s_add_i32 s8, s97, 1
	s_and_b32 s60, s8, 30
	s_add_u32 s64, s34, 0xa4
	s_addc_u32 s65, s35, 0
	v_mov_b32_e32 v2, 0
	s_mov_b64 s[86:87], s[34:35]
	v_mov_b32_e32 v1, v42
	v_mov_b32_e32 v0, 0
	;; [unrolled: 1-line block ×4, first 2 shown]
.LBB231_1587:                           ; =>This Inner Loop Header: Depth=1
	s_load_dwordx4 s[16:19], s[86:87], 0x4
	s_load_dwordx2 s[90:91], s[86:87], 0x14
	s_mov_b64 s[88:89], s[64:65]
	s_load_dwordx8 s[8:15], s[88:89], 0x20
	s_add_u32 s64, s88, 32
	s_waitcnt lgkmcnt(0)
	v_mul_hi_u32 v3, s17, v1
	v_add_u32_e32 v3, v1, v3
	v_lshrrev_b32_e32 v3, s18, v3
	v_mul_lo_u32 v5, v3, s16
	v_mul_hi_u32 v6, s90, v3
	v_sub_u32_e32 v1, v1, v5
	v_add_u32_e32 v5, v3, v6
	v_mul_lo_u32 v6, v1, s8
	v_mul_lo_u32 v7, v1, s9
	;; [unrolled: 1-line block ×4, first 2 shown]
	v_lshrrev_b32_e32 v1, s91, v5
	s_addc_u32 s65, s89, 0
	v_mul_lo_u32 v5, v1, s19
	s_add_u32 s86, s86, 24
	v_sub_u32_e32 v3, v3, v5
	s_addc_u32 s87, s87, 0
	s_add_i32 s60, s60, -2
	v_mul_lo_u32 v5, v3, s12
	v_mul_lo_u32 v10, v3, s13
	;; [unrolled: 1-line block ×4, first 2 shown]
	s_cmp_eq_u32 s60, 0
	v_add3_u32 v4, v7, v4, v10
	v_add3_u32 v38, v6, v38, v5
	;; [unrolled: 1-line block ×4, first 2 shown]
	s_cbranch_scc0 .LBB231_1587
; %bb.1588:
	s_bitcmp1_b32 s97, 0
	s_cselect_b64 s[8:9], -1, 0
	s_and_b64 vcc, exec, s[8:9]
	s_cbranch_vccnz .LBB231_1590
; %bb.1589:
	s_load_dwordx2 s[12:13], s[86:87], 0x4
	s_load_dword s14, s[86:87], 0xc
	s_load_dwordx4 s[8:11], s[64:65], 0x20
	s_waitcnt lgkmcnt(0)
	v_mul_hi_u32 v3, s13, v1
	v_add_u32_e32 v3, v1, v3
	v_lshrrev_b32_e32 v3, s14, v3
	v_mul_lo_u32 v3, v3, s12
	v_sub_u32_e32 v1, v1, v3
	v_mad_u64_u32 v[38:39], s[12:13], v1, s8, v[38:39]
	v_mad_u64_u32 v[4:5], s[8:9], v1, s9, v[4:5]
	;; [unrolled: 1-line block ×4, first 2 shown]
.LBB231_1590:
	s_mov_b64 s[8:9], 0
	s_branch .LBB231_1592
.LBB231_1591:
	s_mov_b64 s[8:9], -1
                                        ; implicit-def: $vgpr4
                                        ; implicit-def: $vgpr38
                                        ; implicit-def: $vgpr0
                                        ; implicit-def: $vgpr2
.LBB231_1592:
	s_andn2_b64 vcc, exec, s[8:9]
	s_cbranch_vccnz .LBB231_1595
; %bb.1593:
	s_waitcnt vmcnt(0) lgkmcnt(0)
	v_mul_hi_u32 v0, s53, v42
	v_add_u32_e32 v0, v42, v0
	v_lshrrev_b32_e32 v1, s54, v0
	v_mul_lo_u32 v0, v1, s52
	v_sub_u32_e32 v2, v42, v0
	v_mul_lo_u32 v4, v2, s45
	v_mul_lo_u32 v38, v2, s44
	v_mul_lo_u32 v0, v2, s47
	s_andn2_b64 vcc, exec, s[62:63]
	v_mul_lo_u32 v2, v2, s46
	s_cbranch_vccnz .LBB231_1595
; %bb.1594:
	v_mul_hi_u32 v3, s94, v1
	v_add_u32_e32 v3, v1, v3
	v_lshrrev_b32_e32 v3, s95, v3
	v_mul_lo_u32 v3, v3, s55
	v_sub_u32_e32 v1, v1, v3
	v_mad_u64_u32 v[38:39], s[8:9], v1, s48, v[38:39]
	v_mad_u64_u32 v[4:5], s[8:9], v1, s49, v[4:5]
	;; [unrolled: 1-line block ×4, first 2 shown]
.LBB231_1595:
	s_waitcnt vmcnt(0) lgkmcnt(0)
	v_mov_b32_e32 v1, s39
	v_add_co_u32_e32 v4, vcc, s38, v4
	v_addc_co_u32_e32 v5, vcc, 0, v1, vcc
	v_and_b32_e32 v1, 0xff, v43
	v_cmp_gt_i16_e32 vcc, 11, v1
	s_cbranch_vccnz .LBB231_1602
; %bb.1596:
	v_cmp_lt_i16_e32 vcc, 25, v1
	s_mov_b64 s[10:11], 0
	s_cbranch_vccz .LBB231_1603
; %bb.1597:
	v_cmp_lt_i16_e32 vcc, 28, v1
	s_cbranch_vccz .LBB231_1605
; %bb.1598:
	v_cmp_lt_i16_e32 vcc, 43, v1
	;; [unrolled: 3-line block ×3, first 2 shown]
	s_cbranch_vccz .LBB231_1607
; %bb.1600:
	v_cmp_eq_u16_e32 vcc, 46, v1
	s_mov_b64 s[14:15], 0
	s_cbranch_vccz .LBB231_1608
; %bb.1601:
	global_load_dword v3, v[4:5], off
	s_mov_b64 s[8:9], 0
	s_mov_b64 s[12:13], -1
	s_waitcnt vmcnt(0)
	v_lshlrev_b32_e32 v3, 16, v3
	s_branch .LBB231_1609
.LBB231_1602:
	s_mov_b64 s[14:15], -1
	s_mov_b64 s[12:13], 0
	s_mov_b64 s[10:11], 0
	;; [unrolled: 1-line block ×3, first 2 shown]
                                        ; implicit-def: $vgpr3
	s_branch .LBB231_1672
.LBB231_1603:
	s_mov_b64 s[14:15], -1
	s_mov_b64 s[12:13], 0
	s_mov_b64 s[8:9], s[6:7]
                                        ; implicit-def: $vgpr3
	s_branch .LBB231_1638
.LBB231_1604:
	s_mov_b64 s[8:9], 0
	s_branch .LBB231_1203
.LBB231_1605:
	s_mov_b64 s[14:15], -1
	s_mov_b64 s[12:13], 0
	s_mov_b64 s[8:9], s[6:7]
                                        ; implicit-def: $vgpr3
	s_branch .LBB231_1619
.LBB231_1606:
	s_mov_b64 s[14:15], -1
	s_mov_b64 s[12:13], 0
	s_mov_b64 s[8:9], s[6:7]
                                        ; implicit-def: $vgpr3
	s_branch .LBB231_1614
.LBB231_1607:
	s_mov_b64 s[14:15], -1
	s_mov_b64 s[12:13], 0
	s_mov_b64 s[8:9], s[6:7]
                                        ; implicit-def: $vgpr3
	s_branch .LBB231_1609
.LBB231_1608:
	s_mov_b64 s[8:9], -1
                                        ; implicit-def: $vgpr3
	s_mov_b64 s[12:13], 0
.LBB231_1609:
	s_and_b64 vcc, exec, s[14:15]
	s_cbranch_vccz .LBB231_1613
; %bb.1610:
	v_cmp_eq_u16_e32 vcc, 44, v1
	s_cbranch_vccz .LBB231_1612
; %bb.1611:
	global_load_ubyte v3, v[4:5], off
	s_movk_i32 s12, 0xff
	v_mov_b32_e32 v6, 0x7f800001
	v_mov_b32_e32 v7, 0x400000
	s_mov_b64 s[8:9], 0
	s_waitcnt vmcnt(0)
	v_lshlrev_b32_e32 v8, 23, v3
	v_cmp_ne_u32_e32 vcc, s12, v3
	v_cndmask_b32_e32 v6, v6, v8, vcc
	v_cmp_ne_u32_e32 vcc, 0, v3
	v_cndmask_b32_e32 v3, v7, v6, vcc
	s_mov_b64 s[12:13], -1
	s_branch .LBB231_1613
.LBB231_1612:
	s_mov_b64 s[8:9], -1
                                        ; implicit-def: $vgpr3
.LBB231_1613:
	s_mov_b64 s[14:15], 0
.LBB231_1614:
	s_and_b64 vcc, exec, s[14:15]
	s_cbranch_vccz .LBB231_1618
; %bb.1615:
	v_cmp_eq_u16_e32 vcc, 29, v1
	s_cbranch_vccz .LBB231_1617
; %bb.1616:
	global_load_dwordx2 v[6:7], v[4:5], off
	s_mov_b64 s[8:9], 0
	s_mov_b64 s[12:13], -1
	s_mov_b64 s[14:15], 0
	s_waitcnt vmcnt(0)
	v_ffbh_u32_e32 v3, v7
	v_min_u32_e32 v3, 32, v3
	v_lshlrev_b64 v[6:7], v3, v[6:7]
	v_min_u32_e32 v6, 1, v6
	v_or_b32_e32 v6, v7, v6
	v_cvt_f32_u32_e32 v6, v6
	v_sub_u32_e32 v3, 32, v3
	v_ldexp_f32 v3, v6, v3
	s_branch .LBB231_1619
.LBB231_1617:
	s_mov_b64 s[8:9], -1
                                        ; implicit-def: $vgpr3
.LBB231_1618:
	s_mov_b64 s[14:15], 0
.LBB231_1619:
	s_and_b64 vcc, exec, s[14:15]
	s_cbranch_vccz .LBB231_1637
; %bb.1620:
	v_cmp_gt_i16_e32 vcc, 27, v1
	s_cbranch_vccnz .LBB231_1623
; %bb.1621:
	v_cmp_lt_i16_e32 vcc, 27, v1
	s_cbranch_vccz .LBB231_1624
; %bb.1622:
	global_load_dword v3, v[4:5], off
	s_mov_b64 s[12:13], 0
	s_waitcnt vmcnt(0)
	v_cvt_f32_u32_e32 v3, v3
	s_branch .LBB231_1625
.LBB231_1623:
	s_mov_b64 s[12:13], -1
                                        ; implicit-def: $vgpr3
	s_branch .LBB231_1628
.LBB231_1624:
	s_mov_b64 s[12:13], -1
                                        ; implicit-def: $vgpr3
.LBB231_1625:
	s_andn2_b64 vcc, exec, s[12:13]
	s_cbranch_vccnz .LBB231_1627
; %bb.1626:
	global_load_ushort v3, v[4:5], off
	s_waitcnt vmcnt(0)
	v_cvt_f32_u32_e32 v3, v3
.LBB231_1627:
	s_mov_b64 s[12:13], 0
.LBB231_1628:
	s_andn2_b64 vcc, exec, s[12:13]
	s_cbranch_vccnz .LBB231_1636
; %bb.1629:
	global_load_ubyte v6, v[4:5], off
	s_movk_i32 s12, 0x7f
                                        ; implicit-def: $sgpr18
	s_waitcnt vmcnt(0)
	v_cmp_lt_i16_e32 vcc, s12, v6
	s_mov_b64 s[12:13], 0
	s_and_saveexec_b64 s[14:15], vcc
	s_xor_b64 s[14:15], exec, s[14:15]
	s_cbranch_execz .LBB231_1650
; %bb.1630:
	s_movk_i32 s12, 0x80
	v_cmp_eq_u16_e32 vcc, s12, v6
	s_mov_b64 s[12:13], -1
                                        ; implicit-def: $sgpr18
	s_and_saveexec_b64 s[16:17], vcc
; %bb.1631:
	s_mov_b32 s18, 0x7f800001
	s_xor_b64 s[12:13], exec, -1
; %bb.1632:
	s_or_b64 exec, exec, s[16:17]
	s_and_b64 s[12:13], s[12:13], exec
	s_or_saveexec_b64 s[14:15], s[14:15]
	v_mov_b32_e32 v3, s18
	s_xor_b64 exec, exec, s[14:15]
	s_cbranch_execnz .LBB231_1651
.LBB231_1633:
	s_or_b64 exec, exec, s[14:15]
	s_and_saveexec_b64 s[14:15], s[12:13]
	s_cbranch_execz .LBB231_1635
.LBB231_1634:
	v_lshlrev_b32_e32 v3, 24, v6
	v_and_b32_e32 v6, 0xffff, v6
	v_and_b32_e32 v7, 7, v6
	v_ffbh_u32_e32 v9, v7
	v_min_u32_e32 v9, 32, v9
	v_subrev_u32_e32 v10, 28, v9
	v_bfe_u32 v8, v6, 3, 4
	v_lshlrev_b32_e32 v6, v10, v6
	v_sub_u32_e32 v9, 29, v9
	v_and_b32_e32 v6, 7, v6
	v_cmp_eq_u32_e32 vcc, 0, v8
	v_cndmask_b32_e32 v8, v8, v9, vcc
	v_cndmask_b32_e32 v6, v7, v6, vcc
	v_mov_b32_e32 v7, 0x3b800000
	v_lshlrev_b32_e32 v6, 20, v6
	v_and_b32_e32 v3, 0x80000000, v3
	v_lshl_add_u32 v7, v8, 23, v7
	v_or3_b32 v3, v3, v7, v6
.LBB231_1635:
	s_or_b64 exec, exec, s[14:15]
.LBB231_1636:
	s_mov_b64 s[12:13], -1
.LBB231_1637:
	s_mov_b64 s[14:15], 0
.LBB231_1638:
	s_and_b64 vcc, exec, s[14:15]
	s_cbranch_vccz .LBB231_1671
; %bb.1639:
	v_cmp_lt_i16_e32 vcc, 22, v1
	s_cbranch_vccz .LBB231_1649
; %bb.1640:
	v_cmp_gt_i16_e32 vcc, 24, v1
	s_cbranch_vccnz .LBB231_1652
; %bb.1641:
	v_cmp_lt_i16_e32 vcc, 24, v1
	s_cbranch_vccz .LBB231_1653
; %bb.1642:
	global_load_ubyte v6, v[4:5], off
	s_movk_i32 s10, 0x7f
                                        ; implicit-def: $sgpr16
	s_waitcnt vmcnt(0)
	v_cmp_lt_i16_e32 vcc, s10, v6
	s_mov_b64 s[10:11], 0
	s_and_saveexec_b64 s[12:13], vcc
	s_xor_b64 s[12:13], exec, s[12:13]
	s_cbranch_execz .LBB231_1665
; %bb.1643:
	s_movk_i32 s10, 0x80
	v_cmp_eq_u16_e32 vcc, s10, v6
	s_mov_b64 s[10:11], -1
                                        ; implicit-def: $sgpr16
	s_and_saveexec_b64 s[14:15], vcc
; %bb.1644:
	s_mov_b32 s16, 0x7f800001
	s_xor_b64 s[10:11], exec, -1
; %bb.1645:
	s_or_b64 exec, exec, s[14:15]
	s_and_b64 s[10:11], s[10:11], exec
	s_or_saveexec_b64 s[12:13], s[12:13]
	v_mov_b32_e32 v3, s16
	s_xor_b64 exec, exec, s[12:13]
	s_cbranch_execnz .LBB231_1666
.LBB231_1646:
	s_or_b64 exec, exec, s[12:13]
	s_and_saveexec_b64 s[12:13], s[10:11]
	s_cbranch_execz .LBB231_1648
.LBB231_1647:
	v_lshlrev_b32_e32 v3, 24, v6
	v_and_b32_e32 v6, 0xffff, v6
	v_and_b32_e32 v7, 3, v6
	v_ffbh_u32_e32 v9, v7
	v_min_u32_e32 v9, 32, v9
	v_subrev_u32_e32 v10, 29, v9
	v_bfe_u32 v8, v6, 2, 5
	v_lshlrev_b32_e32 v6, v10, v6
	v_sub_u32_e32 v9, 30, v9
	v_and_b32_e32 v6, 3, v6
	v_cmp_eq_u32_e32 vcc, 0, v8
	v_cndmask_b32_e32 v8, v8, v9, vcc
	v_cndmask_b32_e32 v6, v7, v6, vcc
	v_mov_b32_e32 v7, 0x37800000
	v_lshlrev_b32_e32 v6, 21, v6
	v_and_b32_e32 v3, 0x80000000, v3
	v_lshl_add_u32 v7, v8, 23, v7
	v_or3_b32 v3, v3, v7, v6
.LBB231_1648:
	s_or_b64 exec, exec, s[12:13]
	s_mov_b64 s[10:11], 0
	s_branch .LBB231_1654
.LBB231_1649:
	s_mov_b64 s[10:11], -1
                                        ; implicit-def: $vgpr3
	s_branch .LBB231_1660
.LBB231_1650:
	s_or_saveexec_b64 s[14:15], s[14:15]
	v_mov_b32_e32 v3, s18
	s_xor_b64 exec, exec, s[14:15]
	s_cbranch_execz .LBB231_1633
.LBB231_1651:
	v_cmp_ne_u16_e32 vcc, 0, v6
	s_andn2_b64 s[12:13], s[12:13], exec
	s_and_b64 s[16:17], vcc, exec
	v_mov_b32_e32 v3, 0
	s_or_b64 s[12:13], s[12:13], s[16:17]
	s_or_b64 exec, exec, s[14:15]
	s_and_saveexec_b64 s[14:15], s[12:13]
	s_cbranch_execnz .LBB231_1634
	s_branch .LBB231_1635
.LBB231_1652:
	s_mov_b64 s[10:11], -1
                                        ; implicit-def: $vgpr3
	s_branch .LBB231_1657
.LBB231_1653:
	s_mov_b64 s[10:11], -1
                                        ; implicit-def: $vgpr3
.LBB231_1654:
	s_and_b64 vcc, exec, s[10:11]
	s_cbranch_vccz .LBB231_1656
; %bb.1655:
	global_load_ubyte v3, v[4:5], off
	s_mov_b32 s10, 0x7f800000
	s_waitcnt vmcnt(0)
	v_lshlrev_b32_e32 v3, 24, v3
	v_and_b32_e32 v6, 0x7f000000, v3
	v_ffbh_u32_e32 v7, v6
	v_min_u32_e32 v7, 32, v7
	v_sub_u32_e64 v7, v7, 4 clamp
	v_lshlrev_b32_e32 v9, v7, v6
	v_lshlrev_b32_e32 v7, 23, v7
	v_lshrrev_b32_e32 v9, 4, v9
	v_add_u32_e32 v8, 0x1000000, v6
	v_sub_u32_e32 v7, v9, v7
	v_ashrrev_i32_e32 v8, 8, v8
	v_add_u32_e32 v7, 0x3c000000, v7
	v_and_or_b32 v7, v8, s10, v7
	v_cmp_ne_u32_e32 vcc, 0, v6
	v_cndmask_b32_e32 v6, 0, v7, vcc
	s_brev_b32 s10, 1
	v_and_or_b32 v3, v3, s10, v6
.LBB231_1656:
	s_mov_b64 s[10:11], 0
.LBB231_1657:
	s_andn2_b64 vcc, exec, s[10:11]
	s_cbranch_vccnz .LBB231_1659
; %bb.1658:
	global_load_ubyte v3, v[4:5], off
	s_movk_i32 s10, 0x7f00
	s_brev_b32 s11, 16
	s_waitcnt vmcnt(0)
	v_lshlrev_b16_e32 v6, 8, v3
	v_lshlrev_b32_e32 v3, 25, v3
	v_lshrrev_b32_e32 v7, 4, v3
	v_and_or_b32 v8, v6, s10, 0.5
	v_or_b32_e32 v7, 0x70000000, v7
	v_add_f32_e32 v8, -0.5, v8
	v_mul_f32_e32 v7, 0x7800000, v7
	v_cmp_gt_u32_e32 vcc, s11, v3
	v_bfe_i32 v6, v6, 0, 16
	v_cndmask_b32_e32 v3, v7, v8, vcc
	s_brev_b32 s10, 1
	v_and_or_b32 v3, v6, s10, v3
.LBB231_1659:
	s_mov_b64 s[10:11], 0
	s_mov_b64 s[12:13], -1
.LBB231_1660:
	s_andn2_b64 vcc, exec, s[10:11]
	s_mov_b64 s[10:11], 0
	s_cbranch_vccnz .LBB231_1671
; %bb.1661:
	v_cmp_lt_i16_e32 vcc, 14, v1
	s_cbranch_vccz .LBB231_1664
; %bb.1662:
	v_cmp_eq_u16_e32 vcc, 15, v1
	s_cbranch_vccz .LBB231_1667
; %bb.1663:
	global_load_ushort v3, v[4:5], off
	s_mov_b64 s[8:9], 0
	s_mov_b64 s[12:13], -1
	s_waitcnt vmcnt(0)
	v_lshlrev_b32_e32 v3, 16, v3
	s_branch .LBB231_1668
.LBB231_1664:
	s_mov_b64 s[14:15], -1
                                        ; implicit-def: $vgpr3
	s_branch .LBB231_1669
.LBB231_1665:
	s_or_saveexec_b64 s[12:13], s[12:13]
	v_mov_b32_e32 v3, s16
	s_xor_b64 exec, exec, s[12:13]
	s_cbranch_execz .LBB231_1646
.LBB231_1666:
	v_cmp_ne_u16_e32 vcc, 0, v6
	s_andn2_b64 s[10:11], s[10:11], exec
	s_and_b64 s[14:15], vcc, exec
	v_mov_b32_e32 v3, 0
	s_or_b64 s[10:11], s[10:11], s[14:15]
	s_or_b64 exec, exec, s[12:13]
	s_and_saveexec_b64 s[12:13], s[10:11]
	s_cbranch_execnz .LBB231_1647
	s_branch .LBB231_1648
.LBB231_1667:
	s_mov_b64 s[8:9], -1
                                        ; implicit-def: $vgpr3
.LBB231_1668:
	s_mov_b64 s[14:15], 0
.LBB231_1669:
	s_and_b64 vcc, exec, s[14:15]
	s_cbranch_vccz .LBB231_1671
; %bb.1670:
	v_cmp_ne_u16_e32 vcc, 11, v1
	s_andn2_b64 s[8:9], s[8:9], exec
	s_and_b64 s[14:15], vcc, exec
	s_mov_b64 s[10:11], -1
	s_or_b64 s[8:9], s[8:9], s[14:15]
                                        ; implicit-def: $vgpr3
.LBB231_1671:
	s_mov_b64 s[14:15], 0
.LBB231_1672:
	s_and_b64 s[18:19], s[12:13], exec
	s_and_b64 s[12:13], s[10:11], exec
	s_andn2_b64 s[10:11], s[6:7], exec
	s_and_b64 s[8:9], s[8:9], exec
	s_and_b64 s[16:17], s[14:15], exec
	s_or_b64 s[14:15], s[10:11], s[8:9]
.LBB231_1673:
	s_or_b64 exec, exec, s[30:31]
	s_andn2_b64 s[6:7], s[6:7], exec
	s_and_b64 s[14:15], s[14:15], exec
	s_and_b64 s[8:9], s[18:19], exec
	;; [unrolled: 1-line block ×4, first 2 shown]
	s_or_b64 s[6:7], s[6:7], s[14:15]
.LBB231_1674:
	s_or_b64 exec, exec, s[26:27]
	s_andn2_b64 s[14:15], s[82:83], exec
	s_and_b64 s[16:17], s[24:25], exec
	s_or_b64 s[82:83], s[14:15], s[16:17]
	s_andn2_b64 s[14:15], s[80:81], exec
	s_and_b64 s[16:17], s[22:23], exec
	s_or_b64 s[80:81], s[14:15], s[16:17]
	;; [unrolled: 3-line block ×3, first 2 shown]
	s_andn2_b64 s[14:15], s[76:77], exec
	s_and_b64 s[6:7], s[6:7], exec
	s_and_b64 s[8:9], s[8:9], exec
	s_and_b64 s[10:11], s[10:11], exec
	s_and_b64 s[12:13], s[12:13], exec
	s_or_b64 s[76:77], s[14:15], s[6:7]
.LBB231_1675:
	s_or_b64 exec, exec, s[84:85]
	s_andn2_b64 s[6:7], s[66:67], exec
	s_and_b64 s[14:15], s[82:83], exec
	s_or_b64 s[66:67], s[6:7], s[14:15]
	s_andn2_b64 s[6:7], s[68:69], exec
	s_and_b64 s[14:15], s[80:81], exec
	s_or_b64 s[68:69], s[6:7], s[14:15]
	;; [unrolled: 3-line block ×3, first 2 shown]
	s_and_b64 s[78:79], s[12:13], exec
	s_andn2_b64 s[6:7], s[72:73], exec
	s_and_b64 s[12:13], s[76:77], exec
	s_and_b64 s[8:9], s[8:9], exec
	;; [unrolled: 1-line block ×3, first 2 shown]
	s_or_b64 s[72:73], s[6:7], s[12:13]
	s_or_b64 exec, exec, s[74:75]
	s_waitcnt lgkmcnt(0)
	s_mov_b64 s[38:39], 0
	s_and_saveexec_b64 s[6:7], s[72:73]
	s_cbranch_execz .LBB231_293
.LBB231_1676:
	s_mov_b64 s[38:39], exec
	s_andn2_b64 s[78:79], s[78:79], exec
	s_trap 2
                                        ; implicit-def: $vgpr3
	s_or_b64 exec, exec, s[6:7]
	s_and_saveexec_b64 s[6:7], s[78:79]
	s_xor_b64 s[6:7], exec, s[6:7]
	s_cbranch_execnz .LBB231_294
.LBB231_1677:
	s_or_b64 exec, exec, s[6:7]
	s_and_saveexec_b64 s[6:7], s[10:11]
	s_cbranch_execz .LBB231_1723
.LBB231_1678:
	s_waitcnt vmcnt(0)
	v_cmp_gt_i16_e32 vcc, 5, v1
	s_cbranch_vccnz .LBB231_1683
; %bb.1679:
	v_cmp_gt_i16_e32 vcc, 8, v1
	s_cbranch_vccnz .LBB231_1684
; %bb.1680:
	;; [unrolled: 3-line block ×3, first 2 shown]
	v_cmp_lt_i16_e32 vcc, 9, v1
	s_cbranch_vccz .LBB231_1686
; %bb.1682:
	global_load_dwordx2 v[6:7], v[4:5], off
	s_mov_b64 s[10:11], 0
	s_waitcnt vmcnt(0)
	v_cvt_f32_f64_e32 v3, v[6:7]
	s_branch .LBB231_1687
.LBB231_1683:
                                        ; implicit-def: $vgpr3
	s_branch .LBB231_1704
.LBB231_1684:
                                        ; implicit-def: $vgpr3
	s_branch .LBB231_1693
.LBB231_1685:
	s_mov_b64 s[10:11], -1
                                        ; implicit-def: $vgpr3
	s_branch .LBB231_1690
.LBB231_1686:
	s_mov_b64 s[10:11], -1
                                        ; implicit-def: $vgpr3
.LBB231_1687:
	s_andn2_b64 vcc, exec, s[10:11]
	s_cbranch_vccnz .LBB231_1689
; %bb.1688:
	global_load_dword v3, v[4:5], off
.LBB231_1689:
	s_mov_b64 s[10:11], 0
.LBB231_1690:
	s_andn2_b64 vcc, exec, s[10:11]
	s_cbranch_vccnz .LBB231_1692
; %bb.1691:
	global_load_dword v3, v[4:5], off
	s_waitcnt vmcnt(0)
	v_cvt_f32_f16_e32 v3, v3
.LBB231_1692:
	s_cbranch_execnz .LBB231_1703
.LBB231_1693:
	v_cmp_gt_i16_e32 vcc, 6, v1
	s_cbranch_vccnz .LBB231_1696
; %bb.1694:
	v_cmp_lt_i16_e32 vcc, 6, v1
	s_cbranch_vccz .LBB231_1697
; %bb.1695:
	global_load_dwordx2 v[6:7], v[4:5], off
	s_mov_b64 s[10:11], 0
	s_waitcnt vmcnt(0)
	v_cvt_f32_f64_e32 v3, v[6:7]
	s_branch .LBB231_1698
.LBB231_1696:
	s_mov_b64 s[10:11], -1
                                        ; implicit-def: $vgpr3
	s_branch .LBB231_1701
.LBB231_1697:
	s_mov_b64 s[10:11], -1
                                        ; implicit-def: $vgpr3
.LBB231_1698:
	s_andn2_b64 vcc, exec, s[10:11]
	s_cbranch_vccnz .LBB231_1700
; %bb.1699:
	global_load_dword v3, v[4:5], off
.LBB231_1700:
	s_mov_b64 s[10:11], 0
.LBB231_1701:
	s_andn2_b64 vcc, exec, s[10:11]
	s_cbranch_vccnz .LBB231_1703
; %bb.1702:
	global_load_ushort v3, v[4:5], off
	s_waitcnt vmcnt(0)
	v_cvt_f32_f16_e32 v3, v3
.LBB231_1703:
	s_cbranch_execnz .LBB231_1722
.LBB231_1704:
	v_cmp_gt_i16_e32 vcc, 2, v1
	s_cbranch_vccnz .LBB231_1708
; %bb.1705:
	v_cmp_gt_i16_e32 vcc, 3, v1
	s_cbranch_vccnz .LBB231_1709
; %bb.1706:
	v_cmp_lt_i16_e32 vcc, 3, v1
	s_cbranch_vccz .LBB231_1710
; %bb.1707:
	global_load_dwordx2 v[6:7], v[4:5], off
	s_mov_b64 s[10:11], 0
	s_waitcnt vmcnt(0)
	v_xor_b32_e32 v8, v6, v7
	v_ffbh_i32_e32 v3, v7
	v_ashrrev_i32_e32 v8, 31, v8
	v_add_u32_e32 v3, -1, v3
	v_add_u32_e32 v8, 32, v8
	v_min_u32_e32 v3, v3, v8
	v_lshlrev_b64 v[6:7], v3, v[6:7]
	v_min_u32_e32 v6, 1, v6
	v_or_b32_e32 v6, v7, v6
	v_cvt_f32_i32_e32 v6, v6
	v_sub_u32_e32 v3, 32, v3
	v_ldexp_f32 v3, v6, v3
	s_branch .LBB231_1711
.LBB231_1708:
                                        ; implicit-def: $vgpr3
	s_branch .LBB231_1717
.LBB231_1709:
	s_mov_b64 s[10:11], -1
                                        ; implicit-def: $vgpr3
	s_branch .LBB231_1714
.LBB231_1710:
	s_mov_b64 s[10:11], -1
                                        ; implicit-def: $vgpr3
.LBB231_1711:
	s_andn2_b64 vcc, exec, s[10:11]
	s_cbranch_vccnz .LBB231_1713
; %bb.1712:
	global_load_dword v3, v[4:5], off
	s_waitcnt vmcnt(0)
	v_cvt_f32_i32_e32 v3, v3
.LBB231_1713:
	s_mov_b64 s[10:11], 0
.LBB231_1714:
	s_andn2_b64 vcc, exec, s[10:11]
	s_cbranch_vccnz .LBB231_1716
; %bb.1715:
	global_load_sshort v3, v[4:5], off
	s_waitcnt vmcnt(0)
	v_cvt_f32_i32_e32 v3, v3
.LBB231_1716:
	s_cbranch_execnz .LBB231_1722
.LBB231_1717:
	v_cmp_lt_i16_e32 vcc, 0, v1
	s_cbranch_vccz .LBB231_1719
; %bb.1718:
	global_load_sbyte v1, v[4:5], off
	s_mov_b64 s[10:11], 0
	s_waitcnt vmcnt(0)
	v_cvt_f32_i32_e32 v3, v1
	s_branch .LBB231_1720
.LBB231_1719:
	s_mov_b64 s[10:11], -1
                                        ; implicit-def: $vgpr3
.LBB231_1720:
	s_andn2_b64 vcc, exec, s[10:11]
	s_cbranch_vccnz .LBB231_1722
; %bb.1721:
	global_load_ubyte v1, v[4:5], off
	s_waitcnt vmcnt(0)
	v_cvt_f32_ubyte0_e32 v3, v1
.LBB231_1722:
	s_or_b64 s[8:9], s[8:9], exec
.LBB231_1723:
	s_or_b64 exec, exec, s[6:7]
	s_mov_b64 s[10:11], 0
	s_mov_b64 s[14:15], 0
	;; [unrolled: 1-line block ×3, first 2 shown]
                                        ; implicit-def: $vgpr6
                                        ; implicit-def: $vgpr4_vgpr5
                                        ; implicit-def: $vgpr1
	s_and_saveexec_b64 s[6:7], s[8:9]
	s_cbranch_execz .LBB231_1731
; %bb.1724:
	s_waitcnt vmcnt(0)
	v_mov_b32_e32 v1, s41
	v_add_co_u32_e32 v4, vcc, s40, v2
	s_movk_i32 s8, 0xff
	v_addc_co_u32_e32 v5, vcc, 0, v1, vcc
	v_and_b32_sdwa v6, v40, s8 dst_sel:DWORD dst_unused:UNUSED_PAD src0_sel:WORD_1 src1_sel:DWORD
	v_cmp_gt_i16_e32 vcc, 11, v6
	s_cbranch_vccnz .LBB231_1734
; %bb.1725:
	v_cmp_lt_i16_e32 vcc, 25, v6
	s_cbranch_vccz .LBB231_1735
; %bb.1726:
	v_cmp_lt_i16_e32 vcc, 28, v6
	s_cbranch_vccz .LBB231_1736
	;; [unrolled: 3-line block ×4, first 2 shown]
; %bb.1729:
	v_cmp_eq_u16_e32 vcc, 46, v6
	s_cbranch_vccz .LBB231_1739
; %bb.1730:
	global_load_dword v1, v[4:5], off
	s_mov_b64 s[8:9], 0
	s_mov_b64 s[12:13], -1
	s_waitcnt vmcnt(0)
	v_lshlrev_b32_e32 v1, 16, v1
	s_branch .LBB231_1741
.LBB231_1731:
	s_or_b64 exec, exec, s[6:7]
	s_and_saveexec_b64 s[6:7], s[70:71]
	s_cbranch_execnz .LBB231_1804
.LBB231_1732:
	s_or_b64 exec, exec, s[6:7]
	s_and_saveexec_b64 s[6:7], s[10:11]
	s_xor_b64 s[6:7], exec, s[6:7]
	s_cbranch_execz .LBB231_1805
.LBB231_1733:
	global_load_ubyte v1, v[4:5], off
	s_or_b64 s[12:13], s[12:13], exec
	s_waitcnt vmcnt(0)
	v_cmp_ne_u16_e32 vcc, 0, v1
	v_cndmask_b32_e64 v1, 0, 1.0, vcc
	s_or_b64 exec, exec, s[6:7]
	s_and_saveexec_b64 s[6:7], s[14:15]
	s_cbranch_execz .LBB231_1851
	s_branch .LBB231_1806
.LBB231_1734:
	s_mov_b64 s[14:15], -1
                                        ; implicit-def: $vgpr1
	s_mov_b64 s[8:9], s[70:71]
	s_branch .LBB231_1803
.LBB231_1735:
	s_mov_b64 s[8:9], s[70:71]
                                        ; implicit-def: $vgpr1
	s_cbranch_execnz .LBB231_1770
	s_branch .LBB231_1802
.LBB231_1736:
	s_mov_b64 s[14:15], -1
	s_mov_b64 s[8:9], s[70:71]
                                        ; implicit-def: $vgpr1
	s_branch .LBB231_1751
.LBB231_1737:
	s_mov_b64 s[14:15], -1
	s_mov_b64 s[8:9], s[70:71]
                                        ; implicit-def: $vgpr1
	s_branch .LBB231_1746
.LBB231_1738:
	s_mov_b64 s[14:15], -1
	s_mov_b64 s[8:9], s[70:71]
	s_branch .LBB231_1740
.LBB231_1739:
	s_mov_b64 s[8:9], -1
.LBB231_1740:
                                        ; implicit-def: $vgpr1
.LBB231_1741:
	s_and_b64 vcc, exec, s[14:15]
	s_cbranch_vccz .LBB231_1745
; %bb.1742:
	v_cmp_eq_u16_e32 vcc, 44, v6
	s_cbranch_vccz .LBB231_1744
; %bb.1743:
	global_load_ubyte v1, v[4:5], off
	s_movk_i32 s12, 0xff
	v_mov_b32_e32 v2, 0x7f800001
	v_mov_b32_e32 v7, 0x400000
	s_mov_b64 s[8:9], 0
	s_waitcnt vmcnt(0)
	v_lshlrev_b32_e32 v8, 23, v1
	v_cmp_ne_u32_e32 vcc, s12, v1
	v_cndmask_b32_e32 v2, v2, v8, vcc
	v_cmp_ne_u32_e32 vcc, 0, v1
	v_cndmask_b32_e32 v1, v7, v2, vcc
	s_mov_b64 s[12:13], -1
	s_branch .LBB231_1745
.LBB231_1744:
	s_mov_b64 s[8:9], -1
                                        ; implicit-def: $vgpr1
.LBB231_1745:
	s_mov_b64 s[14:15], 0
.LBB231_1746:
	s_and_b64 vcc, exec, s[14:15]
	s_cbranch_vccz .LBB231_1750
; %bb.1747:
	v_cmp_eq_u16_e32 vcc, 29, v6
	s_cbranch_vccz .LBB231_1749
; %bb.1748:
	global_load_dwordx2 v[8:9], v[4:5], off
	s_mov_b64 s[8:9], 0
	s_mov_b64 s[12:13], -1
	s_mov_b64 s[14:15], 0
	s_waitcnt vmcnt(0)
	v_ffbh_u32_e32 v1, v9
	v_min_u32_e32 v1, 32, v1
	v_lshlrev_b64 v[8:9], v1, v[8:9]
	v_min_u32_e32 v2, 1, v8
	v_or_b32_e32 v2, v9, v2
	v_cvt_f32_u32_e32 v2, v2
	v_sub_u32_e32 v1, 32, v1
	v_ldexp_f32 v1, v2, v1
	s_branch .LBB231_1751
.LBB231_1749:
	s_mov_b64 s[8:9], -1
                                        ; implicit-def: $vgpr1
.LBB231_1750:
	s_mov_b64 s[14:15], 0
.LBB231_1751:
	s_and_b64 vcc, exec, s[14:15]
	s_cbranch_vccz .LBB231_1769
; %bb.1752:
	v_cmp_gt_i16_e32 vcc, 27, v6
	s_cbranch_vccnz .LBB231_1755
; %bb.1753:
	v_cmp_lt_i16_e32 vcc, 27, v6
	s_cbranch_vccz .LBB231_1756
; %bb.1754:
	global_load_dword v1, v[4:5], off
	s_mov_b64 s[12:13], 0
	s_waitcnt vmcnt(0)
	v_cvt_f32_u32_e32 v1, v1
	s_branch .LBB231_1757
.LBB231_1755:
	s_mov_b64 s[12:13], -1
                                        ; implicit-def: $vgpr1
	s_branch .LBB231_1760
.LBB231_1756:
	s_mov_b64 s[12:13], -1
                                        ; implicit-def: $vgpr1
.LBB231_1757:
	s_andn2_b64 vcc, exec, s[12:13]
	s_cbranch_vccnz .LBB231_1759
; %bb.1758:
	global_load_ushort v1, v[4:5], off
	s_waitcnt vmcnt(0)
	v_cvt_f32_u32_e32 v1, v1
.LBB231_1759:
	s_mov_b64 s[12:13], 0
.LBB231_1760:
	s_andn2_b64 vcc, exec, s[12:13]
	s_cbranch_vccnz .LBB231_1768
; %bb.1761:
	global_load_ubyte v2, v[4:5], off
	s_movk_i32 s12, 0x7f
                                        ; implicit-def: $sgpr18
	s_waitcnt vmcnt(0)
	v_cmp_lt_i16_e32 vcc, s12, v2
	s_mov_b64 s[12:13], 0
	s_and_saveexec_b64 s[14:15], vcc
	s_xor_b64 s[14:15], exec, s[14:15]
	s_cbranch_execz .LBB231_1781
; %bb.1762:
	s_movk_i32 s12, 0x80
	v_cmp_eq_u16_e32 vcc, s12, v2
	s_mov_b64 s[12:13], -1
                                        ; implicit-def: $sgpr18
	s_and_saveexec_b64 s[16:17], vcc
; %bb.1763:
	s_mov_b32 s18, 0x7f800001
	s_xor_b64 s[12:13], exec, -1
; %bb.1764:
	s_or_b64 exec, exec, s[16:17]
	s_and_b64 s[12:13], s[12:13], exec
	s_or_saveexec_b64 s[14:15], s[14:15]
	v_mov_b32_e32 v1, s18
	s_xor_b64 exec, exec, s[14:15]
	s_cbranch_execnz .LBB231_1782
.LBB231_1765:
	s_or_b64 exec, exec, s[14:15]
	s_and_saveexec_b64 s[14:15], s[12:13]
	s_cbranch_execz .LBB231_1767
.LBB231_1766:
	v_lshlrev_b32_e32 v1, 24, v2
	v_and_b32_e32 v2, 0xffff, v2
	v_and_b32_e32 v7, 7, v2
	v_ffbh_u32_e32 v9, v7
	v_min_u32_e32 v9, 32, v9
	v_subrev_u32_e32 v10, 28, v9
	v_bfe_u32 v8, v2, 3, 4
	v_lshlrev_b32_e32 v2, v10, v2
	v_sub_u32_e32 v9, 29, v9
	v_and_b32_e32 v2, 7, v2
	v_cmp_eq_u32_e32 vcc, 0, v8
	v_cndmask_b32_e32 v8, v8, v9, vcc
	v_cndmask_b32_e32 v2, v7, v2, vcc
	v_mov_b32_e32 v7, 0x3b800000
	v_lshlrev_b32_e32 v2, 20, v2
	v_and_b32_e32 v1, 0x80000000, v1
	v_lshl_add_u32 v7, v8, 23, v7
	v_or3_b32 v1, v1, v7, v2
.LBB231_1767:
	s_or_b64 exec, exec, s[14:15]
.LBB231_1768:
	s_mov_b64 s[12:13], -1
.LBB231_1769:
	s_branch .LBB231_1802
.LBB231_1770:
	v_cmp_lt_i16_e32 vcc, 22, v6
	s_cbranch_vccz .LBB231_1780
; %bb.1771:
	v_cmp_gt_i16_e32 vcc, 24, v6
	s_cbranch_vccnz .LBB231_1783
; %bb.1772:
	v_cmp_lt_i16_e32 vcc, 24, v6
	s_cbranch_vccz .LBB231_1784
; %bb.1773:
	global_load_ubyte v2, v[4:5], off
	s_movk_i32 s10, 0x7f
                                        ; implicit-def: $sgpr16
	s_waitcnt vmcnt(0)
	v_cmp_lt_i16_e32 vcc, s10, v2
	s_mov_b64 s[10:11], 0
	s_and_saveexec_b64 s[12:13], vcc
	s_xor_b64 s[12:13], exec, s[12:13]
	s_cbranch_execz .LBB231_1796
; %bb.1774:
	s_movk_i32 s10, 0x80
	v_cmp_eq_u16_e32 vcc, s10, v2
	s_mov_b64 s[10:11], -1
                                        ; implicit-def: $sgpr16
	s_and_saveexec_b64 s[14:15], vcc
; %bb.1775:
	s_mov_b32 s16, 0x7f800001
	s_xor_b64 s[10:11], exec, -1
; %bb.1776:
	s_or_b64 exec, exec, s[14:15]
	s_and_b64 s[10:11], s[10:11], exec
	s_or_saveexec_b64 s[12:13], s[12:13]
	v_mov_b32_e32 v1, s16
	s_xor_b64 exec, exec, s[12:13]
	s_cbranch_execnz .LBB231_1797
.LBB231_1777:
	s_or_b64 exec, exec, s[12:13]
	s_and_saveexec_b64 s[12:13], s[10:11]
	s_cbranch_execz .LBB231_1779
.LBB231_1778:
	v_lshlrev_b32_e32 v1, 24, v2
	v_and_b32_e32 v2, 0xffff, v2
	v_and_b32_e32 v7, 3, v2
	v_ffbh_u32_e32 v9, v7
	v_min_u32_e32 v9, 32, v9
	v_subrev_u32_e32 v10, 29, v9
	v_bfe_u32 v8, v2, 2, 5
	v_lshlrev_b32_e32 v2, v10, v2
	v_sub_u32_e32 v9, 30, v9
	v_and_b32_e32 v2, 3, v2
	v_cmp_eq_u32_e32 vcc, 0, v8
	v_cndmask_b32_e32 v8, v8, v9, vcc
	v_cndmask_b32_e32 v2, v7, v2, vcc
	v_mov_b32_e32 v7, 0x37800000
	v_lshlrev_b32_e32 v2, 21, v2
	v_and_b32_e32 v1, 0x80000000, v1
	v_lshl_add_u32 v7, v8, 23, v7
	v_or3_b32 v1, v1, v7, v2
.LBB231_1779:
	s_or_b64 exec, exec, s[12:13]
	s_mov_b64 s[10:11], 0
	s_branch .LBB231_1785
.LBB231_1780:
	s_mov_b64 s[10:11], -1
                                        ; implicit-def: $vgpr1
	s_branch .LBB231_1791
.LBB231_1781:
	s_or_saveexec_b64 s[14:15], s[14:15]
	v_mov_b32_e32 v1, s18
	s_xor_b64 exec, exec, s[14:15]
	s_cbranch_execz .LBB231_1765
.LBB231_1782:
	v_cmp_ne_u16_e32 vcc, 0, v2
	s_andn2_b64 s[12:13], s[12:13], exec
	s_and_b64 s[16:17], vcc, exec
	v_mov_b32_e32 v1, 0
	s_or_b64 s[12:13], s[12:13], s[16:17]
	s_or_b64 exec, exec, s[14:15]
	s_and_saveexec_b64 s[14:15], s[12:13]
	s_cbranch_execnz .LBB231_1766
	s_branch .LBB231_1767
.LBB231_1783:
	s_mov_b64 s[10:11], -1
                                        ; implicit-def: $vgpr1
	s_branch .LBB231_1788
.LBB231_1784:
	s_mov_b64 s[10:11], -1
                                        ; implicit-def: $vgpr1
.LBB231_1785:
	s_and_b64 vcc, exec, s[10:11]
	s_cbranch_vccz .LBB231_1787
; %bb.1786:
	global_load_ubyte v1, v[4:5], off
	s_mov_b32 s10, 0x7f800000
	s_waitcnt vmcnt(0)
	v_lshlrev_b32_e32 v1, 24, v1
	v_and_b32_e32 v2, 0x7f000000, v1
	v_ffbh_u32_e32 v7, v2
	v_min_u32_e32 v7, 32, v7
	v_sub_u32_e64 v7, v7, 4 clamp
	v_lshlrev_b32_e32 v9, v7, v2
	v_lshlrev_b32_e32 v7, 23, v7
	v_lshrrev_b32_e32 v9, 4, v9
	v_add_u32_e32 v8, 0x1000000, v2
	v_sub_u32_e32 v7, v9, v7
	v_ashrrev_i32_e32 v8, 8, v8
	v_add_u32_e32 v7, 0x3c000000, v7
	v_and_or_b32 v7, v8, s10, v7
	v_cmp_ne_u32_e32 vcc, 0, v2
	v_cndmask_b32_e32 v2, 0, v7, vcc
	s_brev_b32 s10, 1
	v_and_or_b32 v1, v1, s10, v2
.LBB231_1787:
	s_mov_b64 s[10:11], 0
.LBB231_1788:
	s_andn2_b64 vcc, exec, s[10:11]
	s_cbranch_vccnz .LBB231_1790
; %bb.1789:
	global_load_ubyte v1, v[4:5], off
	s_movk_i32 s10, 0x7f00
	s_brev_b32 s11, 16
	s_waitcnt vmcnt(0)
	v_lshlrev_b16_e32 v2, 8, v1
	v_lshlrev_b32_e32 v1, 25, v1
	v_lshrrev_b32_e32 v7, 4, v1
	v_and_or_b32 v8, v2, s10, 0.5
	v_or_b32_e32 v7, 0x70000000, v7
	v_add_f32_e32 v8, -0.5, v8
	v_mul_f32_e32 v7, 0x7800000, v7
	v_cmp_gt_u32_e32 vcc, s11, v1
	v_bfe_i32 v2, v2, 0, 16
	v_cndmask_b32_e32 v1, v7, v8, vcc
	s_brev_b32 s10, 1
	v_and_or_b32 v1, v2, s10, v1
.LBB231_1790:
	s_mov_b64 s[10:11], 0
	s_mov_b64 s[12:13], -1
.LBB231_1791:
	s_andn2_b64 vcc, exec, s[10:11]
	s_mov_b64 s[10:11], 0
	s_cbranch_vccnz .LBB231_1802
; %bb.1792:
	v_cmp_lt_i16_e32 vcc, 14, v6
	s_cbranch_vccz .LBB231_1795
; %bb.1793:
	v_cmp_eq_u16_e32 vcc, 15, v6
	s_cbranch_vccz .LBB231_1798
; %bb.1794:
	global_load_ushort v1, v[4:5], off
	s_mov_b64 s[8:9], 0
	s_mov_b64 s[12:13], -1
	s_waitcnt vmcnt(0)
	v_lshlrev_b32_e32 v1, 16, v1
	s_branch .LBB231_1799
.LBB231_1795:
	s_mov_b64 s[14:15], -1
                                        ; implicit-def: $vgpr1
	s_branch .LBB231_1800
.LBB231_1796:
	s_or_saveexec_b64 s[12:13], s[12:13]
	v_mov_b32_e32 v1, s16
	s_xor_b64 exec, exec, s[12:13]
	s_cbranch_execz .LBB231_1777
.LBB231_1797:
	v_cmp_ne_u16_e32 vcc, 0, v2
	s_andn2_b64 s[10:11], s[10:11], exec
	s_and_b64 s[14:15], vcc, exec
	v_mov_b32_e32 v1, 0
	s_or_b64 s[10:11], s[10:11], s[14:15]
	s_or_b64 exec, exec, s[12:13]
	s_and_saveexec_b64 s[12:13], s[10:11]
	s_cbranch_execnz .LBB231_1778
	s_branch .LBB231_1779
.LBB231_1798:
	s_mov_b64 s[8:9], -1
                                        ; implicit-def: $vgpr1
.LBB231_1799:
	s_mov_b64 s[14:15], 0
.LBB231_1800:
	s_and_b64 vcc, exec, s[14:15]
	s_cbranch_vccz .LBB231_1802
; %bb.1801:
	v_cmp_ne_u16_e32 vcc, 11, v6
	s_andn2_b64 s[8:9], s[8:9], exec
	s_and_b64 s[14:15], vcc, exec
	s_mov_b64 s[10:11], -1
	s_or_b64 s[8:9], s[8:9], s[14:15]
                                        ; implicit-def: $vgpr1
.LBB231_1802:
	s_mov_b64 s[14:15], 0
.LBB231_1803:
	s_andn2_b64 s[16:17], s[70:71], exec
	s_and_b64 s[8:9], s[8:9], exec
	s_and_b64 s[12:13], s[12:13], exec
	;; [unrolled: 1-line block ×4, first 2 shown]
	s_or_b64 s[70:71], s[16:17], s[8:9]
	s_or_b64 exec, exec, s[6:7]
	s_and_saveexec_b64 s[6:7], s[70:71]
	s_cbranch_execz .LBB231_1732
.LBB231_1804:
	s_or_b64 s[38:39], s[38:39], exec
	s_andn2_b64 s[10:11], s[10:11], exec
	s_trap 2
                                        ; implicit-def: $vgpr1
	s_or_b64 exec, exec, s[6:7]
	s_and_saveexec_b64 s[6:7], s[10:11]
	s_xor_b64 s[6:7], exec, s[6:7]
	s_cbranch_execnz .LBB231_1733
.LBB231_1805:
	s_or_b64 exec, exec, s[6:7]
	s_and_saveexec_b64 s[6:7], s[14:15]
	s_cbranch_execz .LBB231_1851
.LBB231_1806:
	v_cmp_gt_i16_e32 vcc, 5, v6
	s_cbranch_vccnz .LBB231_1811
; %bb.1807:
	v_cmp_gt_i16_e32 vcc, 8, v6
	s_cbranch_vccnz .LBB231_1812
; %bb.1808:
	;; [unrolled: 3-line block ×3, first 2 shown]
	v_cmp_lt_i16_e32 vcc, 9, v6
	s_cbranch_vccz .LBB231_1814
; %bb.1810:
	global_load_dwordx2 v[8:9], v[4:5], off
	s_mov_b64 s[8:9], 0
	s_waitcnt vmcnt(0)
	v_cvt_f32_f64_e32 v1, v[8:9]
	s_branch .LBB231_1815
.LBB231_1811:
                                        ; implicit-def: $vgpr1
	s_branch .LBB231_1832
.LBB231_1812:
                                        ; implicit-def: $vgpr1
	s_branch .LBB231_1821
.LBB231_1813:
	s_mov_b64 s[8:9], -1
                                        ; implicit-def: $vgpr1
	s_branch .LBB231_1818
.LBB231_1814:
	s_mov_b64 s[8:9], -1
                                        ; implicit-def: $vgpr1
.LBB231_1815:
	s_andn2_b64 vcc, exec, s[8:9]
	s_cbranch_vccnz .LBB231_1817
; %bb.1816:
	global_load_dword v1, v[4:5], off
.LBB231_1817:
	s_mov_b64 s[8:9], 0
.LBB231_1818:
	s_andn2_b64 vcc, exec, s[8:9]
	s_cbranch_vccnz .LBB231_1820
; %bb.1819:
	global_load_dword v1, v[4:5], off
	s_waitcnt vmcnt(0)
	v_cvt_f32_f16_e32 v1, v1
.LBB231_1820:
	s_cbranch_execnz .LBB231_1831
.LBB231_1821:
	v_cmp_gt_i16_e32 vcc, 6, v6
	s_cbranch_vccnz .LBB231_1824
; %bb.1822:
	v_cmp_lt_i16_e32 vcc, 6, v6
	s_cbranch_vccz .LBB231_1825
; %bb.1823:
	global_load_dwordx2 v[8:9], v[4:5], off
	s_mov_b64 s[8:9], 0
	s_waitcnt vmcnt(0)
	v_cvt_f32_f64_e32 v1, v[8:9]
	s_branch .LBB231_1826
.LBB231_1824:
	s_mov_b64 s[8:9], -1
                                        ; implicit-def: $vgpr1
	s_branch .LBB231_1829
.LBB231_1825:
	s_mov_b64 s[8:9], -1
                                        ; implicit-def: $vgpr1
.LBB231_1826:
	s_andn2_b64 vcc, exec, s[8:9]
	s_cbranch_vccnz .LBB231_1828
; %bb.1827:
	global_load_dword v1, v[4:5], off
.LBB231_1828:
	s_mov_b64 s[8:9], 0
.LBB231_1829:
	s_andn2_b64 vcc, exec, s[8:9]
	s_cbranch_vccnz .LBB231_1831
; %bb.1830:
	global_load_ushort v1, v[4:5], off
	s_waitcnt vmcnt(0)
	v_cvt_f32_f16_e32 v1, v1
.LBB231_1831:
	s_cbranch_execnz .LBB231_1850
.LBB231_1832:
	v_cmp_gt_i16_e32 vcc, 2, v6
	s_cbranch_vccnz .LBB231_1836
; %bb.1833:
	v_cmp_gt_i16_e32 vcc, 3, v6
	s_cbranch_vccnz .LBB231_1837
; %bb.1834:
	v_cmp_lt_i16_e32 vcc, 3, v6
	s_cbranch_vccz .LBB231_1838
; %bb.1835:
	global_load_dwordx2 v[8:9], v[4:5], off
	s_mov_b64 s[8:9], 0
	s_waitcnt vmcnt(0)
	v_xor_b32_e32 v2, v8, v9
	v_ffbh_i32_e32 v1, v9
	v_ashrrev_i32_e32 v2, 31, v2
	v_add_u32_e32 v1, -1, v1
	v_add_u32_e32 v2, 32, v2
	v_min_u32_e32 v1, v1, v2
	v_lshlrev_b64 v[8:9], v1, v[8:9]
	v_min_u32_e32 v2, 1, v8
	v_or_b32_e32 v2, v9, v2
	v_cvt_f32_i32_e32 v2, v2
	v_sub_u32_e32 v1, 32, v1
	v_ldexp_f32 v1, v2, v1
	s_branch .LBB231_1839
.LBB231_1836:
                                        ; implicit-def: $vgpr1
	s_branch .LBB231_1845
.LBB231_1837:
	s_mov_b64 s[8:9], -1
                                        ; implicit-def: $vgpr1
	s_branch .LBB231_1842
.LBB231_1838:
	s_mov_b64 s[8:9], -1
                                        ; implicit-def: $vgpr1
.LBB231_1839:
	s_andn2_b64 vcc, exec, s[8:9]
	s_cbranch_vccnz .LBB231_1841
; %bb.1840:
	global_load_dword v1, v[4:5], off
	s_waitcnt vmcnt(0)
	v_cvt_f32_i32_e32 v1, v1
.LBB231_1841:
	s_mov_b64 s[8:9], 0
.LBB231_1842:
	s_andn2_b64 vcc, exec, s[8:9]
	s_cbranch_vccnz .LBB231_1844
; %bb.1843:
	global_load_sshort v1, v[4:5], off
	s_waitcnt vmcnt(0)
	v_cvt_f32_i32_e32 v1, v1
.LBB231_1844:
	s_cbranch_execnz .LBB231_1850
.LBB231_1845:
	v_cmp_lt_i16_e32 vcc, 0, v6
	s_cbranch_vccz .LBB231_1847
; %bb.1846:
	global_load_sbyte v1, v[4:5], off
	s_mov_b64 s[8:9], 0
	s_waitcnt vmcnt(0)
	v_cvt_f32_i32_e32 v1, v1
	s_branch .LBB231_1848
.LBB231_1847:
	s_mov_b64 s[8:9], -1
                                        ; implicit-def: $vgpr1
.LBB231_1848:
	s_andn2_b64 vcc, exec, s[8:9]
	s_cbranch_vccnz .LBB231_1850
; %bb.1849:
	global_load_ubyte v1, v[4:5], off
	s_waitcnt vmcnt(0)
	v_cvt_f32_ubyte0_e32 v1, v1
.LBB231_1850:
	s_or_b64 s[12:13], s[12:13], exec
.LBB231_1851:
	s_or_b64 exec, exec, s[6:7]
	s_mov_b64 s[10:11], 0
	s_mov_b64 s[16:17], 0
	;; [unrolled: 1-line block ×3, first 2 shown]
                                        ; implicit-def: $vgpr4_vgpr5
                                        ; implicit-def: $vgpr2
	s_and_saveexec_b64 s[6:7], s[12:13]
	s_cbranch_execz .LBB231_1859
; %bb.1852:
	s_waitcnt vmcnt(0)
	v_mov_b32_e32 v2, s43
	v_add_co_u32_e32 v4, vcc, s42, v0
	v_addc_co_u32_e32 v5, vcc, 0, v2, vcc
	v_cmp_gt_i16_e32 vcc, 11, v41
	s_cbranch_vccnz .LBB231_1862
; %bb.1853:
	v_cmp_lt_i16_e32 vcc, 25, v41
	s_cbranch_vccz .LBB231_1863
; %bb.1854:
	v_cmp_lt_i16_e32 vcc, 28, v41
	s_cbranch_vccz .LBB231_1864
	;; [unrolled: 3-line block ×4, first 2 shown]
; %bb.1857:
	v_cmp_eq_u16_e32 vcc, 46, v41
	s_cbranch_vccz .LBB231_1867
; %bb.1858:
	global_load_dword v0, v[4:5], off
	s_mov_b64 s[8:9], 0
	s_mov_b64 s[12:13], -1
	s_waitcnt vmcnt(0)
	v_lshlrev_b32_e32 v2, 16, v0
	s_branch .LBB231_1868
.LBB231_1859:
	s_or_b64 exec, exec, s[6:7]
	s_and_saveexec_b64 s[6:7], s[68:69]
	s_cbranch_execnz .LBB231_1931
.LBB231_1860:
	s_or_b64 exec, exec, s[6:7]
	s_and_saveexec_b64 s[6:7], s[10:11]
	s_xor_b64 s[6:7], exec, s[6:7]
	s_cbranch_execz .LBB231_1932
.LBB231_1861:
	global_load_ubyte v0, v[4:5], off
	s_or_b64 s[14:15], s[14:15], exec
	s_waitcnt vmcnt(0)
	v_cmp_ne_u16_e32 vcc, 0, v0
	v_cndmask_b32_e64 v2, 0, 1.0, vcc
	s_or_b64 exec, exec, s[6:7]
	s_and_saveexec_b64 s[6:7], s[16:17]
	s_cbranch_execz .LBB231_1978
	s_branch .LBB231_1933
.LBB231_1862:
	s_mov_b64 s[16:17], -1
	s_mov_b64 s[12:13], 0
                                        ; implicit-def: $vgpr2
	s_mov_b64 s[8:9], s[68:69]
	s_branch .LBB231_1930
.LBB231_1863:
	s_mov_b64 s[12:13], 0
	s_mov_b64 s[8:9], s[68:69]
                                        ; implicit-def: $vgpr2
	s_cbranch_execnz .LBB231_1897
	s_branch .LBB231_1929
.LBB231_1864:
	s_mov_b64 s[14:15], -1
	s_mov_b64 s[12:13], 0
	s_mov_b64 s[8:9], s[68:69]
                                        ; implicit-def: $vgpr2
	s_branch .LBB231_1878
.LBB231_1865:
	s_mov_b64 s[14:15], -1
	s_mov_b64 s[12:13], 0
	s_mov_b64 s[8:9], s[68:69]
                                        ; implicit-def: $vgpr2
	s_branch .LBB231_1873
.LBB231_1866:
	s_mov_b64 s[14:15], -1
	s_mov_b64 s[12:13], 0
	s_mov_b64 s[8:9], s[68:69]
                                        ; implicit-def: $vgpr2
	s_branch .LBB231_1868
.LBB231_1867:
	s_mov_b64 s[8:9], -1
                                        ; implicit-def: $vgpr2
	s_mov_b64 s[12:13], 0
.LBB231_1868:
	s_and_b64 vcc, exec, s[14:15]
	s_cbranch_vccz .LBB231_1872
; %bb.1869:
	v_cmp_eq_u16_e32 vcc, 44, v41
	s_cbranch_vccz .LBB231_1871
; %bb.1870:
	global_load_ubyte v0, v[4:5], off
	s_movk_i32 s12, 0xff
	v_mov_b32_e32 v2, 0x7f800001
	v_mov_b32_e32 v6, 0x400000
	s_mov_b64 s[8:9], 0
	s_waitcnt vmcnt(0)
	v_lshlrev_b32_e32 v7, 23, v0
	v_cmp_ne_u32_e32 vcc, s12, v0
	v_cndmask_b32_e32 v2, v2, v7, vcc
	v_cmp_ne_u32_e32 vcc, 0, v0
	v_cndmask_b32_e32 v2, v6, v2, vcc
	s_mov_b64 s[12:13], -1
	s_branch .LBB231_1872
.LBB231_1871:
	s_mov_b64 s[8:9], -1
                                        ; implicit-def: $vgpr2
.LBB231_1872:
	s_mov_b64 s[14:15], 0
.LBB231_1873:
	s_and_b64 vcc, exec, s[14:15]
	s_cbranch_vccz .LBB231_1877
; %bb.1874:
	v_cmp_eq_u16_e32 vcc, 29, v41
	s_cbranch_vccz .LBB231_1876
; %bb.1875:
	global_load_dwordx2 v[6:7], v[4:5], off
	s_mov_b64 s[8:9], 0
	s_mov_b64 s[12:13], -1
	s_mov_b64 s[14:15], 0
	s_waitcnt vmcnt(0)
	v_ffbh_u32_e32 v0, v7
	v_min_u32_e32 v0, 32, v0
	v_lshlrev_b64 v[6:7], v0, v[6:7]
	v_min_u32_e32 v2, 1, v6
	v_or_b32_e32 v2, v7, v2
	v_cvt_f32_u32_e32 v2, v2
	v_sub_u32_e32 v0, 32, v0
	v_ldexp_f32 v2, v2, v0
	s_branch .LBB231_1878
.LBB231_1876:
	s_mov_b64 s[8:9], -1
                                        ; implicit-def: $vgpr2
.LBB231_1877:
	s_mov_b64 s[14:15], 0
.LBB231_1878:
	s_and_b64 vcc, exec, s[14:15]
	s_cbranch_vccz .LBB231_1896
; %bb.1879:
	v_cmp_gt_i16_e32 vcc, 27, v41
	s_cbranch_vccnz .LBB231_1882
; %bb.1880:
	v_cmp_lt_i16_e32 vcc, 27, v41
	s_cbranch_vccz .LBB231_1883
; %bb.1881:
	global_load_dword v0, v[4:5], off
	s_mov_b64 s[12:13], 0
	s_waitcnt vmcnt(0)
	v_cvt_f32_u32_e32 v2, v0
	s_branch .LBB231_1884
.LBB231_1882:
	s_mov_b64 s[12:13], -1
                                        ; implicit-def: $vgpr2
	s_branch .LBB231_1887
.LBB231_1883:
	s_mov_b64 s[12:13], -1
                                        ; implicit-def: $vgpr2
.LBB231_1884:
	s_andn2_b64 vcc, exec, s[12:13]
	s_cbranch_vccnz .LBB231_1886
; %bb.1885:
	global_load_ushort v0, v[4:5], off
	s_waitcnt vmcnt(0)
	v_cvt_f32_u32_e32 v2, v0
.LBB231_1886:
	s_mov_b64 s[12:13], 0
.LBB231_1887:
	s_andn2_b64 vcc, exec, s[12:13]
	s_cbranch_vccnz .LBB231_1895
; %bb.1888:
	global_load_ubyte v0, v[4:5], off
	s_movk_i32 s12, 0x7f
                                        ; implicit-def: $sgpr18
	s_waitcnt vmcnt(0)
	v_cmp_lt_i16_e32 vcc, s12, v0
	s_mov_b64 s[12:13], 0
	s_and_saveexec_b64 s[14:15], vcc
	s_xor_b64 s[14:15], exec, s[14:15]
	s_cbranch_execz .LBB231_1908
; %bb.1889:
	s_movk_i32 s12, 0x80
	v_cmp_eq_u16_e32 vcc, s12, v0
	s_mov_b64 s[12:13], -1
                                        ; implicit-def: $sgpr18
	s_and_saveexec_b64 s[16:17], vcc
; %bb.1890:
	s_mov_b32 s18, 0x7f800001
	s_xor_b64 s[12:13], exec, -1
; %bb.1891:
	s_or_b64 exec, exec, s[16:17]
	s_and_b64 s[12:13], s[12:13], exec
	s_or_saveexec_b64 s[14:15], s[14:15]
	v_mov_b32_e32 v2, s18
	s_xor_b64 exec, exec, s[14:15]
	s_cbranch_execnz .LBB231_1909
.LBB231_1892:
	s_or_b64 exec, exec, s[14:15]
	s_and_saveexec_b64 s[14:15], s[12:13]
	s_cbranch_execz .LBB231_1894
.LBB231_1893:
	v_lshlrev_b32_e32 v2, 24, v0
	v_and_b32_e32 v0, 0xffff, v0
	v_and_b32_e32 v6, 7, v0
	v_ffbh_u32_e32 v8, v6
	v_min_u32_e32 v8, 32, v8
	v_subrev_u32_e32 v9, 28, v8
	v_bfe_u32 v7, v0, 3, 4
	v_lshlrev_b32_e32 v0, v9, v0
	v_sub_u32_e32 v8, 29, v8
	v_and_b32_e32 v0, 7, v0
	v_cmp_eq_u32_e32 vcc, 0, v7
	v_cndmask_b32_e32 v7, v7, v8, vcc
	v_cndmask_b32_e32 v0, v6, v0, vcc
	v_mov_b32_e32 v6, 0x3b800000
	v_lshlrev_b32_e32 v0, 20, v0
	v_and_b32_e32 v2, 0x80000000, v2
	v_lshl_add_u32 v6, v7, 23, v6
	v_or3_b32 v2, v2, v6, v0
.LBB231_1894:
	s_or_b64 exec, exec, s[14:15]
.LBB231_1895:
	s_mov_b64 s[12:13], -1
.LBB231_1896:
	s_branch .LBB231_1929
.LBB231_1897:
	v_cmp_lt_i16_e32 vcc, 22, v41
	s_cbranch_vccz .LBB231_1907
; %bb.1898:
	v_cmp_gt_i16_e32 vcc, 24, v41
	s_cbranch_vccnz .LBB231_1910
; %bb.1899:
	v_cmp_lt_i16_e32 vcc, 24, v41
	s_cbranch_vccz .LBB231_1911
; %bb.1900:
	global_load_ubyte v0, v[4:5], off
	s_movk_i32 s10, 0x7f
                                        ; implicit-def: $sgpr16
	s_waitcnt vmcnt(0)
	v_cmp_lt_i16_e32 vcc, s10, v0
	s_mov_b64 s[10:11], 0
	s_and_saveexec_b64 s[12:13], vcc
	s_xor_b64 s[12:13], exec, s[12:13]
	s_cbranch_execz .LBB231_1923
; %bb.1901:
	s_movk_i32 s10, 0x80
	v_cmp_eq_u16_e32 vcc, s10, v0
	s_mov_b64 s[10:11], -1
                                        ; implicit-def: $sgpr16
	s_and_saveexec_b64 s[14:15], vcc
; %bb.1902:
	s_mov_b32 s16, 0x7f800001
	s_xor_b64 s[10:11], exec, -1
; %bb.1903:
	s_or_b64 exec, exec, s[14:15]
	s_and_b64 s[10:11], s[10:11], exec
	s_or_saveexec_b64 s[12:13], s[12:13]
	v_mov_b32_e32 v2, s16
	s_xor_b64 exec, exec, s[12:13]
	s_cbranch_execnz .LBB231_1924
.LBB231_1904:
	s_or_b64 exec, exec, s[12:13]
	s_and_saveexec_b64 s[12:13], s[10:11]
	s_cbranch_execz .LBB231_1906
.LBB231_1905:
	v_lshlrev_b32_e32 v2, 24, v0
	v_and_b32_e32 v0, 0xffff, v0
	v_and_b32_e32 v6, 3, v0
	v_ffbh_u32_e32 v8, v6
	v_min_u32_e32 v8, 32, v8
	v_subrev_u32_e32 v9, 29, v8
	v_bfe_u32 v7, v0, 2, 5
	v_lshlrev_b32_e32 v0, v9, v0
	v_sub_u32_e32 v8, 30, v8
	v_and_b32_e32 v0, 3, v0
	v_cmp_eq_u32_e32 vcc, 0, v7
	v_cndmask_b32_e32 v7, v7, v8, vcc
	v_cndmask_b32_e32 v0, v6, v0, vcc
	v_mov_b32_e32 v6, 0x37800000
	v_lshlrev_b32_e32 v0, 21, v0
	v_and_b32_e32 v2, 0x80000000, v2
	v_lshl_add_u32 v6, v7, 23, v6
	v_or3_b32 v2, v2, v6, v0
.LBB231_1906:
	s_or_b64 exec, exec, s[12:13]
	s_mov_b64 s[10:11], 0
	s_branch .LBB231_1912
.LBB231_1907:
	s_mov_b64 s[10:11], -1
                                        ; implicit-def: $vgpr2
	s_branch .LBB231_1918
.LBB231_1908:
	s_or_saveexec_b64 s[14:15], s[14:15]
	v_mov_b32_e32 v2, s18
	s_xor_b64 exec, exec, s[14:15]
	s_cbranch_execz .LBB231_1892
.LBB231_1909:
	v_cmp_ne_u16_e32 vcc, 0, v0
	s_andn2_b64 s[12:13], s[12:13], exec
	s_and_b64 s[16:17], vcc, exec
	v_mov_b32_e32 v2, 0
	s_or_b64 s[12:13], s[12:13], s[16:17]
	s_or_b64 exec, exec, s[14:15]
	s_and_saveexec_b64 s[14:15], s[12:13]
	s_cbranch_execnz .LBB231_1893
	s_branch .LBB231_1894
.LBB231_1910:
	s_mov_b64 s[10:11], -1
                                        ; implicit-def: $vgpr2
	s_branch .LBB231_1915
.LBB231_1911:
	s_mov_b64 s[10:11], -1
                                        ; implicit-def: $vgpr2
.LBB231_1912:
	s_and_b64 vcc, exec, s[10:11]
	s_cbranch_vccz .LBB231_1914
; %bb.1913:
	global_load_ubyte v0, v[4:5], off
	s_mov_b32 s10, 0x7f800000
	s_waitcnt vmcnt(0)
	v_lshlrev_b32_e32 v0, 24, v0
	v_and_b32_e32 v2, 0x7f000000, v0
	v_ffbh_u32_e32 v6, v2
	v_min_u32_e32 v6, 32, v6
	v_sub_u32_e64 v6, v6, 4 clamp
	v_lshlrev_b32_e32 v8, v6, v2
	v_lshlrev_b32_e32 v6, 23, v6
	v_lshrrev_b32_e32 v8, 4, v8
	v_add_u32_e32 v7, 0x1000000, v2
	v_sub_u32_e32 v6, v8, v6
	v_ashrrev_i32_e32 v7, 8, v7
	v_add_u32_e32 v6, 0x3c000000, v6
	v_and_or_b32 v6, v7, s10, v6
	v_cmp_ne_u32_e32 vcc, 0, v2
	v_cndmask_b32_e32 v2, 0, v6, vcc
	s_brev_b32 s10, 1
	v_and_or_b32 v2, v0, s10, v2
.LBB231_1914:
	s_mov_b64 s[10:11], 0
.LBB231_1915:
	s_andn2_b64 vcc, exec, s[10:11]
	s_cbranch_vccnz .LBB231_1917
; %bb.1916:
	global_load_ubyte v0, v[4:5], off
	s_movk_i32 s10, 0x7f00
	s_brev_b32 s11, 16
	s_waitcnt vmcnt(0)
	v_lshlrev_b16_e32 v2, 8, v0
	v_lshlrev_b32_e32 v0, 25, v0
	v_lshrrev_b32_e32 v6, 4, v0
	v_and_or_b32 v7, v2, s10, 0.5
	v_or_b32_e32 v6, 0x70000000, v6
	v_add_f32_e32 v7, -0.5, v7
	v_mul_f32_e32 v6, 0x7800000, v6
	v_cmp_gt_u32_e32 vcc, s11, v0
	v_bfe_i32 v2, v2, 0, 16
	v_cndmask_b32_e32 v0, v6, v7, vcc
	s_brev_b32 s10, 1
	v_and_or_b32 v2, v2, s10, v0
.LBB231_1917:
	s_mov_b64 s[10:11], 0
	s_mov_b64 s[12:13], -1
.LBB231_1918:
	s_andn2_b64 vcc, exec, s[10:11]
	s_mov_b64 s[10:11], 0
	s_cbranch_vccnz .LBB231_1929
; %bb.1919:
	v_cmp_lt_i16_e32 vcc, 14, v41
	s_cbranch_vccz .LBB231_1922
; %bb.1920:
	v_cmp_eq_u16_e32 vcc, 15, v41
	s_cbranch_vccz .LBB231_1925
; %bb.1921:
	global_load_ushort v0, v[4:5], off
	s_mov_b64 s[8:9], 0
	s_mov_b64 s[12:13], -1
	s_waitcnt vmcnt(0)
	v_lshlrev_b32_e32 v2, 16, v0
	s_branch .LBB231_1926
.LBB231_1922:
	s_mov_b64 s[14:15], -1
                                        ; implicit-def: $vgpr2
	s_branch .LBB231_1927
.LBB231_1923:
	s_or_saveexec_b64 s[12:13], s[12:13]
	v_mov_b32_e32 v2, s16
	s_xor_b64 exec, exec, s[12:13]
	s_cbranch_execz .LBB231_1904
.LBB231_1924:
	v_cmp_ne_u16_e32 vcc, 0, v0
	s_andn2_b64 s[10:11], s[10:11], exec
	s_and_b64 s[14:15], vcc, exec
	v_mov_b32_e32 v2, 0
	s_or_b64 s[10:11], s[10:11], s[14:15]
	s_or_b64 exec, exec, s[12:13]
	s_and_saveexec_b64 s[12:13], s[10:11]
	s_cbranch_execnz .LBB231_1905
	s_branch .LBB231_1906
.LBB231_1925:
	s_mov_b64 s[8:9], -1
                                        ; implicit-def: $vgpr2
.LBB231_1926:
	s_mov_b64 s[14:15], 0
.LBB231_1927:
	s_and_b64 vcc, exec, s[14:15]
	s_cbranch_vccz .LBB231_1929
; %bb.1928:
	v_cmp_ne_u16_e32 vcc, 11, v41
	s_andn2_b64 s[8:9], s[8:9], exec
	s_and_b64 s[14:15], vcc, exec
	s_mov_b64 s[10:11], -1
	s_or_b64 s[8:9], s[8:9], s[14:15]
                                        ; implicit-def: $vgpr2
.LBB231_1929:
	s_mov_b64 s[16:17], 0
.LBB231_1930:
	s_and_b64 s[14:15], s[12:13], exec
	s_andn2_b64 s[12:13], s[68:69], exec
	s_and_b64 s[8:9], s[8:9], exec
	s_and_b64 s[16:17], s[16:17], exec
	;; [unrolled: 1-line block ×3, first 2 shown]
	s_or_b64 s[68:69], s[12:13], s[8:9]
	s_or_b64 exec, exec, s[6:7]
	s_and_saveexec_b64 s[6:7], s[68:69]
	s_cbranch_execz .LBB231_1860
.LBB231_1931:
	s_or_b64 s[38:39], s[38:39], exec
	s_andn2_b64 s[10:11], s[10:11], exec
	s_trap 2
                                        ; implicit-def: $vgpr2
	s_or_b64 exec, exec, s[6:7]
	s_and_saveexec_b64 s[6:7], s[10:11]
	s_xor_b64 s[6:7], exec, s[6:7]
	s_cbranch_execnz .LBB231_1861
.LBB231_1932:
	s_or_b64 exec, exec, s[6:7]
	s_and_saveexec_b64 s[6:7], s[16:17]
	s_cbranch_execz .LBB231_1978
.LBB231_1933:
	v_cmp_gt_i16_e32 vcc, 5, v41
	s_cbranch_vccnz .LBB231_1938
; %bb.1934:
	v_cmp_gt_i16_e32 vcc, 8, v41
	s_cbranch_vccnz .LBB231_1939
; %bb.1935:
	;; [unrolled: 3-line block ×3, first 2 shown]
	v_cmp_lt_i16_e32 vcc, 9, v41
	s_cbranch_vccz .LBB231_1941
; %bb.1937:
	global_load_dwordx2 v[6:7], v[4:5], off
	s_mov_b64 s[8:9], 0
	s_waitcnt vmcnt(0)
	v_cvt_f32_f64_e32 v2, v[6:7]
	s_branch .LBB231_1942
.LBB231_1938:
                                        ; implicit-def: $vgpr2
	s_branch .LBB231_1959
.LBB231_1939:
                                        ; implicit-def: $vgpr2
	s_branch .LBB231_1948
.LBB231_1940:
	s_mov_b64 s[8:9], -1
                                        ; implicit-def: $vgpr2
	s_branch .LBB231_1945
.LBB231_1941:
	s_mov_b64 s[8:9], -1
                                        ; implicit-def: $vgpr2
.LBB231_1942:
	s_andn2_b64 vcc, exec, s[8:9]
	s_cbranch_vccnz .LBB231_1944
; %bb.1943:
	global_load_dword v2, v[4:5], off
.LBB231_1944:
	s_mov_b64 s[8:9], 0
.LBB231_1945:
	s_andn2_b64 vcc, exec, s[8:9]
	s_cbranch_vccnz .LBB231_1947
; %bb.1946:
	global_load_dword v0, v[4:5], off
	s_waitcnt vmcnt(0)
	v_cvt_f32_f16_e32 v2, v0
.LBB231_1947:
	s_cbranch_execnz .LBB231_1958
.LBB231_1948:
	v_cmp_gt_i16_e32 vcc, 6, v41
	s_cbranch_vccnz .LBB231_1951
; %bb.1949:
	v_cmp_lt_i16_e32 vcc, 6, v41
	s_cbranch_vccz .LBB231_1952
; %bb.1950:
	global_load_dwordx2 v[6:7], v[4:5], off
	s_mov_b64 s[8:9], 0
	s_waitcnt vmcnt(0)
	v_cvt_f32_f64_e32 v2, v[6:7]
	s_branch .LBB231_1953
.LBB231_1951:
	s_mov_b64 s[8:9], -1
                                        ; implicit-def: $vgpr2
	s_branch .LBB231_1956
.LBB231_1952:
	s_mov_b64 s[8:9], -1
                                        ; implicit-def: $vgpr2
.LBB231_1953:
	s_andn2_b64 vcc, exec, s[8:9]
	s_cbranch_vccnz .LBB231_1955
; %bb.1954:
	global_load_dword v2, v[4:5], off
.LBB231_1955:
	s_mov_b64 s[8:9], 0
.LBB231_1956:
	s_andn2_b64 vcc, exec, s[8:9]
	s_cbranch_vccnz .LBB231_1958
; %bb.1957:
	global_load_ushort v0, v[4:5], off
	s_waitcnt vmcnt(0)
	v_cvt_f32_f16_e32 v2, v0
.LBB231_1958:
	s_cbranch_execnz .LBB231_1977
.LBB231_1959:
	v_cmp_gt_i16_e32 vcc, 2, v41
	s_cbranch_vccnz .LBB231_1963
; %bb.1960:
	v_cmp_gt_i16_e32 vcc, 3, v41
	s_cbranch_vccnz .LBB231_1964
; %bb.1961:
	v_cmp_lt_i16_e32 vcc, 3, v41
	s_cbranch_vccz .LBB231_1965
; %bb.1962:
	global_load_dwordx2 v[6:7], v[4:5], off
	s_mov_b64 s[8:9], 0
	s_waitcnt vmcnt(0)
	v_xor_b32_e32 v2, v6, v7
	v_ffbh_i32_e32 v0, v7
	v_ashrrev_i32_e32 v2, 31, v2
	v_add_u32_e32 v0, -1, v0
	v_add_u32_e32 v2, 32, v2
	v_min_u32_e32 v0, v0, v2
	v_lshlrev_b64 v[6:7], v0, v[6:7]
	v_min_u32_e32 v2, 1, v6
	v_or_b32_e32 v2, v7, v2
	v_cvt_f32_i32_e32 v2, v2
	v_sub_u32_e32 v0, 32, v0
	v_ldexp_f32 v2, v2, v0
	s_branch .LBB231_1966
.LBB231_1963:
                                        ; implicit-def: $vgpr2
	s_branch .LBB231_1972
.LBB231_1964:
	s_mov_b64 s[8:9], -1
                                        ; implicit-def: $vgpr2
	s_branch .LBB231_1969
.LBB231_1965:
	s_mov_b64 s[8:9], -1
                                        ; implicit-def: $vgpr2
.LBB231_1966:
	s_andn2_b64 vcc, exec, s[8:9]
	s_cbranch_vccnz .LBB231_1968
; %bb.1967:
	global_load_dword v0, v[4:5], off
	s_waitcnt vmcnt(0)
	v_cvt_f32_i32_e32 v2, v0
.LBB231_1968:
	s_mov_b64 s[8:9], 0
.LBB231_1969:
	s_andn2_b64 vcc, exec, s[8:9]
	s_cbranch_vccnz .LBB231_1971
; %bb.1970:
	global_load_sshort v0, v[4:5], off
	s_waitcnt vmcnt(0)
	v_cvt_f32_i32_e32 v2, v0
.LBB231_1971:
	s_cbranch_execnz .LBB231_1977
.LBB231_1972:
	v_cmp_lt_i16_e32 vcc, 0, v41
	s_cbranch_vccz .LBB231_1974
; %bb.1973:
	global_load_sbyte v0, v[4:5], off
	s_mov_b64 s[8:9], 0
	s_waitcnt vmcnt(0)
	v_cvt_f32_i32_e32 v2, v0
	s_branch .LBB231_1975
.LBB231_1974:
	s_mov_b64 s[8:9], -1
                                        ; implicit-def: $vgpr2
.LBB231_1975:
	s_andn2_b64 vcc, exec, s[8:9]
	s_cbranch_vccnz .LBB231_1977
; %bb.1976:
	global_load_ubyte v0, v[4:5], off
	s_waitcnt vmcnt(0)
	v_cvt_f32_ubyte0_e32 v2, v0
.LBB231_1977:
	s_or_b64 s[14:15], s[14:15], exec
.LBB231_1978:
	s_or_b64 exec, exec, s[6:7]
	s_mov_b64 s[10:11], 0
	s_mov_b64 s[8:9], 0
                                        ; implicit-def: $vgpr6
                                        ; implicit-def: $vgpr4_vgpr5
                                        ; implicit-def: $vgpr0
	s_and_saveexec_b64 s[40:41], s[14:15]
	s_cbranch_execz .LBB231_1996
; %bb.1979:
	s_waitcnt vmcnt(0)
	v_mov_b32_e32 v0, v3
	s_mov_b64 s[42:43], s[4:5]
	s_getpc_b64 s[4:5]
	s_add_u32 s4, s4, _ZZZZN2at6native28launch_dirichlet_grad_kernelERNS_18TensorIteratorBaseEENKUlvE_clEvENKUlvE0_clEvENKUlfffE_clEfff@rel32@lo+4
	s_addc_u32 s5, s5, _ZZZZN2at6native28launch_dirichlet_grad_kernelERNS_18TensorIteratorBaseEENKUlvE_clEvENKUlvE0_clEvENKUlfffE_clEfff@rel32@hi+12
	s_swappc_b64 s[30:31], s[4:5]
	v_mov_b32_e32 v1, s37
	v_add_co_u32_e32 v4, vcc, s36, v38
	v_addc_co_u32_e32 v5, vcc, 0, v1, vcc
	v_and_b32_e32 v6, 0xff, v40
	v_cmp_gt_i16_e32 vcc, 11, v6
	s_cbranch_vccnz .LBB231_1999
; %bb.1980:
	v_cmp_lt_i16_e32 vcc, 25, v6
	s_mov_b64 s[10:11], -1
	s_mov_b64 s[6:7], s[66:67]
	s_mov_b64 s[4:5], s[42:43]
	s_cbranch_vccz .LBB231_2017
; %bb.1981:
	v_cmp_lt_i16_e32 vcc, 28, v6
	s_mov_b64 s[8:9], -1
	s_mov_b64 s[6:7], s[66:67]
	s_cbranch_vccz .LBB231_2001
; %bb.1982:
	v_cmp_lt_i16_e32 vcc, 43, v6
	s_mov_b64 s[6:7], s[66:67]
	s_cbranch_vccz .LBB231_1993
; %bb.1983:
	v_cmp_lt_i16_e32 vcc, 45, v6
	s_mov_b64 s[6:7], s[66:67]
	s_cbranch_vccz .LBB231_1987
; %bb.1984:
	v_cmp_eq_u16_e32 vcc, 46, v6
	s_mov_b64 s[6:7], -1
	s_cbranch_vccz .LBB231_1986
; %bb.1985:
	v_bfe_u32 v1, v0, 16, 1
	s_movk_i32 s6, 0x7fff
	v_add3_u32 v1, v0, v1, s6
	v_lshrrev_b32_e32 v1, 16, v1
	v_mov_b32_e32 v2, 0x7fc0
	v_cmp_o_f32_e32 vcc, v0, v0
	v_cndmask_b32_e32 v1, v2, v1, vcc
	global_store_dword v[4:5], v1, off
	s_mov_b64 s[6:7], 0
.LBB231_1986:
	s_mov_b64 s[8:9], 0
.LBB231_1987:
	s_and_b64 vcc, exec, s[8:9]
	s_cbranch_vccz .LBB231_1992
; %bb.1988:
	v_cmp_eq_u16_e32 vcc, 44, v6
	s_mov_b64 s[6:7], -1
	s_cbranch_vccz .LBB231_1992
; %bb.1989:
	v_bfe_u32 v1, v0, 23, 8
	s_movk_i32 s6, 0xff
	v_cmp_ne_u32_e32 vcc, s6, v1
	v_mov_b32_e32 v2, 0xff
	s_and_saveexec_b64 s[8:9], vcc
; %bb.1990:
	s_mov_b32 s6, 0x3fffff
	v_and_b32_e32 v3, 0x400000, v0
	v_and_or_b32 v1, v0, s6, v1
	v_cmp_ne_u32_e32 vcc, 0, v3
	v_cmp_ne_u32_e64 s[6:7], 0, v1
	s_and_b64 s[6:7], vcc, s[6:7]
	v_lshrrev_b32_e32 v2, 23, v0
	v_cndmask_b32_e64 v1, 0, 1, s[6:7]
	v_add_u32_e32 v2, v2, v1
; %bb.1991:
	s_or_b64 exec, exec, s[8:9]
	s_mov_b64 s[6:7], 0
	global_store_byte v[4:5], v2, off
.LBB231_1992:
	s_mov_b64 s[8:9], 0
.LBB231_1993:
	s_and_b64 vcc, exec, s[8:9]
	s_cbranch_vccz .LBB231_2000
; %bb.1994:
	v_cmp_eq_u16_e32 vcc, 29, v6
	s_mov_b64 s[6:7], -1
	s_cbranch_vccz .LBB231_2000
; %bb.1995:
	v_trunc_f32_e32 v1, v0
	v_mul_f32_e32 v2, 0x2f800000, v1
	v_floor_f32_e32 v2, v2
	v_fmac_f32_e32 v1, 0xcf800000, v2
	v_cvt_u32_f32_e32 v3, v2
	v_cvt_u32_f32_e32 v2, v1
	s_mov_b64 s[6:7], 0
	s_mov_b64 s[8:9], 0
	global_store_dwordx2 v[4:5], v[2:3], off
	s_branch .LBB231_2001
.LBB231_1996:
	s_or_b64 exec, exec, s[40:41]
	s_and_saveexec_b64 s[6:7], s[66:67]
	s_cbranch_execnz .LBB231_2059
.LBB231_1997:
	s_or_b64 exec, exec, s[6:7]
	s_and_saveexec_b64 s[6:7], s[10:11]
	s_xor_b64 s[6:7], exec, s[6:7]
	s_cbranch_execz .LBB231_2060
.LBB231_1998:
	s_waitcnt vmcnt(0)
	v_cmp_neq_f32_e32 vcc, 0, v0
	v_cndmask_b32_e64 v1, 0, 1, vcc
	global_store_byte v[4:5], v1, off
	s_or_b64 exec, exec, s[6:7]
	s_and_saveexec_b64 s[6:7], s[8:9]
	s_xor_b64 s[6:7], exec, s[6:7]
	s_cbranch_execz .LBB231_2098
	s_branch .LBB231_2061
.LBB231_1999:
	s_mov_b64 s[10:11], 0
	s_mov_b64 s[8:9], -1
	s_mov_b64 s[6:7], s[66:67]
	s_mov_b64 s[4:5], s[42:43]
	s_branch .LBB231_2058
.LBB231_2000:
	s_mov_b64 s[8:9], 0
.LBB231_2001:
	s_and_b64 vcc, exec, s[8:9]
	s_cbranch_vccz .LBB231_2016
; %bb.2002:
	v_cmp_gt_i16_e32 vcc, 27, v6
	s_mov_b64 s[8:9], -1
	s_cbranch_vccnz .LBB231_2008
; %bb.2003:
	v_cmp_lt_i16_e32 vcc, 27, v6
	s_cbranch_vccz .LBB231_2005
; %bb.2004:
	v_cvt_u32_f32_e32 v1, v0
	s_mov_b64 s[8:9], 0
	global_store_dword v[4:5], v1, off
.LBB231_2005:
	s_andn2_b64 vcc, exec, s[8:9]
	s_cbranch_vccnz .LBB231_2007
; %bb.2006:
	v_cvt_u32_f32_e32 v1, v0
	global_store_short v[4:5], v1, off
.LBB231_2007:
	s_mov_b64 s[8:9], 0
.LBB231_2008:
	s_andn2_b64 vcc, exec, s[8:9]
	s_cbranch_vccnz .LBB231_2016
; %bb.2009:
	v_and_b32_e32 v1, 0x7fffffff, v0
	s_mov_b32 s8, 0x43800000
	v_cmp_gt_u32_e32 vcc, s8, v1
	v_mov_b32_e32 v2, 0x80
	s_and_saveexec_b64 s[8:9], vcc
	s_cbranch_execz .LBB231_2015
; %bb.2010:
	s_mov_b32 s10, 0x3bffffff
	v_cmp_lt_u32_e32 vcc, s10, v1
	s_mov_b64 s[10:11], 0
                                        ; implicit-def: $vgpr1
	s_and_saveexec_b64 s[12:13], vcc
	s_xor_b64 s[12:13], exec, s[12:13]
	s_cbranch_execz .LBB231_2153
; %bb.2011:
	v_bfe_u32 v1, v0, 20, 1
	s_mov_b32 s14, 0x487ffff
	v_add3_u32 v1, v0, v1, s14
	s_mov_b64 s[10:11], exec
	v_lshrrev_b32_e32 v1, 20, v1
	s_or_saveexec_b64 s[12:13], s[12:13]
                                        ; implicit-def: $sgpr14
	s_xor_b64 exec, exec, s[12:13]
	s_cbranch_execnz .LBB231_2154
.LBB231_2012:
	s_or_b64 exec, exec, s[12:13]
	v_mov_b32_e32 v2, s14
	s_and_saveexec_b64 s[12:13], s[10:11]
.LBB231_2013:
	v_lshrrev_b32_e32 v2, 24, v0
	s_movk_i32 s10, 0x80
	v_and_or_b32 v2, v2, s10, v1
.LBB231_2014:
	s_or_b64 exec, exec, s[12:13]
.LBB231_2015:
	s_or_b64 exec, exec, s[8:9]
	global_store_byte v[4:5], v2, off
.LBB231_2016:
	s_mov_b64 s[10:11], 0
.LBB231_2017:
	s_mov_b64 s[8:9], 0
	s_and_b64 vcc, exec, s[10:11]
	s_cbranch_vccz .LBB231_2057
; %bb.2018:
	v_cmp_lt_i16_e32 vcc, 22, v6
	s_mov_b64 s[10:11], -1
	s_cbranch_vccz .LBB231_2050
; %bb.2019:
	v_cmp_gt_i16_e32 vcc, 24, v6
	s_cbranch_vccnz .LBB231_2039
; %bb.2020:
	v_cmp_lt_i16_e32 vcc, 24, v6
	s_cbranch_vccz .LBB231_2028
; %bb.2021:
	v_and_b32_e32 v1, 0x7fffffff, v0
	s_mov_b32 s10, 0x47800000
	v_cmp_gt_u32_e32 vcc, s10, v1
	v_mov_b32_e32 v2, 0x80
	s_and_saveexec_b64 s[10:11], vcc
	s_cbranch_execz .LBB231_2027
; %bb.2022:
	s_mov_b32 s12, 0x37ffffff
	v_cmp_lt_u32_e32 vcc, s12, v1
	s_mov_b64 s[12:13], 0
                                        ; implicit-def: $vgpr1
	s_and_saveexec_b64 s[14:15], vcc
	s_xor_b64 s[14:15], exec, s[14:15]
	s_cbranch_execz .LBB231_2278
; %bb.2023:
	v_bfe_u32 v1, v0, 21, 1
	s_mov_b32 s16, 0x88fffff
	v_add3_u32 v1, v0, v1, s16
	s_mov_b64 s[12:13], exec
	v_lshrrev_b32_e32 v1, 21, v1
	s_or_saveexec_b64 s[14:15], s[14:15]
                                        ; implicit-def: $sgpr16
	s_xor_b64 exec, exec, s[14:15]
	s_cbranch_execnz .LBB231_2279
.LBB231_2024:
	s_or_b64 exec, exec, s[14:15]
	v_mov_b32_e32 v2, s16
	s_and_saveexec_b64 s[14:15], s[12:13]
.LBB231_2025:
	v_lshrrev_b32_e32 v2, 24, v0
	s_movk_i32 s12, 0x80
	v_and_or_b32 v2, v2, s12, v1
.LBB231_2026:
	s_or_b64 exec, exec, s[14:15]
.LBB231_2027:
	s_or_b64 exec, exec, s[10:11]
	s_mov_b64 s[10:11], 0
	global_store_byte v[4:5], v2, off
.LBB231_2028:
	s_and_b64 vcc, exec, s[10:11]
	s_cbranch_vccz .LBB231_2038
; %bb.2029:
	v_and_b32_e32 v2, 0x7fffffff, v0
	s_mov_b32 s10, 0x43f00000
	v_cmp_gt_u32_e32 vcc, s10, v2
                                        ; implicit-def: $vgpr1
	s_and_saveexec_b64 s[10:11], vcc
	s_xor_b64 s[10:11], exec, s[10:11]
	s_cbranch_execz .LBB231_2035
; %bb.2030:
	s_mov_b32 s12, 0x3c7fffff
	v_cmp_lt_u32_e32 vcc, s12, v2
                                        ; implicit-def: $vgpr1
	s_and_saveexec_b64 s[12:13], vcc
	s_xor_b64 s[12:13], exec, s[12:13]
; %bb.2031:
	v_bfe_u32 v1, v0, 20, 1
	s_mov_b32 s14, 0x407ffff
	v_add3_u32 v1, v0, v1, s14
	v_lshrrev_b32_e32 v2, 20, v1
	v_and_b32_e32 v1, 0xff00000, v1
	s_mov_b32 s14, 0x7f00000
	v_mov_b32_e32 v3, 0x7e
	v_cmp_ne_u32_e32 vcc, s14, v1
	v_cndmask_b32_e32 v1, v3, v2, vcc
; %bb.2032:
	s_andn2_saveexec_b64 s[12:13], s[12:13]
; %bb.2033:
	s_mov_b32 s14, 0x46800000
	v_add_f32_e64 v1, |v0|, s14
; %bb.2034:
	s_or_b64 exec, exec, s[12:13]
                                        ; implicit-def: $vgpr2
.LBB231_2035:
	s_andn2_saveexec_b64 s[10:11], s[10:11]
; %bb.2036:
	s_mov_b32 s12, 0x7f800000
	v_mov_b32_e32 v1, 0x7e
	v_mov_b32_e32 v3, 0x7f
	v_cmp_lt_u32_e32 vcc, s12, v2
	v_cndmask_b32_e32 v1, v1, v3, vcc
; %bb.2037:
	s_or_b64 exec, exec, s[10:11]
	v_lshrrev_b32_e32 v2, 24, v0
	s_movk_i32 s10, 0x80
	v_and_or_b32 v1, v2, s10, v1
	global_store_byte v[4:5], v1, off
.LBB231_2038:
	s_mov_b64 s[10:11], 0
.LBB231_2039:
	s_andn2_b64 vcc, exec, s[10:11]
	s_cbranch_vccnz .LBB231_2049
; %bb.2040:
	v_and_b32_e32 v2, 0x7fffffff, v0
	s_mov_b32 s10, 0x47800000
	v_cmp_gt_u32_e32 vcc, s10, v2
                                        ; implicit-def: $vgpr1
	s_and_saveexec_b64 s[10:11], vcc
	s_xor_b64 s[10:11], exec, s[10:11]
	s_cbranch_execz .LBB231_2046
; %bb.2041:
	s_mov_b32 s12, 0x387fffff
	v_cmp_lt_u32_e32 vcc, s12, v2
                                        ; implicit-def: $vgpr1
	s_and_saveexec_b64 s[12:13], vcc
	s_xor_b64 s[12:13], exec, s[12:13]
; %bb.2042:
	v_bfe_u32 v1, v0, 21, 1
	s_mov_b32 s14, 0x80fffff
	v_add3_u32 v1, v0, v1, s14
	v_lshrrev_b32_e32 v1, 21, v1
; %bb.2043:
	s_andn2_saveexec_b64 s[12:13], s[12:13]
; %bb.2044:
	s_mov_b32 s14, 0x43000000
	v_add_f32_e64 v1, |v0|, s14
; %bb.2045:
	s_or_b64 exec, exec, s[12:13]
                                        ; implicit-def: $vgpr2
.LBB231_2046:
	s_andn2_saveexec_b64 s[10:11], s[10:11]
; %bb.2047:
	s_mov_b32 s12, 0x7f800000
	v_mov_b32_e32 v1, 0x7c
	v_mov_b32_e32 v3, 0x7f
	v_cmp_lt_u32_e32 vcc, s12, v2
	v_cndmask_b32_e32 v1, v1, v3, vcc
; %bb.2048:
	s_or_b64 exec, exec, s[10:11]
	v_lshrrev_b32_e32 v2, 24, v0
	s_movk_i32 s10, 0x80
	v_and_or_b32 v1, v2, s10, v1
	global_store_byte v[4:5], v1, off
.LBB231_2049:
	s_mov_b64 s[10:11], 0
.LBB231_2050:
	s_andn2_b64 vcc, exec, s[10:11]
	s_mov_b64 s[10:11], 0
	s_cbranch_vccnz .LBB231_2058
; %bb.2051:
	v_cmp_lt_i16_e32 vcc, 14, v6
	s_mov_b64 s[12:13], -1
	s_cbranch_vccz .LBB231_2055
; %bb.2052:
	v_cmp_eq_u16_e32 vcc, 15, v6
	s_mov_b64 s[6:7], -1
	s_cbranch_vccz .LBB231_2054
; %bb.2053:
	v_bfe_u32 v1, v0, 16, 1
	s_movk_i32 s6, 0x7fff
	v_add3_u32 v1, v0, v1, s6
	v_lshrrev_b32_e32 v1, 16, v1
	v_mov_b32_e32 v2, 0x7fc0
	v_cmp_o_f32_e32 vcc, v0, v0
	v_cndmask_b32_e32 v1, v2, v1, vcc
	global_store_short v[4:5], v1, off
	s_mov_b64 s[6:7], 0
.LBB231_2054:
	s_mov_b64 s[12:13], 0
.LBB231_2055:
	s_and_b64 vcc, exec, s[12:13]
	s_cbranch_vccz .LBB231_2058
; %bb.2056:
	v_cmp_ne_u16_e32 vcc, 11, v6
	s_andn2_b64 s[6:7], s[6:7], exec
	s_and_b64 s[12:13], vcc, exec
	s_mov_b64 s[10:11], -1
	s_or_b64 s[6:7], s[6:7], s[12:13]
	s_branch .LBB231_2058
.LBB231_2057:
	s_mov_b64 s[10:11], 0
.LBB231_2058:
	s_andn2_b64 s[12:13], s[66:67], exec
	s_and_b64 s[6:7], s[6:7], exec
	s_and_b64 s[8:9], s[8:9], exec
	s_and_b64 s[10:11], s[10:11], exec
	s_or_b64 s[66:67], s[12:13], s[6:7]
	s_or_b64 exec, exec, s[40:41]
	s_and_saveexec_b64 s[6:7], s[66:67]
	s_cbranch_execz .LBB231_1997
.LBB231_2059:
	s_or_b64 s[38:39], s[38:39], exec
	s_andn2_b64 s[10:11], s[10:11], exec
	s_trap 2
	s_or_b64 exec, exec, s[6:7]
	s_and_saveexec_b64 s[6:7], s[10:11]
	s_xor_b64 s[6:7], exec, s[6:7]
	s_cbranch_execnz .LBB231_1998
.LBB231_2060:
	s_or_b64 exec, exec, s[6:7]
	s_and_saveexec_b64 s[6:7], s[8:9]
	s_xor_b64 s[6:7], exec, s[6:7]
	s_cbranch_execz .LBB231_2098
.LBB231_2061:
	v_cmp_gt_i16_e32 vcc, 5, v6
	s_mov_b64 s[8:9], -1
	s_cbranch_vccnz .LBB231_2082
; %bb.2062:
	v_cmp_gt_i16_e32 vcc, 8, v6
	s_cbranch_vccnz .LBB231_2072
; %bb.2063:
	v_cmp_gt_i16_e32 vcc, 9, v6
	s_cbranch_vccnz .LBB231_2069
; %bb.2064:
	v_cmp_lt_i16_e32 vcc, 9, v6
	s_cbranch_vccz .LBB231_2066
; %bb.2065:
	v_mov_b32_e32 v10, 0
	s_waitcnt vmcnt(0)
	v_cvt_f64_f32_e32 v[8:9], v0
	v_mov_b32_e32 v11, v10
	s_mov_b64 s[8:9], 0
	global_store_dwordx4 v[4:5], v[8:11], off
.LBB231_2066:
	s_andn2_b64 vcc, exec, s[8:9]
	s_cbranch_vccnz .LBB231_2068
; %bb.2067:
	s_waitcnt vmcnt(0)
	v_mov_b32_e32 v1, 0
	global_store_dwordx2 v[4:5], v[0:1], off
.LBB231_2068:
	s_mov_b64 s[8:9], 0
.LBB231_2069:
	s_andn2_b64 vcc, exec, s[8:9]
	s_cbranch_vccnz .LBB231_2071
; %bb.2070:
	s_waitcnt vmcnt(0)
	v_cvt_f16_f32_e32 v1, v0
	global_store_dword v[4:5], v1, off
.LBB231_2071:
	s_mov_b64 s[8:9], 0
.LBB231_2072:
	s_andn2_b64 vcc, exec, s[8:9]
	s_cbranch_vccnz .LBB231_2081
; %bb.2073:
	v_cmp_gt_i16_e32 vcc, 6, v6
	s_mov_b64 s[8:9], -1
	s_cbranch_vccnz .LBB231_2079
; %bb.2074:
	v_cmp_lt_i16_e32 vcc, 6, v6
	s_cbranch_vccz .LBB231_2076
; %bb.2075:
	s_waitcnt vmcnt(0)
	v_cvt_f64_f32_e32 v[2:3], v0
	s_mov_b64 s[8:9], 0
	global_store_dwordx2 v[4:5], v[2:3], off
.LBB231_2076:
	s_andn2_b64 vcc, exec, s[8:9]
	s_cbranch_vccnz .LBB231_2078
; %bb.2077:
	s_waitcnt vmcnt(0)
	global_store_dword v[4:5], v0, off
.LBB231_2078:
	s_mov_b64 s[8:9], 0
.LBB231_2079:
	s_andn2_b64 vcc, exec, s[8:9]
	s_cbranch_vccnz .LBB231_2081
; %bb.2080:
	s_waitcnt vmcnt(0)
	v_cvt_f16_f32_e32 v1, v0
	global_store_short v[4:5], v1, off
.LBB231_2081:
	s_mov_b64 s[8:9], 0
.LBB231_2082:
	s_andn2_b64 vcc, exec, s[8:9]
	s_cbranch_vccnz .LBB231_2098
; %bb.2083:
	v_cmp_gt_i16_e32 vcc, 2, v6
	s_mov_b64 s[8:9], -1
	s_cbranch_vccnz .LBB231_2093
; %bb.2084:
	v_cmp_gt_i16_e32 vcc, 3, v6
	s_cbranch_vccnz .LBB231_2090
; %bb.2085:
	v_cmp_lt_i16_e32 vcc, 3, v6
	s_cbranch_vccz .LBB231_2087
; %bb.2086:
	s_waitcnt vmcnt(0)
	v_trunc_f32_e32 v1, v0
	s_mov_b32 s8, 0x2f800000
	v_mul_f32_e64 v2, |v1|, s8
	v_floor_f32_e32 v2, v2
	s_mov_b32 s8, 0xcf800000
	v_cvt_u32_f32_e32 v3, v2
	v_fma_f32 v2, v2, s8, |v1|
	v_cvt_u32_f32_e32 v2, v2
	v_ashrrev_i32_e32 v1, 31, v1
	v_xor_b32_e32 v3, v3, v1
	s_mov_b64 s[8:9], 0
	v_xor_b32_e32 v2, v2, v1
	v_sub_co_u32_e32 v2, vcc, v2, v1
	v_subb_co_u32_e32 v3, vcc, v3, v1, vcc
	global_store_dwordx2 v[4:5], v[2:3], off
.LBB231_2087:
	s_andn2_b64 vcc, exec, s[8:9]
	s_cbranch_vccnz .LBB231_2089
; %bb.2088:
	s_waitcnt vmcnt(0)
	v_cvt_i32_f32_e32 v1, v0
	global_store_dword v[4:5], v1, off
.LBB231_2089:
	s_mov_b64 s[8:9], 0
.LBB231_2090:
	s_andn2_b64 vcc, exec, s[8:9]
	s_cbranch_vccnz .LBB231_2092
; %bb.2091:
	s_waitcnt vmcnt(0)
	v_cvt_i32_f32_e32 v1, v0
	global_store_short v[4:5], v1, off
.LBB231_2092:
	s_mov_b64 s[8:9], 0
.LBB231_2093:
	s_andn2_b64 vcc, exec, s[8:9]
	s_cbranch_vccnz .LBB231_2098
; %bb.2094:
	v_cmp_lt_i16_e32 vcc, 0, v6
	s_mov_b64 s[8:9], -1
	s_cbranch_vccz .LBB231_2096
; %bb.2095:
	s_waitcnt vmcnt(0)
	v_cvt_i32_f32_e32 v1, v0
	s_mov_b64 s[8:9], 0
	global_store_byte v[4:5], v1, off
.LBB231_2096:
	s_andn2_b64 vcc, exec, s[8:9]
	s_cbranch_vccnz .LBB231_2098
; %bb.2097:
	s_waitcnt vmcnt(0)
	v_trunc_f32_e32 v0, v0
	s_mov_b32 s8, 0x2f800000
	v_mul_f32_e64 v1, |v0|, s8
	v_floor_f32_e32 v1, v1
	s_mov_b32 s8, 0xcf800000
	v_fma_f32 v1, v1, s8, |v0|
	v_cvt_u32_f32_e32 v1, v1
	v_ashrrev_i32_e32 v0, 31, v0
	v_xor_b32_e32 v1, v1, v0
	v_sub_u32_e32 v0, v1, v0
	global_store_byte v[4:5], v0, off
.LBB231_2098:
	s_or_b64 exec, exec, s[6:7]
	s_and_b64 s[36:37], s[38:39], exec
                                        ; implicit-def: $vgpr24
                                        ; implicit-def: $vgpr42
.LBB231_2099:
	s_or_saveexec_b64 s[38:39], s[58:59]
	s_mov_b64 s[8:9], 0
                                        ; implicit-def: $vgpr2_vgpr3
                                        ; implicit-def: $vgpr4
                                        ; implicit-def: $vgpr0
	s_xor_b64 exec, exec, s[38:39]
	s_cbranch_execz .LBB231_4151
; %bb.2100:
	s_waitcnt vmcnt(0)
	v_cndmask_b32_e64 v0, 0, 1, s[56:57]
	v_cmp_ne_u32_e64 s[6:7], 1, v0
	s_andn2_b64 vcc, exec, s[56:57]
	s_cbranch_vccnz .LBB231_2106
; %bb.2101:
	s_cmp_lg_u32 s33, 0
	v_mov_b32_e32 v0, 0
	v_mov_b32_e32 v54, 0
	;; [unrolled: 1-line block ×4, first 2 shown]
	s_cbranch_scc0 .LBB231_2107
; %bb.2102:
	s_min_u32 s24, s96, 15
	s_add_i32 s8, s24, 1
	s_and_b32 s25, s8, 30
	s_add_u32 s22, s34, 0xa4
	s_addc_u32 s23, s35, 0
	v_mov_b32_e32 v22, 0
	s_mov_b64 s[20:21], s[34:35]
	v_mov_b32_e32 v1, v42
	v_mov_b32_e32 v2, 0
	;; [unrolled: 1-line block ×4, first 2 shown]
.LBB231_2103:                           ; =>This Inner Loop Header: Depth=1
	s_load_dwordx4 s[16:19], s[20:21], 0x4
	s_load_dwordx2 s[28:29], s[20:21], 0x14
	s_mov_b64 s[26:27], s[22:23]
	s_load_dwordx8 s[8:15], s[26:27], 0x20
	s_add_u32 s22, s26, 32
	s_waitcnt lgkmcnt(0)
	v_mul_hi_u32 v3, s17, v1
	v_add_u32_e32 v3, v1, v3
	v_lshrrev_b32_e32 v3, s18, v3
	v_mul_lo_u32 v4, v3, s16
	v_mul_hi_u32 v5, s28, v3
	v_sub_u32_e32 v1, v1, v4
	v_add_u32_e32 v4, v3, v5
	v_mul_lo_u32 v5, v1, s8
	v_mul_lo_u32 v6, v1, s9
	;; [unrolled: 1-line block ×4, first 2 shown]
	v_lshrrev_b32_e32 v1, s29, v4
	s_addc_u32 s23, s27, 0
	v_mul_lo_u32 v4, v1, s19
	s_add_u32 s20, s20, 24
	v_sub_u32_e32 v3, v3, v4
	s_addc_u32 s21, s21, 0
	s_add_i32 s25, s25, -2
	v_mul_lo_u32 v4, v3, s12
	v_mul_lo_u32 v9, v3, s13
	v_mul_lo_u32 v10, v3, s14
	v_mul_lo_u32 v3, v3, s15
	s_cmp_lg_u32 s25, 0
	v_add3_u32 v0, v6, v0, v9
	v_add3_u32 v54, v5, v54, v4
	;; [unrolled: 1-line block ×4, first 2 shown]
	s_cbranch_scc1 .LBB231_2103
; %bb.2104:
	s_bitcmp1_b32 s24, 0
	s_cselect_b64 s[8:9], -1, 0
	s_and_b64 vcc, exec, s[8:9]
	s_cbranch_vccnz .LBB231_2107
; %bb.2105:
	s_load_dwordx2 s[12:13], s[20:21], 0x4
	s_load_dword s14, s[20:21], 0xc
	s_load_dwordx4 s[8:11], s[22:23], 0x20
	s_waitcnt lgkmcnt(0)
	v_mul_hi_u32 v3, s13, v1
	v_add_u32_e32 v3, v1, v3
	v_lshrrev_b32_e32 v3, s14, v3
	v_mul_lo_u32 v3, v3, s12
	v_sub_u32_e32 v3, v1, v3
	v_mad_u64_u32 v[54:55], s[12:13], v3, s8, v[54:55]
	v_mad_u64_u32 v[0:1], s[8:9], v3, s9, v[0:1]
	;; [unrolled: 1-line block ×4, first 2 shown]
	s_cbranch_execz .LBB231_2108
	s_branch .LBB231_2110
.LBB231_2106:
                                        ; implicit-def: $vgpr0
                                        ; implicit-def: $vgpr54
                                        ; implicit-def: $vgpr2
                                        ; implicit-def: $vgpr22
	s_branch .LBB231_2108
.LBB231_2107:
	s_cbranch_execnz .LBB231_2110
.LBB231_2108:
	s_load_dwordx4 s[8:11], s[34:35], 0x4
	s_load_dwordx4 s[12:15], s[34:35], 0xc4
	s_cmp_lt_u32 s33, 2
	s_waitcnt lgkmcnt(0)
	v_mul_hi_u32 v0, s9, v42
	v_add_u32_e32 v0, v42, v0
	v_lshrrev_b32_e32 v1, s10, v0
	v_mul_lo_u32 v0, v1, s8
	v_sub_u32_e32 v3, v42, v0
	v_mul_lo_u32 v0, v3, s13
	v_mul_lo_u32 v54, v3, s12
	;; [unrolled: 1-line block ×4, first 2 shown]
	s_cbranch_scc1 .LBB231_2110
; %bb.2109:
	s_load_dwordx4 s[8:11], s[34:35], 0x10
	s_load_dwordx4 s[12:15], s[34:35], 0xd4
	s_waitcnt lgkmcnt(0)
	v_mul_hi_u32 v3, s9, v1
	v_add_u32_e32 v3, v1, v3
	v_lshrrev_b32_e32 v3, s10, v3
	v_mul_lo_u32 v3, v3, s8
	v_sub_u32_e32 v3, v1, v3
	v_mad_u64_u32 v[54:55], s[8:9], v3, s12, v[54:55]
	v_mad_u64_u32 v[0:1], s[8:9], v3, s13, v[0:1]
	;; [unrolled: 1-line block ×4, first 2 shown]
.LBB231_2110:
	s_and_b64 vcc, exec, s[6:7]
	v_add_u32_e32 v1, 0x80, v42
	s_cbranch_vccnz .LBB231_2116
; %bb.2111:
	s_cmp_lg_u32 s33, 0
	v_mov_b32_e32 v20, 0
	v_mov_b32_e32 v52, 0
	;; [unrolled: 1-line block ×4, first 2 shown]
	s_cbranch_scc0 .LBB231_2117
; %bb.2112:
	s_min_u32 s24, s96, 15
	s_add_i32 s8, s24, 1
	s_and_b32 s25, s8, 30
	s_add_u32 s22, s34, 0xa4
	s_addc_u32 s23, s35, 0
	v_mov_b32_e32 v18, 0
	s_mov_b64 s[20:21], s[34:35]
	v_mov_b32_e32 v3, v1
	v_mov_b32_e32 v16, 0
	;; [unrolled: 1-line block ×4, first 2 shown]
.LBB231_2113:                           ; =>This Inner Loop Header: Depth=1
	s_load_dwordx4 s[16:19], s[20:21], 0x4
	s_load_dwordx2 s[28:29], s[20:21], 0x14
	s_mov_b64 s[26:27], s[22:23]
	s_load_dwordx8 s[8:15], s[26:27], 0x20
	s_add_u32 s22, s26, 32
	s_waitcnt lgkmcnt(0)
	v_mul_hi_u32 v4, s17, v3
	v_add_u32_e32 v4, v3, v4
	v_lshrrev_b32_e32 v4, s18, v4
	v_mul_lo_u32 v5, v4, s16
	v_mul_hi_u32 v6, s28, v4
	v_sub_u32_e32 v3, v3, v5
	v_add_u32_e32 v5, v4, v6
	v_mul_lo_u32 v6, v3, s8
	v_mul_lo_u32 v7, v3, s9
	;; [unrolled: 1-line block ×4, first 2 shown]
	v_lshrrev_b32_e32 v3, s29, v5
	s_addc_u32 s23, s27, 0
	v_mul_lo_u32 v5, v3, s19
	s_add_u32 s20, s20, 24
	v_sub_u32_e32 v4, v4, v5
	s_addc_u32 s21, s21, 0
	s_add_i32 s25, s25, -2
	v_mul_lo_u32 v5, v4, s12
	v_mul_lo_u32 v10, v4, s13
	;; [unrolled: 1-line block ×4, first 2 shown]
	s_cmp_lg_u32 s25, 0
	v_add3_u32 v20, v7, v20, v10
	v_add3_u32 v52, v6, v52, v5
	;; [unrolled: 1-line block ×4, first 2 shown]
	s_cbranch_scc1 .LBB231_2113
; %bb.2114:
	s_bitcmp1_b32 s24, 0
	s_cselect_b64 s[8:9], -1, 0
	s_and_b64 vcc, exec, s[8:9]
	s_cbranch_vccnz .LBB231_2117
; %bb.2115:
	s_load_dwordx2 s[12:13], s[20:21], 0x4
	s_load_dword s14, s[20:21], 0xc
	s_load_dwordx4 s[8:11], s[22:23], 0x20
	s_waitcnt lgkmcnt(0)
	v_mul_hi_u32 v4, s13, v3
	v_add_u32_e32 v4, v3, v4
	v_lshrrev_b32_e32 v4, s14, v4
	v_mul_lo_u32 v4, v4, s12
	v_sub_u32_e32 v3, v3, v4
	v_mad_u64_u32 v[52:53], s[12:13], v3, s8, v[52:53]
	v_mad_u64_u32 v[20:21], s[8:9], v3, s9, v[20:21]
	;; [unrolled: 1-line block ×4, first 2 shown]
	s_cbranch_execz .LBB231_2118
	s_branch .LBB231_2120
.LBB231_2116:
                                        ; implicit-def: $vgpr20
                                        ; implicit-def: $vgpr52
                                        ; implicit-def: $vgpr16
                                        ; implicit-def: $vgpr18
	s_branch .LBB231_2118
.LBB231_2117:
	s_cbranch_execnz .LBB231_2120
.LBB231_2118:
	s_load_dwordx4 s[8:11], s[34:35], 0x4
	s_load_dwordx4 s[12:15], s[34:35], 0xc4
	s_cmp_lt_u32 s33, 2
	s_waitcnt lgkmcnt(0)
	v_mul_hi_u32 v3, s9, v1
	v_add_u32_e32 v3, v1, v3
	v_lshrrev_b32_e32 v3, s10, v3
	v_mul_lo_u32 v4, v3, s8
	v_sub_u32_e32 v1, v1, v4
	v_mul_lo_u32 v20, v1, s13
	v_mul_lo_u32 v52, v1, s12
	;; [unrolled: 1-line block ×4, first 2 shown]
	s_cbranch_scc1 .LBB231_2120
; %bb.2119:
	s_load_dwordx4 s[8:11], s[34:35], 0x10
	s_load_dwordx4 s[12:15], s[34:35], 0xd4
	s_waitcnt lgkmcnt(0)
	v_mul_hi_u32 v1, s9, v3
	v_add_u32_e32 v1, v3, v1
	v_lshrrev_b32_e32 v1, s10, v1
	v_mul_lo_u32 v1, v1, s8
	v_sub_u32_e32 v1, v3, v1
	v_mad_u64_u32 v[52:53], s[8:9], v1, s12, v[52:53]
	v_mad_u64_u32 v[20:21], s[8:9], v1, s13, v[20:21]
	;; [unrolled: 1-line block ×4, first 2 shown]
.LBB231_2120:
	s_and_b64 vcc, exec, s[6:7]
	v_add_u32_e32 v1, 0x100, v42
	s_cbranch_vccnz .LBB231_2126
; %bb.2121:
	s_cmp_lg_u32 s33, 0
	v_mov_b32_e32 v14, 0
	v_mov_b32_e32 v50, 0
	;; [unrolled: 1-line block ×4, first 2 shown]
	s_cbranch_scc0 .LBB231_2127
; %bb.2122:
	s_min_u32 s24, s96, 15
	s_add_i32 s8, s24, 1
	s_and_b32 s25, s8, 30
	s_add_u32 s22, s34, 0xa4
	s_addc_u32 s23, s35, 0
	v_mov_b32_e32 v12, 0
	s_mov_b64 s[20:21], s[34:35]
	v_mov_b32_e32 v3, v1
	v_mov_b32_e32 v10, 0
	;; [unrolled: 1-line block ×4, first 2 shown]
.LBB231_2123:                           ; =>This Inner Loop Header: Depth=1
	s_load_dwordx4 s[16:19], s[20:21], 0x4
	s_load_dwordx2 s[28:29], s[20:21], 0x14
	s_mov_b64 s[26:27], s[22:23]
	s_load_dwordx8 s[8:15], s[26:27], 0x20
	s_add_u32 s22, s26, 32
	s_waitcnt lgkmcnt(0)
	v_mul_hi_u32 v4, s17, v3
	v_add_u32_e32 v4, v3, v4
	v_lshrrev_b32_e32 v4, s18, v4
	v_mul_lo_u32 v5, v4, s16
	v_mul_hi_u32 v6, s28, v4
	v_sub_u32_e32 v3, v3, v5
	v_add_u32_e32 v5, v4, v6
	v_mul_lo_u32 v6, v3, s8
	v_mul_lo_u32 v7, v3, s9
	;; [unrolled: 1-line block ×4, first 2 shown]
	v_lshrrev_b32_e32 v3, s29, v5
	s_addc_u32 s23, s27, 0
	v_mul_lo_u32 v5, v3, s19
	s_add_u32 s20, s20, 24
	v_sub_u32_e32 v4, v4, v5
	s_addc_u32 s21, s21, 0
	s_add_i32 s25, s25, -2
	v_mul_lo_u32 v5, v4, s12
	v_mul_lo_u32 v11, v4, s13
	;; [unrolled: 1-line block ×4, first 2 shown]
	s_cmp_lg_u32 s25, 0
	v_add3_u32 v14, v7, v14, v11
	v_add3_u32 v50, v6, v50, v5
	v_add3_u32 v10, v9, v10, v4
	v_add3_u32 v12, v8, v12, v13
	s_cbranch_scc1 .LBB231_2123
; %bb.2124:
	s_bitcmp1_b32 s24, 0
	s_cselect_b64 s[8:9], -1, 0
	s_and_b64 vcc, exec, s[8:9]
	s_cbranch_vccnz .LBB231_2127
; %bb.2125:
	s_load_dwordx2 s[12:13], s[20:21], 0x4
	s_load_dword s14, s[20:21], 0xc
	s_load_dwordx4 s[8:11], s[22:23], 0x20
	s_waitcnt lgkmcnt(0)
	v_mul_hi_u32 v4, s13, v3
	v_add_u32_e32 v4, v3, v4
	v_lshrrev_b32_e32 v4, s14, v4
	v_mul_lo_u32 v4, v4, s12
	v_sub_u32_e32 v3, v3, v4
	v_mad_u64_u32 v[50:51], s[12:13], v3, s8, v[50:51]
	v_mad_u64_u32 v[14:15], s[8:9], v3, s9, v[14:15]
	;; [unrolled: 1-line block ×4, first 2 shown]
	s_cbranch_execz .LBB231_2128
	s_branch .LBB231_2130
.LBB231_2126:
                                        ; implicit-def: $vgpr14
                                        ; implicit-def: $vgpr50
                                        ; implicit-def: $vgpr10
                                        ; implicit-def: $vgpr12
	s_branch .LBB231_2128
.LBB231_2127:
	s_cbranch_execnz .LBB231_2130
.LBB231_2128:
	s_load_dwordx4 s[8:11], s[34:35], 0x4
	s_load_dwordx4 s[12:15], s[34:35], 0xc4
	s_cmp_lt_u32 s33, 2
	s_waitcnt lgkmcnt(0)
	v_mul_hi_u32 v3, s9, v1
	v_add_u32_e32 v3, v1, v3
	v_lshrrev_b32_e32 v3, s10, v3
	v_mul_lo_u32 v4, v3, s8
	v_sub_u32_e32 v1, v1, v4
	v_mul_lo_u32 v14, v1, s13
	v_mul_lo_u32 v50, v1, s12
	;; [unrolled: 1-line block ×4, first 2 shown]
	s_cbranch_scc1 .LBB231_2130
; %bb.2129:
	s_load_dwordx4 s[8:11], s[34:35], 0x10
	s_load_dwordx4 s[12:15], s[34:35], 0xd4
	s_waitcnt lgkmcnt(0)
	v_mul_hi_u32 v1, s9, v3
	v_add_u32_e32 v1, v3, v1
	v_lshrrev_b32_e32 v1, s10, v1
	v_mul_lo_u32 v1, v1, s8
	v_sub_u32_e32 v1, v3, v1
	v_mad_u64_u32 v[50:51], s[8:9], v1, s12, v[50:51]
	v_mad_u64_u32 v[14:15], s[8:9], v1, s13, v[14:15]
	;; [unrolled: 1-line block ×4, first 2 shown]
.LBB231_2130:
	s_and_b64 vcc, exec, s[6:7]
	s_cbranch_vccnz .LBB231_2136
; %bb.2131:
	s_cmp_lg_u32 s33, 0
	v_mov_b32_e32 v8, 0
	v_mov_b32_e32 v48, 0
	;; [unrolled: 1-line block ×4, first 2 shown]
	s_cbranch_scc0 .LBB231_2137
; %bb.2132:
	s_min_u32 s22, s96, 15
	s_add_i32 s6, s22, 1
	s_and_b32 s23, s6, 30
	s_add_u32 s20, s34, 0xa4
	s_addc_u32 s21, s35, 0
	v_mov_b32_e32 v6, 0
	s_mov_b64 s[6:7], s[34:35]
	v_mov_b32_e32 v1, v24
	v_mov_b32_e32 v4, 0
	;; [unrolled: 1-line block ×4, first 2 shown]
.LBB231_2133:                           ; =>This Inner Loop Header: Depth=1
	s_load_dwordx4 s[16:19], s[6:7], 0x4
	s_load_dwordx2 s[26:27], s[6:7], 0x14
	s_mov_b64 s[24:25], s[20:21]
	s_load_dwordx8 s[8:15], s[24:25], 0x20
	s_add_u32 s20, s24, 32
	s_waitcnt lgkmcnt(0)
	v_mul_hi_u32 v3, s17, v1
	v_add_u32_e32 v3, v1, v3
	v_lshrrev_b32_e32 v3, s18, v3
	v_mul_lo_u32 v5, v3, s16
	v_mul_hi_u32 v7, s26, v3
	v_sub_u32_e32 v1, v1, v5
	v_add_u32_e32 v5, v3, v7
	v_mul_lo_u32 v7, v1, s8
	v_mul_lo_u32 v9, v1, s9
	;; [unrolled: 1-line block ×4, first 2 shown]
	v_lshrrev_b32_e32 v1, s27, v5
	s_addc_u32 s21, s25, 0
	v_mul_lo_u32 v5, v1, s19
	s_add_u32 s6, s6, 24
	v_sub_u32_e32 v3, v3, v5
	s_addc_u32 s7, s7, 0
	s_add_i32 s23, s23, -2
	v_mul_lo_u32 v5, v3, s12
	v_mul_lo_u32 v15, v3, s13
	;; [unrolled: 1-line block ×4, first 2 shown]
	s_cmp_lg_u32 s23, 0
	v_add3_u32 v8, v9, v8, v15
	v_add3_u32 v48, v7, v48, v5
	;; [unrolled: 1-line block ×4, first 2 shown]
	s_cbranch_scc1 .LBB231_2133
; %bb.2134:
	s_bitcmp1_b32 s22, 0
	s_cselect_b64 s[8:9], -1, 0
	s_and_b64 vcc, exec, s[8:9]
	s_cbranch_vccnz .LBB231_2137
; %bb.2135:
	s_load_dwordx2 s[12:13], s[6:7], 0x4
	s_load_dword s14, s[6:7], 0xc
	s_load_dwordx4 s[8:11], s[20:21], 0x20
	s_waitcnt lgkmcnt(0)
	v_mul_hi_u32 v3, s13, v1
	v_add_u32_e32 v3, v1, v3
	v_lshrrev_b32_e32 v3, s14, v3
	v_mul_lo_u32 v3, v3, s12
	v_sub_u32_e32 v1, v1, v3
	v_mad_u64_u32 v[48:49], s[6:7], v1, s8, v[48:49]
	v_mad_u64_u32 v[8:9], s[6:7], v1, s9, v[8:9]
	;; [unrolled: 1-line block ×4, first 2 shown]
	s_cbranch_execz .LBB231_2138
	s_branch .LBB231_2140
.LBB231_2136:
                                        ; implicit-def: $vgpr8
                                        ; implicit-def: $vgpr48
                                        ; implicit-def: $vgpr4
                                        ; implicit-def: $vgpr6
	s_branch .LBB231_2138
.LBB231_2137:
	s_cbranch_execnz .LBB231_2140
.LBB231_2138:
	s_load_dwordx4 s[8:11], s[34:35], 0x4
	s_load_dwordx4 s[12:15], s[34:35], 0xc4
	s_cmp_lt_u32 s33, 2
	s_waitcnt lgkmcnt(0)
	v_mul_hi_u32 v1, s9, v24
	v_add_u32_e32 v1, v24, v1
	v_lshrrev_b32_e32 v1, s10, v1
	v_mul_lo_u32 v3, v1, s8
	v_sub_u32_e32 v3, v24, v3
	v_mul_lo_u32 v8, v3, s13
	v_mul_lo_u32 v48, v3, s12
	;; [unrolled: 1-line block ×4, first 2 shown]
	s_cbranch_scc1 .LBB231_2140
; %bb.2139:
	s_load_dwordx4 s[8:11], s[34:35], 0x10
	s_load_dwordx4 s[12:15], s[34:35], 0xd4
	s_waitcnt lgkmcnt(0)
	v_mul_hi_u32 v3, s9, v1
	v_add_u32_e32 v3, v1, v3
	v_lshrrev_b32_e32 v3, s10, v3
	v_mul_lo_u32 v3, v3, s8
	v_sub_u32_e32 v1, v1, v3
	v_mad_u64_u32 v[48:49], s[6:7], v1, s12, v[48:49]
	v_mad_u64_u32 v[8:9], s[6:7], v1, s13, v[8:9]
	;; [unrolled: 1-line block ×4, first 2 shown]
.LBB231_2140:
	s_load_dword s22, s[4:5], 0x1f0
	s_load_dwordx4 s[28:31], s[34:35], 0x1c8
	s_waitcnt lgkmcnt(0)
	s_lshr_b32 s23, s22, 16
	v_mov_b32_e32 v1, s31
	v_add_co_u32_e32 v24, vcc, s30, v0
	v_mov_b32_e32 v0, 11
	v_addc_co_u32_e32 v25, vcc, 0, v1, vcc
	v_cmp_lt_i16_sdwa s[4:5], s23, v0 src0_sel:BYTE_0 src1_sel:DWORD
	s_and_b64 vcc, exec, s[4:5]
	s_cbranch_vccnz .LBB231_2147
; %bb.2141:
	v_mov_b32_e32 v0, 25
	v_cmp_gt_i16_sdwa s[4:5], s23, v0 src0_sel:BYTE_0 src1_sel:DWORD
	s_mov_b64 s[6:7], 0
	s_and_b64 vcc, exec, s[4:5]
	s_cbranch_vccz .LBB231_2149
; %bb.2142:
	v_mov_b32_e32 v0, 28
	v_cmp_gt_i16_sdwa s[4:5], s23, v0 src0_sel:BYTE_0 src1_sel:DWORD
	s_and_b64 vcc, exec, s[4:5]
	s_cbranch_vccz .LBB231_2150
; %bb.2143:
	v_mov_b32_e32 v0, 43
	v_cmp_gt_i16_sdwa s[4:5], s23, v0 src0_sel:BYTE_0 src1_sel:DWORD
	;; [unrolled: 5-line block ×3, first 2 shown]
	s_and_b64 vcc, exec, s[4:5]
	s_cbranch_vccz .LBB231_2152
; %bb.2145:
	v_mov_b32_e32 v0, 46
	v_cmp_eq_u16_sdwa s[4:5], s23, v0 src0_sel:BYTE_0 src1_sel:DWORD
	s_mov_b64 s[10:11], 0
	s_and_b64 vcc, exec, s[4:5]
	s_cbranch_vccz .LBB231_2155
; %bb.2146:
	global_load_dword v0, v[24:25], off
	s_mov_b64 s[4:5], 0
	s_mov_b64 s[8:9], -1
	s_waitcnt vmcnt(0)
	v_lshlrev_b32_e32 v0, 16, v0
	s_branch .LBB231_2156
.LBB231_2147:
	s_mov_b64 s[8:9], 0
                                        ; implicit-def: $vgpr0
	s_mov_b64 s[40:41], s[36:37]
	s_cbranch_execnz .LBB231_2219
.LBB231_2148:
	s_andn2_b64 vcc, exec, s[8:9]
	s_cbranch_vccz .LBB231_2264
	s_branch .LBB231_4149
.LBB231_2149:
	s_mov_b64 s[8:9], 0
	s_mov_b64 s[4:5], 0
                                        ; implicit-def: $vgpr0
	s_cbranch_execnz .LBB231_2184
	s_branch .LBB231_2215
.LBB231_2150:
	s_mov_b64 s[10:11], -1
	s_mov_b64 s[8:9], 0
	s_mov_b64 s[4:5], 0
                                        ; implicit-def: $vgpr0
	s_branch .LBB231_2165
.LBB231_2151:
	s_mov_b64 s[8:9], 0
	s_mov_b64 s[4:5], 0
                                        ; implicit-def: $vgpr0
	s_cbranch_execnz .LBB231_2161
	s_branch .LBB231_2164
.LBB231_2152:
	s_mov_b64 s[10:11], -1
	s_mov_b64 s[8:9], 0
	s_mov_b64 s[4:5], 0
                                        ; implicit-def: $vgpr0
	s_branch .LBB231_2156
.LBB231_2153:
	s_or_saveexec_b64 s[12:13], s[12:13]
                                        ; implicit-def: $sgpr14
	s_xor_b64 exec, exec, s[12:13]
	s_cbranch_execz .LBB231_2012
.LBB231_2154:
	s_mov_b32 s14, 0x46000000
	v_add_f32_e64 v1, |v0|, s14
	v_and_b32_e32 v1, 0xff, v1
	v_cmp_ne_u32_e32 vcc, 0, v1
	s_andn2_b64 s[10:11], s[10:11], exec
	s_and_b64 s[16:17], vcc, exec
	s_mov_b32 s14, 0
	s_or_b64 s[10:11], s[10:11], s[16:17]
	s_or_b64 exec, exec, s[12:13]
	v_mov_b32_e32 v2, s14
	s_and_saveexec_b64 s[12:13], s[10:11]
	s_cbranch_execnz .LBB231_2013
	s_branch .LBB231_2014
.LBB231_2155:
	s_mov_b64 s[4:5], -1
                                        ; implicit-def: $vgpr0
	s_mov_b64 s[8:9], 0
.LBB231_2156:
	s_and_b64 vcc, exec, s[10:11]
	s_cbranch_vccz .LBB231_2159
; %bb.2157:
	v_mov_b32_e32 v0, 44
	v_cmp_eq_u16_sdwa s[4:5], s23, v0 src0_sel:BYTE_0 src1_sel:DWORD
	s_and_b64 vcc, exec, s[4:5]
	s_cbranch_vccz .LBB231_2160
; %bb.2158:
	global_load_ubyte v0, v[24:25], off
	s_movk_i32 s8, 0xff
	v_mov_b32_e32 v1, 0x7f800001
	v_mov_b32_e32 v3, 0x400000
	s_mov_b64 s[4:5], 0
	s_waitcnt vmcnt(0)
	v_lshlrev_b32_e32 v5, 23, v0
	v_cmp_ne_u32_e32 vcc, s8, v0
	v_cndmask_b32_e32 v1, v1, v5, vcc
	v_cmp_ne_u32_e32 vcc, 0, v0
	v_cndmask_b32_e32 v0, v3, v1, vcc
	s_mov_b64 s[8:9], -1
.LBB231_2159:
	s_branch .LBB231_2164
.LBB231_2160:
	s_mov_b64 s[4:5], -1
                                        ; implicit-def: $vgpr0
	s_branch .LBB231_2164
.LBB231_2161:
	v_mov_b32_e32 v0, 29
	v_cmp_eq_u16_sdwa s[4:5], s23, v0 src0_sel:BYTE_0 src1_sel:DWORD
	s_and_b64 vcc, exec, s[4:5]
	s_cbranch_vccz .LBB231_2163
; %bb.2162:
	global_load_dwordx2 v[0:1], v[24:25], off
	s_mov_b64 s[4:5], 0
	s_mov_b64 s[8:9], -1
	s_mov_b64 s[10:11], 0
	s_waitcnt vmcnt(0)
	v_ffbh_u32_e32 v3, v1
	v_min_u32_e32 v3, 32, v3
	v_lshlrev_b64 v[0:1], v3, v[0:1]
	v_min_u32_e32 v0, 1, v0
	v_or_b32_e32 v0, v1, v0
	v_cvt_f32_u32_e32 v0, v0
	v_sub_u32_e32 v1, 32, v3
	v_ldexp_f32 v0, v0, v1
	s_branch .LBB231_2165
.LBB231_2163:
	s_mov_b64 s[4:5], -1
                                        ; implicit-def: $vgpr0
.LBB231_2164:
	s_mov_b64 s[10:11], 0
.LBB231_2165:
	s_and_b64 vcc, exec, s[10:11]
	s_cbranch_vccz .LBB231_2183
; %bb.2166:
	v_mov_b32_e32 v0, 27
	v_cmp_lt_i16_sdwa s[8:9], s23, v0 src0_sel:BYTE_0 src1_sel:DWORD
	s_and_b64 vcc, exec, s[8:9]
	s_cbranch_vccnz .LBB231_2169
; %bb.2167:
	v_cmp_gt_i16_sdwa s[8:9], s23, v0 src0_sel:BYTE_0 src1_sel:DWORD
	s_and_b64 vcc, exec, s[8:9]
	s_cbranch_vccz .LBB231_2170
; %bb.2168:
	global_load_dword v0, v[24:25], off
	s_mov_b64 s[8:9], 0
	s_waitcnt vmcnt(0)
	v_cvt_f32_u32_e32 v0, v0
	s_branch .LBB231_2171
.LBB231_2169:
	s_mov_b64 s[8:9], -1
                                        ; implicit-def: $vgpr0
	s_branch .LBB231_2174
.LBB231_2170:
	s_mov_b64 s[8:9], -1
                                        ; implicit-def: $vgpr0
.LBB231_2171:
	s_andn2_b64 vcc, exec, s[8:9]
	s_cbranch_vccnz .LBB231_2173
; %bb.2172:
	global_load_ushort v0, v[24:25], off
	s_waitcnt vmcnt(0)
	v_cvt_f32_u32_e32 v0, v0
.LBB231_2173:
	s_mov_b64 s[8:9], 0
.LBB231_2174:
	s_andn2_b64 vcc, exec, s[8:9]
	s_cbranch_vccnz .LBB231_2182
; %bb.2175:
	global_load_ubyte v1, v[24:25], off
	s_movk_i32 s8, 0x7f
                                        ; implicit-def: $sgpr14
	s_waitcnt vmcnt(0)
	v_cmp_lt_i16_e32 vcc, s8, v1
	s_mov_b64 s[8:9], 0
	s_and_saveexec_b64 s[10:11], vcc
	s_xor_b64 s[10:11], exec, s[10:11]
	s_cbranch_execz .LBB231_2195
; %bb.2176:
	s_movk_i32 s8, 0x80
	v_cmp_eq_u16_e32 vcc, s8, v1
	s_mov_b64 s[8:9], -1
                                        ; implicit-def: $sgpr14
	s_and_saveexec_b64 s[12:13], vcc
; %bb.2177:
	s_mov_b32 s14, 0x7f800001
	s_xor_b64 s[8:9], exec, -1
; %bb.2178:
	s_or_b64 exec, exec, s[12:13]
	s_and_b64 s[8:9], s[8:9], exec
	s_or_saveexec_b64 s[10:11], s[10:11]
	v_mov_b32_e32 v0, s14
	s_xor_b64 exec, exec, s[10:11]
	s_cbranch_execnz .LBB231_2196
.LBB231_2179:
	s_or_b64 exec, exec, s[10:11]
	s_and_saveexec_b64 s[10:11], s[8:9]
	s_cbranch_execz .LBB231_2181
.LBB231_2180:
	v_lshlrev_b32_e32 v0, 24, v1
	v_and_b32_e32 v1, 0xffff, v1
	v_and_b32_e32 v3, 7, v1
	v_ffbh_u32_e32 v7, v3
	v_min_u32_e32 v7, 32, v7
	v_subrev_u32_e32 v9, 28, v7
	v_bfe_u32 v5, v1, 3, 4
	v_lshlrev_b32_e32 v1, v9, v1
	v_sub_u32_e32 v7, 29, v7
	v_and_b32_e32 v1, 7, v1
	v_cmp_eq_u32_e32 vcc, 0, v5
	v_cndmask_b32_e32 v5, v5, v7, vcc
	v_cndmask_b32_e32 v1, v3, v1, vcc
	v_mov_b32_e32 v3, 0x3b800000
	v_lshlrev_b32_e32 v1, 20, v1
	v_and_b32_e32 v0, 0x80000000, v0
	v_lshl_add_u32 v3, v5, 23, v3
	v_or3_b32 v0, v0, v3, v1
.LBB231_2181:
	s_or_b64 exec, exec, s[10:11]
.LBB231_2182:
	s_mov_b64 s[8:9], -1
.LBB231_2183:
	s_branch .LBB231_2215
.LBB231_2184:
	v_mov_b32_e32 v0, 22
	v_cmp_gt_i16_sdwa s[6:7], s23, v0 src0_sel:BYTE_0 src1_sel:DWORD
	s_and_b64 vcc, exec, s[6:7]
	s_cbranch_vccz .LBB231_2194
; %bb.2185:
	v_mov_b32_e32 v0, 24
	v_cmp_lt_i16_sdwa s[6:7], s23, v0 src0_sel:BYTE_0 src1_sel:DWORD
	s_and_b64 vcc, exec, s[6:7]
	s_cbranch_vccnz .LBB231_2197
; %bb.2186:
	v_cmp_gt_i16_sdwa s[6:7], s23, v0 src0_sel:BYTE_0 src1_sel:DWORD
	s_and_b64 vcc, exec, s[6:7]
	s_cbranch_vccz .LBB231_2198
; %bb.2187:
	global_load_ubyte v1, v[24:25], off
	s_movk_i32 s6, 0x7f
                                        ; implicit-def: $sgpr12
	s_waitcnt vmcnt(0)
	v_cmp_lt_i16_e32 vcc, s6, v1
	s_mov_b64 s[6:7], 0
	s_and_saveexec_b64 s[8:9], vcc
	s_xor_b64 s[8:9], exec, s[8:9]
	s_cbranch_execz .LBB231_2209
; %bb.2188:
	s_movk_i32 s6, 0x80
	v_cmp_eq_u16_e32 vcc, s6, v1
	s_mov_b64 s[6:7], -1
                                        ; implicit-def: $sgpr12
	s_and_saveexec_b64 s[10:11], vcc
; %bb.2189:
	s_mov_b32 s12, 0x7f800001
	s_xor_b64 s[6:7], exec, -1
; %bb.2190:
	s_or_b64 exec, exec, s[10:11]
	s_and_b64 s[6:7], s[6:7], exec
	s_or_saveexec_b64 s[8:9], s[8:9]
	v_mov_b32_e32 v0, s12
	s_xor_b64 exec, exec, s[8:9]
	s_cbranch_execnz .LBB231_2210
.LBB231_2191:
	s_or_b64 exec, exec, s[8:9]
	s_and_saveexec_b64 s[8:9], s[6:7]
	s_cbranch_execz .LBB231_2193
.LBB231_2192:
	v_lshlrev_b32_e32 v0, 24, v1
	v_and_b32_e32 v1, 0xffff, v1
	v_and_b32_e32 v3, 3, v1
	v_ffbh_u32_e32 v7, v3
	v_min_u32_e32 v7, 32, v7
	v_subrev_u32_e32 v9, 29, v7
	v_bfe_u32 v5, v1, 2, 5
	v_lshlrev_b32_e32 v1, v9, v1
	v_sub_u32_e32 v7, 30, v7
	v_and_b32_e32 v1, 3, v1
	v_cmp_eq_u32_e32 vcc, 0, v5
	v_cndmask_b32_e32 v5, v5, v7, vcc
	v_cndmask_b32_e32 v1, v3, v1, vcc
	v_mov_b32_e32 v3, 0x37800000
	v_lshlrev_b32_e32 v1, 21, v1
	v_and_b32_e32 v0, 0x80000000, v0
	v_lshl_add_u32 v3, v5, 23, v3
	v_or3_b32 v0, v0, v3, v1
.LBB231_2193:
	s_or_b64 exec, exec, s[8:9]
	s_mov_b64 s[6:7], 0
	s_branch .LBB231_2199
.LBB231_2194:
                                        ; implicit-def: $vgpr0
	s_mov_b64 s[6:7], 0
	s_branch .LBB231_2205
.LBB231_2195:
	s_or_saveexec_b64 s[10:11], s[10:11]
	v_mov_b32_e32 v0, s14
	s_xor_b64 exec, exec, s[10:11]
	s_cbranch_execz .LBB231_2179
.LBB231_2196:
	v_cmp_ne_u16_e32 vcc, 0, v1
	s_andn2_b64 s[8:9], s[8:9], exec
	s_and_b64 s[12:13], vcc, exec
	v_mov_b32_e32 v0, 0
	s_or_b64 s[8:9], s[8:9], s[12:13]
	s_or_b64 exec, exec, s[10:11]
	s_and_saveexec_b64 s[10:11], s[8:9]
	s_cbranch_execnz .LBB231_2180
	s_branch .LBB231_2181
.LBB231_2197:
	s_mov_b64 s[6:7], -1
                                        ; implicit-def: $vgpr0
	s_branch .LBB231_2202
.LBB231_2198:
	s_mov_b64 s[6:7], -1
                                        ; implicit-def: $vgpr0
.LBB231_2199:
	s_and_b64 vcc, exec, s[6:7]
	s_cbranch_vccz .LBB231_2201
; %bb.2200:
	global_load_ubyte v0, v[24:25], off
	s_mov_b32 s6, 0x7f800000
	s_waitcnt vmcnt(0)
	v_lshlrev_b32_e32 v0, 24, v0
	v_and_b32_e32 v1, 0x7f000000, v0
	v_ffbh_u32_e32 v3, v1
	v_min_u32_e32 v3, 32, v3
	v_sub_u32_e64 v3, v3, 4 clamp
	v_lshlrev_b32_e32 v7, v3, v1
	v_lshlrev_b32_e32 v3, 23, v3
	v_lshrrev_b32_e32 v7, 4, v7
	v_add_u32_e32 v5, 0x1000000, v1
	v_sub_u32_e32 v3, v7, v3
	v_ashrrev_i32_e32 v5, 8, v5
	v_add_u32_e32 v3, 0x3c000000, v3
	v_and_or_b32 v3, v5, s6, v3
	v_cmp_ne_u32_e32 vcc, 0, v1
	v_cndmask_b32_e32 v1, 0, v3, vcc
	s_brev_b32 s6, 1
	v_and_or_b32 v0, v0, s6, v1
.LBB231_2201:
	s_mov_b64 s[6:7], 0
.LBB231_2202:
	s_andn2_b64 vcc, exec, s[6:7]
	s_cbranch_vccnz .LBB231_2204
; %bb.2203:
	global_load_ubyte v0, v[24:25], off
	s_movk_i32 s6, 0x7f00
	s_brev_b32 s7, 16
	s_waitcnt vmcnt(0)
	v_lshlrev_b16_e32 v1, 8, v0
	v_lshlrev_b32_e32 v0, 25, v0
	v_lshrrev_b32_e32 v3, 4, v0
	v_and_or_b32 v5, v1, s6, 0.5
	v_or_b32_e32 v3, 0x70000000, v3
	v_add_f32_e32 v5, -0.5, v5
	v_mul_f32_e32 v3, 0x7800000, v3
	v_cmp_gt_u32_e32 vcc, s7, v0
	v_bfe_i32 v1, v1, 0, 16
	v_cndmask_b32_e32 v0, v3, v5, vcc
	s_brev_b32 s6, 1
	v_and_or_b32 v0, v1, s6, v0
.LBB231_2204:
	s_mov_b64 s[8:9], -1
	s_mov_b64 s[6:7], 0
	s_cbranch_execnz .LBB231_2215
.LBB231_2205:
	v_mov_b32_e32 v0, 14
	v_cmp_gt_i16_sdwa s[6:7], s23, v0 src0_sel:BYTE_0 src1_sel:DWORD
	s_and_b64 vcc, exec, s[6:7]
	s_cbranch_vccz .LBB231_2208
; %bb.2206:
	v_mov_b32_e32 v0, 15
	v_cmp_eq_u16_sdwa s[4:5], s23, v0 src0_sel:BYTE_0 src1_sel:DWORD
	s_and_b64 vcc, exec, s[4:5]
	s_cbranch_vccz .LBB231_2211
; %bb.2207:
	global_load_ushort v0, v[24:25], off
	s_mov_b64 s[4:5], 0
	s_mov_b64 s[8:9], -1
	s_waitcnt vmcnt(0)
	v_lshlrev_b32_e32 v0, 16, v0
	s_branch .LBB231_2212
.LBB231_2208:
	s_mov_b64 s[10:11], -1
                                        ; implicit-def: $vgpr0
	s_branch .LBB231_2213
.LBB231_2209:
	s_or_saveexec_b64 s[8:9], s[8:9]
	v_mov_b32_e32 v0, s12
	s_xor_b64 exec, exec, s[8:9]
	s_cbranch_execz .LBB231_2191
.LBB231_2210:
	v_cmp_ne_u16_e32 vcc, 0, v1
	s_andn2_b64 s[6:7], s[6:7], exec
	s_and_b64 s[10:11], vcc, exec
	v_mov_b32_e32 v0, 0
	s_or_b64 s[6:7], s[6:7], s[10:11]
	s_or_b64 exec, exec, s[8:9]
	s_and_saveexec_b64 s[8:9], s[6:7]
	s_cbranch_execnz .LBB231_2192
	s_branch .LBB231_2193
.LBB231_2211:
	s_mov_b64 s[4:5], -1
                                        ; implicit-def: $vgpr0
.LBB231_2212:
	s_mov_b64 s[10:11], 0
.LBB231_2213:
	s_mov_b64 s[6:7], 0
	s_and_b64 vcc, exec, s[10:11]
	s_cbranch_vccz .LBB231_2215
; %bb.2214:
	v_mov_b32_e32 v0, 11
	v_cmp_ne_u16_sdwa s[4:5], s23, v0 src0_sel:BYTE_0 src1_sel:DWORD
	s_mov_b64 s[6:7], -1
                                        ; implicit-def: $vgpr0
.LBB231_2215:
	s_and_b64 vcc, exec, s[4:5]
	s_mov_b64 s[40:41], s[36:37]
	s_cbranch_vccnz .LBB231_2276
; %bb.2216:
	s_andn2_b64 vcc, exec, s[6:7]
	s_cbranch_vccnz .LBB231_2218
.LBB231_2217:
	global_load_ubyte v0, v[24:25], off
	s_mov_b64 s[8:9], -1
	s_waitcnt vmcnt(0)
	v_cmp_ne_u16_e32 vcc, 0, v0
	v_cndmask_b32_e64 v0, 0, 1.0, vcc
.LBB231_2218:
	s_branch .LBB231_2148
.LBB231_2219:
	v_mov_b32_e32 v0, 5
	v_cmp_lt_i16_sdwa s[4:5], s23, v0 src0_sel:BYTE_0 src1_sel:DWORD
	s_and_b64 vcc, exec, s[4:5]
	s_cbranch_vccnz .LBB231_2224
; %bb.2220:
	v_mov_b32_e32 v0, 8
	v_cmp_lt_i16_sdwa s[4:5], s23, v0 src0_sel:BYTE_0 src1_sel:DWORD
	s_and_b64 vcc, exec, s[4:5]
	s_cbranch_vccnz .LBB231_2225
; %bb.2221:
	;; [unrolled: 5-line block ×3, first 2 shown]
	v_cmp_gt_i16_sdwa s[4:5], s23, v0 src0_sel:BYTE_0 src1_sel:DWORD
	s_and_b64 vcc, exec, s[4:5]
	s_cbranch_vccz .LBB231_2227
; %bb.2223:
	global_load_dwordx2 v[0:1], v[24:25], off
	s_mov_b64 s[4:5], 0
	s_waitcnt vmcnt(0)
	v_cvt_f32_f64_e32 v0, v[0:1]
	s_branch .LBB231_2228
.LBB231_2224:
                                        ; implicit-def: $vgpr0
	s_branch .LBB231_2245
.LBB231_2225:
                                        ; implicit-def: $vgpr0
	s_branch .LBB231_2234
.LBB231_2226:
	s_mov_b64 s[4:5], -1
                                        ; implicit-def: $vgpr0
	s_branch .LBB231_2231
.LBB231_2227:
	s_mov_b64 s[4:5], -1
                                        ; implicit-def: $vgpr0
.LBB231_2228:
	s_andn2_b64 vcc, exec, s[4:5]
	s_cbranch_vccnz .LBB231_2230
; %bb.2229:
	global_load_dword v0, v[24:25], off
.LBB231_2230:
	s_mov_b64 s[4:5], 0
.LBB231_2231:
	s_andn2_b64 vcc, exec, s[4:5]
	s_cbranch_vccnz .LBB231_2233
; %bb.2232:
	global_load_dword v0, v[24:25], off
	s_waitcnt vmcnt(0)
	v_cvt_f32_f16_e32 v0, v0
.LBB231_2233:
	s_cbranch_execnz .LBB231_2244
.LBB231_2234:
	s_waitcnt vmcnt(0)
	v_mov_b32_e32 v0, 6
	v_cmp_lt_i16_sdwa s[4:5], s23, v0 src0_sel:BYTE_0 src1_sel:DWORD
	s_and_b64 vcc, exec, s[4:5]
	s_cbranch_vccnz .LBB231_2237
; %bb.2235:
	v_cmp_gt_i16_sdwa s[4:5], s23, v0 src0_sel:BYTE_0 src1_sel:DWORD
	s_and_b64 vcc, exec, s[4:5]
	s_cbranch_vccz .LBB231_2238
; %bb.2236:
	global_load_dwordx2 v[0:1], v[24:25], off
	s_mov_b64 s[4:5], 0
	s_waitcnt vmcnt(0)
	v_cvt_f32_f64_e32 v0, v[0:1]
	s_branch .LBB231_2239
.LBB231_2237:
	s_mov_b64 s[4:5], -1
                                        ; implicit-def: $vgpr0
	s_branch .LBB231_2242
.LBB231_2238:
	s_mov_b64 s[4:5], -1
                                        ; implicit-def: $vgpr0
.LBB231_2239:
	s_andn2_b64 vcc, exec, s[4:5]
	s_cbranch_vccnz .LBB231_2241
; %bb.2240:
	global_load_dword v0, v[24:25], off
.LBB231_2241:
	s_mov_b64 s[4:5], 0
.LBB231_2242:
	s_andn2_b64 vcc, exec, s[4:5]
	s_cbranch_vccnz .LBB231_2244
; %bb.2243:
	global_load_ushort v0, v[24:25], off
	s_waitcnt vmcnt(0)
	v_cvt_f32_f16_e32 v0, v0
.LBB231_2244:
	s_cbranch_execnz .LBB231_2263
.LBB231_2245:
	s_waitcnt vmcnt(0)
	v_mov_b32_e32 v0, 2
	v_cmp_lt_i16_sdwa s[4:5], s23, v0 src0_sel:BYTE_0 src1_sel:DWORD
	s_and_b64 vcc, exec, s[4:5]
	s_cbranch_vccnz .LBB231_2249
; %bb.2246:
	v_mov_b32_e32 v0, 3
	v_cmp_lt_i16_sdwa s[4:5], s23, v0 src0_sel:BYTE_0 src1_sel:DWORD
	s_and_b64 vcc, exec, s[4:5]
	s_cbranch_vccnz .LBB231_2250
; %bb.2247:
	v_cmp_gt_i16_sdwa s[4:5], s23, v0 src0_sel:BYTE_0 src1_sel:DWORD
	s_and_b64 vcc, exec, s[4:5]
	s_cbranch_vccz .LBB231_2251
; %bb.2248:
	global_load_dwordx2 v[0:1], v[24:25], off
	s_mov_b64 s[4:5], 0
	s_waitcnt vmcnt(0)
	v_xor_b32_e32 v5, v0, v1
	v_ffbh_i32_e32 v3, v1
	v_ashrrev_i32_e32 v5, 31, v5
	v_add_u32_e32 v3, -1, v3
	v_add_u32_e32 v5, 32, v5
	v_min_u32_e32 v3, v3, v5
	v_lshlrev_b64 v[0:1], v3, v[0:1]
	v_min_u32_e32 v0, 1, v0
	v_or_b32_e32 v0, v1, v0
	v_cvt_f32_i32_e32 v0, v0
	v_sub_u32_e32 v1, 32, v3
	v_ldexp_f32 v0, v0, v1
	s_branch .LBB231_2252
.LBB231_2249:
                                        ; implicit-def: $vgpr0
	s_branch .LBB231_2258
.LBB231_2250:
	s_mov_b64 s[4:5], -1
                                        ; implicit-def: $vgpr0
	s_branch .LBB231_2255
.LBB231_2251:
	s_mov_b64 s[4:5], -1
                                        ; implicit-def: $vgpr0
.LBB231_2252:
	s_andn2_b64 vcc, exec, s[4:5]
	s_cbranch_vccnz .LBB231_2254
; %bb.2253:
	global_load_dword v0, v[24:25], off
	s_waitcnt vmcnt(0)
	v_cvt_f32_i32_e32 v0, v0
.LBB231_2254:
	s_mov_b64 s[4:5], 0
.LBB231_2255:
	s_andn2_b64 vcc, exec, s[4:5]
	s_cbranch_vccnz .LBB231_2257
; %bb.2256:
	global_load_sshort v0, v[24:25], off
	s_waitcnt vmcnt(0)
	v_cvt_f32_i32_e32 v0, v0
.LBB231_2257:
	s_cbranch_execnz .LBB231_2263
.LBB231_2258:
	v_mov_b32_e32 v0, 0
	v_cmp_gt_i16_sdwa s[4:5], s23, v0 src0_sel:BYTE_0 src1_sel:DWORD
	s_and_b64 vcc, exec, s[4:5]
	s_cbranch_vccz .LBB231_2260
; %bb.2259:
	global_load_sbyte v0, v[24:25], off
	s_mov_b64 s[4:5], 0
	s_waitcnt vmcnt(0)
	v_cvt_f32_i32_e32 v0, v0
	s_branch .LBB231_2261
.LBB231_2260:
	s_mov_b64 s[4:5], -1
                                        ; implicit-def: $vgpr0
.LBB231_2261:
	s_andn2_b64 vcc, exec, s[4:5]
	s_cbranch_vccnz .LBB231_2263
; %bb.2262:
	global_load_ubyte v0, v[24:25], off
	s_waitcnt vmcnt(0)
	v_cvt_f32_ubyte0_e32 v0, v0
.LBB231_2263:
.LBB231_2264:
	s_load_dwordx2 s[4:5], s[34:35], 0x1d8
	s_lshr_b32 s24, s22, 24
	v_cmp_lt_i16_e64 s[6:7], s24, 11
	s_waitcnt lgkmcnt(0)
	v_mov_b32_e32 v1, s5
	v_add_co_u32_e32 v22, vcc, s4, v22
	v_addc_co_u32_e32 v23, vcc, 0, v1, vcc
	s_and_b64 vcc, exec, s[6:7]
	s_cbranch_vccnz .LBB231_2271
; %bb.2265:
	v_cmp_gt_i16_e64 s[8:9], s24, 25
	s_mov_b64 s[10:11], 0
	s_and_b64 vcc, exec, s[8:9]
	s_cbranch_vccz .LBB231_2273
; %bb.2266:
	v_cmp_gt_i16_e64 s[8:9], s24, 28
	s_and_b64 vcc, exec, s[8:9]
	s_cbranch_vccz .LBB231_2274
; %bb.2267:
	v_cmp_gt_i16_e64 s[8:9], s24, 43
	;; [unrolled: 4-line block ×3, first 2 shown]
	s_and_b64 vcc, exec, s[8:9]
	s_cbranch_vccz .LBB231_2277
; %bb.2269:
	v_cmp_eq_u16_e64 s[8:9], s24, 46
	s_mov_b64 s[14:15], 0
	s_and_b64 vcc, exec, s[8:9]
	s_cbranch_vccz .LBB231_2280
; %bb.2270:
	global_load_dword v1, v[22:23], off
	s_mov_b64 s[8:9], 0
	s_mov_b64 s[12:13], -1
	s_waitcnt vmcnt(0)
	v_lshlrev_b32_e32 v1, 16, v1
	s_branch .LBB231_2281
.LBB231_2271:
	s_mov_b64 s[12:13], 0
                                        ; implicit-def: $vgpr1
	s_cbranch_execnz .LBB231_2346
.LBB231_2272:
	s_andn2_b64 vcc, exec, s[12:13]
	s_cbranch_vccnz .LBB231_4149
	s_branch .LBB231_2393
.LBB231_2273:
	s_mov_b64 s[12:13], 0
	s_mov_b64 s[8:9], 0
                                        ; implicit-def: $vgpr1
	s_cbranch_execnz .LBB231_2310
	s_branch .LBB231_2342
.LBB231_2274:
	s_mov_b64 s[14:15], -1
	s_mov_b64 s[12:13], 0
	s_mov_b64 s[8:9], 0
                                        ; implicit-def: $vgpr1
	s_branch .LBB231_2291
.LBB231_2275:
	s_mov_b64 s[14:15], -1
	s_mov_b64 s[12:13], 0
	s_mov_b64 s[8:9], 0
                                        ; implicit-def: $vgpr1
	s_branch .LBB231_2286
.LBB231_2276:
	s_or_b64 s[40:41], s[36:37], exec
	s_trap 2
                                        ; implicit-def: $vgpr0
	s_cbranch_execz .LBB231_2217
	s_branch .LBB231_2218
.LBB231_2277:
	s_mov_b64 s[14:15], -1
	s_mov_b64 s[12:13], 0
	s_mov_b64 s[8:9], 0
                                        ; implicit-def: $vgpr1
	s_branch .LBB231_2281
.LBB231_2278:
	s_or_saveexec_b64 s[14:15], s[14:15]
                                        ; implicit-def: $sgpr16
	s_xor_b64 exec, exec, s[14:15]
	s_cbranch_execz .LBB231_2024
.LBB231_2279:
	s_mov_b32 s16, 0x42800000
	v_add_f32_e64 v1, |v0|, s16
	v_and_b32_e32 v1, 0xff, v1
	v_cmp_ne_u32_e32 vcc, 0, v1
	s_andn2_b64 s[12:13], s[12:13], exec
	s_and_b64 s[18:19], vcc, exec
	s_mov_b32 s16, 0
	s_or_b64 s[12:13], s[12:13], s[18:19]
	s_or_b64 exec, exec, s[14:15]
	v_mov_b32_e32 v2, s16
	s_and_saveexec_b64 s[14:15], s[12:13]
	s_cbranch_execnz .LBB231_2025
	s_branch .LBB231_2026
.LBB231_2280:
	s_mov_b64 s[8:9], -1
                                        ; implicit-def: $vgpr1
	s_mov_b64 s[12:13], 0
.LBB231_2281:
	s_and_b64 vcc, exec, s[14:15]
	s_cbranch_vccz .LBB231_2285
; %bb.2282:
	v_cmp_eq_u16_e64 s[8:9], s24, 44
	s_and_b64 vcc, exec, s[8:9]
	s_cbranch_vccz .LBB231_2284
; %bb.2283:
	global_load_ubyte v1, v[22:23], off
	s_movk_i32 s12, 0xff
	v_mov_b32_e32 v3, 0x7f800001
	v_mov_b32_e32 v5, 0x400000
	s_mov_b64 s[8:9], 0
	s_waitcnt vmcnt(0)
	v_lshlrev_b32_e32 v7, 23, v1
	v_cmp_ne_u32_e32 vcc, s12, v1
	v_cndmask_b32_e32 v3, v3, v7, vcc
	v_cmp_ne_u32_e32 vcc, 0, v1
	v_cndmask_b32_e32 v1, v5, v3, vcc
	s_mov_b64 s[12:13], -1
	s_branch .LBB231_2285
.LBB231_2284:
	s_mov_b64 s[8:9], -1
                                        ; implicit-def: $vgpr1
.LBB231_2285:
	s_mov_b64 s[14:15], 0
.LBB231_2286:
	s_and_b64 vcc, exec, s[14:15]
	s_cbranch_vccz .LBB231_2290
; %bb.2287:
	v_cmp_eq_u16_e64 s[8:9], s24, 29
	s_and_b64 vcc, exec, s[8:9]
	s_cbranch_vccz .LBB231_2289
; %bb.2288:
	global_load_dwordx2 v[24:25], v[22:23], off
	s_mov_b64 s[8:9], 0
	s_mov_b64 s[12:13], -1
	s_mov_b64 s[14:15], 0
	s_waitcnt vmcnt(0)
	v_ffbh_u32_e32 v1, v25
	v_min_u32_e32 v1, 32, v1
	v_lshlrev_b64 v[24:25], v1, v[24:25]
	v_min_u32_e32 v3, 1, v24
	v_or_b32_e32 v3, v25, v3
	v_cvt_f32_u32_e32 v3, v3
	v_sub_u32_e32 v1, 32, v1
	v_ldexp_f32 v1, v3, v1
	s_branch .LBB231_2291
.LBB231_2289:
	s_mov_b64 s[8:9], -1
                                        ; implicit-def: $vgpr1
.LBB231_2290:
	s_mov_b64 s[14:15], 0
.LBB231_2291:
	s_and_b64 vcc, exec, s[14:15]
	s_cbranch_vccz .LBB231_2309
; %bb.2292:
	v_cmp_lt_i16_e64 s[12:13], s24, 27
	s_and_b64 vcc, exec, s[12:13]
	s_cbranch_vccnz .LBB231_2295
; %bb.2293:
	v_cmp_gt_i16_e64 s[12:13], s24, 27
	s_and_b64 vcc, exec, s[12:13]
	s_cbranch_vccz .LBB231_2296
; %bb.2294:
	global_load_dword v1, v[22:23], off
	s_mov_b64 s[12:13], 0
	s_waitcnt vmcnt(0)
	v_cvt_f32_u32_e32 v1, v1
	s_branch .LBB231_2297
.LBB231_2295:
	s_mov_b64 s[12:13], -1
                                        ; implicit-def: $vgpr1
	s_branch .LBB231_2300
.LBB231_2296:
	s_mov_b64 s[12:13], -1
                                        ; implicit-def: $vgpr1
.LBB231_2297:
	s_andn2_b64 vcc, exec, s[12:13]
	s_cbranch_vccnz .LBB231_2299
; %bb.2298:
	global_load_ushort v1, v[22:23], off
	s_waitcnt vmcnt(0)
	v_cvt_f32_u32_e32 v1, v1
.LBB231_2299:
	s_mov_b64 s[12:13], 0
.LBB231_2300:
	s_andn2_b64 vcc, exec, s[12:13]
	s_cbranch_vccnz .LBB231_2308
; %bb.2301:
	global_load_ubyte v3, v[22:23], off
	s_movk_i32 s12, 0x7f
                                        ; implicit-def: $sgpr18
	s_waitcnt vmcnt(0)
	v_cmp_lt_i16_e32 vcc, s12, v3
	s_mov_b64 s[12:13], 0
	s_and_saveexec_b64 s[14:15], vcc
	s_xor_b64 s[14:15], exec, s[14:15]
	s_cbranch_execz .LBB231_2321
; %bb.2302:
	s_movk_i32 s12, 0x80
	v_cmp_eq_u16_e32 vcc, s12, v3
	s_mov_b64 s[12:13], -1
                                        ; implicit-def: $sgpr18
	s_and_saveexec_b64 s[16:17], vcc
; %bb.2303:
	s_mov_b32 s18, 0x7f800001
	s_xor_b64 s[12:13], exec, -1
; %bb.2304:
	s_or_b64 exec, exec, s[16:17]
	s_and_b64 s[12:13], s[12:13], exec
	s_or_saveexec_b64 s[14:15], s[14:15]
	v_mov_b32_e32 v1, s18
	s_xor_b64 exec, exec, s[14:15]
	s_cbranch_execnz .LBB231_2322
.LBB231_2305:
	s_or_b64 exec, exec, s[14:15]
	s_and_saveexec_b64 s[14:15], s[12:13]
	s_cbranch_execz .LBB231_2307
.LBB231_2306:
	v_lshlrev_b32_e32 v1, 24, v3
	v_and_b32_e32 v3, 0xffff, v3
	v_and_b32_e32 v5, 7, v3
	v_ffbh_u32_e32 v9, v5
	v_min_u32_e32 v9, 32, v9
	v_subrev_u32_e32 v11, 28, v9
	v_bfe_u32 v7, v3, 3, 4
	v_lshlrev_b32_e32 v3, v11, v3
	v_sub_u32_e32 v9, 29, v9
	v_and_b32_e32 v3, 7, v3
	v_cmp_eq_u32_e32 vcc, 0, v7
	v_cndmask_b32_e32 v7, v7, v9, vcc
	v_cndmask_b32_e32 v3, v5, v3, vcc
	v_mov_b32_e32 v5, 0x3b800000
	v_lshlrev_b32_e32 v3, 20, v3
	v_and_b32_e32 v1, 0x80000000, v1
	v_lshl_add_u32 v5, v7, 23, v5
	v_or3_b32 v1, v1, v5, v3
.LBB231_2307:
	s_or_b64 exec, exec, s[14:15]
.LBB231_2308:
	s_mov_b64 s[12:13], -1
.LBB231_2309:
	s_branch .LBB231_2342
.LBB231_2310:
	v_cmp_gt_i16_e64 s[10:11], s24, 22
	s_and_b64 vcc, exec, s[10:11]
	s_cbranch_vccz .LBB231_2320
; %bb.2311:
	v_cmp_lt_i16_e64 s[10:11], s24, 24
	s_and_b64 vcc, exec, s[10:11]
	s_cbranch_vccnz .LBB231_2323
; %bb.2312:
	v_cmp_gt_i16_e64 s[10:11], s24, 24
	s_and_b64 vcc, exec, s[10:11]
	s_cbranch_vccz .LBB231_2324
; %bb.2313:
	global_load_ubyte v3, v[22:23], off
	s_movk_i32 s10, 0x7f
                                        ; implicit-def: $sgpr16
	s_waitcnt vmcnt(0)
	v_cmp_lt_i16_e32 vcc, s10, v3
	s_mov_b64 s[10:11], 0
	s_and_saveexec_b64 s[12:13], vcc
	s_xor_b64 s[12:13], exec, s[12:13]
	s_cbranch_execz .LBB231_2336
; %bb.2314:
	s_movk_i32 s10, 0x80
	v_cmp_eq_u16_e32 vcc, s10, v3
	s_mov_b64 s[10:11], -1
                                        ; implicit-def: $sgpr16
	s_and_saveexec_b64 s[14:15], vcc
; %bb.2315:
	s_mov_b32 s16, 0x7f800001
	s_xor_b64 s[10:11], exec, -1
; %bb.2316:
	s_or_b64 exec, exec, s[14:15]
	s_and_b64 s[10:11], s[10:11], exec
	s_or_saveexec_b64 s[12:13], s[12:13]
	v_mov_b32_e32 v1, s16
	s_xor_b64 exec, exec, s[12:13]
	s_cbranch_execnz .LBB231_2337
.LBB231_2317:
	s_or_b64 exec, exec, s[12:13]
	s_and_saveexec_b64 s[12:13], s[10:11]
	s_cbranch_execz .LBB231_2319
.LBB231_2318:
	v_lshlrev_b32_e32 v1, 24, v3
	v_and_b32_e32 v3, 0xffff, v3
	v_and_b32_e32 v5, 3, v3
	v_ffbh_u32_e32 v9, v5
	v_min_u32_e32 v9, 32, v9
	v_subrev_u32_e32 v11, 29, v9
	v_bfe_u32 v7, v3, 2, 5
	v_lshlrev_b32_e32 v3, v11, v3
	v_sub_u32_e32 v9, 30, v9
	v_and_b32_e32 v3, 3, v3
	v_cmp_eq_u32_e32 vcc, 0, v7
	v_cndmask_b32_e32 v7, v7, v9, vcc
	v_cndmask_b32_e32 v3, v5, v3, vcc
	v_mov_b32_e32 v5, 0x37800000
	v_lshlrev_b32_e32 v3, 21, v3
	v_and_b32_e32 v1, 0x80000000, v1
	v_lshl_add_u32 v5, v7, 23, v5
	v_or3_b32 v1, v1, v5, v3
.LBB231_2319:
	s_or_b64 exec, exec, s[12:13]
	s_mov_b64 s[10:11], 0
	s_branch .LBB231_2325
.LBB231_2320:
	s_mov_b64 s[10:11], -1
                                        ; implicit-def: $vgpr1
	s_branch .LBB231_2331
.LBB231_2321:
	s_or_saveexec_b64 s[14:15], s[14:15]
	v_mov_b32_e32 v1, s18
	s_xor_b64 exec, exec, s[14:15]
	s_cbranch_execz .LBB231_2305
.LBB231_2322:
	v_cmp_ne_u16_e32 vcc, 0, v3
	s_andn2_b64 s[12:13], s[12:13], exec
	s_and_b64 s[16:17], vcc, exec
	v_mov_b32_e32 v1, 0
	s_or_b64 s[12:13], s[12:13], s[16:17]
	s_or_b64 exec, exec, s[14:15]
	s_and_saveexec_b64 s[14:15], s[12:13]
	s_cbranch_execnz .LBB231_2306
	s_branch .LBB231_2307
.LBB231_2323:
	s_mov_b64 s[10:11], -1
                                        ; implicit-def: $vgpr1
	s_branch .LBB231_2328
.LBB231_2324:
	s_mov_b64 s[10:11], -1
                                        ; implicit-def: $vgpr1
.LBB231_2325:
	s_and_b64 vcc, exec, s[10:11]
	s_cbranch_vccz .LBB231_2327
; %bb.2326:
	global_load_ubyte v1, v[22:23], off
	s_mov_b32 s10, 0x7f800000
	s_waitcnt vmcnt(0)
	v_lshlrev_b32_e32 v1, 24, v1
	v_and_b32_e32 v3, 0x7f000000, v1
	v_ffbh_u32_e32 v5, v3
	v_min_u32_e32 v5, 32, v5
	v_sub_u32_e64 v5, v5, 4 clamp
	v_lshlrev_b32_e32 v9, v5, v3
	v_lshlrev_b32_e32 v5, 23, v5
	v_lshrrev_b32_e32 v9, 4, v9
	v_add_u32_e32 v7, 0x1000000, v3
	v_sub_u32_e32 v5, v9, v5
	v_ashrrev_i32_e32 v7, 8, v7
	v_add_u32_e32 v5, 0x3c000000, v5
	v_and_or_b32 v5, v7, s10, v5
	v_cmp_ne_u32_e32 vcc, 0, v3
	v_cndmask_b32_e32 v3, 0, v5, vcc
	s_brev_b32 s10, 1
	v_and_or_b32 v1, v1, s10, v3
.LBB231_2327:
	s_mov_b64 s[10:11], 0
.LBB231_2328:
	s_andn2_b64 vcc, exec, s[10:11]
	s_cbranch_vccnz .LBB231_2330
; %bb.2329:
	global_load_ubyte v1, v[22:23], off
	s_movk_i32 s10, 0x7f00
	s_brev_b32 s11, 16
	s_waitcnt vmcnt(0)
	v_lshlrev_b16_e32 v3, 8, v1
	v_lshlrev_b32_e32 v1, 25, v1
	v_lshrrev_b32_e32 v5, 4, v1
	v_and_or_b32 v7, v3, s10, 0.5
	v_or_b32_e32 v5, 0x70000000, v5
	v_add_f32_e32 v7, -0.5, v7
	v_mul_f32_e32 v5, 0x7800000, v5
	v_cmp_gt_u32_e32 vcc, s11, v1
	v_bfe_i32 v3, v3, 0, 16
	v_cndmask_b32_e32 v1, v5, v7, vcc
	s_brev_b32 s10, 1
	v_and_or_b32 v1, v3, s10, v1
.LBB231_2330:
	s_mov_b64 s[10:11], 0
	s_mov_b64 s[12:13], -1
.LBB231_2331:
	s_andn2_b64 vcc, exec, s[10:11]
	s_mov_b64 s[10:11], 0
	s_cbranch_vccnz .LBB231_2342
; %bb.2332:
	v_cmp_gt_i16_e64 s[10:11], s24, 14
	s_and_b64 vcc, exec, s[10:11]
	s_cbranch_vccz .LBB231_2335
; %bb.2333:
	v_cmp_eq_u16_e64 s[8:9], s24, 15
	s_and_b64 vcc, exec, s[8:9]
	s_cbranch_vccz .LBB231_2338
; %bb.2334:
	global_load_ushort v1, v[22:23], off
	s_mov_b64 s[8:9], 0
	s_mov_b64 s[12:13], -1
	s_waitcnt vmcnt(0)
	v_lshlrev_b32_e32 v1, 16, v1
	s_branch .LBB231_2339
.LBB231_2335:
	s_mov_b64 s[14:15], -1
                                        ; implicit-def: $vgpr1
	s_branch .LBB231_2340
.LBB231_2336:
	s_or_saveexec_b64 s[12:13], s[12:13]
	v_mov_b32_e32 v1, s16
	s_xor_b64 exec, exec, s[12:13]
	s_cbranch_execz .LBB231_2317
.LBB231_2337:
	v_cmp_ne_u16_e32 vcc, 0, v3
	s_andn2_b64 s[10:11], s[10:11], exec
	s_and_b64 s[14:15], vcc, exec
	v_mov_b32_e32 v1, 0
	s_or_b64 s[10:11], s[10:11], s[14:15]
	s_or_b64 exec, exec, s[12:13]
	s_and_saveexec_b64 s[12:13], s[10:11]
	s_cbranch_execnz .LBB231_2318
	s_branch .LBB231_2319
.LBB231_2338:
	s_mov_b64 s[8:9], -1
                                        ; implicit-def: $vgpr1
.LBB231_2339:
	s_mov_b64 s[14:15], 0
.LBB231_2340:
	s_mov_b64 s[10:11], 0
	s_and_b64 vcc, exec, s[14:15]
	s_cbranch_vccz .LBB231_2342
; %bb.2341:
	v_cmp_ne_u16_e64 s[8:9], s24, 11
	s_mov_b64 s[10:11], -1
                                        ; implicit-def: $vgpr1
.LBB231_2342:
	s_and_b64 vcc, exec, s[8:9]
	s_cbranch_vccnz .LBB231_2405
; %bb.2343:
	s_andn2_b64 vcc, exec, s[10:11]
	s_cbranch_vccnz .LBB231_2345
.LBB231_2344:
	global_load_ubyte v1, v[22:23], off
	s_mov_b64 s[12:13], -1
	s_waitcnt vmcnt(0)
	v_cmp_ne_u16_e32 vcc, 0, v1
	v_cndmask_b32_e64 v1, 0, 1.0, vcc
.LBB231_2345:
	s_branch .LBB231_2272
.LBB231_2346:
	v_cmp_lt_i16_e64 s[8:9], s24, 5
	s_and_b64 vcc, exec, s[8:9]
	s_cbranch_vccnz .LBB231_2351
; %bb.2347:
	v_cmp_lt_i16_e64 s[8:9], s24, 8
	s_and_b64 vcc, exec, s[8:9]
	s_cbranch_vccnz .LBB231_2352
; %bb.2348:
	;; [unrolled: 4-line block ×3, first 2 shown]
	v_cmp_gt_i16_e64 s[8:9], s24, 9
	s_and_b64 vcc, exec, s[8:9]
	s_cbranch_vccz .LBB231_2354
; %bb.2350:
	global_load_dwordx2 v[24:25], v[22:23], off
	s_mov_b64 s[8:9], 0
	s_waitcnt vmcnt(0)
	v_cvt_f32_f64_e32 v1, v[24:25]
	s_branch .LBB231_2355
.LBB231_2351:
                                        ; implicit-def: $vgpr1
	s_branch .LBB231_2373
.LBB231_2352:
	s_mov_b64 s[8:9], -1
                                        ; implicit-def: $vgpr1
	s_branch .LBB231_2361
.LBB231_2353:
	s_mov_b64 s[8:9], -1
                                        ; implicit-def: $vgpr1
	s_branch .LBB231_2358
.LBB231_2354:
	s_mov_b64 s[8:9], -1
                                        ; implicit-def: $vgpr1
.LBB231_2355:
	s_andn2_b64 vcc, exec, s[8:9]
	s_cbranch_vccnz .LBB231_2357
; %bb.2356:
	global_load_dword v1, v[22:23], off
.LBB231_2357:
	s_mov_b64 s[8:9], 0
.LBB231_2358:
	s_andn2_b64 vcc, exec, s[8:9]
	s_cbranch_vccnz .LBB231_2360
; %bb.2359:
	global_load_dword v1, v[22:23], off
	s_waitcnt vmcnt(0)
	v_cvt_f32_f16_e32 v1, v1
.LBB231_2360:
	s_mov_b64 s[8:9], 0
.LBB231_2361:
	s_andn2_b64 vcc, exec, s[8:9]
	s_cbranch_vccnz .LBB231_2372
; %bb.2362:
	v_cmp_lt_i16_e64 s[8:9], s24, 6
	s_and_b64 vcc, exec, s[8:9]
	s_cbranch_vccnz .LBB231_2365
; %bb.2363:
	v_cmp_gt_i16_e64 s[8:9], s24, 6
	s_and_b64 vcc, exec, s[8:9]
	s_cbranch_vccz .LBB231_2366
; %bb.2364:
	global_load_dwordx2 v[24:25], v[22:23], off
	s_mov_b64 s[8:9], 0
	s_waitcnt vmcnt(0)
	v_cvt_f32_f64_e32 v1, v[24:25]
	s_branch .LBB231_2367
.LBB231_2365:
	s_mov_b64 s[8:9], -1
                                        ; implicit-def: $vgpr1
	s_branch .LBB231_2370
.LBB231_2366:
	s_mov_b64 s[8:9], -1
                                        ; implicit-def: $vgpr1
.LBB231_2367:
	s_andn2_b64 vcc, exec, s[8:9]
	s_cbranch_vccnz .LBB231_2369
; %bb.2368:
	global_load_dword v1, v[22:23], off
.LBB231_2369:
	s_mov_b64 s[8:9], 0
.LBB231_2370:
	s_andn2_b64 vcc, exec, s[8:9]
	s_cbranch_vccnz .LBB231_2372
; %bb.2371:
	global_load_ushort v1, v[22:23], off
	s_waitcnt vmcnt(0)
	v_cvt_f32_f16_e32 v1, v1
.LBB231_2372:
	s_cbranch_execnz .LBB231_2392
.LBB231_2373:
	v_cmp_lt_i16_e64 s[8:9], s24, 2
	s_and_b64 vcc, exec, s[8:9]
	s_cbranch_vccnz .LBB231_2377
; %bb.2374:
	v_cmp_lt_i16_e64 s[8:9], s24, 3
	s_and_b64 vcc, exec, s[8:9]
	s_cbranch_vccnz .LBB231_2378
; %bb.2375:
	v_cmp_gt_i16_e64 s[8:9], s24, 3
	s_and_b64 vcc, exec, s[8:9]
	s_cbranch_vccz .LBB231_2379
; %bb.2376:
	global_load_dwordx2 v[24:25], v[22:23], off
	s_mov_b64 s[8:9], 0
	s_waitcnt vmcnt(0)
	v_xor_b32_e32 v3, v24, v25
	v_ffbh_i32_e32 v1, v25
	v_ashrrev_i32_e32 v3, 31, v3
	v_add_u32_e32 v1, -1, v1
	v_add_u32_e32 v3, 32, v3
	v_min_u32_e32 v1, v1, v3
	v_lshlrev_b64 v[24:25], v1, v[24:25]
	v_min_u32_e32 v3, 1, v24
	v_or_b32_e32 v3, v25, v3
	v_cvt_f32_i32_e32 v3, v3
	v_sub_u32_e32 v1, 32, v1
	v_ldexp_f32 v1, v3, v1
	s_branch .LBB231_2380
.LBB231_2377:
	s_mov_b64 s[8:9], -1
                                        ; implicit-def: $vgpr1
	s_branch .LBB231_2386
.LBB231_2378:
	s_mov_b64 s[8:9], -1
                                        ; implicit-def: $vgpr1
	s_branch .LBB231_2383
.LBB231_2379:
	s_mov_b64 s[8:9], -1
                                        ; implicit-def: $vgpr1
.LBB231_2380:
	s_andn2_b64 vcc, exec, s[8:9]
	s_cbranch_vccnz .LBB231_2382
; %bb.2381:
	global_load_dword v1, v[22:23], off
	s_waitcnt vmcnt(0)
	v_cvt_f32_i32_e32 v1, v1
.LBB231_2382:
	s_mov_b64 s[8:9], 0
.LBB231_2383:
	s_andn2_b64 vcc, exec, s[8:9]
	s_cbranch_vccnz .LBB231_2385
; %bb.2384:
	global_load_sshort v1, v[22:23], off
	s_waitcnt vmcnt(0)
	v_cvt_f32_i32_e32 v1, v1
.LBB231_2385:
	s_mov_b64 s[8:9], 0
.LBB231_2386:
	s_andn2_b64 vcc, exec, s[8:9]
	s_cbranch_vccnz .LBB231_2392
; %bb.2387:
	v_cmp_gt_i16_e64 s[8:9], s24, 0
	s_and_b64 vcc, exec, s[8:9]
	s_cbranch_vccz .LBB231_2389
; %bb.2388:
	global_load_sbyte v1, v[22:23], off
	s_mov_b64 s[8:9], 0
	s_waitcnt vmcnt(0)
	v_cvt_f32_i32_e32 v1, v1
	s_branch .LBB231_2390
.LBB231_2389:
	s_mov_b64 s[8:9], -1
                                        ; implicit-def: $vgpr1
.LBB231_2390:
	s_andn2_b64 vcc, exec, s[8:9]
	s_cbranch_vccnz .LBB231_2392
; %bb.2391:
	global_load_ubyte v1, v[22:23], off
	s_waitcnt vmcnt(0)
	v_cvt_f32_ubyte0_e32 v1, v1
.LBB231_2392:
.LBB231_2393:
	s_load_dword s10, s[34:35], 0x1ec
	s_load_dwordx2 s[8:9], s[34:35], 0x1e0
	s_waitcnt lgkmcnt(0)
	s_and_b32 s25, s10, 0xff
	v_mov_b32_e32 v3, s9
	v_add_co_u32_e32 v22, vcc, s8, v2
	v_addc_co_u32_e32 v23, vcc, 0, v3, vcc
	v_cmp_lt_i16_e64 s[10:11], s25, 11
	s_and_b64 vcc, exec, s[10:11]
	s_cbranch_vccnz .LBB231_2400
; %bb.2394:
	v_cmp_gt_i16_e64 s[12:13], s25, 25
	s_mov_b64 s[14:15], 0
	s_and_b64 vcc, exec, s[12:13]
	s_cbranch_vccz .LBB231_2402
; %bb.2395:
	v_cmp_gt_i16_e64 s[12:13], s25, 28
	s_and_b64 vcc, exec, s[12:13]
	s_cbranch_vccz .LBB231_2403
; %bb.2396:
	v_cmp_gt_i16_e64 s[12:13], s25, 43
	;; [unrolled: 4-line block ×3, first 2 shown]
	s_and_b64 vcc, exec, s[12:13]
	s_cbranch_vccz .LBB231_2406
; %bb.2398:
	v_cmp_eq_u16_e64 s[12:13], s25, 46
	s_mov_b64 s[18:19], 0
	s_and_b64 vcc, exec, s[12:13]
	s_cbranch_vccz .LBB231_2407
; %bb.2399:
	global_load_dword v2, v[22:23], off
	s_mov_b64 s[12:13], 0
	s_mov_b64 s[16:17], -1
	s_waitcnt vmcnt(0)
	v_lshlrev_b32_e32 v2, 16, v2
	s_branch .LBB231_2408
.LBB231_2400:
	s_mov_b64 s[16:17], 0
                                        ; implicit-def: $vgpr2
	s_cbranch_execnz .LBB231_2474
.LBB231_2401:
	s_andn2_b64 vcc, exec, s[16:17]
	s_cbranch_vccnz .LBB231_4149
	s_branch .LBB231_2522
.LBB231_2402:
	s_mov_b64 s[18:19], -1
	s_mov_b64 s[16:17], 0
	s_mov_b64 s[12:13], 0
                                        ; implicit-def: $vgpr2
	s_branch .LBB231_2437
.LBB231_2403:
	s_mov_b64 s[18:19], -1
	s_mov_b64 s[16:17], 0
	s_mov_b64 s[12:13], 0
                                        ; implicit-def: $vgpr2
	s_branch .LBB231_2418
.LBB231_2404:
	s_mov_b64 s[18:19], -1
	s_mov_b64 s[16:17], 0
	s_mov_b64 s[12:13], 0
                                        ; implicit-def: $vgpr2
	s_branch .LBB231_2413
.LBB231_2405:
	s_trap 2
	s_or_b64 s[40:41], s[40:41], exec
                                        ; implicit-def: $vgpr1
	s_cbranch_execz .LBB231_2344
	s_branch .LBB231_2345
.LBB231_2406:
	s_mov_b64 s[18:19], -1
	s_mov_b64 s[16:17], 0
	s_mov_b64 s[12:13], 0
                                        ; implicit-def: $vgpr2
	s_branch .LBB231_2408
.LBB231_2407:
	s_mov_b64 s[12:13], -1
                                        ; implicit-def: $vgpr2
	s_mov_b64 s[16:17], 0
.LBB231_2408:
	s_and_b64 vcc, exec, s[18:19]
	s_cbranch_vccz .LBB231_2412
; %bb.2409:
	v_cmp_eq_u16_e64 s[12:13], s25, 44
	s_and_b64 vcc, exec, s[12:13]
	s_cbranch_vccz .LBB231_2411
; %bb.2410:
	global_load_ubyte v2, v[22:23], off
	s_movk_i32 s16, 0xff
	v_mov_b32_e32 v3, 0x7f800001
	v_mov_b32_e32 v5, 0x400000
	s_mov_b64 s[12:13], 0
	s_waitcnt vmcnt(0)
	v_lshlrev_b32_e32 v7, 23, v2
	v_cmp_ne_u32_e32 vcc, s16, v2
	v_cndmask_b32_e32 v3, v3, v7, vcc
	v_cmp_ne_u32_e32 vcc, 0, v2
	v_cndmask_b32_e32 v2, v5, v3, vcc
	s_mov_b64 s[16:17], -1
	s_branch .LBB231_2412
.LBB231_2411:
	s_mov_b64 s[12:13], -1
                                        ; implicit-def: $vgpr2
.LBB231_2412:
	s_mov_b64 s[18:19], 0
.LBB231_2413:
	s_and_b64 vcc, exec, s[18:19]
	s_cbranch_vccz .LBB231_2417
; %bb.2414:
	v_cmp_eq_u16_e64 s[12:13], s25, 29
	s_and_b64 vcc, exec, s[12:13]
	s_cbranch_vccz .LBB231_2416
; %bb.2415:
	global_load_dwordx2 v[2:3], v[22:23], off
	s_mov_b64 s[12:13], 0
	s_mov_b64 s[16:17], -1
	s_mov_b64 s[18:19], 0
	s_waitcnt vmcnt(0)
	v_ffbh_u32_e32 v5, v3
	v_min_u32_e32 v5, 32, v5
	v_lshlrev_b64 v[2:3], v5, v[2:3]
	v_min_u32_e32 v2, 1, v2
	v_or_b32_e32 v2, v3, v2
	v_cvt_f32_u32_e32 v2, v2
	v_sub_u32_e32 v3, 32, v5
	v_ldexp_f32 v2, v2, v3
	s_branch .LBB231_2418
.LBB231_2416:
	s_mov_b64 s[12:13], -1
                                        ; implicit-def: $vgpr2
.LBB231_2417:
	s_mov_b64 s[18:19], 0
.LBB231_2418:
	s_and_b64 vcc, exec, s[18:19]
	s_cbranch_vccz .LBB231_2436
; %bb.2419:
	v_cmp_lt_i16_e64 s[16:17], s25, 27
	s_and_b64 vcc, exec, s[16:17]
	s_cbranch_vccnz .LBB231_2422
; %bb.2420:
	v_cmp_gt_i16_e64 s[16:17], s25, 27
	s_and_b64 vcc, exec, s[16:17]
	s_cbranch_vccz .LBB231_2423
; %bb.2421:
	global_load_dword v2, v[22:23], off
	s_mov_b64 s[16:17], 0
	s_waitcnt vmcnt(0)
	v_cvt_f32_u32_e32 v2, v2
	s_branch .LBB231_2424
.LBB231_2422:
	s_mov_b64 s[16:17], -1
                                        ; implicit-def: $vgpr2
	s_branch .LBB231_2427
.LBB231_2423:
	s_mov_b64 s[16:17], -1
                                        ; implicit-def: $vgpr2
.LBB231_2424:
	s_andn2_b64 vcc, exec, s[16:17]
	s_cbranch_vccnz .LBB231_2426
; %bb.2425:
	global_load_ushort v2, v[22:23], off
	s_waitcnt vmcnt(0)
	v_cvt_f32_u32_e32 v2, v2
.LBB231_2426:
	s_mov_b64 s[16:17], 0
.LBB231_2427:
	s_andn2_b64 vcc, exec, s[16:17]
	s_cbranch_vccnz .LBB231_2435
; %bb.2428:
	global_load_ubyte v3, v[22:23], off
	s_movk_i32 s16, 0x7f
                                        ; implicit-def: $sgpr26
	s_waitcnt vmcnt(0)
	v_cmp_lt_i16_e32 vcc, s16, v3
	s_mov_b64 s[16:17], 0
	s_and_saveexec_b64 s[18:19], vcc
	s_xor_b64 s[18:19], exec, s[18:19]
	s_cbranch_execz .LBB231_2449
; %bb.2429:
	s_movk_i32 s16, 0x80
	v_cmp_eq_u16_e32 vcc, s16, v3
	s_mov_b64 s[16:17], -1
                                        ; implicit-def: $sgpr26
	s_and_saveexec_b64 s[20:21], vcc
; %bb.2430:
	s_mov_b32 s26, 0x7f800001
	s_xor_b64 s[16:17], exec, -1
; %bb.2431:
	s_or_b64 exec, exec, s[20:21]
	s_and_b64 s[16:17], s[16:17], exec
	s_or_saveexec_b64 s[18:19], s[18:19]
	v_mov_b32_e32 v2, s26
	s_xor_b64 exec, exec, s[18:19]
	s_cbranch_execnz .LBB231_2450
.LBB231_2432:
	s_or_b64 exec, exec, s[18:19]
	s_and_saveexec_b64 s[18:19], s[16:17]
	s_cbranch_execz .LBB231_2434
.LBB231_2433:
	v_lshlrev_b32_e32 v2, 24, v3
	v_and_b32_e32 v3, 0xffff, v3
	v_and_b32_e32 v5, 7, v3
	v_ffbh_u32_e32 v9, v5
	v_min_u32_e32 v9, 32, v9
	v_subrev_u32_e32 v11, 28, v9
	v_bfe_u32 v7, v3, 3, 4
	v_lshlrev_b32_e32 v3, v11, v3
	v_sub_u32_e32 v9, 29, v9
	v_and_b32_e32 v3, 7, v3
	v_cmp_eq_u32_e32 vcc, 0, v7
	v_cndmask_b32_e32 v7, v7, v9, vcc
	v_cndmask_b32_e32 v3, v5, v3, vcc
	v_mov_b32_e32 v5, 0x3b800000
	v_lshlrev_b32_e32 v3, 20, v3
	v_and_b32_e32 v2, 0x80000000, v2
	v_lshl_add_u32 v5, v7, 23, v5
	v_or3_b32 v2, v2, v5, v3
.LBB231_2434:
	s_or_b64 exec, exec, s[18:19]
.LBB231_2435:
	s_mov_b64 s[16:17], -1
.LBB231_2436:
	s_mov_b64 s[18:19], 0
.LBB231_2437:
	s_and_b64 vcc, exec, s[18:19]
	s_cbranch_vccz .LBB231_2470
; %bb.2438:
	v_cmp_gt_i16_e64 s[14:15], s25, 22
	s_and_b64 vcc, exec, s[14:15]
	s_cbranch_vccz .LBB231_2448
; %bb.2439:
	v_cmp_lt_i16_e64 s[14:15], s25, 24
	s_and_b64 vcc, exec, s[14:15]
	s_cbranch_vccnz .LBB231_2451
; %bb.2440:
	v_cmp_gt_i16_e64 s[14:15], s25, 24
	s_and_b64 vcc, exec, s[14:15]
	s_cbranch_vccz .LBB231_2452
; %bb.2441:
	global_load_ubyte v3, v[22:23], off
	s_movk_i32 s14, 0x7f
                                        ; implicit-def: $sgpr20
	s_waitcnt vmcnt(0)
	v_cmp_lt_i16_e32 vcc, s14, v3
	s_mov_b64 s[14:15], 0
	s_and_saveexec_b64 s[16:17], vcc
	s_xor_b64 s[16:17], exec, s[16:17]
	s_cbranch_execz .LBB231_2464
; %bb.2442:
	s_movk_i32 s14, 0x80
	v_cmp_eq_u16_e32 vcc, s14, v3
	s_mov_b64 s[14:15], -1
                                        ; implicit-def: $sgpr20
	s_and_saveexec_b64 s[18:19], vcc
; %bb.2443:
	s_mov_b32 s20, 0x7f800001
	s_xor_b64 s[14:15], exec, -1
; %bb.2444:
	s_or_b64 exec, exec, s[18:19]
	s_and_b64 s[14:15], s[14:15], exec
	s_or_saveexec_b64 s[16:17], s[16:17]
	v_mov_b32_e32 v2, s20
	s_xor_b64 exec, exec, s[16:17]
	s_cbranch_execnz .LBB231_2465
.LBB231_2445:
	s_or_b64 exec, exec, s[16:17]
	s_and_saveexec_b64 s[16:17], s[14:15]
	s_cbranch_execz .LBB231_2447
.LBB231_2446:
	v_lshlrev_b32_e32 v2, 24, v3
	v_and_b32_e32 v3, 0xffff, v3
	v_and_b32_e32 v5, 3, v3
	v_ffbh_u32_e32 v9, v5
	v_min_u32_e32 v9, 32, v9
	v_subrev_u32_e32 v11, 29, v9
	v_bfe_u32 v7, v3, 2, 5
	v_lshlrev_b32_e32 v3, v11, v3
	v_sub_u32_e32 v9, 30, v9
	v_and_b32_e32 v3, 3, v3
	v_cmp_eq_u32_e32 vcc, 0, v7
	v_cndmask_b32_e32 v7, v7, v9, vcc
	v_cndmask_b32_e32 v3, v5, v3, vcc
	v_mov_b32_e32 v5, 0x37800000
	v_lshlrev_b32_e32 v3, 21, v3
	v_and_b32_e32 v2, 0x80000000, v2
	v_lshl_add_u32 v5, v7, 23, v5
	v_or3_b32 v2, v2, v5, v3
.LBB231_2447:
	s_or_b64 exec, exec, s[16:17]
	s_mov_b64 s[14:15], 0
	s_branch .LBB231_2453
.LBB231_2448:
	s_mov_b64 s[14:15], -1
                                        ; implicit-def: $vgpr2
	s_branch .LBB231_2459
.LBB231_2449:
	s_or_saveexec_b64 s[18:19], s[18:19]
	v_mov_b32_e32 v2, s26
	s_xor_b64 exec, exec, s[18:19]
	s_cbranch_execz .LBB231_2432
.LBB231_2450:
	v_cmp_ne_u16_e32 vcc, 0, v3
	s_andn2_b64 s[16:17], s[16:17], exec
	s_and_b64 s[20:21], vcc, exec
	v_mov_b32_e32 v2, 0
	s_or_b64 s[16:17], s[16:17], s[20:21]
	s_or_b64 exec, exec, s[18:19]
	s_and_saveexec_b64 s[18:19], s[16:17]
	s_cbranch_execnz .LBB231_2433
	s_branch .LBB231_2434
.LBB231_2451:
	s_mov_b64 s[14:15], -1
                                        ; implicit-def: $vgpr2
	s_branch .LBB231_2456
.LBB231_2452:
	s_mov_b64 s[14:15], -1
                                        ; implicit-def: $vgpr2
.LBB231_2453:
	s_and_b64 vcc, exec, s[14:15]
	s_cbranch_vccz .LBB231_2455
; %bb.2454:
	global_load_ubyte v2, v[22:23], off
	s_mov_b32 s14, 0x7f800000
	s_waitcnt vmcnt(0)
	v_lshlrev_b32_e32 v2, 24, v2
	v_and_b32_e32 v3, 0x7f000000, v2
	v_ffbh_u32_e32 v5, v3
	v_min_u32_e32 v5, 32, v5
	v_sub_u32_e64 v5, v5, 4 clamp
	v_lshlrev_b32_e32 v9, v5, v3
	v_lshlrev_b32_e32 v5, 23, v5
	v_lshrrev_b32_e32 v9, 4, v9
	v_add_u32_e32 v7, 0x1000000, v3
	v_sub_u32_e32 v5, v9, v5
	v_ashrrev_i32_e32 v7, 8, v7
	v_add_u32_e32 v5, 0x3c000000, v5
	v_and_or_b32 v5, v7, s14, v5
	v_cmp_ne_u32_e32 vcc, 0, v3
	v_cndmask_b32_e32 v3, 0, v5, vcc
	s_brev_b32 s14, 1
	v_and_or_b32 v2, v2, s14, v3
.LBB231_2455:
	s_mov_b64 s[14:15], 0
.LBB231_2456:
	s_andn2_b64 vcc, exec, s[14:15]
	s_cbranch_vccnz .LBB231_2458
; %bb.2457:
	global_load_ubyte v2, v[22:23], off
	s_movk_i32 s14, 0x7f00
	s_brev_b32 s15, 16
	s_waitcnt vmcnt(0)
	v_lshlrev_b16_e32 v3, 8, v2
	v_lshlrev_b32_e32 v2, 25, v2
	v_lshrrev_b32_e32 v5, 4, v2
	v_and_or_b32 v7, v3, s14, 0.5
	v_or_b32_e32 v5, 0x70000000, v5
	v_add_f32_e32 v7, -0.5, v7
	v_mul_f32_e32 v5, 0x7800000, v5
	v_cmp_gt_u32_e32 vcc, s15, v2
	v_bfe_i32 v3, v3, 0, 16
	v_cndmask_b32_e32 v2, v5, v7, vcc
	s_brev_b32 s14, 1
	v_and_or_b32 v2, v3, s14, v2
.LBB231_2458:
	s_mov_b64 s[14:15], 0
	s_mov_b64 s[16:17], -1
.LBB231_2459:
	s_andn2_b64 vcc, exec, s[14:15]
	s_mov_b64 s[14:15], 0
	s_cbranch_vccnz .LBB231_2470
; %bb.2460:
	v_cmp_gt_i16_e64 s[14:15], s25, 14
	s_and_b64 vcc, exec, s[14:15]
	s_cbranch_vccz .LBB231_2463
; %bb.2461:
	v_cmp_eq_u16_e64 s[12:13], s25, 15
	s_and_b64 vcc, exec, s[12:13]
	s_cbranch_vccz .LBB231_2466
; %bb.2462:
	global_load_ushort v2, v[22:23], off
	s_mov_b64 s[12:13], 0
	s_mov_b64 s[16:17], -1
	s_waitcnt vmcnt(0)
	v_lshlrev_b32_e32 v2, 16, v2
	s_branch .LBB231_2467
.LBB231_2463:
	s_mov_b64 s[18:19], -1
                                        ; implicit-def: $vgpr2
	s_branch .LBB231_2468
.LBB231_2464:
	s_or_saveexec_b64 s[16:17], s[16:17]
	v_mov_b32_e32 v2, s20
	s_xor_b64 exec, exec, s[16:17]
	s_cbranch_execz .LBB231_2445
.LBB231_2465:
	v_cmp_ne_u16_e32 vcc, 0, v3
	s_andn2_b64 s[14:15], s[14:15], exec
	s_and_b64 s[18:19], vcc, exec
	v_mov_b32_e32 v2, 0
	s_or_b64 s[14:15], s[14:15], s[18:19]
	s_or_b64 exec, exec, s[16:17]
	s_and_saveexec_b64 s[16:17], s[14:15]
	s_cbranch_execnz .LBB231_2446
	s_branch .LBB231_2447
.LBB231_2466:
	s_mov_b64 s[12:13], -1
                                        ; implicit-def: $vgpr2
.LBB231_2467:
	s_mov_b64 s[18:19], 0
.LBB231_2468:
	s_mov_b64 s[14:15], 0
	s_and_b64 vcc, exec, s[18:19]
	s_cbranch_vccz .LBB231_2470
; %bb.2469:
	v_cmp_ne_u16_e64 s[12:13], s25, 11
	s_mov_b64 s[14:15], -1
                                        ; implicit-def: $vgpr2
.LBB231_2470:
	s_and_b64 vcc, exec, s[12:13]
	s_cbranch_vccnz .LBB231_2533
; %bb.2471:
	s_andn2_b64 vcc, exec, s[14:15]
	s_cbranch_vccnz .LBB231_2473
.LBB231_2472:
	global_load_ubyte v2, v[22:23], off
	s_mov_b64 s[16:17], -1
	s_waitcnt vmcnt(0)
	v_cmp_ne_u16_e32 vcc, 0, v2
	v_cndmask_b32_e64 v2, 0, 1.0, vcc
.LBB231_2473:
	s_branch .LBB231_2401
.LBB231_2474:
	v_cmp_lt_i16_e64 s[12:13], s25, 5
	s_and_b64 vcc, exec, s[12:13]
	s_cbranch_vccnz .LBB231_2479
; %bb.2475:
	v_cmp_lt_i16_e64 s[12:13], s25, 8
	s_and_b64 vcc, exec, s[12:13]
	s_cbranch_vccnz .LBB231_2480
; %bb.2476:
	;; [unrolled: 4-line block ×3, first 2 shown]
	v_cmp_gt_i16_e64 s[12:13], s25, 9
	s_and_b64 vcc, exec, s[12:13]
	s_cbranch_vccz .LBB231_2482
; %bb.2478:
	global_load_dwordx2 v[2:3], v[22:23], off
	s_mov_b64 s[12:13], 0
	s_waitcnt vmcnt(0)
	v_cvt_f32_f64_e32 v2, v[2:3]
	s_branch .LBB231_2483
.LBB231_2479:
	s_mov_b64 s[12:13], -1
                                        ; implicit-def: $vgpr2
	s_branch .LBB231_2501
.LBB231_2480:
	s_mov_b64 s[12:13], -1
                                        ; implicit-def: $vgpr2
	s_branch .LBB231_2489
.LBB231_2481:
	s_mov_b64 s[12:13], -1
                                        ; implicit-def: $vgpr2
	s_branch .LBB231_2486
.LBB231_2482:
	s_mov_b64 s[12:13], -1
                                        ; implicit-def: $vgpr2
.LBB231_2483:
	s_andn2_b64 vcc, exec, s[12:13]
	s_cbranch_vccnz .LBB231_2485
; %bb.2484:
	global_load_dword v2, v[22:23], off
.LBB231_2485:
	s_mov_b64 s[12:13], 0
.LBB231_2486:
	s_andn2_b64 vcc, exec, s[12:13]
	s_cbranch_vccnz .LBB231_2488
; %bb.2487:
	global_load_dword v2, v[22:23], off
	s_waitcnt vmcnt(0)
	v_cvt_f32_f16_e32 v2, v2
.LBB231_2488:
	s_mov_b64 s[12:13], 0
.LBB231_2489:
	s_andn2_b64 vcc, exec, s[12:13]
	s_cbranch_vccnz .LBB231_2500
; %bb.2490:
	v_cmp_lt_i16_e64 s[12:13], s25, 6
	s_and_b64 vcc, exec, s[12:13]
	s_cbranch_vccnz .LBB231_2493
; %bb.2491:
	v_cmp_gt_i16_e64 s[12:13], s25, 6
	s_and_b64 vcc, exec, s[12:13]
	s_cbranch_vccz .LBB231_2494
; %bb.2492:
	global_load_dwordx2 v[2:3], v[22:23], off
	s_mov_b64 s[12:13], 0
	s_waitcnt vmcnt(0)
	v_cvt_f32_f64_e32 v2, v[2:3]
	s_branch .LBB231_2495
.LBB231_2493:
	s_mov_b64 s[12:13], -1
                                        ; implicit-def: $vgpr2
	s_branch .LBB231_2498
.LBB231_2494:
	s_mov_b64 s[12:13], -1
                                        ; implicit-def: $vgpr2
.LBB231_2495:
	s_andn2_b64 vcc, exec, s[12:13]
	s_cbranch_vccnz .LBB231_2497
; %bb.2496:
	global_load_dword v2, v[22:23], off
.LBB231_2497:
	s_mov_b64 s[12:13], 0
.LBB231_2498:
	s_andn2_b64 vcc, exec, s[12:13]
	s_cbranch_vccnz .LBB231_2500
; %bb.2499:
	global_load_ushort v2, v[22:23], off
	s_waitcnt vmcnt(0)
	v_cvt_f32_f16_e32 v2, v2
.LBB231_2500:
	s_mov_b64 s[12:13], 0
.LBB231_2501:
	s_andn2_b64 vcc, exec, s[12:13]
	s_cbranch_vccnz .LBB231_2521
; %bb.2502:
	v_cmp_lt_i16_e64 s[12:13], s25, 2
	s_and_b64 vcc, exec, s[12:13]
	s_cbranch_vccnz .LBB231_2506
; %bb.2503:
	v_cmp_lt_i16_e64 s[12:13], s25, 3
	s_and_b64 vcc, exec, s[12:13]
	s_cbranch_vccnz .LBB231_2507
; %bb.2504:
	v_cmp_gt_i16_e64 s[12:13], s25, 3
	s_and_b64 vcc, exec, s[12:13]
	s_cbranch_vccz .LBB231_2508
; %bb.2505:
	global_load_dwordx2 v[2:3], v[22:23], off
	s_mov_b64 s[12:13], 0
	s_waitcnt vmcnt(0)
	v_xor_b32_e32 v7, v2, v3
	v_ffbh_i32_e32 v5, v3
	v_ashrrev_i32_e32 v7, 31, v7
	v_add_u32_e32 v5, -1, v5
	v_add_u32_e32 v7, 32, v7
	v_min_u32_e32 v5, v5, v7
	v_lshlrev_b64 v[2:3], v5, v[2:3]
	v_min_u32_e32 v2, 1, v2
	v_or_b32_e32 v2, v3, v2
	v_cvt_f32_i32_e32 v2, v2
	v_sub_u32_e32 v3, 32, v5
	v_ldexp_f32 v2, v2, v3
	s_branch .LBB231_2509
.LBB231_2506:
	s_mov_b64 s[12:13], -1
                                        ; implicit-def: $vgpr2
	s_branch .LBB231_2515
.LBB231_2507:
	s_mov_b64 s[12:13], -1
                                        ; implicit-def: $vgpr2
	s_branch .LBB231_2512
.LBB231_2508:
	s_mov_b64 s[12:13], -1
                                        ; implicit-def: $vgpr2
.LBB231_2509:
	s_andn2_b64 vcc, exec, s[12:13]
	s_cbranch_vccnz .LBB231_2511
; %bb.2510:
	global_load_dword v2, v[22:23], off
	s_waitcnt vmcnt(0)
	v_cvt_f32_i32_e32 v2, v2
.LBB231_2511:
	s_mov_b64 s[12:13], 0
.LBB231_2512:
	s_andn2_b64 vcc, exec, s[12:13]
	s_cbranch_vccnz .LBB231_2514
; %bb.2513:
	global_load_sshort v2, v[22:23], off
	s_waitcnt vmcnt(0)
	v_cvt_f32_i32_e32 v2, v2
.LBB231_2514:
	s_mov_b64 s[12:13], 0
.LBB231_2515:
	s_andn2_b64 vcc, exec, s[12:13]
	s_cbranch_vccnz .LBB231_2521
; %bb.2516:
	v_cmp_gt_i16_e64 s[12:13], s25, 0
	s_and_b64 vcc, exec, s[12:13]
	s_cbranch_vccz .LBB231_2518
; %bb.2517:
	global_load_sbyte v2, v[22:23], off
	s_mov_b64 s[12:13], 0
	s_waitcnt vmcnt(0)
	v_cvt_f32_i32_e32 v2, v2
	s_branch .LBB231_2519
.LBB231_2518:
	s_mov_b64 s[12:13], -1
                                        ; implicit-def: $vgpr2
.LBB231_2519:
	s_andn2_b64 vcc, exec, s[12:13]
	s_cbranch_vccnz .LBB231_2521
; %bb.2520:
	global_load_ubyte v2, v[22:23], off
	s_waitcnt vmcnt(0)
	v_cvt_f32_ubyte0_e32 v2, v2
.LBB231_2521:
.LBB231_2522:
	v_mov_b32_e32 v3, s31
	v_add_co_u32_e32 v20, vcc, s30, v20
	v_addc_co_u32_e32 v21, vcc, 0, v3, vcc
	v_mov_b32_e32 v3, 11
	v_cmp_lt_i16_sdwa s[12:13], s23, v3 src0_sel:BYTE_0 src1_sel:DWORD
	s_and_b64 vcc, exec, s[12:13]
	s_cbranch_vccnz .LBB231_2529
; %bb.2523:
	v_mov_b32_e32 v3, 25
	v_cmp_gt_i16_sdwa s[12:13], s23, v3 src0_sel:BYTE_0 src1_sel:DWORD
	s_mov_b64 s[14:15], 0
	s_and_b64 vcc, exec, s[12:13]
	s_cbranch_vccz .LBB231_2530
; %bb.2524:
	v_mov_b32_e32 v3, 28
	v_cmp_gt_i16_sdwa s[12:13], s23, v3 src0_sel:BYTE_0 src1_sel:DWORD
	s_and_b64 vcc, exec, s[12:13]
	s_cbranch_vccz .LBB231_2531
; %bb.2525:
	v_mov_b32_e32 v3, 43
	v_cmp_gt_i16_sdwa s[12:13], s23, v3 src0_sel:BYTE_0 src1_sel:DWORD
	;; [unrolled: 5-line block ×3, first 2 shown]
	s_and_b64 vcc, exec, s[12:13]
	s_cbranch_vccz .LBB231_2534
; %bb.2527:
	v_mov_b32_e32 v3, 46
	v_cmp_eq_u16_sdwa s[12:13], s23, v3 src0_sel:BYTE_0 src1_sel:DWORD
	s_mov_b64 s[18:19], 0
	s_and_b64 vcc, exec, s[12:13]
	s_cbranch_vccz .LBB231_2535
; %bb.2528:
	global_load_dword v3, v[20:21], off
	s_mov_b64 s[12:13], 0
	s_mov_b64 s[16:17], -1
	s_waitcnt vmcnt(0)
	v_lshlrev_b32_e32 v38, 16, v3
	s_branch .LBB231_2536
.LBB231_2529:
	s_mov_b64 s[12:13], -1
	s_mov_b64 s[16:17], 0
                                        ; implicit-def: $vgpr38
	s_branch .LBB231_2602
.LBB231_2530:
	s_mov_b64 s[18:19], -1
	s_mov_b64 s[16:17], 0
	s_mov_b64 s[12:13], 0
                                        ; implicit-def: $vgpr38
	s_branch .LBB231_2565
.LBB231_2531:
	s_mov_b64 s[18:19], -1
	s_mov_b64 s[16:17], 0
	s_mov_b64 s[12:13], 0
                                        ; implicit-def: $vgpr38
	s_branch .LBB231_2546
.LBB231_2532:
	s_mov_b64 s[18:19], -1
	s_mov_b64 s[16:17], 0
	s_mov_b64 s[12:13], 0
                                        ; implicit-def: $vgpr38
	s_branch .LBB231_2541
.LBB231_2533:
	s_trap 2
	s_or_b64 s[40:41], s[40:41], exec
                                        ; implicit-def: $vgpr2
	s_cbranch_execz .LBB231_2472
	s_branch .LBB231_2473
.LBB231_2534:
	s_mov_b64 s[18:19], -1
	s_mov_b64 s[16:17], 0
	s_mov_b64 s[12:13], 0
                                        ; implicit-def: $vgpr38
	s_branch .LBB231_2536
.LBB231_2535:
	s_mov_b64 s[12:13], -1
                                        ; implicit-def: $vgpr38
	s_mov_b64 s[16:17], 0
.LBB231_2536:
	s_and_b64 vcc, exec, s[18:19]
	s_cbranch_vccz .LBB231_2540
; %bb.2537:
	v_mov_b32_e32 v3, 44
	v_cmp_eq_u16_sdwa s[12:13], s23, v3 src0_sel:BYTE_0 src1_sel:DWORD
	s_and_b64 vcc, exec, s[12:13]
	s_cbranch_vccz .LBB231_2539
; %bb.2538:
	global_load_ubyte v3, v[20:21], off
	s_movk_i32 s16, 0xff
	v_mov_b32_e32 v5, 0x7f800001
	v_mov_b32_e32 v7, 0x400000
	s_mov_b64 s[12:13], 0
	s_waitcnt vmcnt(0)
	v_lshlrev_b32_e32 v9, 23, v3
	v_cmp_ne_u32_e32 vcc, s16, v3
	v_cndmask_b32_e32 v5, v5, v9, vcc
	v_cmp_ne_u32_e32 vcc, 0, v3
	v_cndmask_b32_e32 v38, v7, v5, vcc
	s_mov_b64 s[16:17], -1
	s_branch .LBB231_2540
.LBB231_2539:
	s_mov_b64 s[12:13], -1
                                        ; implicit-def: $vgpr38
.LBB231_2540:
	s_mov_b64 s[18:19], 0
.LBB231_2541:
	s_and_b64 vcc, exec, s[18:19]
	s_cbranch_vccz .LBB231_2545
; %bb.2542:
	v_mov_b32_e32 v3, 29
	v_cmp_eq_u16_sdwa s[12:13], s23, v3 src0_sel:BYTE_0 src1_sel:DWORD
	s_and_b64 vcc, exec, s[12:13]
	s_cbranch_vccz .LBB231_2544
; %bb.2543:
	global_load_dwordx2 v[22:23], v[20:21], off
	s_mov_b64 s[12:13], 0
	s_mov_b64 s[16:17], -1
	s_mov_b64 s[18:19], 0
	s_waitcnt vmcnt(0)
	v_ffbh_u32_e32 v3, v23
	v_min_u32_e32 v3, 32, v3
	v_lshlrev_b64 v[22:23], v3, v[22:23]
	v_min_u32_e32 v5, 1, v22
	v_or_b32_e32 v5, v23, v5
	v_cvt_f32_u32_e32 v5, v5
	v_sub_u32_e32 v3, 32, v3
	v_ldexp_f32 v38, v5, v3
	s_branch .LBB231_2546
.LBB231_2544:
	s_mov_b64 s[12:13], -1
                                        ; implicit-def: $vgpr38
.LBB231_2545:
	s_mov_b64 s[18:19], 0
.LBB231_2546:
	s_and_b64 vcc, exec, s[18:19]
	s_cbranch_vccz .LBB231_2564
; %bb.2547:
	v_mov_b32_e32 v3, 27
	v_cmp_lt_i16_sdwa s[16:17], s23, v3 src0_sel:BYTE_0 src1_sel:DWORD
	s_and_b64 vcc, exec, s[16:17]
	s_cbranch_vccnz .LBB231_2550
; %bb.2548:
	v_cmp_gt_i16_sdwa s[16:17], s23, v3 src0_sel:BYTE_0 src1_sel:DWORD
	s_and_b64 vcc, exec, s[16:17]
	s_cbranch_vccz .LBB231_2551
; %bb.2549:
	global_load_dword v3, v[20:21], off
	s_mov_b64 s[16:17], 0
	s_waitcnt vmcnt(0)
	v_cvt_f32_u32_e32 v38, v3
	s_branch .LBB231_2552
.LBB231_2550:
	s_mov_b64 s[16:17], -1
                                        ; implicit-def: $vgpr38
	s_branch .LBB231_2555
.LBB231_2551:
	s_mov_b64 s[16:17], -1
                                        ; implicit-def: $vgpr38
.LBB231_2552:
	s_andn2_b64 vcc, exec, s[16:17]
	s_cbranch_vccnz .LBB231_2554
; %bb.2553:
	global_load_ushort v3, v[20:21], off
	s_waitcnt vmcnt(0)
	v_cvt_f32_u32_e32 v38, v3
.LBB231_2554:
	s_mov_b64 s[16:17], 0
.LBB231_2555:
	s_andn2_b64 vcc, exec, s[16:17]
	s_cbranch_vccnz .LBB231_2563
; %bb.2556:
	global_load_ubyte v3, v[20:21], off
	s_movk_i32 s16, 0x7f
                                        ; implicit-def: $sgpr26
	s_waitcnt vmcnt(0)
	v_cmp_lt_i16_e32 vcc, s16, v3
	s_mov_b64 s[16:17], 0
	s_and_saveexec_b64 s[18:19], vcc
	s_xor_b64 s[18:19], exec, s[18:19]
	s_cbranch_execz .LBB231_2577
; %bb.2557:
	s_movk_i32 s16, 0x80
	v_cmp_eq_u16_e32 vcc, s16, v3
	s_mov_b64 s[16:17], -1
                                        ; implicit-def: $sgpr26
	s_and_saveexec_b64 s[20:21], vcc
; %bb.2558:
	s_mov_b32 s26, 0x7f800001
	s_xor_b64 s[16:17], exec, -1
; %bb.2559:
	s_or_b64 exec, exec, s[20:21]
	s_and_b64 s[16:17], s[16:17], exec
	s_or_saveexec_b64 s[18:19], s[18:19]
	v_mov_b32_e32 v38, s26
	s_xor_b64 exec, exec, s[18:19]
	s_cbranch_execnz .LBB231_2578
.LBB231_2560:
	s_or_b64 exec, exec, s[18:19]
	s_and_saveexec_b64 s[18:19], s[16:17]
	s_cbranch_execz .LBB231_2562
.LBB231_2561:
	v_lshlrev_b32_e32 v5, 24, v3
	v_and_b32_e32 v3, 0xffff, v3
	v_and_b32_e32 v7, 7, v3
	v_ffbh_u32_e32 v11, v7
	v_min_u32_e32 v11, 32, v11
	v_subrev_u32_e32 v13, 28, v11
	v_bfe_u32 v9, v3, 3, 4
	v_lshlrev_b32_e32 v3, v13, v3
	v_sub_u32_e32 v11, 29, v11
	v_and_b32_e32 v3, 7, v3
	v_cmp_eq_u32_e32 vcc, 0, v9
	v_cndmask_b32_e32 v9, v9, v11, vcc
	v_cndmask_b32_e32 v3, v7, v3, vcc
	v_mov_b32_e32 v7, 0x3b800000
	v_lshlrev_b32_e32 v3, 20, v3
	v_and_b32_e32 v5, 0x80000000, v5
	v_lshl_add_u32 v7, v9, 23, v7
	v_or3_b32 v38, v5, v7, v3
.LBB231_2562:
	s_or_b64 exec, exec, s[18:19]
.LBB231_2563:
	s_mov_b64 s[16:17], -1
.LBB231_2564:
	s_mov_b64 s[18:19], 0
.LBB231_2565:
	s_and_b64 vcc, exec, s[18:19]
	s_cbranch_vccz .LBB231_2598
; %bb.2566:
	v_mov_b32_e32 v3, 22
	v_cmp_gt_i16_sdwa s[14:15], s23, v3 src0_sel:BYTE_0 src1_sel:DWORD
	s_and_b64 vcc, exec, s[14:15]
	s_cbranch_vccz .LBB231_2576
; %bb.2567:
	v_mov_b32_e32 v3, 24
	v_cmp_lt_i16_sdwa s[14:15], s23, v3 src0_sel:BYTE_0 src1_sel:DWORD
	s_and_b64 vcc, exec, s[14:15]
	s_cbranch_vccnz .LBB231_2579
; %bb.2568:
	v_cmp_gt_i16_sdwa s[14:15], s23, v3 src0_sel:BYTE_0 src1_sel:DWORD
	s_and_b64 vcc, exec, s[14:15]
	s_cbranch_vccz .LBB231_2580
; %bb.2569:
	global_load_ubyte v3, v[20:21], off
	s_movk_i32 s14, 0x7f
                                        ; implicit-def: $sgpr20
	s_waitcnt vmcnt(0)
	v_cmp_lt_i16_e32 vcc, s14, v3
	s_mov_b64 s[14:15], 0
	s_and_saveexec_b64 s[16:17], vcc
	s_xor_b64 s[16:17], exec, s[16:17]
	s_cbranch_execz .LBB231_2592
; %bb.2570:
	s_movk_i32 s14, 0x80
	v_cmp_eq_u16_e32 vcc, s14, v3
	s_mov_b64 s[14:15], -1
                                        ; implicit-def: $sgpr20
	s_and_saveexec_b64 s[18:19], vcc
; %bb.2571:
	s_mov_b32 s20, 0x7f800001
	s_xor_b64 s[14:15], exec, -1
; %bb.2572:
	s_or_b64 exec, exec, s[18:19]
	s_and_b64 s[14:15], s[14:15], exec
	s_or_saveexec_b64 s[16:17], s[16:17]
	v_mov_b32_e32 v38, s20
	s_xor_b64 exec, exec, s[16:17]
	s_cbranch_execnz .LBB231_2593
.LBB231_2573:
	s_or_b64 exec, exec, s[16:17]
	s_and_saveexec_b64 s[16:17], s[14:15]
	s_cbranch_execz .LBB231_2575
.LBB231_2574:
	v_lshlrev_b32_e32 v5, 24, v3
	v_and_b32_e32 v3, 0xffff, v3
	v_and_b32_e32 v7, 3, v3
	v_ffbh_u32_e32 v11, v7
	v_min_u32_e32 v11, 32, v11
	v_subrev_u32_e32 v13, 29, v11
	v_bfe_u32 v9, v3, 2, 5
	v_lshlrev_b32_e32 v3, v13, v3
	v_sub_u32_e32 v11, 30, v11
	v_and_b32_e32 v3, 3, v3
	v_cmp_eq_u32_e32 vcc, 0, v9
	v_cndmask_b32_e32 v9, v9, v11, vcc
	v_cndmask_b32_e32 v3, v7, v3, vcc
	v_mov_b32_e32 v7, 0x37800000
	v_lshlrev_b32_e32 v3, 21, v3
	v_and_b32_e32 v5, 0x80000000, v5
	v_lshl_add_u32 v7, v9, 23, v7
	v_or3_b32 v38, v5, v7, v3
.LBB231_2575:
	s_or_b64 exec, exec, s[16:17]
	s_mov_b64 s[14:15], 0
	s_branch .LBB231_2581
.LBB231_2576:
	s_mov_b64 s[14:15], -1
                                        ; implicit-def: $vgpr38
	s_branch .LBB231_2587
.LBB231_2577:
	s_or_saveexec_b64 s[18:19], s[18:19]
	v_mov_b32_e32 v38, s26
	s_xor_b64 exec, exec, s[18:19]
	s_cbranch_execz .LBB231_2560
.LBB231_2578:
	v_cmp_ne_u16_e32 vcc, 0, v3
	s_andn2_b64 s[16:17], s[16:17], exec
	s_and_b64 s[20:21], vcc, exec
	v_mov_b32_e32 v38, 0
	s_or_b64 s[16:17], s[16:17], s[20:21]
	s_or_b64 exec, exec, s[18:19]
	s_and_saveexec_b64 s[18:19], s[16:17]
	s_cbranch_execnz .LBB231_2561
	s_branch .LBB231_2562
.LBB231_2579:
	s_mov_b64 s[14:15], -1
                                        ; implicit-def: $vgpr38
	s_branch .LBB231_2584
.LBB231_2580:
	s_mov_b64 s[14:15], -1
                                        ; implicit-def: $vgpr38
.LBB231_2581:
	s_and_b64 vcc, exec, s[14:15]
	s_cbranch_vccz .LBB231_2583
; %bb.2582:
	global_load_ubyte v3, v[20:21], off
	s_mov_b32 s14, 0x7f800000
	s_waitcnt vmcnt(0)
	v_lshlrev_b32_e32 v3, 24, v3
	v_and_b32_e32 v5, 0x7f000000, v3
	v_ffbh_u32_e32 v7, v5
	v_min_u32_e32 v7, 32, v7
	v_sub_u32_e64 v7, v7, 4 clamp
	v_lshlrev_b32_e32 v11, v7, v5
	v_lshlrev_b32_e32 v7, 23, v7
	v_lshrrev_b32_e32 v11, 4, v11
	v_add_u32_e32 v9, 0x1000000, v5
	v_sub_u32_e32 v7, v11, v7
	v_ashrrev_i32_e32 v9, 8, v9
	v_add_u32_e32 v7, 0x3c000000, v7
	v_and_or_b32 v7, v9, s14, v7
	v_cmp_ne_u32_e32 vcc, 0, v5
	v_cndmask_b32_e32 v5, 0, v7, vcc
	s_brev_b32 s14, 1
	v_and_or_b32 v38, v3, s14, v5
.LBB231_2583:
	s_mov_b64 s[14:15], 0
.LBB231_2584:
	s_andn2_b64 vcc, exec, s[14:15]
	s_cbranch_vccnz .LBB231_2586
; %bb.2585:
	global_load_ubyte v3, v[20:21], off
	s_movk_i32 s14, 0x7f00
	s_brev_b32 s15, 16
	s_waitcnt vmcnt(0)
	v_lshlrev_b16_e32 v5, 8, v3
	v_lshlrev_b32_e32 v3, 25, v3
	v_lshrrev_b32_e32 v7, 4, v3
	v_and_or_b32 v9, v5, s14, 0.5
	v_or_b32_e32 v7, 0x70000000, v7
	v_add_f32_e32 v9, -0.5, v9
	v_mul_f32_e32 v7, 0x7800000, v7
	v_cmp_gt_u32_e32 vcc, s15, v3
	v_bfe_i32 v5, v5, 0, 16
	v_cndmask_b32_e32 v3, v7, v9, vcc
	s_brev_b32 s14, 1
	v_and_or_b32 v38, v5, s14, v3
.LBB231_2586:
	s_mov_b64 s[14:15], 0
	s_mov_b64 s[16:17], -1
.LBB231_2587:
	s_andn2_b64 vcc, exec, s[14:15]
	s_mov_b64 s[14:15], 0
	s_cbranch_vccnz .LBB231_2598
; %bb.2588:
	v_mov_b32_e32 v3, 14
	v_cmp_gt_i16_sdwa s[14:15], s23, v3 src0_sel:BYTE_0 src1_sel:DWORD
	s_and_b64 vcc, exec, s[14:15]
	s_cbranch_vccz .LBB231_2591
; %bb.2589:
	v_mov_b32_e32 v3, 15
	v_cmp_eq_u16_sdwa s[12:13], s23, v3 src0_sel:BYTE_0 src1_sel:DWORD
	s_and_b64 vcc, exec, s[12:13]
	s_cbranch_vccz .LBB231_2594
; %bb.2590:
	global_load_ushort v3, v[20:21], off
	s_mov_b64 s[12:13], 0
	s_mov_b64 s[16:17], -1
	s_waitcnt vmcnt(0)
	v_lshlrev_b32_e32 v38, 16, v3
	s_branch .LBB231_2595
.LBB231_2591:
	s_mov_b64 s[18:19], -1
                                        ; implicit-def: $vgpr38
	s_branch .LBB231_2596
.LBB231_2592:
	s_or_saveexec_b64 s[16:17], s[16:17]
	v_mov_b32_e32 v38, s20
	s_xor_b64 exec, exec, s[16:17]
	s_cbranch_execz .LBB231_2573
.LBB231_2593:
	v_cmp_ne_u16_e32 vcc, 0, v3
	s_andn2_b64 s[14:15], s[14:15], exec
	s_and_b64 s[18:19], vcc, exec
	v_mov_b32_e32 v38, 0
	s_or_b64 s[14:15], s[14:15], s[18:19]
	s_or_b64 exec, exec, s[16:17]
	s_and_saveexec_b64 s[16:17], s[14:15]
	s_cbranch_execnz .LBB231_2574
	s_branch .LBB231_2575
.LBB231_2594:
	s_mov_b64 s[12:13], -1
                                        ; implicit-def: $vgpr38
.LBB231_2595:
	s_mov_b64 s[18:19], 0
.LBB231_2596:
	s_mov_b64 s[14:15], 0
	s_and_b64 vcc, exec, s[18:19]
	s_cbranch_vccz .LBB231_2598
; %bb.2597:
	v_mov_b32_e32 v3, 11
	v_cmp_ne_u16_sdwa s[12:13], s23, v3 src0_sel:BYTE_0 src1_sel:DWORD
	s_mov_b64 s[14:15], -1
                                        ; implicit-def: $vgpr38
.LBB231_2598:
	s_and_b64 vcc, exec, s[12:13]
	s_cbranch_vccnz .LBB231_2663
; %bb.2599:
	s_andn2_b64 vcc, exec, s[14:15]
	s_cbranch_vccnz .LBB231_2601
.LBB231_2600:
	global_load_ubyte v3, v[20:21], off
	s_mov_b64 s[16:17], -1
	s_waitcnt vmcnt(0)
	v_cmp_ne_u16_e32 vcc, 0, v3
	v_cndmask_b32_e64 v38, 0, 1.0, vcc
.LBB231_2601:
	s_mov_b64 s[12:13], 0
.LBB231_2602:
	s_and_b64 vcc, exec, s[12:13]
	s_cbranch_vccz .LBB231_2651
; %bb.2603:
	v_mov_b32_e32 v3, 5
	v_cmp_lt_i16_sdwa s[12:13], s23, v3 src0_sel:BYTE_0 src1_sel:DWORD
	s_and_b64 vcc, exec, s[12:13]
	s_cbranch_vccnz .LBB231_2608
; %bb.2604:
	v_mov_b32_e32 v3, 8
	v_cmp_lt_i16_sdwa s[12:13], s23, v3 src0_sel:BYTE_0 src1_sel:DWORD
	s_and_b64 vcc, exec, s[12:13]
	s_cbranch_vccnz .LBB231_2609
	;; [unrolled: 5-line block ×3, first 2 shown]
; %bb.2606:
	v_cmp_gt_i16_sdwa s[12:13], s23, v3 src0_sel:BYTE_0 src1_sel:DWORD
	s_and_b64 vcc, exec, s[12:13]
	s_cbranch_vccz .LBB231_2611
; %bb.2607:
	global_load_dwordx2 v[22:23], v[20:21], off
	s_mov_b64 s[12:13], 0
	s_waitcnt vmcnt(0)
	v_cvt_f32_f64_e32 v38, v[22:23]
	s_branch .LBB231_2612
.LBB231_2608:
	s_mov_b64 s[12:13], -1
                                        ; implicit-def: $vgpr38
	s_branch .LBB231_2630
.LBB231_2609:
	s_mov_b64 s[12:13], -1
                                        ; implicit-def: $vgpr38
	s_branch .LBB231_2618
.LBB231_2610:
	s_mov_b64 s[12:13], -1
                                        ; implicit-def: $vgpr38
	s_branch .LBB231_2615
.LBB231_2611:
	s_mov_b64 s[12:13], -1
                                        ; implicit-def: $vgpr38
.LBB231_2612:
	s_andn2_b64 vcc, exec, s[12:13]
	s_cbranch_vccnz .LBB231_2614
; %bb.2613:
	global_load_dword v38, v[20:21], off
.LBB231_2614:
	s_mov_b64 s[12:13], 0
.LBB231_2615:
	s_andn2_b64 vcc, exec, s[12:13]
	s_cbranch_vccnz .LBB231_2617
; %bb.2616:
	global_load_dword v3, v[20:21], off
	s_waitcnt vmcnt(0)
	v_cvt_f32_f16_e32 v38, v3
.LBB231_2617:
	s_mov_b64 s[12:13], 0
.LBB231_2618:
	s_andn2_b64 vcc, exec, s[12:13]
	s_cbranch_vccnz .LBB231_2629
; %bb.2619:
	v_mov_b32_e32 v3, 6
	v_cmp_lt_i16_sdwa s[12:13], s23, v3 src0_sel:BYTE_0 src1_sel:DWORD
	s_and_b64 vcc, exec, s[12:13]
	s_cbranch_vccnz .LBB231_2622
; %bb.2620:
	v_cmp_gt_i16_sdwa s[12:13], s23, v3 src0_sel:BYTE_0 src1_sel:DWORD
	s_and_b64 vcc, exec, s[12:13]
	s_cbranch_vccz .LBB231_2623
; %bb.2621:
	global_load_dwordx2 v[22:23], v[20:21], off
	s_mov_b64 s[12:13], 0
	s_waitcnt vmcnt(0)
	v_cvt_f32_f64_e32 v38, v[22:23]
	s_branch .LBB231_2624
.LBB231_2622:
	s_mov_b64 s[12:13], -1
                                        ; implicit-def: $vgpr38
	s_branch .LBB231_2627
.LBB231_2623:
	s_mov_b64 s[12:13], -1
                                        ; implicit-def: $vgpr38
.LBB231_2624:
	s_andn2_b64 vcc, exec, s[12:13]
	s_cbranch_vccnz .LBB231_2626
; %bb.2625:
	global_load_dword v38, v[20:21], off
.LBB231_2626:
	s_mov_b64 s[12:13], 0
.LBB231_2627:
	s_andn2_b64 vcc, exec, s[12:13]
	s_cbranch_vccnz .LBB231_2629
; %bb.2628:
	global_load_ushort v3, v[20:21], off
	s_waitcnt vmcnt(0)
	v_cvt_f32_f16_e32 v38, v3
.LBB231_2629:
	s_mov_b64 s[12:13], 0
.LBB231_2630:
	s_andn2_b64 vcc, exec, s[12:13]
	s_cbranch_vccnz .LBB231_2650
; %bb.2631:
	v_mov_b32_e32 v3, 2
	v_cmp_lt_i16_sdwa s[12:13], s23, v3 src0_sel:BYTE_0 src1_sel:DWORD
	s_and_b64 vcc, exec, s[12:13]
	s_cbranch_vccnz .LBB231_2635
; %bb.2632:
	v_mov_b32_e32 v3, 3
	v_cmp_lt_i16_sdwa s[12:13], s23, v3 src0_sel:BYTE_0 src1_sel:DWORD
	s_and_b64 vcc, exec, s[12:13]
	s_cbranch_vccnz .LBB231_2636
; %bb.2633:
	v_cmp_gt_i16_sdwa s[12:13], s23, v3 src0_sel:BYTE_0 src1_sel:DWORD
	s_and_b64 vcc, exec, s[12:13]
	s_cbranch_vccz .LBB231_2637
; %bb.2634:
	global_load_dwordx2 v[22:23], v[20:21], off
	s_mov_b64 s[12:13], 0
	s_waitcnt vmcnt(0)
	v_xor_b32_e32 v5, v22, v23
	v_ffbh_i32_e32 v3, v23
	v_ashrrev_i32_e32 v5, 31, v5
	v_add_u32_e32 v3, -1, v3
	v_add_u32_e32 v5, 32, v5
	v_min_u32_e32 v3, v3, v5
	v_lshlrev_b64 v[22:23], v3, v[22:23]
	v_min_u32_e32 v5, 1, v22
	v_or_b32_e32 v5, v23, v5
	v_cvt_f32_i32_e32 v5, v5
	v_sub_u32_e32 v3, 32, v3
	v_ldexp_f32 v38, v5, v3
	s_branch .LBB231_2638
.LBB231_2635:
	s_mov_b64 s[12:13], -1
                                        ; implicit-def: $vgpr38
	s_branch .LBB231_2644
.LBB231_2636:
	s_mov_b64 s[12:13], -1
                                        ; implicit-def: $vgpr38
	s_branch .LBB231_2641
.LBB231_2637:
	s_mov_b64 s[12:13], -1
                                        ; implicit-def: $vgpr38
.LBB231_2638:
	s_andn2_b64 vcc, exec, s[12:13]
	s_cbranch_vccnz .LBB231_2640
; %bb.2639:
	global_load_dword v3, v[20:21], off
	s_waitcnt vmcnt(0)
	v_cvt_f32_i32_e32 v38, v3
.LBB231_2640:
	s_mov_b64 s[12:13], 0
.LBB231_2641:
	s_andn2_b64 vcc, exec, s[12:13]
	s_cbranch_vccnz .LBB231_2643
; %bb.2642:
	global_load_sshort v3, v[20:21], off
	s_waitcnt vmcnt(0)
	v_cvt_f32_i32_e32 v38, v3
.LBB231_2643:
	s_mov_b64 s[12:13], 0
.LBB231_2644:
	s_andn2_b64 vcc, exec, s[12:13]
	s_cbranch_vccnz .LBB231_2650
; %bb.2645:
	v_mov_b32_e32 v3, 0
	v_cmp_gt_i16_sdwa s[12:13], s23, v3 src0_sel:BYTE_0 src1_sel:DWORD
	s_and_b64 vcc, exec, s[12:13]
	s_cbranch_vccz .LBB231_2647
; %bb.2646:
	global_load_sbyte v3, v[20:21], off
	s_mov_b64 s[12:13], 0
	s_waitcnt vmcnt(0)
	v_cvt_f32_i32_e32 v38, v3
	s_branch .LBB231_2648
.LBB231_2647:
	s_mov_b64 s[12:13], -1
                                        ; implicit-def: $vgpr38
.LBB231_2648:
	s_andn2_b64 vcc, exec, s[12:13]
	s_cbranch_vccnz .LBB231_2650
; %bb.2649:
	global_load_ubyte v3, v[20:21], off
	s_waitcnt vmcnt(0)
	v_cvt_f32_ubyte0_e32 v38, v3
.LBB231_2650:
	s_mov_b64 s[16:17], -1
.LBB231_2651:
	s_andn2_b64 vcc, exec, s[16:17]
	s_cbranch_vccnz .LBB231_4149
; %bb.2652:
	v_mov_b32_e32 v3, s5
	v_add_co_u32_e32 v18, vcc, s4, v18
	v_addc_co_u32_e32 v19, vcc, 0, v3, vcc
	s_and_b64 vcc, exec, s[6:7]
	s_cbranch_vccnz .LBB231_2659
; %bb.2653:
	v_cmp_gt_i16_e64 s[12:13], s24, 25
	s_mov_b64 s[14:15], 0
	s_and_b64 vcc, exec, s[12:13]
	s_cbranch_vccz .LBB231_2660
; %bb.2654:
	v_cmp_gt_i16_e64 s[12:13], s24, 28
	s_and_b64 vcc, exec, s[12:13]
	s_cbranch_vccz .LBB231_2661
; %bb.2655:
	v_cmp_gt_i16_e64 s[12:13], s24, 43
	;; [unrolled: 4-line block ×3, first 2 shown]
	s_and_b64 vcc, exec, s[12:13]
	s_cbranch_vccz .LBB231_2664
; %bb.2657:
	v_cmp_eq_u16_e64 s[12:13], s24, 46
	s_mov_b64 s[18:19], 0
	s_and_b64 vcc, exec, s[12:13]
	s_cbranch_vccz .LBB231_2665
; %bb.2658:
	global_load_dword v3, v[18:19], off
	s_mov_b64 s[12:13], 0
	s_mov_b64 s[16:17], -1
	s_waitcnt vmcnt(0)
	v_lshlrev_b32_e32 v39, 16, v3
	s_branch .LBB231_2666
.LBB231_2659:
	s_mov_b64 s[12:13], -1
	s_mov_b64 s[16:17], 0
                                        ; implicit-def: $vgpr39
	s_branch .LBB231_2732
.LBB231_2660:
	s_mov_b64 s[18:19], -1
	s_mov_b64 s[16:17], 0
	s_mov_b64 s[12:13], 0
                                        ; implicit-def: $vgpr39
	s_branch .LBB231_2695
.LBB231_2661:
	s_mov_b64 s[18:19], -1
	s_mov_b64 s[16:17], 0
	s_mov_b64 s[12:13], 0
                                        ; implicit-def: $vgpr39
	s_branch .LBB231_2676
.LBB231_2662:
	s_mov_b64 s[18:19], -1
	s_mov_b64 s[16:17], 0
	s_mov_b64 s[12:13], 0
                                        ; implicit-def: $vgpr39
	s_branch .LBB231_2671
.LBB231_2663:
	s_trap 2
	s_or_b64 s[40:41], s[40:41], exec
                                        ; implicit-def: $vgpr38
	s_cbranch_execz .LBB231_2600
	s_branch .LBB231_2601
.LBB231_2664:
	s_mov_b64 s[18:19], -1
	s_mov_b64 s[16:17], 0
	s_mov_b64 s[12:13], 0
                                        ; implicit-def: $vgpr39
	s_branch .LBB231_2666
.LBB231_2665:
	s_mov_b64 s[12:13], -1
                                        ; implicit-def: $vgpr39
	s_mov_b64 s[16:17], 0
.LBB231_2666:
	s_and_b64 vcc, exec, s[18:19]
	s_cbranch_vccz .LBB231_2670
; %bb.2667:
	v_cmp_eq_u16_e64 s[12:13], s24, 44
	s_and_b64 vcc, exec, s[12:13]
	s_cbranch_vccz .LBB231_2669
; %bb.2668:
	global_load_ubyte v3, v[18:19], off
	s_movk_i32 s16, 0xff
	v_mov_b32_e32 v5, 0x7f800001
	v_mov_b32_e32 v7, 0x400000
	s_mov_b64 s[12:13], 0
	s_waitcnt vmcnt(0)
	v_lshlrev_b32_e32 v9, 23, v3
	v_cmp_ne_u32_e32 vcc, s16, v3
	v_cndmask_b32_e32 v5, v5, v9, vcc
	v_cmp_ne_u32_e32 vcc, 0, v3
	v_cndmask_b32_e32 v39, v7, v5, vcc
	s_mov_b64 s[16:17], -1
	s_branch .LBB231_2670
.LBB231_2669:
	s_mov_b64 s[12:13], -1
                                        ; implicit-def: $vgpr39
.LBB231_2670:
	s_mov_b64 s[18:19], 0
.LBB231_2671:
	s_and_b64 vcc, exec, s[18:19]
	s_cbranch_vccz .LBB231_2675
; %bb.2672:
	v_cmp_eq_u16_e64 s[12:13], s24, 29
	s_and_b64 vcc, exec, s[12:13]
	s_cbranch_vccz .LBB231_2674
; %bb.2673:
	global_load_dwordx2 v[20:21], v[18:19], off
	s_mov_b64 s[12:13], 0
	s_mov_b64 s[16:17], -1
	s_mov_b64 s[18:19], 0
	s_waitcnt vmcnt(0)
	v_ffbh_u32_e32 v3, v21
	v_min_u32_e32 v3, 32, v3
	v_lshlrev_b64 v[20:21], v3, v[20:21]
	v_min_u32_e32 v5, 1, v20
	v_or_b32_e32 v5, v21, v5
	v_cvt_f32_u32_e32 v5, v5
	v_sub_u32_e32 v3, 32, v3
	v_ldexp_f32 v39, v5, v3
	s_branch .LBB231_2676
.LBB231_2674:
	s_mov_b64 s[12:13], -1
                                        ; implicit-def: $vgpr39
.LBB231_2675:
	s_mov_b64 s[18:19], 0
.LBB231_2676:
	s_and_b64 vcc, exec, s[18:19]
	s_cbranch_vccz .LBB231_2694
; %bb.2677:
	v_cmp_lt_i16_e64 s[16:17], s24, 27
	s_and_b64 vcc, exec, s[16:17]
	s_cbranch_vccnz .LBB231_2680
; %bb.2678:
	v_cmp_gt_i16_e64 s[16:17], s24, 27
	s_and_b64 vcc, exec, s[16:17]
	s_cbranch_vccz .LBB231_2681
; %bb.2679:
	global_load_dword v3, v[18:19], off
	s_mov_b64 s[16:17], 0
	s_waitcnt vmcnt(0)
	v_cvt_f32_u32_e32 v39, v3
	s_branch .LBB231_2682
.LBB231_2680:
	s_mov_b64 s[16:17], -1
                                        ; implicit-def: $vgpr39
	s_branch .LBB231_2685
.LBB231_2681:
	s_mov_b64 s[16:17], -1
                                        ; implicit-def: $vgpr39
.LBB231_2682:
	s_andn2_b64 vcc, exec, s[16:17]
	s_cbranch_vccnz .LBB231_2684
; %bb.2683:
	global_load_ushort v3, v[18:19], off
	s_waitcnt vmcnt(0)
	v_cvt_f32_u32_e32 v39, v3
.LBB231_2684:
	s_mov_b64 s[16:17], 0
.LBB231_2685:
	s_andn2_b64 vcc, exec, s[16:17]
	s_cbranch_vccnz .LBB231_2693
; %bb.2686:
	global_load_ubyte v3, v[18:19], off
	s_movk_i32 s16, 0x7f
                                        ; implicit-def: $sgpr26
	s_waitcnt vmcnt(0)
	v_cmp_lt_i16_e32 vcc, s16, v3
	s_mov_b64 s[16:17], 0
	s_and_saveexec_b64 s[18:19], vcc
	s_xor_b64 s[18:19], exec, s[18:19]
	s_cbranch_execz .LBB231_2707
; %bb.2687:
	s_movk_i32 s16, 0x80
	v_cmp_eq_u16_e32 vcc, s16, v3
	s_mov_b64 s[16:17], -1
                                        ; implicit-def: $sgpr26
	s_and_saveexec_b64 s[20:21], vcc
; %bb.2688:
	s_mov_b32 s26, 0x7f800001
	s_xor_b64 s[16:17], exec, -1
; %bb.2689:
	s_or_b64 exec, exec, s[20:21]
	s_and_b64 s[16:17], s[16:17], exec
	s_or_saveexec_b64 s[18:19], s[18:19]
	v_mov_b32_e32 v39, s26
	s_xor_b64 exec, exec, s[18:19]
	s_cbranch_execnz .LBB231_2708
.LBB231_2690:
	s_or_b64 exec, exec, s[18:19]
	s_and_saveexec_b64 s[18:19], s[16:17]
	s_cbranch_execz .LBB231_2692
.LBB231_2691:
	v_lshlrev_b32_e32 v5, 24, v3
	v_and_b32_e32 v3, 0xffff, v3
	v_and_b32_e32 v7, 7, v3
	v_ffbh_u32_e32 v11, v7
	v_min_u32_e32 v11, 32, v11
	v_subrev_u32_e32 v13, 28, v11
	v_bfe_u32 v9, v3, 3, 4
	v_lshlrev_b32_e32 v3, v13, v3
	v_sub_u32_e32 v11, 29, v11
	v_and_b32_e32 v3, 7, v3
	v_cmp_eq_u32_e32 vcc, 0, v9
	v_cndmask_b32_e32 v9, v9, v11, vcc
	v_cndmask_b32_e32 v3, v7, v3, vcc
	v_mov_b32_e32 v7, 0x3b800000
	v_lshlrev_b32_e32 v3, 20, v3
	v_and_b32_e32 v5, 0x80000000, v5
	v_lshl_add_u32 v7, v9, 23, v7
	v_or3_b32 v39, v5, v7, v3
.LBB231_2692:
	s_or_b64 exec, exec, s[18:19]
.LBB231_2693:
	s_mov_b64 s[16:17], -1
.LBB231_2694:
	s_mov_b64 s[18:19], 0
.LBB231_2695:
	s_and_b64 vcc, exec, s[18:19]
	s_cbranch_vccz .LBB231_2728
; %bb.2696:
	v_cmp_gt_i16_e64 s[14:15], s24, 22
	s_and_b64 vcc, exec, s[14:15]
	s_cbranch_vccz .LBB231_2706
; %bb.2697:
	v_cmp_lt_i16_e64 s[14:15], s24, 24
	s_and_b64 vcc, exec, s[14:15]
	s_cbranch_vccnz .LBB231_2709
; %bb.2698:
	v_cmp_gt_i16_e64 s[14:15], s24, 24
	s_and_b64 vcc, exec, s[14:15]
	s_cbranch_vccz .LBB231_2710
; %bb.2699:
	global_load_ubyte v3, v[18:19], off
	s_movk_i32 s14, 0x7f
                                        ; implicit-def: $sgpr20
	s_waitcnt vmcnt(0)
	v_cmp_lt_i16_e32 vcc, s14, v3
	s_mov_b64 s[14:15], 0
	s_and_saveexec_b64 s[16:17], vcc
	s_xor_b64 s[16:17], exec, s[16:17]
	s_cbranch_execz .LBB231_2722
; %bb.2700:
	s_movk_i32 s14, 0x80
	v_cmp_eq_u16_e32 vcc, s14, v3
	s_mov_b64 s[14:15], -1
                                        ; implicit-def: $sgpr20
	s_and_saveexec_b64 s[18:19], vcc
; %bb.2701:
	s_mov_b32 s20, 0x7f800001
	s_xor_b64 s[14:15], exec, -1
; %bb.2702:
	s_or_b64 exec, exec, s[18:19]
	s_and_b64 s[14:15], s[14:15], exec
	s_or_saveexec_b64 s[16:17], s[16:17]
	v_mov_b32_e32 v39, s20
	s_xor_b64 exec, exec, s[16:17]
	s_cbranch_execnz .LBB231_2723
.LBB231_2703:
	s_or_b64 exec, exec, s[16:17]
	s_and_saveexec_b64 s[16:17], s[14:15]
	s_cbranch_execz .LBB231_2705
.LBB231_2704:
	v_lshlrev_b32_e32 v5, 24, v3
	v_and_b32_e32 v3, 0xffff, v3
	v_and_b32_e32 v7, 3, v3
	v_ffbh_u32_e32 v11, v7
	v_min_u32_e32 v11, 32, v11
	v_subrev_u32_e32 v13, 29, v11
	v_bfe_u32 v9, v3, 2, 5
	v_lshlrev_b32_e32 v3, v13, v3
	v_sub_u32_e32 v11, 30, v11
	v_and_b32_e32 v3, 3, v3
	v_cmp_eq_u32_e32 vcc, 0, v9
	v_cndmask_b32_e32 v9, v9, v11, vcc
	v_cndmask_b32_e32 v3, v7, v3, vcc
	v_mov_b32_e32 v7, 0x37800000
	v_lshlrev_b32_e32 v3, 21, v3
	v_and_b32_e32 v5, 0x80000000, v5
	v_lshl_add_u32 v7, v9, 23, v7
	v_or3_b32 v39, v5, v7, v3
.LBB231_2705:
	s_or_b64 exec, exec, s[16:17]
	s_mov_b64 s[14:15], 0
	s_branch .LBB231_2711
.LBB231_2706:
	s_mov_b64 s[14:15], -1
                                        ; implicit-def: $vgpr39
	s_branch .LBB231_2717
.LBB231_2707:
	s_or_saveexec_b64 s[18:19], s[18:19]
	v_mov_b32_e32 v39, s26
	s_xor_b64 exec, exec, s[18:19]
	s_cbranch_execz .LBB231_2690
.LBB231_2708:
	v_cmp_ne_u16_e32 vcc, 0, v3
	s_andn2_b64 s[16:17], s[16:17], exec
	s_and_b64 s[20:21], vcc, exec
	v_mov_b32_e32 v39, 0
	s_or_b64 s[16:17], s[16:17], s[20:21]
	s_or_b64 exec, exec, s[18:19]
	s_and_saveexec_b64 s[18:19], s[16:17]
	s_cbranch_execnz .LBB231_2691
	s_branch .LBB231_2692
.LBB231_2709:
	s_mov_b64 s[14:15], -1
                                        ; implicit-def: $vgpr39
	s_branch .LBB231_2714
.LBB231_2710:
	s_mov_b64 s[14:15], -1
                                        ; implicit-def: $vgpr39
.LBB231_2711:
	s_and_b64 vcc, exec, s[14:15]
	s_cbranch_vccz .LBB231_2713
; %bb.2712:
	global_load_ubyte v3, v[18:19], off
	s_mov_b32 s14, 0x7f800000
	s_waitcnt vmcnt(0)
	v_lshlrev_b32_e32 v3, 24, v3
	v_and_b32_e32 v5, 0x7f000000, v3
	v_ffbh_u32_e32 v7, v5
	v_min_u32_e32 v7, 32, v7
	v_sub_u32_e64 v7, v7, 4 clamp
	v_lshlrev_b32_e32 v11, v7, v5
	v_lshlrev_b32_e32 v7, 23, v7
	v_lshrrev_b32_e32 v11, 4, v11
	v_add_u32_e32 v9, 0x1000000, v5
	v_sub_u32_e32 v7, v11, v7
	v_ashrrev_i32_e32 v9, 8, v9
	v_add_u32_e32 v7, 0x3c000000, v7
	v_and_or_b32 v7, v9, s14, v7
	v_cmp_ne_u32_e32 vcc, 0, v5
	v_cndmask_b32_e32 v5, 0, v7, vcc
	s_brev_b32 s14, 1
	v_and_or_b32 v39, v3, s14, v5
.LBB231_2713:
	s_mov_b64 s[14:15], 0
.LBB231_2714:
	s_andn2_b64 vcc, exec, s[14:15]
	s_cbranch_vccnz .LBB231_2716
; %bb.2715:
	global_load_ubyte v3, v[18:19], off
	s_movk_i32 s14, 0x7f00
	s_brev_b32 s15, 16
	s_waitcnt vmcnt(0)
	v_lshlrev_b16_e32 v5, 8, v3
	v_lshlrev_b32_e32 v3, 25, v3
	v_lshrrev_b32_e32 v7, 4, v3
	v_and_or_b32 v9, v5, s14, 0.5
	v_or_b32_e32 v7, 0x70000000, v7
	v_add_f32_e32 v9, -0.5, v9
	v_mul_f32_e32 v7, 0x7800000, v7
	v_cmp_gt_u32_e32 vcc, s15, v3
	v_bfe_i32 v5, v5, 0, 16
	v_cndmask_b32_e32 v3, v7, v9, vcc
	s_brev_b32 s14, 1
	v_and_or_b32 v39, v5, s14, v3
.LBB231_2716:
	s_mov_b64 s[14:15], 0
	s_mov_b64 s[16:17], -1
.LBB231_2717:
	s_andn2_b64 vcc, exec, s[14:15]
	s_mov_b64 s[14:15], 0
	s_cbranch_vccnz .LBB231_2728
; %bb.2718:
	v_cmp_gt_i16_e64 s[14:15], s24, 14
	s_and_b64 vcc, exec, s[14:15]
	s_cbranch_vccz .LBB231_2721
; %bb.2719:
	v_cmp_eq_u16_e64 s[12:13], s24, 15
	s_and_b64 vcc, exec, s[12:13]
	s_cbranch_vccz .LBB231_2724
; %bb.2720:
	global_load_ushort v3, v[18:19], off
	s_mov_b64 s[12:13], 0
	s_mov_b64 s[16:17], -1
	s_waitcnt vmcnt(0)
	v_lshlrev_b32_e32 v39, 16, v3
	s_branch .LBB231_2725
.LBB231_2721:
	s_mov_b64 s[18:19], -1
                                        ; implicit-def: $vgpr39
	s_branch .LBB231_2726
.LBB231_2722:
	s_or_saveexec_b64 s[16:17], s[16:17]
	v_mov_b32_e32 v39, s20
	s_xor_b64 exec, exec, s[16:17]
	s_cbranch_execz .LBB231_2703
.LBB231_2723:
	v_cmp_ne_u16_e32 vcc, 0, v3
	s_andn2_b64 s[14:15], s[14:15], exec
	s_and_b64 s[18:19], vcc, exec
	v_mov_b32_e32 v39, 0
	s_or_b64 s[14:15], s[14:15], s[18:19]
	s_or_b64 exec, exec, s[16:17]
	s_and_saveexec_b64 s[16:17], s[14:15]
	s_cbranch_execnz .LBB231_2704
	s_branch .LBB231_2705
.LBB231_2724:
	s_mov_b64 s[12:13], -1
                                        ; implicit-def: $vgpr39
.LBB231_2725:
	s_mov_b64 s[18:19], 0
.LBB231_2726:
	s_mov_b64 s[14:15], 0
	s_and_b64 vcc, exec, s[18:19]
	s_cbranch_vccz .LBB231_2728
; %bb.2727:
	v_cmp_ne_u16_e64 s[12:13], s24, 11
	s_mov_b64 s[14:15], -1
                                        ; implicit-def: $vgpr39
.LBB231_2728:
	s_and_b64 vcc, exec, s[12:13]
	s_cbranch_vccnz .LBB231_2793
; %bb.2729:
	s_andn2_b64 vcc, exec, s[14:15]
	s_cbranch_vccnz .LBB231_2731
.LBB231_2730:
	global_load_ubyte v3, v[18:19], off
	s_mov_b64 s[16:17], -1
	s_waitcnt vmcnt(0)
	v_cmp_ne_u16_e32 vcc, 0, v3
	v_cndmask_b32_e64 v39, 0, 1.0, vcc
.LBB231_2731:
	s_mov_b64 s[12:13], 0
.LBB231_2732:
	s_and_b64 vcc, exec, s[12:13]
	s_cbranch_vccz .LBB231_2781
; %bb.2733:
	v_cmp_lt_i16_e64 s[12:13], s24, 5
	s_and_b64 vcc, exec, s[12:13]
	s_cbranch_vccnz .LBB231_2738
; %bb.2734:
	v_cmp_lt_i16_e64 s[12:13], s24, 8
	s_and_b64 vcc, exec, s[12:13]
	s_cbranch_vccnz .LBB231_2739
	;; [unrolled: 4-line block ×3, first 2 shown]
; %bb.2736:
	v_cmp_gt_i16_e64 s[12:13], s24, 9
	s_and_b64 vcc, exec, s[12:13]
	s_cbranch_vccz .LBB231_2741
; %bb.2737:
	global_load_dwordx2 v[20:21], v[18:19], off
	s_mov_b64 s[12:13], 0
	s_waitcnt vmcnt(0)
	v_cvt_f32_f64_e32 v39, v[20:21]
	s_branch .LBB231_2742
.LBB231_2738:
	s_mov_b64 s[12:13], -1
                                        ; implicit-def: $vgpr39
	s_branch .LBB231_2760
.LBB231_2739:
	s_mov_b64 s[12:13], -1
                                        ; implicit-def: $vgpr39
	s_branch .LBB231_2748
.LBB231_2740:
	s_mov_b64 s[12:13], -1
                                        ; implicit-def: $vgpr39
	s_branch .LBB231_2745
.LBB231_2741:
	s_mov_b64 s[12:13], -1
                                        ; implicit-def: $vgpr39
.LBB231_2742:
	s_andn2_b64 vcc, exec, s[12:13]
	s_cbranch_vccnz .LBB231_2744
; %bb.2743:
	global_load_dword v39, v[18:19], off
.LBB231_2744:
	s_mov_b64 s[12:13], 0
.LBB231_2745:
	s_andn2_b64 vcc, exec, s[12:13]
	s_cbranch_vccnz .LBB231_2747
; %bb.2746:
	global_load_dword v3, v[18:19], off
	s_waitcnt vmcnt(0)
	v_cvt_f32_f16_e32 v39, v3
.LBB231_2747:
	s_mov_b64 s[12:13], 0
.LBB231_2748:
	s_andn2_b64 vcc, exec, s[12:13]
	s_cbranch_vccnz .LBB231_2759
; %bb.2749:
	v_cmp_lt_i16_e64 s[12:13], s24, 6
	s_and_b64 vcc, exec, s[12:13]
	s_cbranch_vccnz .LBB231_2752
; %bb.2750:
	v_cmp_gt_i16_e64 s[12:13], s24, 6
	s_and_b64 vcc, exec, s[12:13]
	s_cbranch_vccz .LBB231_2753
; %bb.2751:
	global_load_dwordx2 v[20:21], v[18:19], off
	s_mov_b64 s[12:13], 0
	s_waitcnt vmcnt(0)
	v_cvt_f32_f64_e32 v39, v[20:21]
	s_branch .LBB231_2754
.LBB231_2752:
	s_mov_b64 s[12:13], -1
                                        ; implicit-def: $vgpr39
	s_branch .LBB231_2757
.LBB231_2753:
	s_mov_b64 s[12:13], -1
                                        ; implicit-def: $vgpr39
.LBB231_2754:
	s_andn2_b64 vcc, exec, s[12:13]
	s_cbranch_vccnz .LBB231_2756
; %bb.2755:
	global_load_dword v39, v[18:19], off
.LBB231_2756:
	s_mov_b64 s[12:13], 0
.LBB231_2757:
	s_andn2_b64 vcc, exec, s[12:13]
	s_cbranch_vccnz .LBB231_2759
; %bb.2758:
	global_load_ushort v3, v[18:19], off
	s_waitcnt vmcnt(0)
	v_cvt_f32_f16_e32 v39, v3
.LBB231_2759:
	s_mov_b64 s[12:13], 0
.LBB231_2760:
	s_andn2_b64 vcc, exec, s[12:13]
	s_cbranch_vccnz .LBB231_2780
; %bb.2761:
	v_cmp_lt_i16_e64 s[12:13], s24, 2
	s_and_b64 vcc, exec, s[12:13]
	s_cbranch_vccnz .LBB231_2765
; %bb.2762:
	v_cmp_lt_i16_e64 s[12:13], s24, 3
	s_and_b64 vcc, exec, s[12:13]
	s_cbranch_vccnz .LBB231_2766
; %bb.2763:
	v_cmp_gt_i16_e64 s[12:13], s24, 3
	s_and_b64 vcc, exec, s[12:13]
	s_cbranch_vccz .LBB231_2767
; %bb.2764:
	global_load_dwordx2 v[20:21], v[18:19], off
	s_mov_b64 s[12:13], 0
	s_waitcnt vmcnt(0)
	v_xor_b32_e32 v5, v20, v21
	v_ffbh_i32_e32 v3, v21
	v_ashrrev_i32_e32 v5, 31, v5
	v_add_u32_e32 v3, -1, v3
	v_add_u32_e32 v5, 32, v5
	v_min_u32_e32 v3, v3, v5
	v_lshlrev_b64 v[20:21], v3, v[20:21]
	v_min_u32_e32 v5, 1, v20
	v_or_b32_e32 v5, v21, v5
	v_cvt_f32_i32_e32 v5, v5
	v_sub_u32_e32 v3, 32, v3
	v_ldexp_f32 v39, v5, v3
	s_branch .LBB231_2768
.LBB231_2765:
	s_mov_b64 s[12:13], -1
                                        ; implicit-def: $vgpr39
	s_branch .LBB231_2774
.LBB231_2766:
	s_mov_b64 s[12:13], -1
                                        ; implicit-def: $vgpr39
	s_branch .LBB231_2771
.LBB231_2767:
	s_mov_b64 s[12:13], -1
                                        ; implicit-def: $vgpr39
.LBB231_2768:
	s_andn2_b64 vcc, exec, s[12:13]
	s_cbranch_vccnz .LBB231_2770
; %bb.2769:
	global_load_dword v3, v[18:19], off
	s_waitcnt vmcnt(0)
	v_cvt_f32_i32_e32 v39, v3
.LBB231_2770:
	s_mov_b64 s[12:13], 0
.LBB231_2771:
	s_andn2_b64 vcc, exec, s[12:13]
	s_cbranch_vccnz .LBB231_2773
; %bb.2772:
	global_load_sshort v3, v[18:19], off
	s_waitcnt vmcnt(0)
	v_cvt_f32_i32_e32 v39, v3
.LBB231_2773:
	s_mov_b64 s[12:13], 0
.LBB231_2774:
	s_andn2_b64 vcc, exec, s[12:13]
	s_cbranch_vccnz .LBB231_2780
; %bb.2775:
	v_cmp_gt_i16_e64 s[12:13], s24, 0
	s_and_b64 vcc, exec, s[12:13]
	s_cbranch_vccz .LBB231_2777
; %bb.2776:
	global_load_sbyte v3, v[18:19], off
	s_mov_b64 s[12:13], 0
	s_waitcnt vmcnt(0)
	v_cvt_f32_i32_e32 v39, v3
	s_branch .LBB231_2778
.LBB231_2777:
	s_mov_b64 s[12:13], -1
                                        ; implicit-def: $vgpr39
.LBB231_2778:
	s_andn2_b64 vcc, exec, s[12:13]
	s_cbranch_vccnz .LBB231_2780
; %bb.2779:
	global_load_ubyte v3, v[18:19], off
	s_waitcnt vmcnt(0)
	v_cvt_f32_ubyte0_e32 v39, v3
.LBB231_2780:
	s_mov_b64 s[16:17], -1
.LBB231_2781:
	s_andn2_b64 vcc, exec, s[16:17]
	s_cbranch_vccnz .LBB231_4149
; %bb.2782:
	v_mov_b32_e32 v3, s9
	v_add_co_u32_e32 v16, vcc, s8, v16
	v_addc_co_u32_e32 v17, vcc, 0, v3, vcc
	s_and_b64 vcc, exec, s[10:11]
	s_cbranch_vccnz .LBB231_2789
; %bb.2783:
	v_cmp_gt_i16_e64 s[12:13], s25, 25
	s_mov_b64 s[14:15], 0
	s_and_b64 vcc, exec, s[12:13]
	s_cbranch_vccz .LBB231_2790
; %bb.2784:
	v_cmp_gt_i16_e64 s[12:13], s25, 28
	s_and_b64 vcc, exec, s[12:13]
	s_cbranch_vccz .LBB231_2791
; %bb.2785:
	v_cmp_gt_i16_e64 s[12:13], s25, 43
	;; [unrolled: 4-line block ×3, first 2 shown]
	s_and_b64 vcc, exec, s[12:13]
	s_cbranch_vccz .LBB231_2794
; %bb.2787:
	v_cmp_eq_u16_e64 s[12:13], s25, 46
	s_mov_b64 s[18:19], 0
	s_and_b64 vcc, exec, s[12:13]
	s_cbranch_vccz .LBB231_2797
; %bb.2788:
	global_load_dword v3, v[16:17], off
	s_mov_b64 s[12:13], 0
	s_mov_b64 s[16:17], -1
	s_waitcnt vmcnt(0)
	v_lshlrev_b32_e32 v40, 16, v3
	s_branch .LBB231_2798
.LBB231_2789:
	s_mov_b64 s[12:13], -1
	s_mov_b64 s[16:17], 0
                                        ; implicit-def: $vgpr40
	s_branch .LBB231_2864
.LBB231_2790:
	s_mov_b64 s[18:19], -1
	s_mov_b64 s[16:17], 0
	s_mov_b64 s[12:13], 0
                                        ; implicit-def: $vgpr40
	s_branch .LBB231_2827
.LBB231_2791:
	s_mov_b64 s[18:19], -1
	s_mov_b64 s[16:17], 0
	s_mov_b64 s[12:13], 0
                                        ; implicit-def: $vgpr40
	s_branch .LBB231_2808
.LBB231_2792:
	s_mov_b64 s[18:19], -1
	s_mov_b64 s[16:17], 0
	s_mov_b64 s[12:13], 0
                                        ; implicit-def: $vgpr40
	s_branch .LBB231_2803
.LBB231_2793:
	s_trap 2
	s_or_b64 s[40:41], s[40:41], exec
                                        ; implicit-def: $vgpr39
	s_cbranch_execz .LBB231_2730
	s_branch .LBB231_2731
.LBB231_2794:
	s_mov_b64 s[18:19], -1
	s_mov_b64 s[16:17], 0
	s_mov_b64 s[12:13], 0
                                        ; implicit-def: $vgpr40
	s_branch .LBB231_2798
.LBB231_2795:
	s_or_saveexec_b64 s[12:13], s[12:13]
                                        ; implicit-def: $sgpr14
	s_xor_b64 exec, exec, s[12:13]
	s_cbranch_execz .LBB231_1492
.LBB231_2796:
	s_mov_b32 s14, 0x46000000
	v_add_f32_e64 v1, |v0|, s14
	v_and_b32_e32 v1, 0xff, v1
	v_cmp_ne_u32_e32 vcc, 0, v1
	s_andn2_b64 s[10:11], s[10:11], exec
	s_and_b64 s[16:17], vcc, exec
	s_mov_b32 s14, 0
	s_or_b64 s[10:11], s[10:11], s[16:17]
	s_or_b64 exec, exec, s[12:13]
	v_mov_b32_e32 v4, s14
	s_and_saveexec_b64 s[12:13], s[10:11]
	s_cbranch_execnz .LBB231_1493
	s_branch .LBB231_1494
.LBB231_2797:
	s_mov_b64 s[12:13], -1
                                        ; implicit-def: $vgpr40
	s_mov_b64 s[16:17], 0
.LBB231_2798:
	s_and_b64 vcc, exec, s[18:19]
	s_cbranch_vccz .LBB231_2802
; %bb.2799:
	v_cmp_eq_u16_e64 s[12:13], s25, 44
	s_and_b64 vcc, exec, s[12:13]
	s_cbranch_vccz .LBB231_2801
; %bb.2800:
	global_load_ubyte v3, v[16:17], off
	s_movk_i32 s16, 0xff
	v_mov_b32_e32 v5, 0x7f800001
	v_mov_b32_e32 v7, 0x400000
	s_mov_b64 s[12:13], 0
	s_waitcnt vmcnt(0)
	v_lshlrev_b32_e32 v9, 23, v3
	v_cmp_ne_u32_e32 vcc, s16, v3
	v_cndmask_b32_e32 v5, v5, v9, vcc
	v_cmp_ne_u32_e32 vcc, 0, v3
	v_cndmask_b32_e32 v40, v7, v5, vcc
	s_mov_b64 s[16:17], -1
	s_branch .LBB231_2802
.LBB231_2801:
	s_mov_b64 s[12:13], -1
                                        ; implicit-def: $vgpr40
.LBB231_2802:
	s_mov_b64 s[18:19], 0
.LBB231_2803:
	s_and_b64 vcc, exec, s[18:19]
	s_cbranch_vccz .LBB231_2807
; %bb.2804:
	v_cmp_eq_u16_e64 s[12:13], s25, 29
	s_and_b64 vcc, exec, s[12:13]
	s_cbranch_vccz .LBB231_2806
; %bb.2805:
	global_load_dwordx2 v[18:19], v[16:17], off
	s_mov_b64 s[12:13], 0
	s_mov_b64 s[16:17], -1
	s_mov_b64 s[18:19], 0
	s_waitcnt vmcnt(0)
	v_ffbh_u32_e32 v3, v19
	v_min_u32_e32 v3, 32, v3
	v_lshlrev_b64 v[18:19], v3, v[18:19]
	v_min_u32_e32 v5, 1, v18
	v_or_b32_e32 v5, v19, v5
	v_cvt_f32_u32_e32 v5, v5
	v_sub_u32_e32 v3, 32, v3
	v_ldexp_f32 v40, v5, v3
	s_branch .LBB231_2808
.LBB231_2806:
	s_mov_b64 s[12:13], -1
                                        ; implicit-def: $vgpr40
.LBB231_2807:
	s_mov_b64 s[18:19], 0
.LBB231_2808:
	s_and_b64 vcc, exec, s[18:19]
	s_cbranch_vccz .LBB231_2826
; %bb.2809:
	v_cmp_lt_i16_e64 s[16:17], s25, 27
	s_and_b64 vcc, exec, s[16:17]
	s_cbranch_vccnz .LBB231_2812
; %bb.2810:
	v_cmp_gt_i16_e64 s[16:17], s25, 27
	s_and_b64 vcc, exec, s[16:17]
	s_cbranch_vccz .LBB231_2813
; %bb.2811:
	global_load_dword v3, v[16:17], off
	s_mov_b64 s[16:17], 0
	s_waitcnt vmcnt(0)
	v_cvt_f32_u32_e32 v40, v3
	s_branch .LBB231_2814
.LBB231_2812:
	s_mov_b64 s[16:17], -1
                                        ; implicit-def: $vgpr40
	s_branch .LBB231_2817
.LBB231_2813:
	s_mov_b64 s[16:17], -1
                                        ; implicit-def: $vgpr40
.LBB231_2814:
	s_andn2_b64 vcc, exec, s[16:17]
	s_cbranch_vccnz .LBB231_2816
; %bb.2815:
	global_load_ushort v3, v[16:17], off
	s_waitcnt vmcnt(0)
	v_cvt_f32_u32_e32 v40, v3
.LBB231_2816:
	s_mov_b64 s[16:17], 0
.LBB231_2817:
	s_andn2_b64 vcc, exec, s[16:17]
	s_cbranch_vccnz .LBB231_2825
; %bb.2818:
	global_load_ubyte v3, v[16:17], off
	s_movk_i32 s16, 0x7f
                                        ; implicit-def: $sgpr26
	s_waitcnt vmcnt(0)
	v_cmp_lt_i16_e32 vcc, s16, v3
	s_mov_b64 s[16:17], 0
	s_and_saveexec_b64 s[18:19], vcc
	s_xor_b64 s[18:19], exec, s[18:19]
	s_cbranch_execz .LBB231_2839
; %bb.2819:
	s_movk_i32 s16, 0x80
	v_cmp_eq_u16_e32 vcc, s16, v3
	s_mov_b64 s[16:17], -1
                                        ; implicit-def: $sgpr26
	s_and_saveexec_b64 s[20:21], vcc
; %bb.2820:
	s_mov_b32 s26, 0x7f800001
	s_xor_b64 s[16:17], exec, -1
; %bb.2821:
	s_or_b64 exec, exec, s[20:21]
	s_and_b64 s[16:17], s[16:17], exec
	s_or_saveexec_b64 s[18:19], s[18:19]
	v_mov_b32_e32 v40, s26
	s_xor_b64 exec, exec, s[18:19]
	s_cbranch_execnz .LBB231_2840
.LBB231_2822:
	s_or_b64 exec, exec, s[18:19]
	s_and_saveexec_b64 s[18:19], s[16:17]
	s_cbranch_execz .LBB231_2824
.LBB231_2823:
	v_lshlrev_b32_e32 v5, 24, v3
	v_and_b32_e32 v3, 0xffff, v3
	v_and_b32_e32 v7, 7, v3
	v_ffbh_u32_e32 v11, v7
	v_min_u32_e32 v11, 32, v11
	v_subrev_u32_e32 v13, 28, v11
	v_bfe_u32 v9, v3, 3, 4
	v_lshlrev_b32_e32 v3, v13, v3
	v_sub_u32_e32 v11, 29, v11
	v_and_b32_e32 v3, 7, v3
	v_cmp_eq_u32_e32 vcc, 0, v9
	v_cndmask_b32_e32 v9, v9, v11, vcc
	v_cndmask_b32_e32 v3, v7, v3, vcc
	v_mov_b32_e32 v7, 0x3b800000
	v_lshlrev_b32_e32 v3, 20, v3
	v_and_b32_e32 v5, 0x80000000, v5
	v_lshl_add_u32 v7, v9, 23, v7
	v_or3_b32 v40, v5, v7, v3
.LBB231_2824:
	s_or_b64 exec, exec, s[18:19]
.LBB231_2825:
	s_mov_b64 s[16:17], -1
.LBB231_2826:
	s_mov_b64 s[18:19], 0
.LBB231_2827:
	s_and_b64 vcc, exec, s[18:19]
	s_cbranch_vccz .LBB231_2860
; %bb.2828:
	v_cmp_gt_i16_e64 s[14:15], s25, 22
	s_and_b64 vcc, exec, s[14:15]
	s_cbranch_vccz .LBB231_2838
; %bb.2829:
	v_cmp_lt_i16_e64 s[14:15], s25, 24
	s_and_b64 vcc, exec, s[14:15]
	s_cbranch_vccnz .LBB231_2841
; %bb.2830:
	v_cmp_gt_i16_e64 s[14:15], s25, 24
	s_and_b64 vcc, exec, s[14:15]
	s_cbranch_vccz .LBB231_2842
; %bb.2831:
	global_load_ubyte v3, v[16:17], off
	s_movk_i32 s14, 0x7f
                                        ; implicit-def: $sgpr20
	s_waitcnt vmcnt(0)
	v_cmp_lt_i16_e32 vcc, s14, v3
	s_mov_b64 s[14:15], 0
	s_and_saveexec_b64 s[16:17], vcc
	s_xor_b64 s[16:17], exec, s[16:17]
	s_cbranch_execz .LBB231_2854
; %bb.2832:
	s_movk_i32 s14, 0x80
	v_cmp_eq_u16_e32 vcc, s14, v3
	s_mov_b64 s[14:15], -1
                                        ; implicit-def: $sgpr20
	s_and_saveexec_b64 s[18:19], vcc
; %bb.2833:
	s_mov_b32 s20, 0x7f800001
	s_xor_b64 s[14:15], exec, -1
; %bb.2834:
	s_or_b64 exec, exec, s[18:19]
	s_and_b64 s[14:15], s[14:15], exec
	s_or_saveexec_b64 s[16:17], s[16:17]
	v_mov_b32_e32 v40, s20
	s_xor_b64 exec, exec, s[16:17]
	s_cbranch_execnz .LBB231_2855
.LBB231_2835:
	s_or_b64 exec, exec, s[16:17]
	s_and_saveexec_b64 s[16:17], s[14:15]
	s_cbranch_execz .LBB231_2837
.LBB231_2836:
	v_lshlrev_b32_e32 v5, 24, v3
	v_and_b32_e32 v3, 0xffff, v3
	v_and_b32_e32 v7, 3, v3
	v_ffbh_u32_e32 v11, v7
	v_min_u32_e32 v11, 32, v11
	v_subrev_u32_e32 v13, 29, v11
	v_bfe_u32 v9, v3, 2, 5
	v_lshlrev_b32_e32 v3, v13, v3
	v_sub_u32_e32 v11, 30, v11
	v_and_b32_e32 v3, 3, v3
	v_cmp_eq_u32_e32 vcc, 0, v9
	v_cndmask_b32_e32 v9, v9, v11, vcc
	v_cndmask_b32_e32 v3, v7, v3, vcc
	v_mov_b32_e32 v7, 0x37800000
	v_lshlrev_b32_e32 v3, 21, v3
	v_and_b32_e32 v5, 0x80000000, v5
	v_lshl_add_u32 v7, v9, 23, v7
	v_or3_b32 v40, v5, v7, v3
.LBB231_2837:
	s_or_b64 exec, exec, s[16:17]
	s_mov_b64 s[14:15], 0
	s_branch .LBB231_2843
.LBB231_2838:
	s_mov_b64 s[14:15], -1
                                        ; implicit-def: $vgpr40
	s_branch .LBB231_2849
.LBB231_2839:
	s_or_saveexec_b64 s[18:19], s[18:19]
	v_mov_b32_e32 v40, s26
	s_xor_b64 exec, exec, s[18:19]
	s_cbranch_execz .LBB231_2822
.LBB231_2840:
	v_cmp_ne_u16_e32 vcc, 0, v3
	s_andn2_b64 s[16:17], s[16:17], exec
	s_and_b64 s[20:21], vcc, exec
	v_mov_b32_e32 v40, 0
	s_or_b64 s[16:17], s[16:17], s[20:21]
	s_or_b64 exec, exec, s[18:19]
	s_and_saveexec_b64 s[18:19], s[16:17]
	s_cbranch_execnz .LBB231_2823
	s_branch .LBB231_2824
.LBB231_2841:
	s_mov_b64 s[14:15], -1
                                        ; implicit-def: $vgpr40
	s_branch .LBB231_2846
.LBB231_2842:
	s_mov_b64 s[14:15], -1
                                        ; implicit-def: $vgpr40
.LBB231_2843:
	s_and_b64 vcc, exec, s[14:15]
	s_cbranch_vccz .LBB231_2845
; %bb.2844:
	global_load_ubyte v3, v[16:17], off
	s_mov_b32 s14, 0x7f800000
	s_waitcnt vmcnt(0)
	v_lshlrev_b32_e32 v3, 24, v3
	v_and_b32_e32 v5, 0x7f000000, v3
	v_ffbh_u32_e32 v7, v5
	v_min_u32_e32 v7, 32, v7
	v_sub_u32_e64 v7, v7, 4 clamp
	v_lshlrev_b32_e32 v11, v7, v5
	v_lshlrev_b32_e32 v7, 23, v7
	v_lshrrev_b32_e32 v11, 4, v11
	v_add_u32_e32 v9, 0x1000000, v5
	v_sub_u32_e32 v7, v11, v7
	v_ashrrev_i32_e32 v9, 8, v9
	v_add_u32_e32 v7, 0x3c000000, v7
	v_and_or_b32 v7, v9, s14, v7
	v_cmp_ne_u32_e32 vcc, 0, v5
	v_cndmask_b32_e32 v5, 0, v7, vcc
	s_brev_b32 s14, 1
	v_and_or_b32 v40, v3, s14, v5
.LBB231_2845:
	s_mov_b64 s[14:15], 0
.LBB231_2846:
	s_andn2_b64 vcc, exec, s[14:15]
	s_cbranch_vccnz .LBB231_2848
; %bb.2847:
	global_load_ubyte v3, v[16:17], off
	s_movk_i32 s14, 0x7f00
	s_brev_b32 s15, 16
	s_waitcnt vmcnt(0)
	v_lshlrev_b16_e32 v5, 8, v3
	v_lshlrev_b32_e32 v3, 25, v3
	v_lshrrev_b32_e32 v7, 4, v3
	v_and_or_b32 v9, v5, s14, 0.5
	v_or_b32_e32 v7, 0x70000000, v7
	v_add_f32_e32 v9, -0.5, v9
	v_mul_f32_e32 v7, 0x7800000, v7
	v_cmp_gt_u32_e32 vcc, s15, v3
	v_bfe_i32 v5, v5, 0, 16
	v_cndmask_b32_e32 v3, v7, v9, vcc
	s_brev_b32 s14, 1
	v_and_or_b32 v40, v5, s14, v3
.LBB231_2848:
	s_mov_b64 s[14:15], 0
	s_mov_b64 s[16:17], -1
.LBB231_2849:
	s_andn2_b64 vcc, exec, s[14:15]
	s_mov_b64 s[14:15], 0
	s_cbranch_vccnz .LBB231_2860
; %bb.2850:
	v_cmp_gt_i16_e64 s[14:15], s25, 14
	s_and_b64 vcc, exec, s[14:15]
	s_cbranch_vccz .LBB231_2853
; %bb.2851:
	v_cmp_eq_u16_e64 s[12:13], s25, 15
	s_and_b64 vcc, exec, s[12:13]
	s_cbranch_vccz .LBB231_2856
; %bb.2852:
	global_load_ushort v3, v[16:17], off
	s_mov_b64 s[12:13], 0
	s_mov_b64 s[16:17], -1
	s_waitcnt vmcnt(0)
	v_lshlrev_b32_e32 v40, 16, v3
	s_branch .LBB231_2857
.LBB231_2853:
	s_mov_b64 s[18:19], -1
                                        ; implicit-def: $vgpr40
	s_branch .LBB231_2858
.LBB231_2854:
	s_or_saveexec_b64 s[16:17], s[16:17]
	v_mov_b32_e32 v40, s20
	s_xor_b64 exec, exec, s[16:17]
	s_cbranch_execz .LBB231_2835
.LBB231_2855:
	v_cmp_ne_u16_e32 vcc, 0, v3
	s_andn2_b64 s[14:15], s[14:15], exec
	s_and_b64 s[18:19], vcc, exec
	v_mov_b32_e32 v40, 0
	s_or_b64 s[14:15], s[14:15], s[18:19]
	s_or_b64 exec, exec, s[16:17]
	s_and_saveexec_b64 s[16:17], s[14:15]
	s_cbranch_execnz .LBB231_2836
	s_branch .LBB231_2837
.LBB231_2856:
	s_mov_b64 s[12:13], -1
                                        ; implicit-def: $vgpr40
.LBB231_2857:
	s_mov_b64 s[18:19], 0
.LBB231_2858:
	s_mov_b64 s[14:15], 0
	s_and_b64 vcc, exec, s[18:19]
	s_cbranch_vccz .LBB231_2860
; %bb.2859:
	v_cmp_ne_u16_e64 s[12:13], s25, 11
	s_mov_b64 s[14:15], -1
                                        ; implicit-def: $vgpr40
.LBB231_2860:
	s_and_b64 vcc, exec, s[12:13]
	s_cbranch_vccnz .LBB231_2925
; %bb.2861:
	s_andn2_b64 vcc, exec, s[14:15]
	s_cbranch_vccnz .LBB231_2863
.LBB231_2862:
	global_load_ubyte v3, v[16:17], off
	s_mov_b64 s[16:17], -1
	s_waitcnt vmcnt(0)
	v_cmp_ne_u16_e32 vcc, 0, v3
	v_cndmask_b32_e64 v40, 0, 1.0, vcc
.LBB231_2863:
	s_mov_b64 s[12:13], 0
.LBB231_2864:
	s_and_b64 vcc, exec, s[12:13]
	s_cbranch_vccz .LBB231_2913
; %bb.2865:
	v_cmp_lt_i16_e64 s[12:13], s25, 5
	s_and_b64 vcc, exec, s[12:13]
	s_cbranch_vccnz .LBB231_2870
; %bb.2866:
	v_cmp_lt_i16_e64 s[12:13], s25, 8
	s_and_b64 vcc, exec, s[12:13]
	s_cbranch_vccnz .LBB231_2871
	;; [unrolled: 4-line block ×3, first 2 shown]
; %bb.2868:
	v_cmp_gt_i16_e64 s[12:13], s25, 9
	s_and_b64 vcc, exec, s[12:13]
	s_cbranch_vccz .LBB231_2873
; %bb.2869:
	global_load_dwordx2 v[18:19], v[16:17], off
	s_mov_b64 s[12:13], 0
	s_waitcnt vmcnt(0)
	v_cvt_f32_f64_e32 v40, v[18:19]
	s_branch .LBB231_2874
.LBB231_2870:
	s_mov_b64 s[12:13], -1
                                        ; implicit-def: $vgpr40
	s_branch .LBB231_2892
.LBB231_2871:
	s_mov_b64 s[12:13], -1
                                        ; implicit-def: $vgpr40
	s_branch .LBB231_2880
.LBB231_2872:
	s_mov_b64 s[12:13], -1
                                        ; implicit-def: $vgpr40
	s_branch .LBB231_2877
.LBB231_2873:
	s_mov_b64 s[12:13], -1
                                        ; implicit-def: $vgpr40
.LBB231_2874:
	s_andn2_b64 vcc, exec, s[12:13]
	s_cbranch_vccnz .LBB231_2876
; %bb.2875:
	global_load_dword v40, v[16:17], off
.LBB231_2876:
	s_mov_b64 s[12:13], 0
.LBB231_2877:
	s_andn2_b64 vcc, exec, s[12:13]
	s_cbranch_vccnz .LBB231_2879
; %bb.2878:
	global_load_dword v3, v[16:17], off
	s_waitcnt vmcnt(0)
	v_cvt_f32_f16_e32 v40, v3
.LBB231_2879:
	s_mov_b64 s[12:13], 0
.LBB231_2880:
	s_andn2_b64 vcc, exec, s[12:13]
	s_cbranch_vccnz .LBB231_2891
; %bb.2881:
	v_cmp_lt_i16_e64 s[12:13], s25, 6
	s_and_b64 vcc, exec, s[12:13]
	s_cbranch_vccnz .LBB231_2884
; %bb.2882:
	v_cmp_gt_i16_e64 s[12:13], s25, 6
	s_and_b64 vcc, exec, s[12:13]
	s_cbranch_vccz .LBB231_2885
; %bb.2883:
	global_load_dwordx2 v[18:19], v[16:17], off
	s_mov_b64 s[12:13], 0
	s_waitcnt vmcnt(0)
	v_cvt_f32_f64_e32 v40, v[18:19]
	s_branch .LBB231_2886
.LBB231_2884:
	s_mov_b64 s[12:13], -1
                                        ; implicit-def: $vgpr40
	s_branch .LBB231_2889
.LBB231_2885:
	s_mov_b64 s[12:13], -1
                                        ; implicit-def: $vgpr40
.LBB231_2886:
	s_andn2_b64 vcc, exec, s[12:13]
	s_cbranch_vccnz .LBB231_2888
; %bb.2887:
	global_load_dword v40, v[16:17], off
.LBB231_2888:
	s_mov_b64 s[12:13], 0
.LBB231_2889:
	s_andn2_b64 vcc, exec, s[12:13]
	s_cbranch_vccnz .LBB231_2891
; %bb.2890:
	global_load_ushort v3, v[16:17], off
	s_waitcnt vmcnt(0)
	v_cvt_f32_f16_e32 v40, v3
.LBB231_2891:
	s_mov_b64 s[12:13], 0
.LBB231_2892:
	s_andn2_b64 vcc, exec, s[12:13]
	s_cbranch_vccnz .LBB231_2912
; %bb.2893:
	v_cmp_lt_i16_e64 s[12:13], s25, 2
	s_and_b64 vcc, exec, s[12:13]
	s_cbranch_vccnz .LBB231_2897
; %bb.2894:
	v_cmp_lt_i16_e64 s[12:13], s25, 3
	s_and_b64 vcc, exec, s[12:13]
	s_cbranch_vccnz .LBB231_2898
; %bb.2895:
	v_cmp_gt_i16_e64 s[12:13], s25, 3
	s_and_b64 vcc, exec, s[12:13]
	s_cbranch_vccz .LBB231_2899
; %bb.2896:
	global_load_dwordx2 v[18:19], v[16:17], off
	s_mov_b64 s[12:13], 0
	s_waitcnt vmcnt(0)
	v_xor_b32_e32 v5, v18, v19
	v_ffbh_i32_e32 v3, v19
	v_ashrrev_i32_e32 v5, 31, v5
	v_add_u32_e32 v3, -1, v3
	v_add_u32_e32 v5, 32, v5
	v_min_u32_e32 v3, v3, v5
	v_lshlrev_b64 v[18:19], v3, v[18:19]
	v_min_u32_e32 v5, 1, v18
	v_or_b32_e32 v5, v19, v5
	v_cvt_f32_i32_e32 v5, v5
	v_sub_u32_e32 v3, 32, v3
	v_ldexp_f32 v40, v5, v3
	s_branch .LBB231_2900
.LBB231_2897:
	s_mov_b64 s[12:13], -1
                                        ; implicit-def: $vgpr40
	s_branch .LBB231_2906
.LBB231_2898:
	s_mov_b64 s[12:13], -1
                                        ; implicit-def: $vgpr40
	s_branch .LBB231_2903
.LBB231_2899:
	s_mov_b64 s[12:13], -1
                                        ; implicit-def: $vgpr40
.LBB231_2900:
	s_andn2_b64 vcc, exec, s[12:13]
	s_cbranch_vccnz .LBB231_2902
; %bb.2901:
	global_load_dword v3, v[16:17], off
	s_waitcnt vmcnt(0)
	v_cvt_f32_i32_e32 v40, v3
.LBB231_2902:
	s_mov_b64 s[12:13], 0
.LBB231_2903:
	s_andn2_b64 vcc, exec, s[12:13]
	s_cbranch_vccnz .LBB231_2905
; %bb.2904:
	global_load_sshort v3, v[16:17], off
	s_waitcnt vmcnt(0)
	v_cvt_f32_i32_e32 v40, v3
.LBB231_2905:
	s_mov_b64 s[12:13], 0
.LBB231_2906:
	s_andn2_b64 vcc, exec, s[12:13]
	s_cbranch_vccnz .LBB231_2912
; %bb.2907:
	v_cmp_gt_i16_e64 s[12:13], s25, 0
	s_and_b64 vcc, exec, s[12:13]
	s_cbranch_vccz .LBB231_2909
; %bb.2908:
	global_load_sbyte v3, v[16:17], off
	s_mov_b64 s[12:13], 0
	s_waitcnt vmcnt(0)
	v_cvt_f32_i32_e32 v40, v3
	s_branch .LBB231_2910
.LBB231_2909:
	s_mov_b64 s[12:13], -1
                                        ; implicit-def: $vgpr40
.LBB231_2910:
	s_andn2_b64 vcc, exec, s[12:13]
	s_cbranch_vccnz .LBB231_2912
; %bb.2911:
	global_load_ubyte v3, v[16:17], off
	s_waitcnt vmcnt(0)
	v_cvt_f32_ubyte0_e32 v40, v3
.LBB231_2912:
	s_mov_b64 s[16:17], -1
.LBB231_2913:
	s_andn2_b64 vcc, exec, s[16:17]
	s_cbranch_vccnz .LBB231_4149
; %bb.2914:
	v_mov_b32_e32 v3, s31
	v_add_co_u32_e32 v14, vcc, s30, v14
	v_addc_co_u32_e32 v15, vcc, 0, v3, vcc
	v_mov_b32_e32 v3, 11
	v_cmp_lt_i16_sdwa s[12:13], s23, v3 src0_sel:BYTE_0 src1_sel:DWORD
	s_and_b64 vcc, exec, s[12:13]
	s_cbranch_vccnz .LBB231_2921
; %bb.2915:
	v_mov_b32_e32 v3, 25
	v_cmp_gt_i16_sdwa s[12:13], s23, v3 src0_sel:BYTE_0 src1_sel:DWORD
	s_mov_b64 s[14:15], 0
	s_and_b64 vcc, exec, s[12:13]
	s_cbranch_vccz .LBB231_2922
; %bb.2916:
	v_mov_b32_e32 v3, 28
	v_cmp_gt_i16_sdwa s[12:13], s23, v3 src0_sel:BYTE_0 src1_sel:DWORD
	s_and_b64 vcc, exec, s[12:13]
	s_cbranch_vccz .LBB231_2923
; %bb.2917:
	v_mov_b32_e32 v3, 43
	v_cmp_gt_i16_sdwa s[12:13], s23, v3 src0_sel:BYTE_0 src1_sel:DWORD
	;; [unrolled: 5-line block ×3, first 2 shown]
	s_and_b64 vcc, exec, s[12:13]
	s_cbranch_vccz .LBB231_2926
; %bb.2919:
	v_mov_b32_e32 v3, 46
	v_cmp_eq_u16_sdwa s[12:13], s23, v3 src0_sel:BYTE_0 src1_sel:DWORD
	s_mov_b64 s[18:19], 0
	s_and_b64 vcc, exec, s[12:13]
	s_cbranch_vccz .LBB231_2929
; %bb.2920:
	global_load_dword v3, v[14:15], off
	s_mov_b64 s[12:13], 0
	s_mov_b64 s[16:17], -1
	s_waitcnt vmcnt(0)
	v_lshlrev_b32_e32 v41, 16, v3
	s_branch .LBB231_2930
.LBB231_2921:
	s_mov_b64 s[12:13], -1
	s_mov_b64 s[16:17], 0
                                        ; implicit-def: $vgpr41
	s_branch .LBB231_2996
.LBB231_2922:
	s_mov_b64 s[18:19], -1
	s_mov_b64 s[16:17], 0
	s_mov_b64 s[12:13], 0
                                        ; implicit-def: $vgpr41
	s_branch .LBB231_2959
.LBB231_2923:
	s_mov_b64 s[18:19], -1
	s_mov_b64 s[16:17], 0
	s_mov_b64 s[12:13], 0
                                        ; implicit-def: $vgpr41
	s_branch .LBB231_2940
.LBB231_2924:
	s_mov_b64 s[18:19], -1
	s_mov_b64 s[16:17], 0
	s_mov_b64 s[12:13], 0
                                        ; implicit-def: $vgpr41
	s_branch .LBB231_2935
.LBB231_2925:
	s_trap 2
	s_or_b64 s[40:41], s[40:41], exec
                                        ; implicit-def: $vgpr40
	s_cbranch_execz .LBB231_2862
	s_branch .LBB231_2863
.LBB231_2926:
	s_mov_b64 s[18:19], -1
	s_mov_b64 s[16:17], 0
	s_mov_b64 s[12:13], 0
                                        ; implicit-def: $vgpr41
	s_branch .LBB231_2930
.LBB231_2927:
	s_or_saveexec_b64 s[12:13], s[12:13]
                                        ; implicit-def: $sgpr14
	s_xor_b64 exec, exec, s[12:13]
	s_cbranch_execz .LBB231_1505
.LBB231_2928:
	s_mov_b32 s14, 0x42800000
	v_add_f32_e64 v1, |v0|, s14
	v_and_b32_e32 v1, 0xff, v1
	v_cmp_ne_u32_e32 vcc, 0, v1
	s_andn2_b64 s[10:11], s[10:11], exec
	s_and_b64 s[16:17], vcc, exec
	s_mov_b32 s14, 0
	s_or_b64 s[10:11], s[10:11], s[16:17]
	s_or_b64 exec, exec, s[12:13]
	v_mov_b32_e32 v4, s14
	s_and_saveexec_b64 s[12:13], s[10:11]
	s_cbranch_execnz .LBB231_1506
	s_branch .LBB231_1507
.LBB231_2929:
	s_mov_b64 s[12:13], -1
                                        ; implicit-def: $vgpr41
	s_mov_b64 s[16:17], 0
.LBB231_2930:
	s_and_b64 vcc, exec, s[18:19]
	s_cbranch_vccz .LBB231_2934
; %bb.2931:
	v_mov_b32_e32 v3, 44
	v_cmp_eq_u16_sdwa s[12:13], s23, v3 src0_sel:BYTE_0 src1_sel:DWORD
	s_and_b64 vcc, exec, s[12:13]
	s_cbranch_vccz .LBB231_2933
; %bb.2932:
	global_load_ubyte v3, v[14:15], off
	s_movk_i32 s16, 0xff
	v_mov_b32_e32 v5, 0x7f800001
	v_mov_b32_e32 v7, 0x400000
	s_mov_b64 s[12:13], 0
	s_waitcnt vmcnt(0)
	v_lshlrev_b32_e32 v9, 23, v3
	v_cmp_ne_u32_e32 vcc, s16, v3
	v_cndmask_b32_e32 v5, v5, v9, vcc
	v_cmp_ne_u32_e32 vcc, 0, v3
	v_cndmask_b32_e32 v41, v7, v5, vcc
	s_mov_b64 s[16:17], -1
	s_branch .LBB231_2934
.LBB231_2933:
	s_mov_b64 s[12:13], -1
                                        ; implicit-def: $vgpr41
.LBB231_2934:
	s_mov_b64 s[18:19], 0
.LBB231_2935:
	s_and_b64 vcc, exec, s[18:19]
	s_cbranch_vccz .LBB231_2939
; %bb.2936:
	v_mov_b32_e32 v3, 29
	v_cmp_eq_u16_sdwa s[12:13], s23, v3 src0_sel:BYTE_0 src1_sel:DWORD
	s_and_b64 vcc, exec, s[12:13]
	s_cbranch_vccz .LBB231_2938
; %bb.2937:
	global_load_dwordx2 v[16:17], v[14:15], off
	s_mov_b64 s[12:13], 0
	s_mov_b64 s[16:17], -1
	s_mov_b64 s[18:19], 0
	s_waitcnt vmcnt(0)
	v_ffbh_u32_e32 v3, v17
	v_min_u32_e32 v3, 32, v3
	v_lshlrev_b64 v[16:17], v3, v[16:17]
	v_min_u32_e32 v5, 1, v16
	v_or_b32_e32 v5, v17, v5
	v_cvt_f32_u32_e32 v5, v5
	v_sub_u32_e32 v3, 32, v3
	v_ldexp_f32 v41, v5, v3
	s_branch .LBB231_2940
.LBB231_2938:
	s_mov_b64 s[12:13], -1
                                        ; implicit-def: $vgpr41
.LBB231_2939:
	s_mov_b64 s[18:19], 0
.LBB231_2940:
	s_and_b64 vcc, exec, s[18:19]
	s_cbranch_vccz .LBB231_2958
; %bb.2941:
	v_mov_b32_e32 v3, 27
	v_cmp_lt_i16_sdwa s[16:17], s23, v3 src0_sel:BYTE_0 src1_sel:DWORD
	s_and_b64 vcc, exec, s[16:17]
	s_cbranch_vccnz .LBB231_2944
; %bb.2942:
	v_cmp_gt_i16_sdwa s[16:17], s23, v3 src0_sel:BYTE_0 src1_sel:DWORD
	s_and_b64 vcc, exec, s[16:17]
	s_cbranch_vccz .LBB231_2945
; %bb.2943:
	global_load_dword v3, v[14:15], off
	s_mov_b64 s[16:17], 0
	s_waitcnt vmcnt(0)
	v_cvt_f32_u32_e32 v41, v3
	s_branch .LBB231_2946
.LBB231_2944:
	s_mov_b64 s[16:17], -1
                                        ; implicit-def: $vgpr41
	s_branch .LBB231_2949
.LBB231_2945:
	s_mov_b64 s[16:17], -1
                                        ; implicit-def: $vgpr41
.LBB231_2946:
	s_andn2_b64 vcc, exec, s[16:17]
	s_cbranch_vccnz .LBB231_2948
; %bb.2947:
	global_load_ushort v3, v[14:15], off
	s_waitcnt vmcnt(0)
	v_cvt_f32_u32_e32 v41, v3
.LBB231_2948:
	s_mov_b64 s[16:17], 0
.LBB231_2949:
	s_andn2_b64 vcc, exec, s[16:17]
	s_cbranch_vccnz .LBB231_2957
; %bb.2950:
	global_load_ubyte v3, v[14:15], off
	s_movk_i32 s16, 0x7f
                                        ; implicit-def: $sgpr26
	s_waitcnt vmcnt(0)
	v_cmp_lt_i16_e32 vcc, s16, v3
	s_mov_b64 s[16:17], 0
	s_and_saveexec_b64 s[18:19], vcc
	s_xor_b64 s[18:19], exec, s[18:19]
	s_cbranch_execz .LBB231_2971
; %bb.2951:
	s_movk_i32 s16, 0x80
	v_cmp_eq_u16_e32 vcc, s16, v3
	s_mov_b64 s[16:17], -1
                                        ; implicit-def: $sgpr26
	s_and_saveexec_b64 s[20:21], vcc
; %bb.2952:
	s_mov_b32 s26, 0x7f800001
	s_xor_b64 s[16:17], exec, -1
; %bb.2953:
	s_or_b64 exec, exec, s[20:21]
	s_and_b64 s[16:17], s[16:17], exec
	s_or_saveexec_b64 s[18:19], s[18:19]
	v_mov_b32_e32 v41, s26
	s_xor_b64 exec, exec, s[18:19]
	s_cbranch_execnz .LBB231_2972
.LBB231_2954:
	s_or_b64 exec, exec, s[18:19]
	s_and_saveexec_b64 s[18:19], s[16:17]
	s_cbranch_execz .LBB231_2956
.LBB231_2955:
	v_lshlrev_b32_e32 v5, 24, v3
	v_and_b32_e32 v3, 0xffff, v3
	v_and_b32_e32 v7, 7, v3
	v_ffbh_u32_e32 v11, v7
	v_min_u32_e32 v11, 32, v11
	v_subrev_u32_e32 v13, 28, v11
	v_bfe_u32 v9, v3, 3, 4
	v_lshlrev_b32_e32 v3, v13, v3
	v_sub_u32_e32 v11, 29, v11
	v_and_b32_e32 v3, 7, v3
	v_cmp_eq_u32_e32 vcc, 0, v9
	v_cndmask_b32_e32 v9, v9, v11, vcc
	v_cndmask_b32_e32 v3, v7, v3, vcc
	v_mov_b32_e32 v7, 0x3b800000
	v_lshlrev_b32_e32 v3, 20, v3
	v_and_b32_e32 v5, 0x80000000, v5
	v_lshl_add_u32 v7, v9, 23, v7
	v_or3_b32 v41, v5, v7, v3
.LBB231_2956:
	s_or_b64 exec, exec, s[18:19]
.LBB231_2957:
	s_mov_b64 s[16:17], -1
.LBB231_2958:
	s_mov_b64 s[18:19], 0
.LBB231_2959:
	s_and_b64 vcc, exec, s[18:19]
	s_cbranch_vccz .LBB231_2992
; %bb.2960:
	v_mov_b32_e32 v3, 22
	v_cmp_gt_i16_sdwa s[14:15], s23, v3 src0_sel:BYTE_0 src1_sel:DWORD
	s_and_b64 vcc, exec, s[14:15]
	s_cbranch_vccz .LBB231_2970
; %bb.2961:
	v_mov_b32_e32 v3, 24
	v_cmp_lt_i16_sdwa s[14:15], s23, v3 src0_sel:BYTE_0 src1_sel:DWORD
	s_and_b64 vcc, exec, s[14:15]
	s_cbranch_vccnz .LBB231_2973
; %bb.2962:
	v_cmp_gt_i16_sdwa s[14:15], s23, v3 src0_sel:BYTE_0 src1_sel:DWORD
	s_and_b64 vcc, exec, s[14:15]
	s_cbranch_vccz .LBB231_2974
; %bb.2963:
	global_load_ubyte v3, v[14:15], off
	s_movk_i32 s14, 0x7f
                                        ; implicit-def: $sgpr20
	s_waitcnt vmcnt(0)
	v_cmp_lt_i16_e32 vcc, s14, v3
	s_mov_b64 s[14:15], 0
	s_and_saveexec_b64 s[16:17], vcc
	s_xor_b64 s[16:17], exec, s[16:17]
	s_cbranch_execz .LBB231_2986
; %bb.2964:
	s_movk_i32 s14, 0x80
	v_cmp_eq_u16_e32 vcc, s14, v3
	s_mov_b64 s[14:15], -1
                                        ; implicit-def: $sgpr20
	s_and_saveexec_b64 s[18:19], vcc
; %bb.2965:
	s_mov_b32 s20, 0x7f800001
	s_xor_b64 s[14:15], exec, -1
; %bb.2966:
	s_or_b64 exec, exec, s[18:19]
	s_and_b64 s[14:15], s[14:15], exec
	s_or_saveexec_b64 s[16:17], s[16:17]
	v_mov_b32_e32 v41, s20
	s_xor_b64 exec, exec, s[16:17]
	s_cbranch_execnz .LBB231_2987
.LBB231_2967:
	s_or_b64 exec, exec, s[16:17]
	s_and_saveexec_b64 s[16:17], s[14:15]
	s_cbranch_execz .LBB231_2969
.LBB231_2968:
	v_lshlrev_b32_e32 v5, 24, v3
	v_and_b32_e32 v3, 0xffff, v3
	v_and_b32_e32 v7, 3, v3
	v_ffbh_u32_e32 v11, v7
	v_min_u32_e32 v11, 32, v11
	v_subrev_u32_e32 v13, 29, v11
	v_bfe_u32 v9, v3, 2, 5
	v_lshlrev_b32_e32 v3, v13, v3
	v_sub_u32_e32 v11, 30, v11
	v_and_b32_e32 v3, 3, v3
	v_cmp_eq_u32_e32 vcc, 0, v9
	v_cndmask_b32_e32 v9, v9, v11, vcc
	v_cndmask_b32_e32 v3, v7, v3, vcc
	v_mov_b32_e32 v7, 0x37800000
	v_lshlrev_b32_e32 v3, 21, v3
	v_and_b32_e32 v5, 0x80000000, v5
	v_lshl_add_u32 v7, v9, 23, v7
	v_or3_b32 v41, v5, v7, v3
.LBB231_2969:
	s_or_b64 exec, exec, s[16:17]
	s_mov_b64 s[14:15], 0
	s_branch .LBB231_2975
.LBB231_2970:
	s_mov_b64 s[14:15], -1
                                        ; implicit-def: $vgpr41
	s_branch .LBB231_2981
.LBB231_2971:
	s_or_saveexec_b64 s[18:19], s[18:19]
	v_mov_b32_e32 v41, s26
	s_xor_b64 exec, exec, s[18:19]
	s_cbranch_execz .LBB231_2954
.LBB231_2972:
	v_cmp_ne_u16_e32 vcc, 0, v3
	s_andn2_b64 s[16:17], s[16:17], exec
	s_and_b64 s[20:21], vcc, exec
	v_mov_b32_e32 v41, 0
	s_or_b64 s[16:17], s[16:17], s[20:21]
	s_or_b64 exec, exec, s[18:19]
	s_and_saveexec_b64 s[18:19], s[16:17]
	s_cbranch_execnz .LBB231_2955
	s_branch .LBB231_2956
.LBB231_2973:
	s_mov_b64 s[14:15], -1
                                        ; implicit-def: $vgpr41
	s_branch .LBB231_2978
.LBB231_2974:
	s_mov_b64 s[14:15], -1
                                        ; implicit-def: $vgpr41
.LBB231_2975:
	s_and_b64 vcc, exec, s[14:15]
	s_cbranch_vccz .LBB231_2977
; %bb.2976:
	global_load_ubyte v3, v[14:15], off
	s_mov_b32 s14, 0x7f800000
	s_waitcnt vmcnt(0)
	v_lshlrev_b32_e32 v3, 24, v3
	v_and_b32_e32 v5, 0x7f000000, v3
	v_ffbh_u32_e32 v7, v5
	v_min_u32_e32 v7, 32, v7
	v_sub_u32_e64 v7, v7, 4 clamp
	v_lshlrev_b32_e32 v11, v7, v5
	v_lshlrev_b32_e32 v7, 23, v7
	v_lshrrev_b32_e32 v11, 4, v11
	v_add_u32_e32 v9, 0x1000000, v5
	v_sub_u32_e32 v7, v11, v7
	v_ashrrev_i32_e32 v9, 8, v9
	v_add_u32_e32 v7, 0x3c000000, v7
	v_and_or_b32 v7, v9, s14, v7
	v_cmp_ne_u32_e32 vcc, 0, v5
	v_cndmask_b32_e32 v5, 0, v7, vcc
	s_brev_b32 s14, 1
	v_and_or_b32 v41, v3, s14, v5
.LBB231_2977:
	s_mov_b64 s[14:15], 0
.LBB231_2978:
	s_andn2_b64 vcc, exec, s[14:15]
	s_cbranch_vccnz .LBB231_2980
; %bb.2979:
	global_load_ubyte v3, v[14:15], off
	s_movk_i32 s14, 0x7f00
	s_brev_b32 s15, 16
	s_waitcnt vmcnt(0)
	v_lshlrev_b16_e32 v5, 8, v3
	v_lshlrev_b32_e32 v3, 25, v3
	v_lshrrev_b32_e32 v7, 4, v3
	v_and_or_b32 v9, v5, s14, 0.5
	v_or_b32_e32 v7, 0x70000000, v7
	v_add_f32_e32 v9, -0.5, v9
	v_mul_f32_e32 v7, 0x7800000, v7
	v_cmp_gt_u32_e32 vcc, s15, v3
	v_bfe_i32 v5, v5, 0, 16
	v_cndmask_b32_e32 v3, v7, v9, vcc
	s_brev_b32 s14, 1
	v_and_or_b32 v41, v5, s14, v3
.LBB231_2980:
	s_mov_b64 s[14:15], 0
	s_mov_b64 s[16:17], -1
.LBB231_2981:
	s_andn2_b64 vcc, exec, s[14:15]
	s_mov_b64 s[14:15], 0
	s_cbranch_vccnz .LBB231_2992
; %bb.2982:
	v_mov_b32_e32 v3, 14
	v_cmp_gt_i16_sdwa s[14:15], s23, v3 src0_sel:BYTE_0 src1_sel:DWORD
	s_and_b64 vcc, exec, s[14:15]
	s_cbranch_vccz .LBB231_2985
; %bb.2983:
	v_mov_b32_e32 v3, 15
	v_cmp_eq_u16_sdwa s[12:13], s23, v3 src0_sel:BYTE_0 src1_sel:DWORD
	s_and_b64 vcc, exec, s[12:13]
	s_cbranch_vccz .LBB231_2988
; %bb.2984:
	global_load_ushort v3, v[14:15], off
	s_mov_b64 s[12:13], 0
	s_mov_b64 s[16:17], -1
	s_waitcnt vmcnt(0)
	v_lshlrev_b32_e32 v41, 16, v3
	s_branch .LBB231_2989
.LBB231_2985:
	s_mov_b64 s[18:19], -1
                                        ; implicit-def: $vgpr41
	s_branch .LBB231_2990
.LBB231_2986:
	s_or_saveexec_b64 s[16:17], s[16:17]
	v_mov_b32_e32 v41, s20
	s_xor_b64 exec, exec, s[16:17]
	s_cbranch_execz .LBB231_2967
.LBB231_2987:
	v_cmp_ne_u16_e32 vcc, 0, v3
	s_andn2_b64 s[14:15], s[14:15], exec
	s_and_b64 s[18:19], vcc, exec
	v_mov_b32_e32 v41, 0
	s_or_b64 s[14:15], s[14:15], s[18:19]
	s_or_b64 exec, exec, s[16:17]
	s_and_saveexec_b64 s[16:17], s[14:15]
	s_cbranch_execnz .LBB231_2968
	s_branch .LBB231_2969
.LBB231_2988:
	s_mov_b64 s[12:13], -1
                                        ; implicit-def: $vgpr41
.LBB231_2989:
	s_mov_b64 s[18:19], 0
.LBB231_2990:
	s_mov_b64 s[14:15], 0
	s_and_b64 vcc, exec, s[18:19]
	s_cbranch_vccz .LBB231_2992
; %bb.2991:
	v_mov_b32_e32 v3, 11
	v_cmp_ne_u16_sdwa s[12:13], s23, v3 src0_sel:BYTE_0 src1_sel:DWORD
	s_mov_b64 s[14:15], -1
                                        ; implicit-def: $vgpr41
.LBB231_2992:
	s_and_b64 vcc, exec, s[12:13]
	s_cbranch_vccnz .LBB231_3057
; %bb.2993:
	s_andn2_b64 vcc, exec, s[14:15]
	s_cbranch_vccnz .LBB231_2995
.LBB231_2994:
	global_load_ubyte v3, v[14:15], off
	s_mov_b64 s[16:17], -1
	s_waitcnt vmcnt(0)
	v_cmp_ne_u16_e32 vcc, 0, v3
	v_cndmask_b32_e64 v41, 0, 1.0, vcc
.LBB231_2995:
	s_mov_b64 s[12:13], 0
.LBB231_2996:
	s_and_b64 vcc, exec, s[12:13]
	s_cbranch_vccz .LBB231_3045
; %bb.2997:
	v_mov_b32_e32 v3, 5
	v_cmp_lt_i16_sdwa s[12:13], s23, v3 src0_sel:BYTE_0 src1_sel:DWORD
	s_and_b64 vcc, exec, s[12:13]
	s_cbranch_vccnz .LBB231_3002
; %bb.2998:
	v_mov_b32_e32 v3, 8
	v_cmp_lt_i16_sdwa s[12:13], s23, v3 src0_sel:BYTE_0 src1_sel:DWORD
	s_and_b64 vcc, exec, s[12:13]
	s_cbranch_vccnz .LBB231_3003
; %bb.2999:
	v_mov_b32_e32 v3, 9
	v_cmp_lt_i16_sdwa s[12:13], s23, v3 src0_sel:BYTE_0 src1_sel:DWORD
	s_and_b64 vcc, exec, s[12:13]
	s_cbranch_vccnz .LBB231_3004
; %bb.3000:
	v_cmp_gt_i16_sdwa s[12:13], s23, v3 src0_sel:BYTE_0 src1_sel:DWORD
	s_and_b64 vcc, exec, s[12:13]
	s_cbranch_vccz .LBB231_3005
; %bb.3001:
	global_load_dwordx2 v[16:17], v[14:15], off
	s_mov_b64 s[12:13], 0
	s_waitcnt vmcnt(0)
	v_cvt_f32_f64_e32 v41, v[16:17]
	s_branch .LBB231_3006
.LBB231_3002:
	s_mov_b64 s[12:13], -1
                                        ; implicit-def: $vgpr41
	s_branch .LBB231_3024
.LBB231_3003:
	s_mov_b64 s[12:13], -1
                                        ; implicit-def: $vgpr41
	s_branch .LBB231_3012
.LBB231_3004:
	s_mov_b64 s[12:13], -1
                                        ; implicit-def: $vgpr41
	s_branch .LBB231_3009
.LBB231_3005:
	s_mov_b64 s[12:13], -1
                                        ; implicit-def: $vgpr41
.LBB231_3006:
	s_andn2_b64 vcc, exec, s[12:13]
	s_cbranch_vccnz .LBB231_3008
; %bb.3007:
	global_load_dword v41, v[14:15], off
.LBB231_3008:
	s_mov_b64 s[12:13], 0
.LBB231_3009:
	s_andn2_b64 vcc, exec, s[12:13]
	s_cbranch_vccnz .LBB231_3011
; %bb.3010:
	global_load_dword v3, v[14:15], off
	s_waitcnt vmcnt(0)
	v_cvt_f32_f16_e32 v41, v3
.LBB231_3011:
	s_mov_b64 s[12:13], 0
.LBB231_3012:
	s_andn2_b64 vcc, exec, s[12:13]
	s_cbranch_vccnz .LBB231_3023
; %bb.3013:
	v_mov_b32_e32 v3, 6
	v_cmp_lt_i16_sdwa s[12:13], s23, v3 src0_sel:BYTE_0 src1_sel:DWORD
	s_and_b64 vcc, exec, s[12:13]
	s_cbranch_vccnz .LBB231_3016
; %bb.3014:
	v_cmp_gt_i16_sdwa s[12:13], s23, v3 src0_sel:BYTE_0 src1_sel:DWORD
	s_and_b64 vcc, exec, s[12:13]
	s_cbranch_vccz .LBB231_3017
; %bb.3015:
	global_load_dwordx2 v[16:17], v[14:15], off
	s_mov_b64 s[12:13], 0
	s_waitcnt vmcnt(0)
	v_cvt_f32_f64_e32 v41, v[16:17]
	s_branch .LBB231_3018
.LBB231_3016:
	s_mov_b64 s[12:13], -1
                                        ; implicit-def: $vgpr41
	s_branch .LBB231_3021
.LBB231_3017:
	s_mov_b64 s[12:13], -1
                                        ; implicit-def: $vgpr41
.LBB231_3018:
	s_andn2_b64 vcc, exec, s[12:13]
	s_cbranch_vccnz .LBB231_3020
; %bb.3019:
	global_load_dword v41, v[14:15], off
.LBB231_3020:
	s_mov_b64 s[12:13], 0
.LBB231_3021:
	s_andn2_b64 vcc, exec, s[12:13]
	s_cbranch_vccnz .LBB231_3023
; %bb.3022:
	global_load_ushort v3, v[14:15], off
	s_waitcnt vmcnt(0)
	v_cvt_f32_f16_e32 v41, v3
.LBB231_3023:
	s_mov_b64 s[12:13], 0
.LBB231_3024:
	s_andn2_b64 vcc, exec, s[12:13]
	s_cbranch_vccnz .LBB231_3044
; %bb.3025:
	v_mov_b32_e32 v3, 2
	v_cmp_lt_i16_sdwa s[12:13], s23, v3 src0_sel:BYTE_0 src1_sel:DWORD
	s_and_b64 vcc, exec, s[12:13]
	s_cbranch_vccnz .LBB231_3029
; %bb.3026:
	v_mov_b32_e32 v3, 3
	v_cmp_lt_i16_sdwa s[12:13], s23, v3 src0_sel:BYTE_0 src1_sel:DWORD
	s_and_b64 vcc, exec, s[12:13]
	s_cbranch_vccnz .LBB231_3030
; %bb.3027:
	v_cmp_gt_i16_sdwa s[12:13], s23, v3 src0_sel:BYTE_0 src1_sel:DWORD
	s_and_b64 vcc, exec, s[12:13]
	s_cbranch_vccz .LBB231_3031
; %bb.3028:
	global_load_dwordx2 v[16:17], v[14:15], off
	s_mov_b64 s[12:13], 0
	s_waitcnt vmcnt(0)
	v_xor_b32_e32 v5, v16, v17
	v_ffbh_i32_e32 v3, v17
	v_ashrrev_i32_e32 v5, 31, v5
	v_add_u32_e32 v3, -1, v3
	v_add_u32_e32 v5, 32, v5
	v_min_u32_e32 v3, v3, v5
	v_lshlrev_b64 v[16:17], v3, v[16:17]
	v_min_u32_e32 v5, 1, v16
	v_or_b32_e32 v5, v17, v5
	v_cvt_f32_i32_e32 v5, v5
	v_sub_u32_e32 v3, 32, v3
	v_ldexp_f32 v41, v5, v3
	s_branch .LBB231_3032
.LBB231_3029:
	s_mov_b64 s[12:13], -1
                                        ; implicit-def: $vgpr41
	s_branch .LBB231_3038
.LBB231_3030:
	s_mov_b64 s[12:13], -1
                                        ; implicit-def: $vgpr41
	s_branch .LBB231_3035
.LBB231_3031:
	s_mov_b64 s[12:13], -1
                                        ; implicit-def: $vgpr41
.LBB231_3032:
	s_andn2_b64 vcc, exec, s[12:13]
	s_cbranch_vccnz .LBB231_3034
; %bb.3033:
	global_load_dword v3, v[14:15], off
	s_waitcnt vmcnt(0)
	v_cvt_f32_i32_e32 v41, v3
.LBB231_3034:
	s_mov_b64 s[12:13], 0
.LBB231_3035:
	s_andn2_b64 vcc, exec, s[12:13]
	s_cbranch_vccnz .LBB231_3037
; %bb.3036:
	global_load_sshort v3, v[14:15], off
	s_waitcnt vmcnt(0)
	v_cvt_f32_i32_e32 v41, v3
.LBB231_3037:
	s_mov_b64 s[12:13], 0
.LBB231_3038:
	s_andn2_b64 vcc, exec, s[12:13]
	s_cbranch_vccnz .LBB231_3044
; %bb.3039:
	v_mov_b32_e32 v3, 0
	v_cmp_gt_i16_sdwa s[12:13], s23, v3 src0_sel:BYTE_0 src1_sel:DWORD
	s_and_b64 vcc, exec, s[12:13]
	s_cbranch_vccz .LBB231_3041
; %bb.3040:
	global_load_sbyte v3, v[14:15], off
	s_mov_b64 s[12:13], 0
	s_waitcnt vmcnt(0)
	v_cvt_f32_i32_e32 v41, v3
	s_branch .LBB231_3042
.LBB231_3041:
	s_mov_b64 s[12:13], -1
                                        ; implicit-def: $vgpr41
.LBB231_3042:
	s_andn2_b64 vcc, exec, s[12:13]
	s_cbranch_vccnz .LBB231_3044
; %bb.3043:
	global_load_ubyte v3, v[14:15], off
	s_waitcnt vmcnt(0)
	v_cvt_f32_ubyte0_e32 v41, v3
.LBB231_3044:
	s_mov_b64 s[16:17], -1
.LBB231_3045:
	s_andn2_b64 vcc, exec, s[16:17]
	s_cbranch_vccnz .LBB231_4149
; %bb.3046:
	v_mov_b32_e32 v3, s5
	v_add_co_u32_e32 v12, vcc, s4, v12
	v_addc_co_u32_e32 v13, vcc, 0, v3, vcc
	s_and_b64 vcc, exec, s[6:7]
	s_cbranch_vccnz .LBB231_3053
; %bb.3047:
	v_cmp_gt_i16_e64 s[12:13], s24, 25
	s_mov_b64 s[14:15], 0
	s_and_b64 vcc, exec, s[12:13]
	s_cbranch_vccz .LBB231_3054
; %bb.3048:
	v_cmp_gt_i16_e64 s[12:13], s24, 28
	s_and_b64 vcc, exec, s[12:13]
	s_cbranch_vccz .LBB231_3055
; %bb.3049:
	v_cmp_gt_i16_e64 s[12:13], s24, 43
	;; [unrolled: 4-line block ×3, first 2 shown]
	s_and_b64 vcc, exec, s[12:13]
	s_cbranch_vccz .LBB231_3058
; %bb.3051:
	v_cmp_eq_u16_e64 s[12:13], s24, 46
	s_mov_b64 s[18:19], 0
	s_and_b64 vcc, exec, s[12:13]
	s_cbranch_vccz .LBB231_3059
; %bb.3052:
	global_load_dword v3, v[12:13], off
	s_mov_b64 s[12:13], 0
	s_mov_b64 s[16:17], -1
	s_waitcnt vmcnt(0)
	v_lshlrev_b32_e32 v42, 16, v3
	s_branch .LBB231_3060
.LBB231_3053:
	s_mov_b64 s[12:13], -1
	s_mov_b64 s[16:17], 0
                                        ; implicit-def: $vgpr42
	s_branch .LBB231_3126
.LBB231_3054:
	s_mov_b64 s[18:19], -1
	s_mov_b64 s[16:17], 0
	s_mov_b64 s[12:13], 0
                                        ; implicit-def: $vgpr42
	s_branch .LBB231_3089
.LBB231_3055:
	s_mov_b64 s[18:19], -1
	s_mov_b64 s[16:17], 0
	s_mov_b64 s[12:13], 0
                                        ; implicit-def: $vgpr42
	s_branch .LBB231_3070
.LBB231_3056:
	s_mov_b64 s[18:19], -1
	s_mov_b64 s[16:17], 0
	s_mov_b64 s[12:13], 0
                                        ; implicit-def: $vgpr42
	s_branch .LBB231_3065
.LBB231_3057:
	s_trap 2
	s_or_b64 s[40:41], s[40:41], exec
                                        ; implicit-def: $vgpr41
	s_cbranch_execz .LBB231_2994
	s_branch .LBB231_2995
.LBB231_3058:
	s_mov_b64 s[18:19], -1
	s_mov_b64 s[16:17], 0
	s_mov_b64 s[12:13], 0
                                        ; implicit-def: $vgpr42
	s_branch .LBB231_3060
.LBB231_3059:
	s_mov_b64 s[12:13], -1
                                        ; implicit-def: $vgpr42
	s_mov_b64 s[16:17], 0
.LBB231_3060:
	s_and_b64 vcc, exec, s[18:19]
	s_cbranch_vccz .LBB231_3064
; %bb.3061:
	v_cmp_eq_u16_e64 s[12:13], s24, 44
	s_and_b64 vcc, exec, s[12:13]
	s_cbranch_vccz .LBB231_3063
; %bb.3062:
	global_load_ubyte v3, v[12:13], off
	s_movk_i32 s16, 0xff
	v_mov_b32_e32 v5, 0x7f800001
	v_mov_b32_e32 v7, 0x400000
	s_mov_b64 s[12:13], 0
	s_waitcnt vmcnt(0)
	v_lshlrev_b32_e32 v9, 23, v3
	v_cmp_ne_u32_e32 vcc, s16, v3
	v_cndmask_b32_e32 v5, v5, v9, vcc
	v_cmp_ne_u32_e32 vcc, 0, v3
	v_cndmask_b32_e32 v42, v7, v5, vcc
	s_mov_b64 s[16:17], -1
	s_branch .LBB231_3064
.LBB231_3063:
	s_mov_b64 s[12:13], -1
                                        ; implicit-def: $vgpr42
.LBB231_3064:
	s_mov_b64 s[18:19], 0
.LBB231_3065:
	s_and_b64 vcc, exec, s[18:19]
	s_cbranch_vccz .LBB231_3069
; %bb.3066:
	v_cmp_eq_u16_e64 s[12:13], s24, 29
	s_and_b64 vcc, exec, s[12:13]
	s_cbranch_vccz .LBB231_3068
; %bb.3067:
	global_load_dwordx2 v[14:15], v[12:13], off
	s_mov_b64 s[12:13], 0
	s_mov_b64 s[16:17], -1
	s_mov_b64 s[18:19], 0
	s_waitcnt vmcnt(0)
	v_ffbh_u32_e32 v3, v15
	v_min_u32_e32 v3, 32, v3
	v_lshlrev_b64 v[14:15], v3, v[14:15]
	v_min_u32_e32 v5, 1, v14
	v_or_b32_e32 v5, v15, v5
	v_cvt_f32_u32_e32 v5, v5
	v_sub_u32_e32 v3, 32, v3
	v_ldexp_f32 v42, v5, v3
	s_branch .LBB231_3070
.LBB231_3068:
	s_mov_b64 s[12:13], -1
                                        ; implicit-def: $vgpr42
.LBB231_3069:
	s_mov_b64 s[18:19], 0
.LBB231_3070:
	s_and_b64 vcc, exec, s[18:19]
	s_cbranch_vccz .LBB231_3088
; %bb.3071:
	v_cmp_lt_i16_e64 s[16:17], s24, 27
	s_and_b64 vcc, exec, s[16:17]
	s_cbranch_vccnz .LBB231_3074
; %bb.3072:
	v_cmp_gt_i16_e64 s[16:17], s24, 27
	s_and_b64 vcc, exec, s[16:17]
	s_cbranch_vccz .LBB231_3075
; %bb.3073:
	global_load_dword v3, v[12:13], off
	s_mov_b64 s[16:17], 0
	s_waitcnt vmcnt(0)
	v_cvt_f32_u32_e32 v42, v3
	s_branch .LBB231_3076
.LBB231_3074:
	s_mov_b64 s[16:17], -1
                                        ; implicit-def: $vgpr42
	s_branch .LBB231_3079
.LBB231_3075:
	s_mov_b64 s[16:17], -1
                                        ; implicit-def: $vgpr42
.LBB231_3076:
	s_andn2_b64 vcc, exec, s[16:17]
	s_cbranch_vccnz .LBB231_3078
; %bb.3077:
	global_load_ushort v3, v[12:13], off
	s_waitcnt vmcnt(0)
	v_cvt_f32_u32_e32 v42, v3
.LBB231_3078:
	s_mov_b64 s[16:17], 0
.LBB231_3079:
	s_andn2_b64 vcc, exec, s[16:17]
	s_cbranch_vccnz .LBB231_3087
; %bb.3080:
	global_load_ubyte v3, v[12:13], off
	s_movk_i32 s16, 0x7f
                                        ; implicit-def: $sgpr26
	s_waitcnt vmcnt(0)
	v_cmp_lt_i16_e32 vcc, s16, v3
	s_mov_b64 s[16:17], 0
	s_and_saveexec_b64 s[18:19], vcc
	s_xor_b64 s[18:19], exec, s[18:19]
	s_cbranch_execz .LBB231_3101
; %bb.3081:
	s_movk_i32 s16, 0x80
	v_cmp_eq_u16_e32 vcc, s16, v3
	s_mov_b64 s[16:17], -1
                                        ; implicit-def: $sgpr26
	s_and_saveexec_b64 s[20:21], vcc
; %bb.3082:
	s_mov_b32 s26, 0x7f800001
	s_xor_b64 s[16:17], exec, -1
; %bb.3083:
	s_or_b64 exec, exec, s[20:21]
	s_and_b64 s[16:17], s[16:17], exec
	s_or_saveexec_b64 s[18:19], s[18:19]
	v_mov_b32_e32 v42, s26
	s_xor_b64 exec, exec, s[18:19]
	s_cbranch_execnz .LBB231_3102
.LBB231_3084:
	s_or_b64 exec, exec, s[18:19]
	s_and_saveexec_b64 s[18:19], s[16:17]
	s_cbranch_execz .LBB231_3086
.LBB231_3085:
	v_lshlrev_b32_e32 v5, 24, v3
	v_and_b32_e32 v3, 0xffff, v3
	v_and_b32_e32 v7, 7, v3
	v_ffbh_u32_e32 v11, v7
	v_min_u32_e32 v11, 32, v11
	v_subrev_u32_e32 v14, 28, v11
	v_bfe_u32 v9, v3, 3, 4
	v_lshlrev_b32_e32 v3, v14, v3
	v_sub_u32_e32 v11, 29, v11
	v_and_b32_e32 v3, 7, v3
	v_cmp_eq_u32_e32 vcc, 0, v9
	v_cndmask_b32_e32 v9, v9, v11, vcc
	v_cndmask_b32_e32 v3, v7, v3, vcc
	v_mov_b32_e32 v7, 0x3b800000
	v_lshlrev_b32_e32 v3, 20, v3
	v_and_b32_e32 v5, 0x80000000, v5
	v_lshl_add_u32 v7, v9, 23, v7
	v_or3_b32 v42, v5, v7, v3
.LBB231_3086:
	s_or_b64 exec, exec, s[18:19]
.LBB231_3087:
	s_mov_b64 s[16:17], -1
.LBB231_3088:
	s_mov_b64 s[18:19], 0
.LBB231_3089:
	s_and_b64 vcc, exec, s[18:19]
	s_cbranch_vccz .LBB231_3122
; %bb.3090:
	v_cmp_gt_i16_e64 s[14:15], s24, 22
	s_and_b64 vcc, exec, s[14:15]
	s_cbranch_vccz .LBB231_3100
; %bb.3091:
	v_cmp_lt_i16_e64 s[14:15], s24, 24
	s_and_b64 vcc, exec, s[14:15]
	s_cbranch_vccnz .LBB231_3103
; %bb.3092:
	v_cmp_gt_i16_e64 s[14:15], s24, 24
	s_and_b64 vcc, exec, s[14:15]
	s_cbranch_vccz .LBB231_3104
; %bb.3093:
	global_load_ubyte v3, v[12:13], off
	s_movk_i32 s14, 0x7f
                                        ; implicit-def: $sgpr20
	s_waitcnt vmcnt(0)
	v_cmp_lt_i16_e32 vcc, s14, v3
	s_mov_b64 s[14:15], 0
	s_and_saveexec_b64 s[16:17], vcc
	s_xor_b64 s[16:17], exec, s[16:17]
	s_cbranch_execz .LBB231_3116
; %bb.3094:
	s_movk_i32 s14, 0x80
	v_cmp_eq_u16_e32 vcc, s14, v3
	s_mov_b64 s[14:15], -1
                                        ; implicit-def: $sgpr20
	s_and_saveexec_b64 s[18:19], vcc
; %bb.3095:
	s_mov_b32 s20, 0x7f800001
	s_xor_b64 s[14:15], exec, -1
; %bb.3096:
	s_or_b64 exec, exec, s[18:19]
	s_and_b64 s[14:15], s[14:15], exec
	s_or_saveexec_b64 s[16:17], s[16:17]
	v_mov_b32_e32 v42, s20
	s_xor_b64 exec, exec, s[16:17]
	s_cbranch_execnz .LBB231_3117
.LBB231_3097:
	s_or_b64 exec, exec, s[16:17]
	s_and_saveexec_b64 s[16:17], s[14:15]
	s_cbranch_execz .LBB231_3099
.LBB231_3098:
	v_lshlrev_b32_e32 v5, 24, v3
	v_and_b32_e32 v3, 0xffff, v3
	v_and_b32_e32 v7, 3, v3
	v_ffbh_u32_e32 v11, v7
	v_min_u32_e32 v11, 32, v11
	v_subrev_u32_e32 v14, 29, v11
	v_bfe_u32 v9, v3, 2, 5
	v_lshlrev_b32_e32 v3, v14, v3
	v_sub_u32_e32 v11, 30, v11
	v_and_b32_e32 v3, 3, v3
	v_cmp_eq_u32_e32 vcc, 0, v9
	v_cndmask_b32_e32 v9, v9, v11, vcc
	v_cndmask_b32_e32 v3, v7, v3, vcc
	v_mov_b32_e32 v7, 0x37800000
	v_lshlrev_b32_e32 v3, 21, v3
	v_and_b32_e32 v5, 0x80000000, v5
	v_lshl_add_u32 v7, v9, 23, v7
	v_or3_b32 v42, v5, v7, v3
.LBB231_3099:
	s_or_b64 exec, exec, s[16:17]
	s_mov_b64 s[14:15], 0
	s_branch .LBB231_3105
.LBB231_3100:
	s_mov_b64 s[14:15], -1
                                        ; implicit-def: $vgpr42
	s_branch .LBB231_3111
.LBB231_3101:
	s_or_saveexec_b64 s[18:19], s[18:19]
	v_mov_b32_e32 v42, s26
	s_xor_b64 exec, exec, s[18:19]
	s_cbranch_execz .LBB231_3084
.LBB231_3102:
	v_cmp_ne_u16_e32 vcc, 0, v3
	s_andn2_b64 s[16:17], s[16:17], exec
	s_and_b64 s[20:21], vcc, exec
	v_mov_b32_e32 v42, 0
	s_or_b64 s[16:17], s[16:17], s[20:21]
	s_or_b64 exec, exec, s[18:19]
	s_and_saveexec_b64 s[18:19], s[16:17]
	s_cbranch_execnz .LBB231_3085
	s_branch .LBB231_3086
.LBB231_3103:
	s_mov_b64 s[14:15], -1
                                        ; implicit-def: $vgpr42
	s_branch .LBB231_3108
.LBB231_3104:
	s_mov_b64 s[14:15], -1
                                        ; implicit-def: $vgpr42
.LBB231_3105:
	s_and_b64 vcc, exec, s[14:15]
	s_cbranch_vccz .LBB231_3107
; %bb.3106:
	global_load_ubyte v3, v[12:13], off
	s_mov_b32 s14, 0x7f800000
	s_waitcnt vmcnt(0)
	v_lshlrev_b32_e32 v3, 24, v3
	v_and_b32_e32 v5, 0x7f000000, v3
	v_ffbh_u32_e32 v7, v5
	v_min_u32_e32 v7, 32, v7
	v_sub_u32_e64 v7, v7, 4 clamp
	v_lshlrev_b32_e32 v11, v7, v5
	v_lshlrev_b32_e32 v7, 23, v7
	v_lshrrev_b32_e32 v11, 4, v11
	v_add_u32_e32 v9, 0x1000000, v5
	v_sub_u32_e32 v7, v11, v7
	v_ashrrev_i32_e32 v9, 8, v9
	v_add_u32_e32 v7, 0x3c000000, v7
	v_and_or_b32 v7, v9, s14, v7
	v_cmp_ne_u32_e32 vcc, 0, v5
	v_cndmask_b32_e32 v5, 0, v7, vcc
	s_brev_b32 s14, 1
	v_and_or_b32 v42, v3, s14, v5
.LBB231_3107:
	s_mov_b64 s[14:15], 0
.LBB231_3108:
	s_andn2_b64 vcc, exec, s[14:15]
	s_cbranch_vccnz .LBB231_3110
; %bb.3109:
	global_load_ubyte v3, v[12:13], off
	s_movk_i32 s14, 0x7f00
	s_brev_b32 s15, 16
	s_waitcnt vmcnt(0)
	v_lshlrev_b16_e32 v5, 8, v3
	v_lshlrev_b32_e32 v3, 25, v3
	v_lshrrev_b32_e32 v7, 4, v3
	v_and_or_b32 v9, v5, s14, 0.5
	v_or_b32_e32 v7, 0x70000000, v7
	v_add_f32_e32 v9, -0.5, v9
	v_mul_f32_e32 v7, 0x7800000, v7
	v_cmp_gt_u32_e32 vcc, s15, v3
	v_bfe_i32 v5, v5, 0, 16
	v_cndmask_b32_e32 v3, v7, v9, vcc
	s_brev_b32 s14, 1
	v_and_or_b32 v42, v5, s14, v3
.LBB231_3110:
	s_mov_b64 s[14:15], 0
	s_mov_b64 s[16:17], -1
.LBB231_3111:
	s_andn2_b64 vcc, exec, s[14:15]
	s_mov_b64 s[14:15], 0
	s_cbranch_vccnz .LBB231_3122
; %bb.3112:
	v_cmp_gt_i16_e64 s[14:15], s24, 14
	s_and_b64 vcc, exec, s[14:15]
	s_cbranch_vccz .LBB231_3115
; %bb.3113:
	v_cmp_eq_u16_e64 s[12:13], s24, 15
	s_and_b64 vcc, exec, s[12:13]
	s_cbranch_vccz .LBB231_3118
; %bb.3114:
	global_load_ushort v3, v[12:13], off
	s_mov_b64 s[12:13], 0
	s_mov_b64 s[16:17], -1
	s_waitcnt vmcnt(0)
	v_lshlrev_b32_e32 v42, 16, v3
	s_branch .LBB231_3119
.LBB231_3115:
	s_mov_b64 s[18:19], -1
                                        ; implicit-def: $vgpr42
	s_branch .LBB231_3120
.LBB231_3116:
	s_or_saveexec_b64 s[16:17], s[16:17]
	v_mov_b32_e32 v42, s20
	s_xor_b64 exec, exec, s[16:17]
	s_cbranch_execz .LBB231_3097
.LBB231_3117:
	v_cmp_ne_u16_e32 vcc, 0, v3
	s_andn2_b64 s[14:15], s[14:15], exec
	s_and_b64 s[18:19], vcc, exec
	v_mov_b32_e32 v42, 0
	s_or_b64 s[14:15], s[14:15], s[18:19]
	s_or_b64 exec, exec, s[16:17]
	s_and_saveexec_b64 s[16:17], s[14:15]
	s_cbranch_execnz .LBB231_3098
	s_branch .LBB231_3099
.LBB231_3118:
	s_mov_b64 s[12:13], -1
                                        ; implicit-def: $vgpr42
.LBB231_3119:
	s_mov_b64 s[18:19], 0
.LBB231_3120:
	s_mov_b64 s[14:15], 0
	s_and_b64 vcc, exec, s[18:19]
	s_cbranch_vccz .LBB231_3122
; %bb.3121:
	v_cmp_ne_u16_e64 s[12:13], s24, 11
	s_mov_b64 s[14:15], -1
                                        ; implicit-def: $vgpr42
.LBB231_3122:
	s_and_b64 vcc, exec, s[12:13]
	s_cbranch_vccnz .LBB231_3187
; %bb.3123:
	s_andn2_b64 vcc, exec, s[14:15]
	s_cbranch_vccnz .LBB231_3125
.LBB231_3124:
	global_load_ubyte v3, v[12:13], off
	s_mov_b64 s[16:17], -1
	s_waitcnt vmcnt(0)
	v_cmp_ne_u16_e32 vcc, 0, v3
	v_cndmask_b32_e64 v42, 0, 1.0, vcc
.LBB231_3125:
	s_mov_b64 s[12:13], 0
.LBB231_3126:
	s_and_b64 vcc, exec, s[12:13]
	s_cbranch_vccz .LBB231_3175
; %bb.3127:
	v_cmp_lt_i16_e64 s[12:13], s24, 5
	s_and_b64 vcc, exec, s[12:13]
	s_cbranch_vccnz .LBB231_3132
; %bb.3128:
	v_cmp_lt_i16_e64 s[12:13], s24, 8
	s_and_b64 vcc, exec, s[12:13]
	s_cbranch_vccnz .LBB231_3133
	;; [unrolled: 4-line block ×3, first 2 shown]
; %bb.3130:
	v_cmp_gt_i16_e64 s[12:13], s24, 9
	s_and_b64 vcc, exec, s[12:13]
	s_cbranch_vccz .LBB231_3135
; %bb.3131:
	global_load_dwordx2 v[14:15], v[12:13], off
	s_mov_b64 s[12:13], 0
	s_waitcnt vmcnt(0)
	v_cvt_f32_f64_e32 v42, v[14:15]
	s_branch .LBB231_3136
.LBB231_3132:
	s_mov_b64 s[12:13], -1
                                        ; implicit-def: $vgpr42
	s_branch .LBB231_3154
.LBB231_3133:
	s_mov_b64 s[12:13], -1
                                        ; implicit-def: $vgpr42
	s_branch .LBB231_3142
.LBB231_3134:
	s_mov_b64 s[12:13], -1
                                        ; implicit-def: $vgpr42
	s_branch .LBB231_3139
.LBB231_3135:
	s_mov_b64 s[12:13], -1
                                        ; implicit-def: $vgpr42
.LBB231_3136:
	s_andn2_b64 vcc, exec, s[12:13]
	s_cbranch_vccnz .LBB231_3138
; %bb.3137:
	global_load_dword v42, v[12:13], off
.LBB231_3138:
	s_mov_b64 s[12:13], 0
.LBB231_3139:
	s_andn2_b64 vcc, exec, s[12:13]
	s_cbranch_vccnz .LBB231_3141
; %bb.3140:
	global_load_dword v3, v[12:13], off
	s_waitcnt vmcnt(0)
	v_cvt_f32_f16_e32 v42, v3
.LBB231_3141:
	s_mov_b64 s[12:13], 0
.LBB231_3142:
	s_andn2_b64 vcc, exec, s[12:13]
	s_cbranch_vccnz .LBB231_3153
; %bb.3143:
	v_cmp_lt_i16_e64 s[12:13], s24, 6
	s_and_b64 vcc, exec, s[12:13]
	s_cbranch_vccnz .LBB231_3146
; %bb.3144:
	v_cmp_gt_i16_e64 s[12:13], s24, 6
	s_and_b64 vcc, exec, s[12:13]
	s_cbranch_vccz .LBB231_3147
; %bb.3145:
	global_load_dwordx2 v[14:15], v[12:13], off
	s_mov_b64 s[12:13], 0
	s_waitcnt vmcnt(0)
	v_cvt_f32_f64_e32 v42, v[14:15]
	s_branch .LBB231_3148
.LBB231_3146:
	s_mov_b64 s[12:13], -1
                                        ; implicit-def: $vgpr42
	s_branch .LBB231_3151
.LBB231_3147:
	s_mov_b64 s[12:13], -1
                                        ; implicit-def: $vgpr42
.LBB231_3148:
	s_andn2_b64 vcc, exec, s[12:13]
	s_cbranch_vccnz .LBB231_3150
; %bb.3149:
	global_load_dword v42, v[12:13], off
.LBB231_3150:
	s_mov_b64 s[12:13], 0
.LBB231_3151:
	s_andn2_b64 vcc, exec, s[12:13]
	s_cbranch_vccnz .LBB231_3153
; %bb.3152:
	global_load_ushort v3, v[12:13], off
	s_waitcnt vmcnt(0)
	v_cvt_f32_f16_e32 v42, v3
.LBB231_3153:
	s_mov_b64 s[12:13], 0
.LBB231_3154:
	s_andn2_b64 vcc, exec, s[12:13]
	s_cbranch_vccnz .LBB231_3174
; %bb.3155:
	v_cmp_lt_i16_e64 s[12:13], s24, 2
	s_and_b64 vcc, exec, s[12:13]
	s_cbranch_vccnz .LBB231_3159
; %bb.3156:
	v_cmp_lt_i16_e64 s[12:13], s24, 3
	s_and_b64 vcc, exec, s[12:13]
	s_cbranch_vccnz .LBB231_3160
; %bb.3157:
	v_cmp_gt_i16_e64 s[12:13], s24, 3
	s_and_b64 vcc, exec, s[12:13]
	s_cbranch_vccz .LBB231_3161
; %bb.3158:
	global_load_dwordx2 v[14:15], v[12:13], off
	s_mov_b64 s[12:13], 0
	s_waitcnt vmcnt(0)
	v_xor_b32_e32 v5, v14, v15
	v_ffbh_i32_e32 v3, v15
	v_ashrrev_i32_e32 v5, 31, v5
	v_add_u32_e32 v3, -1, v3
	v_add_u32_e32 v5, 32, v5
	v_min_u32_e32 v3, v3, v5
	v_lshlrev_b64 v[14:15], v3, v[14:15]
	v_min_u32_e32 v5, 1, v14
	v_or_b32_e32 v5, v15, v5
	v_cvt_f32_i32_e32 v5, v5
	v_sub_u32_e32 v3, 32, v3
	v_ldexp_f32 v42, v5, v3
	s_branch .LBB231_3162
.LBB231_3159:
	s_mov_b64 s[12:13], -1
                                        ; implicit-def: $vgpr42
	s_branch .LBB231_3168
.LBB231_3160:
	s_mov_b64 s[12:13], -1
                                        ; implicit-def: $vgpr42
	s_branch .LBB231_3165
.LBB231_3161:
	s_mov_b64 s[12:13], -1
                                        ; implicit-def: $vgpr42
.LBB231_3162:
	s_andn2_b64 vcc, exec, s[12:13]
	s_cbranch_vccnz .LBB231_3164
; %bb.3163:
	global_load_dword v3, v[12:13], off
	s_waitcnt vmcnt(0)
	v_cvt_f32_i32_e32 v42, v3
.LBB231_3164:
	s_mov_b64 s[12:13], 0
.LBB231_3165:
	s_andn2_b64 vcc, exec, s[12:13]
	s_cbranch_vccnz .LBB231_3167
; %bb.3166:
	global_load_sshort v3, v[12:13], off
	s_waitcnt vmcnt(0)
	v_cvt_f32_i32_e32 v42, v3
.LBB231_3167:
	s_mov_b64 s[12:13], 0
.LBB231_3168:
	s_andn2_b64 vcc, exec, s[12:13]
	s_cbranch_vccnz .LBB231_3174
; %bb.3169:
	v_cmp_gt_i16_e64 s[12:13], s24, 0
	s_and_b64 vcc, exec, s[12:13]
	s_cbranch_vccz .LBB231_3171
; %bb.3170:
	global_load_sbyte v3, v[12:13], off
	s_mov_b64 s[12:13], 0
	s_waitcnt vmcnt(0)
	v_cvt_f32_i32_e32 v42, v3
	s_branch .LBB231_3172
.LBB231_3171:
	s_mov_b64 s[12:13], -1
                                        ; implicit-def: $vgpr42
.LBB231_3172:
	s_andn2_b64 vcc, exec, s[12:13]
	s_cbranch_vccnz .LBB231_3174
; %bb.3173:
	global_load_ubyte v3, v[12:13], off
	s_waitcnt vmcnt(0)
	v_cvt_f32_ubyte0_e32 v42, v3
.LBB231_3174:
	s_mov_b64 s[16:17], -1
.LBB231_3175:
	s_andn2_b64 vcc, exec, s[16:17]
	s_cbranch_vccnz .LBB231_4149
; %bb.3176:
	v_mov_b32_e32 v3, s9
	v_add_co_u32_e32 v10, vcc, s8, v10
	v_addc_co_u32_e32 v11, vcc, 0, v3, vcc
	s_and_b64 vcc, exec, s[10:11]
	s_cbranch_vccnz .LBB231_3183
; %bb.3177:
	v_cmp_gt_i16_e64 s[12:13], s25, 25
	s_mov_b64 s[14:15], 0
	s_and_b64 vcc, exec, s[12:13]
	s_cbranch_vccz .LBB231_3184
; %bb.3178:
	v_cmp_gt_i16_e64 s[12:13], s25, 28
	s_and_b64 vcc, exec, s[12:13]
	s_cbranch_vccz .LBB231_3185
; %bb.3179:
	v_cmp_gt_i16_e64 s[12:13], s25, 43
	;; [unrolled: 4-line block ×3, first 2 shown]
	s_and_b64 vcc, exec, s[12:13]
	s_cbranch_vccz .LBB231_3188
; %bb.3181:
	v_cmp_eq_u16_e64 s[12:13], s25, 46
	s_mov_b64 s[18:19], 0
	s_and_b64 vcc, exec, s[12:13]
	s_cbranch_vccz .LBB231_3189
; %bb.3182:
	global_load_dword v3, v[10:11], off
	s_mov_b64 s[12:13], 0
	s_mov_b64 s[16:17], -1
	s_waitcnt vmcnt(0)
	v_lshlrev_b32_e32 v43, 16, v3
	s_branch .LBB231_3190
.LBB231_3183:
	s_mov_b64 s[12:13], -1
	s_mov_b64 s[16:17], 0
                                        ; implicit-def: $vgpr43
	s_branch .LBB231_3256
.LBB231_3184:
	s_mov_b64 s[18:19], -1
	s_mov_b64 s[16:17], 0
	s_mov_b64 s[12:13], 0
                                        ; implicit-def: $vgpr43
	s_branch .LBB231_3219
.LBB231_3185:
	s_mov_b64 s[18:19], -1
	s_mov_b64 s[16:17], 0
	s_mov_b64 s[12:13], 0
                                        ; implicit-def: $vgpr43
	s_branch .LBB231_3200
.LBB231_3186:
	s_mov_b64 s[18:19], -1
	s_mov_b64 s[16:17], 0
	s_mov_b64 s[12:13], 0
                                        ; implicit-def: $vgpr43
	s_branch .LBB231_3195
.LBB231_3187:
	s_trap 2
	s_or_b64 s[40:41], s[40:41], exec
                                        ; implicit-def: $vgpr42
	s_cbranch_execz .LBB231_3124
	s_branch .LBB231_3125
.LBB231_3188:
	s_mov_b64 s[18:19], -1
	s_mov_b64 s[16:17], 0
	s_mov_b64 s[12:13], 0
                                        ; implicit-def: $vgpr43
	s_branch .LBB231_3190
.LBB231_3189:
	s_mov_b64 s[12:13], -1
                                        ; implicit-def: $vgpr43
	s_mov_b64 s[16:17], 0
.LBB231_3190:
	s_and_b64 vcc, exec, s[18:19]
	s_cbranch_vccz .LBB231_3194
; %bb.3191:
	v_cmp_eq_u16_e64 s[12:13], s25, 44
	s_and_b64 vcc, exec, s[12:13]
	s_cbranch_vccz .LBB231_3193
; %bb.3192:
	global_load_ubyte v3, v[10:11], off
	s_movk_i32 s16, 0xff
	v_mov_b32_e32 v5, 0x7f800001
	v_mov_b32_e32 v7, 0x400000
	s_mov_b64 s[12:13], 0
	s_waitcnt vmcnt(0)
	v_lshlrev_b32_e32 v9, 23, v3
	v_cmp_ne_u32_e32 vcc, s16, v3
	v_cndmask_b32_e32 v5, v5, v9, vcc
	v_cmp_ne_u32_e32 vcc, 0, v3
	v_cndmask_b32_e32 v43, v7, v5, vcc
	s_mov_b64 s[16:17], -1
	s_branch .LBB231_3194
.LBB231_3193:
	s_mov_b64 s[12:13], -1
                                        ; implicit-def: $vgpr43
.LBB231_3194:
	s_mov_b64 s[18:19], 0
.LBB231_3195:
	s_and_b64 vcc, exec, s[18:19]
	s_cbranch_vccz .LBB231_3199
; %bb.3196:
	v_cmp_eq_u16_e64 s[12:13], s25, 29
	s_and_b64 vcc, exec, s[12:13]
	s_cbranch_vccz .LBB231_3198
; %bb.3197:
	global_load_dwordx2 v[12:13], v[10:11], off
	s_mov_b64 s[12:13], 0
	s_mov_b64 s[16:17], -1
	s_mov_b64 s[18:19], 0
	s_waitcnt vmcnt(0)
	v_ffbh_u32_e32 v3, v13
	v_min_u32_e32 v3, 32, v3
	v_lshlrev_b64 v[12:13], v3, v[12:13]
	v_min_u32_e32 v5, 1, v12
	v_or_b32_e32 v5, v13, v5
	v_cvt_f32_u32_e32 v5, v5
	v_sub_u32_e32 v3, 32, v3
	v_ldexp_f32 v43, v5, v3
	s_branch .LBB231_3200
.LBB231_3198:
	s_mov_b64 s[12:13], -1
                                        ; implicit-def: $vgpr43
.LBB231_3199:
	s_mov_b64 s[18:19], 0
.LBB231_3200:
	s_and_b64 vcc, exec, s[18:19]
	s_cbranch_vccz .LBB231_3218
; %bb.3201:
	v_cmp_lt_i16_e64 s[16:17], s25, 27
	s_and_b64 vcc, exec, s[16:17]
	s_cbranch_vccnz .LBB231_3204
; %bb.3202:
	v_cmp_gt_i16_e64 s[16:17], s25, 27
	s_and_b64 vcc, exec, s[16:17]
	s_cbranch_vccz .LBB231_3205
; %bb.3203:
	global_load_dword v3, v[10:11], off
	s_mov_b64 s[16:17], 0
	s_waitcnt vmcnt(0)
	v_cvt_f32_u32_e32 v43, v3
	s_branch .LBB231_3206
.LBB231_3204:
	s_mov_b64 s[16:17], -1
                                        ; implicit-def: $vgpr43
	s_branch .LBB231_3209
.LBB231_3205:
	s_mov_b64 s[16:17], -1
                                        ; implicit-def: $vgpr43
.LBB231_3206:
	s_andn2_b64 vcc, exec, s[16:17]
	s_cbranch_vccnz .LBB231_3208
; %bb.3207:
	global_load_ushort v3, v[10:11], off
	s_waitcnt vmcnt(0)
	v_cvt_f32_u32_e32 v43, v3
.LBB231_3208:
	s_mov_b64 s[16:17], 0
.LBB231_3209:
	s_andn2_b64 vcc, exec, s[16:17]
	s_cbranch_vccnz .LBB231_3217
; %bb.3210:
	global_load_ubyte v3, v[10:11], off
	s_movk_i32 s16, 0x7f
                                        ; implicit-def: $sgpr26
	s_waitcnt vmcnt(0)
	v_cmp_lt_i16_e32 vcc, s16, v3
	s_mov_b64 s[16:17], 0
	s_and_saveexec_b64 s[18:19], vcc
	s_xor_b64 s[18:19], exec, s[18:19]
	s_cbranch_execz .LBB231_3231
; %bb.3211:
	s_movk_i32 s16, 0x80
	v_cmp_eq_u16_e32 vcc, s16, v3
	s_mov_b64 s[16:17], -1
                                        ; implicit-def: $sgpr26
	s_and_saveexec_b64 s[20:21], vcc
; %bb.3212:
	s_mov_b32 s26, 0x7f800001
	s_xor_b64 s[16:17], exec, -1
; %bb.3213:
	s_or_b64 exec, exec, s[20:21]
	s_and_b64 s[16:17], s[16:17], exec
	s_or_saveexec_b64 s[18:19], s[18:19]
	v_mov_b32_e32 v43, s26
	s_xor_b64 exec, exec, s[18:19]
	s_cbranch_execnz .LBB231_3232
.LBB231_3214:
	s_or_b64 exec, exec, s[18:19]
	s_and_saveexec_b64 s[18:19], s[16:17]
	s_cbranch_execz .LBB231_3216
.LBB231_3215:
	v_lshlrev_b32_e32 v5, 24, v3
	v_and_b32_e32 v3, 0xffff, v3
	v_and_b32_e32 v7, 7, v3
	v_ffbh_u32_e32 v12, v7
	v_min_u32_e32 v12, 32, v12
	v_subrev_u32_e32 v13, 28, v12
	v_bfe_u32 v9, v3, 3, 4
	v_lshlrev_b32_e32 v3, v13, v3
	v_sub_u32_e32 v12, 29, v12
	v_and_b32_e32 v3, 7, v3
	v_cmp_eq_u32_e32 vcc, 0, v9
	v_cndmask_b32_e32 v9, v9, v12, vcc
	v_cndmask_b32_e32 v3, v7, v3, vcc
	v_mov_b32_e32 v7, 0x3b800000
	v_lshlrev_b32_e32 v3, 20, v3
	v_and_b32_e32 v5, 0x80000000, v5
	v_lshl_add_u32 v7, v9, 23, v7
	v_or3_b32 v43, v5, v7, v3
.LBB231_3216:
	s_or_b64 exec, exec, s[18:19]
.LBB231_3217:
	s_mov_b64 s[16:17], -1
.LBB231_3218:
	s_mov_b64 s[18:19], 0
.LBB231_3219:
	s_and_b64 vcc, exec, s[18:19]
	s_cbranch_vccz .LBB231_3252
; %bb.3220:
	v_cmp_gt_i16_e64 s[14:15], s25, 22
	s_and_b64 vcc, exec, s[14:15]
	s_cbranch_vccz .LBB231_3230
; %bb.3221:
	v_cmp_lt_i16_e64 s[14:15], s25, 24
	s_and_b64 vcc, exec, s[14:15]
	s_cbranch_vccnz .LBB231_3233
; %bb.3222:
	v_cmp_gt_i16_e64 s[14:15], s25, 24
	s_and_b64 vcc, exec, s[14:15]
	s_cbranch_vccz .LBB231_3234
; %bb.3223:
	global_load_ubyte v3, v[10:11], off
	s_movk_i32 s14, 0x7f
                                        ; implicit-def: $sgpr20
	s_waitcnt vmcnt(0)
	v_cmp_lt_i16_e32 vcc, s14, v3
	s_mov_b64 s[14:15], 0
	s_and_saveexec_b64 s[16:17], vcc
	s_xor_b64 s[16:17], exec, s[16:17]
	s_cbranch_execz .LBB231_3246
; %bb.3224:
	s_movk_i32 s14, 0x80
	v_cmp_eq_u16_e32 vcc, s14, v3
	s_mov_b64 s[14:15], -1
                                        ; implicit-def: $sgpr20
	s_and_saveexec_b64 s[18:19], vcc
; %bb.3225:
	s_mov_b32 s20, 0x7f800001
	s_xor_b64 s[14:15], exec, -1
; %bb.3226:
	s_or_b64 exec, exec, s[18:19]
	s_and_b64 s[14:15], s[14:15], exec
	s_or_saveexec_b64 s[16:17], s[16:17]
	v_mov_b32_e32 v43, s20
	s_xor_b64 exec, exec, s[16:17]
	s_cbranch_execnz .LBB231_3247
.LBB231_3227:
	s_or_b64 exec, exec, s[16:17]
	s_and_saveexec_b64 s[16:17], s[14:15]
	s_cbranch_execz .LBB231_3229
.LBB231_3228:
	v_lshlrev_b32_e32 v5, 24, v3
	v_and_b32_e32 v3, 0xffff, v3
	v_and_b32_e32 v7, 3, v3
	v_ffbh_u32_e32 v12, v7
	v_min_u32_e32 v12, 32, v12
	v_subrev_u32_e32 v13, 29, v12
	v_bfe_u32 v9, v3, 2, 5
	v_lshlrev_b32_e32 v3, v13, v3
	v_sub_u32_e32 v12, 30, v12
	v_and_b32_e32 v3, 3, v3
	v_cmp_eq_u32_e32 vcc, 0, v9
	v_cndmask_b32_e32 v9, v9, v12, vcc
	v_cndmask_b32_e32 v3, v7, v3, vcc
	v_mov_b32_e32 v7, 0x37800000
	v_lshlrev_b32_e32 v3, 21, v3
	v_and_b32_e32 v5, 0x80000000, v5
	v_lshl_add_u32 v7, v9, 23, v7
	v_or3_b32 v43, v5, v7, v3
.LBB231_3229:
	s_or_b64 exec, exec, s[16:17]
	s_mov_b64 s[14:15], 0
	s_branch .LBB231_3235
.LBB231_3230:
	s_mov_b64 s[14:15], -1
                                        ; implicit-def: $vgpr43
	s_branch .LBB231_3241
.LBB231_3231:
	s_or_saveexec_b64 s[18:19], s[18:19]
	v_mov_b32_e32 v43, s26
	s_xor_b64 exec, exec, s[18:19]
	s_cbranch_execz .LBB231_3214
.LBB231_3232:
	v_cmp_ne_u16_e32 vcc, 0, v3
	s_andn2_b64 s[16:17], s[16:17], exec
	s_and_b64 s[20:21], vcc, exec
	v_mov_b32_e32 v43, 0
	s_or_b64 s[16:17], s[16:17], s[20:21]
	s_or_b64 exec, exec, s[18:19]
	s_and_saveexec_b64 s[18:19], s[16:17]
	s_cbranch_execnz .LBB231_3215
	s_branch .LBB231_3216
.LBB231_3233:
	s_mov_b64 s[14:15], -1
                                        ; implicit-def: $vgpr43
	s_branch .LBB231_3238
.LBB231_3234:
	s_mov_b64 s[14:15], -1
                                        ; implicit-def: $vgpr43
.LBB231_3235:
	s_and_b64 vcc, exec, s[14:15]
	s_cbranch_vccz .LBB231_3237
; %bb.3236:
	global_load_ubyte v3, v[10:11], off
	s_mov_b32 s14, 0x7f800000
	s_waitcnt vmcnt(0)
	v_lshlrev_b32_e32 v3, 24, v3
	v_and_b32_e32 v5, 0x7f000000, v3
	v_ffbh_u32_e32 v7, v5
	v_min_u32_e32 v7, 32, v7
	v_sub_u32_e64 v7, v7, 4 clamp
	v_lshlrev_b32_e32 v12, v7, v5
	v_lshlrev_b32_e32 v7, 23, v7
	v_lshrrev_b32_e32 v12, 4, v12
	v_add_u32_e32 v9, 0x1000000, v5
	v_sub_u32_e32 v7, v12, v7
	v_ashrrev_i32_e32 v9, 8, v9
	v_add_u32_e32 v7, 0x3c000000, v7
	v_and_or_b32 v7, v9, s14, v7
	v_cmp_ne_u32_e32 vcc, 0, v5
	v_cndmask_b32_e32 v5, 0, v7, vcc
	s_brev_b32 s14, 1
	v_and_or_b32 v43, v3, s14, v5
.LBB231_3237:
	s_mov_b64 s[14:15], 0
.LBB231_3238:
	s_andn2_b64 vcc, exec, s[14:15]
	s_cbranch_vccnz .LBB231_3240
; %bb.3239:
	global_load_ubyte v3, v[10:11], off
	s_movk_i32 s14, 0x7f00
	s_brev_b32 s15, 16
	s_waitcnt vmcnt(0)
	v_lshlrev_b16_e32 v5, 8, v3
	v_lshlrev_b32_e32 v3, 25, v3
	v_lshrrev_b32_e32 v7, 4, v3
	v_and_or_b32 v9, v5, s14, 0.5
	v_or_b32_e32 v7, 0x70000000, v7
	v_add_f32_e32 v9, -0.5, v9
	v_mul_f32_e32 v7, 0x7800000, v7
	v_cmp_gt_u32_e32 vcc, s15, v3
	v_bfe_i32 v5, v5, 0, 16
	v_cndmask_b32_e32 v3, v7, v9, vcc
	s_brev_b32 s14, 1
	v_and_or_b32 v43, v5, s14, v3
.LBB231_3240:
	s_mov_b64 s[14:15], 0
	s_mov_b64 s[16:17], -1
.LBB231_3241:
	s_andn2_b64 vcc, exec, s[14:15]
	s_mov_b64 s[14:15], 0
	s_cbranch_vccnz .LBB231_3252
; %bb.3242:
	v_cmp_gt_i16_e64 s[14:15], s25, 14
	s_and_b64 vcc, exec, s[14:15]
	s_cbranch_vccz .LBB231_3245
; %bb.3243:
	v_cmp_eq_u16_e64 s[12:13], s25, 15
	s_and_b64 vcc, exec, s[12:13]
	s_cbranch_vccz .LBB231_3248
; %bb.3244:
	global_load_ushort v3, v[10:11], off
	s_mov_b64 s[12:13], 0
	s_mov_b64 s[16:17], -1
	s_waitcnt vmcnt(0)
	v_lshlrev_b32_e32 v43, 16, v3
	s_branch .LBB231_3249
.LBB231_3245:
	s_mov_b64 s[18:19], -1
                                        ; implicit-def: $vgpr43
	s_branch .LBB231_3250
.LBB231_3246:
	s_or_saveexec_b64 s[16:17], s[16:17]
	v_mov_b32_e32 v43, s20
	s_xor_b64 exec, exec, s[16:17]
	s_cbranch_execz .LBB231_3227
.LBB231_3247:
	v_cmp_ne_u16_e32 vcc, 0, v3
	s_andn2_b64 s[14:15], s[14:15], exec
	s_and_b64 s[18:19], vcc, exec
	v_mov_b32_e32 v43, 0
	s_or_b64 s[14:15], s[14:15], s[18:19]
	s_or_b64 exec, exec, s[16:17]
	s_and_saveexec_b64 s[16:17], s[14:15]
	s_cbranch_execnz .LBB231_3228
	s_branch .LBB231_3229
.LBB231_3248:
	s_mov_b64 s[12:13], -1
                                        ; implicit-def: $vgpr43
.LBB231_3249:
	s_mov_b64 s[18:19], 0
.LBB231_3250:
	s_mov_b64 s[14:15], 0
	s_and_b64 vcc, exec, s[18:19]
	s_cbranch_vccz .LBB231_3252
; %bb.3251:
	v_cmp_ne_u16_e64 s[12:13], s25, 11
	s_mov_b64 s[14:15], -1
                                        ; implicit-def: $vgpr43
.LBB231_3252:
	s_and_b64 vcc, exec, s[12:13]
	s_cbranch_vccnz .LBB231_3317
; %bb.3253:
	s_andn2_b64 vcc, exec, s[14:15]
	s_cbranch_vccnz .LBB231_3255
.LBB231_3254:
	global_load_ubyte v3, v[10:11], off
	s_mov_b64 s[16:17], -1
	s_waitcnt vmcnt(0)
	v_cmp_ne_u16_e32 vcc, 0, v3
	v_cndmask_b32_e64 v43, 0, 1.0, vcc
.LBB231_3255:
	s_mov_b64 s[12:13], 0
.LBB231_3256:
	s_and_b64 vcc, exec, s[12:13]
	s_cbranch_vccz .LBB231_3305
; %bb.3257:
	v_cmp_lt_i16_e64 s[12:13], s25, 5
	s_and_b64 vcc, exec, s[12:13]
	s_cbranch_vccnz .LBB231_3262
; %bb.3258:
	v_cmp_lt_i16_e64 s[12:13], s25, 8
	s_and_b64 vcc, exec, s[12:13]
	s_cbranch_vccnz .LBB231_3263
	;; [unrolled: 4-line block ×3, first 2 shown]
; %bb.3260:
	v_cmp_gt_i16_e64 s[12:13], s25, 9
	s_and_b64 vcc, exec, s[12:13]
	s_cbranch_vccz .LBB231_3265
; %bb.3261:
	global_load_dwordx2 v[12:13], v[10:11], off
	s_mov_b64 s[12:13], 0
	s_waitcnt vmcnt(0)
	v_cvt_f32_f64_e32 v43, v[12:13]
	s_branch .LBB231_3266
.LBB231_3262:
	s_mov_b64 s[12:13], -1
                                        ; implicit-def: $vgpr43
	s_branch .LBB231_3284
.LBB231_3263:
	s_mov_b64 s[12:13], -1
                                        ; implicit-def: $vgpr43
	s_branch .LBB231_3272
.LBB231_3264:
	s_mov_b64 s[12:13], -1
                                        ; implicit-def: $vgpr43
	s_branch .LBB231_3269
.LBB231_3265:
	s_mov_b64 s[12:13], -1
                                        ; implicit-def: $vgpr43
.LBB231_3266:
	s_andn2_b64 vcc, exec, s[12:13]
	s_cbranch_vccnz .LBB231_3268
; %bb.3267:
	global_load_dword v43, v[10:11], off
.LBB231_3268:
	s_mov_b64 s[12:13], 0
.LBB231_3269:
	s_andn2_b64 vcc, exec, s[12:13]
	s_cbranch_vccnz .LBB231_3271
; %bb.3270:
	global_load_dword v3, v[10:11], off
	s_waitcnt vmcnt(0)
	v_cvt_f32_f16_e32 v43, v3
.LBB231_3271:
	s_mov_b64 s[12:13], 0
.LBB231_3272:
	s_andn2_b64 vcc, exec, s[12:13]
	s_cbranch_vccnz .LBB231_3283
; %bb.3273:
	v_cmp_lt_i16_e64 s[12:13], s25, 6
	s_and_b64 vcc, exec, s[12:13]
	s_cbranch_vccnz .LBB231_3276
; %bb.3274:
	v_cmp_gt_i16_e64 s[12:13], s25, 6
	s_and_b64 vcc, exec, s[12:13]
	s_cbranch_vccz .LBB231_3277
; %bb.3275:
	global_load_dwordx2 v[12:13], v[10:11], off
	s_mov_b64 s[12:13], 0
	s_waitcnt vmcnt(0)
	v_cvt_f32_f64_e32 v43, v[12:13]
	s_branch .LBB231_3278
.LBB231_3276:
	s_mov_b64 s[12:13], -1
                                        ; implicit-def: $vgpr43
	s_branch .LBB231_3281
.LBB231_3277:
	s_mov_b64 s[12:13], -1
                                        ; implicit-def: $vgpr43
.LBB231_3278:
	s_andn2_b64 vcc, exec, s[12:13]
	s_cbranch_vccnz .LBB231_3280
; %bb.3279:
	global_load_dword v43, v[10:11], off
.LBB231_3280:
	s_mov_b64 s[12:13], 0
.LBB231_3281:
	s_andn2_b64 vcc, exec, s[12:13]
	s_cbranch_vccnz .LBB231_3283
; %bb.3282:
	global_load_ushort v3, v[10:11], off
	s_waitcnt vmcnt(0)
	v_cvt_f32_f16_e32 v43, v3
.LBB231_3283:
	s_mov_b64 s[12:13], 0
.LBB231_3284:
	s_andn2_b64 vcc, exec, s[12:13]
	s_cbranch_vccnz .LBB231_3304
; %bb.3285:
	v_cmp_lt_i16_e64 s[12:13], s25, 2
	s_and_b64 vcc, exec, s[12:13]
	s_cbranch_vccnz .LBB231_3289
; %bb.3286:
	v_cmp_lt_i16_e64 s[12:13], s25, 3
	s_and_b64 vcc, exec, s[12:13]
	s_cbranch_vccnz .LBB231_3290
; %bb.3287:
	v_cmp_gt_i16_e64 s[12:13], s25, 3
	s_and_b64 vcc, exec, s[12:13]
	s_cbranch_vccz .LBB231_3291
; %bb.3288:
	global_load_dwordx2 v[12:13], v[10:11], off
	s_mov_b64 s[12:13], 0
	s_waitcnt vmcnt(0)
	v_xor_b32_e32 v5, v12, v13
	v_ffbh_i32_e32 v3, v13
	v_ashrrev_i32_e32 v5, 31, v5
	v_add_u32_e32 v3, -1, v3
	v_add_u32_e32 v5, 32, v5
	v_min_u32_e32 v3, v3, v5
	v_lshlrev_b64 v[12:13], v3, v[12:13]
	v_min_u32_e32 v5, 1, v12
	v_or_b32_e32 v5, v13, v5
	v_cvt_f32_i32_e32 v5, v5
	v_sub_u32_e32 v3, 32, v3
	v_ldexp_f32 v43, v5, v3
	s_branch .LBB231_3292
.LBB231_3289:
	s_mov_b64 s[12:13], -1
                                        ; implicit-def: $vgpr43
	s_branch .LBB231_3298
.LBB231_3290:
	s_mov_b64 s[12:13], -1
                                        ; implicit-def: $vgpr43
	s_branch .LBB231_3295
.LBB231_3291:
	s_mov_b64 s[12:13], -1
                                        ; implicit-def: $vgpr43
.LBB231_3292:
	s_andn2_b64 vcc, exec, s[12:13]
	s_cbranch_vccnz .LBB231_3294
; %bb.3293:
	global_load_dword v3, v[10:11], off
	s_waitcnt vmcnt(0)
	v_cvt_f32_i32_e32 v43, v3
.LBB231_3294:
	s_mov_b64 s[12:13], 0
.LBB231_3295:
	s_andn2_b64 vcc, exec, s[12:13]
	s_cbranch_vccnz .LBB231_3297
; %bb.3296:
	global_load_sshort v3, v[10:11], off
	s_waitcnt vmcnt(0)
	v_cvt_f32_i32_e32 v43, v3
.LBB231_3297:
	s_mov_b64 s[12:13], 0
.LBB231_3298:
	s_andn2_b64 vcc, exec, s[12:13]
	s_cbranch_vccnz .LBB231_3304
; %bb.3299:
	v_cmp_gt_i16_e64 s[12:13], s25, 0
	s_and_b64 vcc, exec, s[12:13]
	s_cbranch_vccz .LBB231_3301
; %bb.3300:
	global_load_sbyte v3, v[10:11], off
	s_mov_b64 s[12:13], 0
	s_waitcnt vmcnt(0)
	v_cvt_f32_i32_e32 v43, v3
	s_branch .LBB231_3302
.LBB231_3301:
	s_mov_b64 s[12:13], -1
                                        ; implicit-def: $vgpr43
.LBB231_3302:
	s_andn2_b64 vcc, exec, s[12:13]
	s_cbranch_vccnz .LBB231_3304
; %bb.3303:
	global_load_ubyte v3, v[10:11], off
	s_waitcnt vmcnt(0)
	v_cvt_f32_ubyte0_e32 v43, v3
.LBB231_3304:
	s_mov_b64 s[16:17], -1
.LBB231_3305:
	s_andn2_b64 vcc, exec, s[16:17]
	s_cbranch_vccnz .LBB231_4149
; %bb.3306:
	v_mov_b32_e32 v3, s31
	v_add_co_u32_e32 v8, vcc, s30, v8
	v_addc_co_u32_e32 v9, vcc, 0, v3, vcc
	v_mov_b32_e32 v3, 11
	v_cmp_lt_i16_sdwa s[12:13], s23, v3 src0_sel:BYTE_0 src1_sel:DWORD
	s_and_b64 vcc, exec, s[12:13]
	s_cbranch_vccnz .LBB231_3313
; %bb.3307:
	v_mov_b32_e32 v3, 25
	v_cmp_gt_i16_sdwa s[12:13], s23, v3 src0_sel:BYTE_0 src1_sel:DWORD
	s_mov_b64 s[14:15], 0
	s_and_b64 vcc, exec, s[12:13]
	s_cbranch_vccz .LBB231_3314
; %bb.3308:
	v_mov_b32_e32 v3, 28
	v_cmp_gt_i16_sdwa s[12:13], s23, v3 src0_sel:BYTE_0 src1_sel:DWORD
	s_and_b64 vcc, exec, s[12:13]
	s_cbranch_vccz .LBB231_3315
; %bb.3309:
	v_mov_b32_e32 v3, 43
	v_cmp_gt_i16_sdwa s[12:13], s23, v3 src0_sel:BYTE_0 src1_sel:DWORD
	s_and_b64 vcc, exec, s[12:13]
	s_cbranch_vccz .LBB231_3316
; %bb.3310:
	v_mov_b32_e32 v3, 45
	v_cmp_gt_i16_sdwa s[12:13], s23, v3 src0_sel:BYTE_0 src1_sel:DWORD
	s_and_b64 vcc, exec, s[12:13]
	s_cbranch_vccz .LBB231_3318
; %bb.3311:
	v_mov_b32_e32 v3, 46
	v_cmp_eq_u16_sdwa s[12:13], s23, v3 src0_sel:BYTE_0 src1_sel:DWORD
	s_mov_b64 s[18:19], 0
	s_and_b64 vcc, exec, s[12:13]
	s_cbranch_vccz .LBB231_3319
; %bb.3312:
	global_load_dword v3, v[8:9], off
	s_mov_b64 s[12:13], 0
	s_mov_b64 s[16:17], -1
	s_waitcnt vmcnt(0)
	v_lshlrev_b32_e32 v44, 16, v3
	s_branch .LBB231_3320
.LBB231_3313:
	s_mov_b64 s[12:13], -1
	s_mov_b64 s[16:17], 0
                                        ; implicit-def: $vgpr44
	s_branch .LBB231_3386
.LBB231_3314:
	s_mov_b64 s[18:19], -1
	s_mov_b64 s[16:17], 0
	s_mov_b64 s[12:13], 0
                                        ; implicit-def: $vgpr44
	s_branch .LBB231_3349
.LBB231_3315:
	s_mov_b64 s[18:19], -1
	s_mov_b64 s[16:17], 0
	s_mov_b64 s[12:13], 0
                                        ; implicit-def: $vgpr44
	s_branch .LBB231_3330
.LBB231_3316:
	s_mov_b64 s[18:19], -1
	s_mov_b64 s[16:17], 0
	s_mov_b64 s[12:13], 0
                                        ; implicit-def: $vgpr44
	s_branch .LBB231_3325
.LBB231_3317:
	s_trap 2
	s_or_b64 s[40:41], s[40:41], exec
                                        ; implicit-def: $vgpr43
	s_cbranch_execz .LBB231_3254
	s_branch .LBB231_3255
.LBB231_3318:
	s_mov_b64 s[18:19], -1
	s_mov_b64 s[16:17], 0
	s_mov_b64 s[12:13], 0
                                        ; implicit-def: $vgpr44
	s_branch .LBB231_3320
.LBB231_3319:
	s_mov_b64 s[12:13], -1
                                        ; implicit-def: $vgpr44
	s_mov_b64 s[16:17], 0
.LBB231_3320:
	s_and_b64 vcc, exec, s[18:19]
	s_cbranch_vccz .LBB231_3324
; %bb.3321:
	v_mov_b32_e32 v3, 44
	v_cmp_eq_u16_sdwa s[12:13], s23, v3 src0_sel:BYTE_0 src1_sel:DWORD
	s_and_b64 vcc, exec, s[12:13]
	s_cbranch_vccz .LBB231_3323
; %bb.3322:
	global_load_ubyte v3, v[8:9], off
	s_movk_i32 s16, 0xff
	v_mov_b32_e32 v5, 0x7f800001
	v_mov_b32_e32 v7, 0x400000
	s_mov_b64 s[12:13], 0
	s_waitcnt vmcnt(0)
	v_lshlrev_b32_e32 v10, 23, v3
	v_cmp_ne_u32_e32 vcc, s16, v3
	v_cndmask_b32_e32 v5, v5, v10, vcc
	v_cmp_ne_u32_e32 vcc, 0, v3
	v_cndmask_b32_e32 v44, v7, v5, vcc
	s_mov_b64 s[16:17], -1
	s_branch .LBB231_3324
.LBB231_3323:
	s_mov_b64 s[12:13], -1
                                        ; implicit-def: $vgpr44
.LBB231_3324:
	s_mov_b64 s[18:19], 0
.LBB231_3325:
	s_and_b64 vcc, exec, s[18:19]
	s_cbranch_vccz .LBB231_3329
; %bb.3326:
	v_mov_b32_e32 v3, 29
	v_cmp_eq_u16_sdwa s[12:13], s23, v3 src0_sel:BYTE_0 src1_sel:DWORD
	s_and_b64 vcc, exec, s[12:13]
	s_cbranch_vccz .LBB231_3328
; %bb.3327:
	global_load_dwordx2 v[10:11], v[8:9], off
	s_mov_b64 s[12:13], 0
	s_mov_b64 s[16:17], -1
	s_mov_b64 s[18:19], 0
	s_waitcnt vmcnt(0)
	v_ffbh_u32_e32 v3, v11
	v_min_u32_e32 v3, 32, v3
	v_lshlrev_b64 v[10:11], v3, v[10:11]
	v_min_u32_e32 v5, 1, v10
	v_or_b32_e32 v5, v11, v5
	v_cvt_f32_u32_e32 v5, v5
	v_sub_u32_e32 v3, 32, v3
	v_ldexp_f32 v44, v5, v3
	s_branch .LBB231_3330
.LBB231_3328:
	s_mov_b64 s[12:13], -1
                                        ; implicit-def: $vgpr44
.LBB231_3329:
	s_mov_b64 s[18:19], 0
.LBB231_3330:
	s_and_b64 vcc, exec, s[18:19]
	s_cbranch_vccz .LBB231_3348
; %bb.3331:
	v_mov_b32_e32 v3, 27
	v_cmp_lt_i16_sdwa s[16:17], s23, v3 src0_sel:BYTE_0 src1_sel:DWORD
	s_and_b64 vcc, exec, s[16:17]
	s_cbranch_vccnz .LBB231_3334
; %bb.3332:
	v_cmp_gt_i16_sdwa s[16:17], s23, v3 src0_sel:BYTE_0 src1_sel:DWORD
	s_and_b64 vcc, exec, s[16:17]
	s_cbranch_vccz .LBB231_3335
; %bb.3333:
	global_load_dword v3, v[8:9], off
	s_mov_b64 s[16:17], 0
	s_waitcnt vmcnt(0)
	v_cvt_f32_u32_e32 v44, v3
	s_branch .LBB231_3336
.LBB231_3334:
	s_mov_b64 s[16:17], -1
                                        ; implicit-def: $vgpr44
	s_branch .LBB231_3339
.LBB231_3335:
	s_mov_b64 s[16:17], -1
                                        ; implicit-def: $vgpr44
.LBB231_3336:
	s_andn2_b64 vcc, exec, s[16:17]
	s_cbranch_vccnz .LBB231_3338
; %bb.3337:
	global_load_ushort v3, v[8:9], off
	s_waitcnt vmcnt(0)
	v_cvt_f32_u32_e32 v44, v3
.LBB231_3338:
	s_mov_b64 s[16:17], 0
.LBB231_3339:
	s_andn2_b64 vcc, exec, s[16:17]
	s_cbranch_vccnz .LBB231_3347
; %bb.3340:
	global_load_ubyte v3, v[8:9], off
	s_movk_i32 s16, 0x7f
                                        ; implicit-def: $sgpr26
	s_waitcnt vmcnt(0)
	v_cmp_lt_i16_e32 vcc, s16, v3
	s_mov_b64 s[16:17], 0
	s_and_saveexec_b64 s[18:19], vcc
	s_xor_b64 s[18:19], exec, s[18:19]
	s_cbranch_execz .LBB231_3361
; %bb.3341:
	s_movk_i32 s16, 0x80
	v_cmp_eq_u16_e32 vcc, s16, v3
	s_mov_b64 s[16:17], -1
                                        ; implicit-def: $sgpr26
	s_and_saveexec_b64 s[20:21], vcc
; %bb.3342:
	s_mov_b32 s26, 0x7f800001
	s_xor_b64 s[16:17], exec, -1
; %bb.3343:
	s_or_b64 exec, exec, s[20:21]
	s_and_b64 s[16:17], s[16:17], exec
	s_or_saveexec_b64 s[18:19], s[18:19]
	v_mov_b32_e32 v44, s26
	s_xor_b64 exec, exec, s[18:19]
	s_cbranch_execnz .LBB231_3362
.LBB231_3344:
	s_or_b64 exec, exec, s[18:19]
	s_and_saveexec_b64 s[18:19], s[16:17]
	s_cbranch_execz .LBB231_3346
.LBB231_3345:
	v_lshlrev_b32_e32 v5, 24, v3
	v_and_b32_e32 v3, 0xffff, v3
	v_and_b32_e32 v7, 7, v3
	v_ffbh_u32_e32 v11, v7
	v_min_u32_e32 v11, 32, v11
	v_subrev_u32_e32 v12, 28, v11
	v_bfe_u32 v10, v3, 3, 4
	v_lshlrev_b32_e32 v3, v12, v3
	v_sub_u32_e32 v11, 29, v11
	v_and_b32_e32 v3, 7, v3
	v_cmp_eq_u32_e32 vcc, 0, v10
	v_cndmask_b32_e32 v10, v10, v11, vcc
	v_cndmask_b32_e32 v3, v7, v3, vcc
	v_mov_b32_e32 v7, 0x3b800000
	v_lshlrev_b32_e32 v3, 20, v3
	v_and_b32_e32 v5, 0x80000000, v5
	v_lshl_add_u32 v7, v10, 23, v7
	v_or3_b32 v44, v5, v7, v3
.LBB231_3346:
	s_or_b64 exec, exec, s[18:19]
.LBB231_3347:
	s_mov_b64 s[16:17], -1
.LBB231_3348:
	s_mov_b64 s[18:19], 0
.LBB231_3349:
	s_and_b64 vcc, exec, s[18:19]
	s_cbranch_vccz .LBB231_3382
; %bb.3350:
	v_mov_b32_e32 v3, 22
	v_cmp_gt_i16_sdwa s[14:15], s23, v3 src0_sel:BYTE_0 src1_sel:DWORD
	s_and_b64 vcc, exec, s[14:15]
	s_cbranch_vccz .LBB231_3360
; %bb.3351:
	v_mov_b32_e32 v3, 24
	v_cmp_lt_i16_sdwa s[14:15], s23, v3 src0_sel:BYTE_0 src1_sel:DWORD
	s_and_b64 vcc, exec, s[14:15]
	s_cbranch_vccnz .LBB231_3363
; %bb.3352:
	v_cmp_gt_i16_sdwa s[14:15], s23, v3 src0_sel:BYTE_0 src1_sel:DWORD
	s_and_b64 vcc, exec, s[14:15]
	s_cbranch_vccz .LBB231_3364
; %bb.3353:
	global_load_ubyte v3, v[8:9], off
	s_movk_i32 s14, 0x7f
                                        ; implicit-def: $sgpr20
	s_waitcnt vmcnt(0)
	v_cmp_lt_i16_e32 vcc, s14, v3
	s_mov_b64 s[14:15], 0
	s_and_saveexec_b64 s[16:17], vcc
	s_xor_b64 s[16:17], exec, s[16:17]
	s_cbranch_execz .LBB231_3376
; %bb.3354:
	s_movk_i32 s14, 0x80
	v_cmp_eq_u16_e32 vcc, s14, v3
	s_mov_b64 s[14:15], -1
                                        ; implicit-def: $sgpr20
	s_and_saveexec_b64 s[18:19], vcc
; %bb.3355:
	s_mov_b32 s20, 0x7f800001
	s_xor_b64 s[14:15], exec, -1
; %bb.3356:
	s_or_b64 exec, exec, s[18:19]
	s_and_b64 s[14:15], s[14:15], exec
	s_or_saveexec_b64 s[16:17], s[16:17]
	v_mov_b32_e32 v44, s20
	s_xor_b64 exec, exec, s[16:17]
	s_cbranch_execnz .LBB231_3377
.LBB231_3357:
	s_or_b64 exec, exec, s[16:17]
	s_and_saveexec_b64 s[16:17], s[14:15]
	s_cbranch_execz .LBB231_3359
.LBB231_3358:
	v_lshlrev_b32_e32 v5, 24, v3
	v_and_b32_e32 v3, 0xffff, v3
	v_and_b32_e32 v7, 3, v3
	v_ffbh_u32_e32 v11, v7
	v_min_u32_e32 v11, 32, v11
	v_subrev_u32_e32 v12, 29, v11
	v_bfe_u32 v10, v3, 2, 5
	v_lshlrev_b32_e32 v3, v12, v3
	v_sub_u32_e32 v11, 30, v11
	v_and_b32_e32 v3, 3, v3
	v_cmp_eq_u32_e32 vcc, 0, v10
	v_cndmask_b32_e32 v10, v10, v11, vcc
	v_cndmask_b32_e32 v3, v7, v3, vcc
	v_mov_b32_e32 v7, 0x37800000
	v_lshlrev_b32_e32 v3, 21, v3
	v_and_b32_e32 v5, 0x80000000, v5
	v_lshl_add_u32 v7, v10, 23, v7
	v_or3_b32 v44, v5, v7, v3
.LBB231_3359:
	s_or_b64 exec, exec, s[16:17]
	s_mov_b64 s[14:15], 0
	s_branch .LBB231_3365
.LBB231_3360:
	s_mov_b64 s[14:15], -1
                                        ; implicit-def: $vgpr44
	s_branch .LBB231_3371
.LBB231_3361:
	s_or_saveexec_b64 s[18:19], s[18:19]
	v_mov_b32_e32 v44, s26
	s_xor_b64 exec, exec, s[18:19]
	s_cbranch_execz .LBB231_3344
.LBB231_3362:
	v_cmp_ne_u16_e32 vcc, 0, v3
	s_andn2_b64 s[16:17], s[16:17], exec
	s_and_b64 s[20:21], vcc, exec
	v_mov_b32_e32 v44, 0
	s_or_b64 s[16:17], s[16:17], s[20:21]
	s_or_b64 exec, exec, s[18:19]
	s_and_saveexec_b64 s[18:19], s[16:17]
	s_cbranch_execnz .LBB231_3345
	s_branch .LBB231_3346
.LBB231_3363:
	s_mov_b64 s[14:15], -1
                                        ; implicit-def: $vgpr44
	s_branch .LBB231_3368
.LBB231_3364:
	s_mov_b64 s[14:15], -1
                                        ; implicit-def: $vgpr44
.LBB231_3365:
	s_and_b64 vcc, exec, s[14:15]
	s_cbranch_vccz .LBB231_3367
; %bb.3366:
	global_load_ubyte v3, v[8:9], off
	s_mov_b32 s14, 0x7f800000
	s_waitcnt vmcnt(0)
	v_lshlrev_b32_e32 v3, 24, v3
	v_and_b32_e32 v5, 0x7f000000, v3
	v_ffbh_u32_e32 v7, v5
	v_min_u32_e32 v7, 32, v7
	v_sub_u32_e64 v7, v7, 4 clamp
	v_lshlrev_b32_e32 v11, v7, v5
	v_lshlrev_b32_e32 v7, 23, v7
	v_lshrrev_b32_e32 v11, 4, v11
	v_add_u32_e32 v10, 0x1000000, v5
	v_sub_u32_e32 v7, v11, v7
	v_ashrrev_i32_e32 v10, 8, v10
	v_add_u32_e32 v7, 0x3c000000, v7
	v_and_or_b32 v7, v10, s14, v7
	v_cmp_ne_u32_e32 vcc, 0, v5
	v_cndmask_b32_e32 v5, 0, v7, vcc
	s_brev_b32 s14, 1
	v_and_or_b32 v44, v3, s14, v5
.LBB231_3367:
	s_mov_b64 s[14:15], 0
.LBB231_3368:
	s_andn2_b64 vcc, exec, s[14:15]
	s_cbranch_vccnz .LBB231_3370
; %bb.3369:
	global_load_ubyte v3, v[8:9], off
	s_movk_i32 s14, 0x7f00
	s_brev_b32 s15, 16
	s_waitcnt vmcnt(0)
	v_lshlrev_b16_e32 v5, 8, v3
	v_lshlrev_b32_e32 v3, 25, v3
	v_lshrrev_b32_e32 v7, 4, v3
	v_and_or_b32 v10, v5, s14, 0.5
	v_or_b32_e32 v7, 0x70000000, v7
	v_add_f32_e32 v10, -0.5, v10
	v_mul_f32_e32 v7, 0x7800000, v7
	v_cmp_gt_u32_e32 vcc, s15, v3
	v_bfe_i32 v5, v5, 0, 16
	v_cndmask_b32_e32 v3, v7, v10, vcc
	s_brev_b32 s14, 1
	v_and_or_b32 v44, v5, s14, v3
.LBB231_3370:
	s_mov_b64 s[14:15], 0
	s_mov_b64 s[16:17], -1
.LBB231_3371:
	s_andn2_b64 vcc, exec, s[14:15]
	s_mov_b64 s[14:15], 0
	s_cbranch_vccnz .LBB231_3382
; %bb.3372:
	v_mov_b32_e32 v3, 14
	v_cmp_gt_i16_sdwa s[14:15], s23, v3 src0_sel:BYTE_0 src1_sel:DWORD
	s_and_b64 vcc, exec, s[14:15]
	s_cbranch_vccz .LBB231_3375
; %bb.3373:
	v_mov_b32_e32 v3, 15
	v_cmp_eq_u16_sdwa s[12:13], s23, v3 src0_sel:BYTE_0 src1_sel:DWORD
	s_and_b64 vcc, exec, s[12:13]
	s_cbranch_vccz .LBB231_3378
; %bb.3374:
	global_load_ushort v3, v[8:9], off
	s_mov_b64 s[12:13], 0
	s_mov_b64 s[16:17], -1
	s_waitcnt vmcnt(0)
	v_lshlrev_b32_e32 v44, 16, v3
	s_branch .LBB231_3379
.LBB231_3375:
	s_mov_b64 s[18:19], -1
                                        ; implicit-def: $vgpr44
	s_branch .LBB231_3380
.LBB231_3376:
	s_or_saveexec_b64 s[16:17], s[16:17]
	v_mov_b32_e32 v44, s20
	s_xor_b64 exec, exec, s[16:17]
	s_cbranch_execz .LBB231_3357
.LBB231_3377:
	v_cmp_ne_u16_e32 vcc, 0, v3
	s_andn2_b64 s[14:15], s[14:15], exec
	s_and_b64 s[18:19], vcc, exec
	v_mov_b32_e32 v44, 0
	s_or_b64 s[14:15], s[14:15], s[18:19]
	s_or_b64 exec, exec, s[16:17]
	s_and_saveexec_b64 s[16:17], s[14:15]
	s_cbranch_execnz .LBB231_3358
	s_branch .LBB231_3359
.LBB231_3378:
	s_mov_b64 s[12:13], -1
                                        ; implicit-def: $vgpr44
.LBB231_3379:
	s_mov_b64 s[18:19], 0
.LBB231_3380:
	s_mov_b64 s[14:15], 0
	s_and_b64 vcc, exec, s[18:19]
	s_cbranch_vccz .LBB231_3382
; %bb.3381:
	v_mov_b32_e32 v3, 11
	v_cmp_ne_u16_sdwa s[12:13], s23, v3 src0_sel:BYTE_0 src1_sel:DWORD
	s_mov_b64 s[14:15], -1
                                        ; implicit-def: $vgpr44
.LBB231_3382:
	s_and_b64 vcc, exec, s[12:13]
	s_cbranch_vccnz .LBB231_3447
; %bb.3383:
	s_andn2_b64 vcc, exec, s[14:15]
	s_cbranch_vccnz .LBB231_3385
.LBB231_3384:
	global_load_ubyte v3, v[8:9], off
	s_mov_b64 s[16:17], -1
	s_waitcnt vmcnt(0)
	v_cmp_ne_u16_e32 vcc, 0, v3
	v_cndmask_b32_e64 v44, 0, 1.0, vcc
.LBB231_3385:
	s_mov_b64 s[12:13], 0
.LBB231_3386:
	s_and_b64 vcc, exec, s[12:13]
	s_cbranch_vccz .LBB231_3435
; %bb.3387:
	v_mov_b32_e32 v3, 5
	v_cmp_lt_i16_sdwa s[12:13], s23, v3 src0_sel:BYTE_0 src1_sel:DWORD
	s_and_b64 vcc, exec, s[12:13]
	s_cbranch_vccnz .LBB231_3392
; %bb.3388:
	v_mov_b32_e32 v3, 8
	v_cmp_lt_i16_sdwa s[12:13], s23, v3 src0_sel:BYTE_0 src1_sel:DWORD
	s_and_b64 vcc, exec, s[12:13]
	s_cbranch_vccnz .LBB231_3393
	;; [unrolled: 5-line block ×3, first 2 shown]
; %bb.3390:
	v_cmp_gt_i16_sdwa s[12:13], s23, v3 src0_sel:BYTE_0 src1_sel:DWORD
	s_and_b64 vcc, exec, s[12:13]
	s_cbranch_vccz .LBB231_3395
; %bb.3391:
	global_load_dwordx2 v[10:11], v[8:9], off
	s_mov_b64 s[12:13], 0
	s_waitcnt vmcnt(0)
	v_cvt_f32_f64_e32 v44, v[10:11]
	s_branch .LBB231_3396
.LBB231_3392:
	s_mov_b64 s[12:13], -1
                                        ; implicit-def: $vgpr44
	s_branch .LBB231_3414
.LBB231_3393:
	s_mov_b64 s[12:13], -1
                                        ; implicit-def: $vgpr44
	s_branch .LBB231_3402
.LBB231_3394:
	s_mov_b64 s[12:13], -1
                                        ; implicit-def: $vgpr44
	s_branch .LBB231_3399
.LBB231_3395:
	s_mov_b64 s[12:13], -1
                                        ; implicit-def: $vgpr44
.LBB231_3396:
	s_andn2_b64 vcc, exec, s[12:13]
	s_cbranch_vccnz .LBB231_3398
; %bb.3397:
	global_load_dword v44, v[8:9], off
.LBB231_3398:
	s_mov_b64 s[12:13], 0
.LBB231_3399:
	s_andn2_b64 vcc, exec, s[12:13]
	s_cbranch_vccnz .LBB231_3401
; %bb.3400:
	global_load_dword v3, v[8:9], off
	s_waitcnt vmcnt(0)
	v_cvt_f32_f16_e32 v44, v3
.LBB231_3401:
	s_mov_b64 s[12:13], 0
.LBB231_3402:
	s_andn2_b64 vcc, exec, s[12:13]
	s_cbranch_vccnz .LBB231_3413
; %bb.3403:
	v_mov_b32_e32 v3, 6
	v_cmp_lt_i16_sdwa s[12:13], s23, v3 src0_sel:BYTE_0 src1_sel:DWORD
	s_and_b64 vcc, exec, s[12:13]
	s_cbranch_vccnz .LBB231_3406
; %bb.3404:
	v_cmp_gt_i16_sdwa s[12:13], s23, v3 src0_sel:BYTE_0 src1_sel:DWORD
	s_and_b64 vcc, exec, s[12:13]
	s_cbranch_vccz .LBB231_3407
; %bb.3405:
	global_load_dwordx2 v[10:11], v[8:9], off
	s_mov_b64 s[12:13], 0
	s_waitcnt vmcnt(0)
	v_cvt_f32_f64_e32 v44, v[10:11]
	s_branch .LBB231_3408
.LBB231_3406:
	s_mov_b64 s[12:13], -1
                                        ; implicit-def: $vgpr44
	s_branch .LBB231_3411
.LBB231_3407:
	s_mov_b64 s[12:13], -1
                                        ; implicit-def: $vgpr44
.LBB231_3408:
	s_andn2_b64 vcc, exec, s[12:13]
	s_cbranch_vccnz .LBB231_3410
; %bb.3409:
	global_load_dword v44, v[8:9], off
.LBB231_3410:
	s_mov_b64 s[12:13], 0
.LBB231_3411:
	s_andn2_b64 vcc, exec, s[12:13]
	s_cbranch_vccnz .LBB231_3413
; %bb.3412:
	global_load_ushort v3, v[8:9], off
	s_waitcnt vmcnt(0)
	v_cvt_f32_f16_e32 v44, v3
.LBB231_3413:
	s_mov_b64 s[12:13], 0
.LBB231_3414:
	s_andn2_b64 vcc, exec, s[12:13]
	s_cbranch_vccnz .LBB231_3434
; %bb.3415:
	v_mov_b32_e32 v3, 2
	v_cmp_lt_i16_sdwa s[12:13], s23, v3 src0_sel:BYTE_0 src1_sel:DWORD
	s_and_b64 vcc, exec, s[12:13]
	s_cbranch_vccnz .LBB231_3419
; %bb.3416:
	v_mov_b32_e32 v3, 3
	v_cmp_lt_i16_sdwa s[12:13], s23, v3 src0_sel:BYTE_0 src1_sel:DWORD
	s_and_b64 vcc, exec, s[12:13]
	s_cbranch_vccnz .LBB231_3420
; %bb.3417:
	v_cmp_gt_i16_sdwa s[12:13], s23, v3 src0_sel:BYTE_0 src1_sel:DWORD
	s_and_b64 vcc, exec, s[12:13]
	s_cbranch_vccz .LBB231_3421
; %bb.3418:
	global_load_dwordx2 v[10:11], v[8:9], off
	s_mov_b64 s[12:13], 0
	s_waitcnt vmcnt(0)
	v_xor_b32_e32 v5, v10, v11
	v_ffbh_i32_e32 v3, v11
	v_ashrrev_i32_e32 v5, 31, v5
	v_add_u32_e32 v3, -1, v3
	v_add_u32_e32 v5, 32, v5
	v_min_u32_e32 v3, v3, v5
	v_lshlrev_b64 v[10:11], v3, v[10:11]
	v_min_u32_e32 v5, 1, v10
	v_or_b32_e32 v5, v11, v5
	v_cvt_f32_i32_e32 v5, v5
	v_sub_u32_e32 v3, 32, v3
	v_ldexp_f32 v44, v5, v3
	s_branch .LBB231_3422
.LBB231_3419:
	s_mov_b64 s[12:13], -1
                                        ; implicit-def: $vgpr44
	s_branch .LBB231_3428
.LBB231_3420:
	s_mov_b64 s[12:13], -1
                                        ; implicit-def: $vgpr44
	s_branch .LBB231_3425
.LBB231_3421:
	s_mov_b64 s[12:13], -1
                                        ; implicit-def: $vgpr44
.LBB231_3422:
	s_andn2_b64 vcc, exec, s[12:13]
	s_cbranch_vccnz .LBB231_3424
; %bb.3423:
	global_load_dword v3, v[8:9], off
	s_waitcnt vmcnt(0)
	v_cvt_f32_i32_e32 v44, v3
.LBB231_3424:
	s_mov_b64 s[12:13], 0
.LBB231_3425:
	s_andn2_b64 vcc, exec, s[12:13]
	s_cbranch_vccnz .LBB231_3427
; %bb.3426:
	global_load_sshort v3, v[8:9], off
	s_waitcnt vmcnt(0)
	v_cvt_f32_i32_e32 v44, v3
.LBB231_3427:
	s_mov_b64 s[12:13], 0
.LBB231_3428:
	s_andn2_b64 vcc, exec, s[12:13]
	s_cbranch_vccnz .LBB231_3434
; %bb.3429:
	v_mov_b32_e32 v3, 0
	v_cmp_gt_i16_sdwa s[12:13], s23, v3 src0_sel:BYTE_0 src1_sel:DWORD
	s_and_b64 vcc, exec, s[12:13]
	s_cbranch_vccz .LBB231_3431
; %bb.3430:
	global_load_sbyte v3, v[8:9], off
	s_mov_b64 s[12:13], 0
	s_waitcnt vmcnt(0)
	v_cvt_f32_i32_e32 v44, v3
	s_branch .LBB231_3432
.LBB231_3431:
	s_mov_b64 s[12:13], -1
                                        ; implicit-def: $vgpr44
.LBB231_3432:
	s_andn2_b64 vcc, exec, s[12:13]
	s_cbranch_vccnz .LBB231_3434
; %bb.3433:
	global_load_ubyte v3, v[8:9], off
	s_waitcnt vmcnt(0)
	v_cvt_f32_ubyte0_e32 v44, v3
.LBB231_3434:
	s_mov_b64 s[16:17], -1
.LBB231_3435:
	s_andn2_b64 vcc, exec, s[16:17]
	s_cbranch_vccnz .LBB231_4149
; %bb.3436:
	v_mov_b32_e32 v3, s5
	v_add_co_u32_e32 v6, vcc, s4, v6
	v_addc_co_u32_e32 v7, vcc, 0, v3, vcc
	s_and_b64 vcc, exec, s[6:7]
	s_cbranch_vccnz .LBB231_3443
; %bb.3437:
	v_cmp_gt_i16_e64 s[4:5], s24, 25
	s_mov_b64 s[6:7], 0
	s_and_b64 vcc, exec, s[4:5]
	s_cbranch_vccz .LBB231_3444
; %bb.3438:
	v_cmp_gt_i16_e64 s[4:5], s24, 28
	s_and_b64 vcc, exec, s[4:5]
	s_cbranch_vccz .LBB231_3445
; %bb.3439:
	v_cmp_gt_i16_e64 s[4:5], s24, 43
	;; [unrolled: 4-line block ×3, first 2 shown]
	s_and_b64 vcc, exec, s[4:5]
	s_cbranch_vccz .LBB231_3448
; %bb.3441:
	v_cmp_eq_u16_e64 s[4:5], s24, 46
	s_mov_b64 s[14:15], 0
	s_and_b64 vcc, exec, s[4:5]
	s_cbranch_vccz .LBB231_3449
; %bb.3442:
	global_load_dword v3, v[6:7], off
	s_mov_b64 s[4:5], 0
	s_mov_b64 s[12:13], -1
	s_waitcnt vmcnt(0)
	v_lshlrev_b32_e32 v45, 16, v3
	s_branch .LBB231_3450
.LBB231_3443:
	s_mov_b64 s[4:5], -1
	s_mov_b64 s[12:13], 0
                                        ; implicit-def: $vgpr45
	s_branch .LBB231_3516
.LBB231_3444:
	s_mov_b64 s[14:15], -1
	s_mov_b64 s[12:13], 0
	s_mov_b64 s[4:5], 0
                                        ; implicit-def: $vgpr45
	s_branch .LBB231_3479
.LBB231_3445:
	s_mov_b64 s[14:15], -1
	s_mov_b64 s[12:13], 0
	s_mov_b64 s[4:5], 0
                                        ; implicit-def: $vgpr45
	s_branch .LBB231_3460
.LBB231_3446:
	s_mov_b64 s[14:15], -1
	s_mov_b64 s[12:13], 0
	s_mov_b64 s[4:5], 0
                                        ; implicit-def: $vgpr45
	s_branch .LBB231_3455
.LBB231_3447:
	s_trap 2
	s_or_b64 s[40:41], s[40:41], exec
                                        ; implicit-def: $vgpr44
	s_cbranch_execz .LBB231_3384
	s_branch .LBB231_3385
.LBB231_3448:
	s_mov_b64 s[14:15], -1
	s_mov_b64 s[12:13], 0
	s_mov_b64 s[4:5], 0
                                        ; implicit-def: $vgpr45
	s_branch .LBB231_3450
.LBB231_3449:
	s_mov_b64 s[4:5], -1
                                        ; implicit-def: $vgpr45
	s_mov_b64 s[12:13], 0
.LBB231_3450:
	s_and_b64 vcc, exec, s[14:15]
	s_cbranch_vccz .LBB231_3454
; %bb.3451:
	v_cmp_eq_u16_e64 s[4:5], s24, 44
	s_and_b64 vcc, exec, s[4:5]
	s_cbranch_vccz .LBB231_3453
; %bb.3452:
	global_load_ubyte v3, v[6:7], off
	s_movk_i32 s12, 0xff
	v_mov_b32_e32 v5, 0x7f800001
	v_mov_b32_e32 v8, 0x400000
	s_mov_b64 s[4:5], 0
	s_waitcnt vmcnt(0)
	v_lshlrev_b32_e32 v9, 23, v3
	v_cmp_ne_u32_e32 vcc, s12, v3
	v_cndmask_b32_e32 v5, v5, v9, vcc
	v_cmp_ne_u32_e32 vcc, 0, v3
	v_cndmask_b32_e32 v45, v8, v5, vcc
	s_mov_b64 s[12:13], -1
	s_branch .LBB231_3454
.LBB231_3453:
	s_mov_b64 s[4:5], -1
                                        ; implicit-def: $vgpr45
.LBB231_3454:
	s_mov_b64 s[14:15], 0
.LBB231_3455:
	s_and_b64 vcc, exec, s[14:15]
	s_cbranch_vccz .LBB231_3459
; %bb.3456:
	v_cmp_eq_u16_e64 s[4:5], s24, 29
	s_and_b64 vcc, exec, s[4:5]
	s_cbranch_vccz .LBB231_3458
; %bb.3457:
	global_load_dwordx2 v[8:9], v[6:7], off
	s_mov_b64 s[4:5], 0
	s_mov_b64 s[12:13], -1
	s_mov_b64 s[14:15], 0
	s_waitcnt vmcnt(0)
	v_ffbh_u32_e32 v3, v9
	v_min_u32_e32 v3, 32, v3
	v_lshlrev_b64 v[8:9], v3, v[8:9]
	v_min_u32_e32 v5, 1, v8
	v_or_b32_e32 v5, v9, v5
	v_cvt_f32_u32_e32 v5, v5
	v_sub_u32_e32 v3, 32, v3
	v_ldexp_f32 v45, v5, v3
	s_branch .LBB231_3460
.LBB231_3458:
	s_mov_b64 s[4:5], -1
                                        ; implicit-def: $vgpr45
.LBB231_3459:
	s_mov_b64 s[14:15], 0
.LBB231_3460:
	s_and_b64 vcc, exec, s[14:15]
	s_cbranch_vccz .LBB231_3478
; %bb.3461:
	v_cmp_lt_i16_e64 s[12:13], s24, 27
	s_and_b64 vcc, exec, s[12:13]
	s_cbranch_vccnz .LBB231_3464
; %bb.3462:
	v_cmp_gt_i16_e64 s[12:13], s24, 27
	s_and_b64 vcc, exec, s[12:13]
	s_cbranch_vccz .LBB231_3465
; %bb.3463:
	global_load_dword v3, v[6:7], off
	s_mov_b64 s[12:13], 0
	s_waitcnt vmcnt(0)
	v_cvt_f32_u32_e32 v45, v3
	s_branch .LBB231_3466
.LBB231_3464:
	s_mov_b64 s[12:13], -1
                                        ; implicit-def: $vgpr45
	s_branch .LBB231_3469
.LBB231_3465:
	s_mov_b64 s[12:13], -1
                                        ; implicit-def: $vgpr45
.LBB231_3466:
	s_andn2_b64 vcc, exec, s[12:13]
	s_cbranch_vccnz .LBB231_3468
; %bb.3467:
	global_load_ushort v3, v[6:7], off
	s_waitcnt vmcnt(0)
	v_cvt_f32_u32_e32 v45, v3
.LBB231_3468:
	s_mov_b64 s[12:13], 0
.LBB231_3469:
	s_andn2_b64 vcc, exec, s[12:13]
	s_cbranch_vccnz .LBB231_3477
; %bb.3470:
	global_load_ubyte v3, v[6:7], off
	s_movk_i32 s12, 0x7f
                                        ; implicit-def: $sgpr18
	s_waitcnt vmcnt(0)
	v_cmp_lt_i16_e32 vcc, s12, v3
	s_mov_b64 s[12:13], 0
	s_and_saveexec_b64 s[14:15], vcc
	s_xor_b64 s[14:15], exec, s[14:15]
	s_cbranch_execz .LBB231_3491
; %bb.3471:
	s_movk_i32 s12, 0x80
	v_cmp_eq_u16_e32 vcc, s12, v3
	s_mov_b64 s[12:13], -1
                                        ; implicit-def: $sgpr18
	s_and_saveexec_b64 s[16:17], vcc
; %bb.3472:
	s_mov_b32 s18, 0x7f800001
	s_xor_b64 s[12:13], exec, -1
; %bb.3473:
	s_or_b64 exec, exec, s[16:17]
	s_and_b64 s[12:13], s[12:13], exec
	s_or_saveexec_b64 s[14:15], s[14:15]
	v_mov_b32_e32 v45, s18
	s_xor_b64 exec, exec, s[14:15]
	s_cbranch_execnz .LBB231_3492
.LBB231_3474:
	s_or_b64 exec, exec, s[14:15]
	s_and_saveexec_b64 s[14:15], s[12:13]
	s_cbranch_execz .LBB231_3476
.LBB231_3475:
	v_lshlrev_b32_e32 v5, 24, v3
	v_and_b32_e32 v3, 0xffff, v3
	v_and_b32_e32 v8, 7, v3
	v_ffbh_u32_e32 v10, v8
	v_min_u32_e32 v10, 32, v10
	v_subrev_u32_e32 v11, 28, v10
	v_bfe_u32 v9, v3, 3, 4
	v_lshlrev_b32_e32 v3, v11, v3
	v_sub_u32_e32 v10, 29, v10
	v_and_b32_e32 v3, 7, v3
	v_cmp_eq_u32_e32 vcc, 0, v9
	v_cndmask_b32_e32 v9, v9, v10, vcc
	v_cndmask_b32_e32 v3, v8, v3, vcc
	v_mov_b32_e32 v8, 0x3b800000
	v_lshlrev_b32_e32 v3, 20, v3
	v_and_b32_e32 v5, 0x80000000, v5
	v_lshl_add_u32 v8, v9, 23, v8
	v_or3_b32 v45, v5, v8, v3
.LBB231_3476:
	s_or_b64 exec, exec, s[14:15]
.LBB231_3477:
	s_mov_b64 s[12:13], -1
.LBB231_3478:
	s_mov_b64 s[14:15], 0
.LBB231_3479:
	s_and_b64 vcc, exec, s[14:15]
	s_cbranch_vccz .LBB231_3512
; %bb.3480:
	v_cmp_gt_i16_e64 s[6:7], s24, 22
	s_and_b64 vcc, exec, s[6:7]
	s_cbranch_vccz .LBB231_3490
; %bb.3481:
	v_cmp_lt_i16_e64 s[6:7], s24, 24
	s_and_b64 vcc, exec, s[6:7]
	s_cbranch_vccnz .LBB231_3493
; %bb.3482:
	v_cmp_gt_i16_e64 s[6:7], s24, 24
	s_and_b64 vcc, exec, s[6:7]
	s_cbranch_vccz .LBB231_3494
; %bb.3483:
	global_load_ubyte v3, v[6:7], off
	s_movk_i32 s6, 0x7f
                                        ; implicit-def: $sgpr16
	s_waitcnt vmcnt(0)
	v_cmp_lt_i16_e32 vcc, s6, v3
	s_mov_b64 s[6:7], 0
	s_and_saveexec_b64 s[12:13], vcc
	s_xor_b64 s[12:13], exec, s[12:13]
	s_cbranch_execz .LBB231_3506
; %bb.3484:
	s_movk_i32 s6, 0x80
	v_cmp_eq_u16_e32 vcc, s6, v3
	s_mov_b64 s[6:7], -1
                                        ; implicit-def: $sgpr16
	s_and_saveexec_b64 s[14:15], vcc
; %bb.3485:
	s_mov_b32 s16, 0x7f800001
	s_xor_b64 s[6:7], exec, -1
; %bb.3486:
	s_or_b64 exec, exec, s[14:15]
	s_and_b64 s[6:7], s[6:7], exec
	s_or_saveexec_b64 s[12:13], s[12:13]
	v_mov_b32_e32 v45, s16
	s_xor_b64 exec, exec, s[12:13]
	s_cbranch_execnz .LBB231_3507
.LBB231_3487:
	s_or_b64 exec, exec, s[12:13]
	s_and_saveexec_b64 s[12:13], s[6:7]
	s_cbranch_execz .LBB231_3489
.LBB231_3488:
	v_lshlrev_b32_e32 v5, 24, v3
	v_and_b32_e32 v3, 0xffff, v3
	v_and_b32_e32 v8, 3, v3
	v_ffbh_u32_e32 v10, v8
	v_min_u32_e32 v10, 32, v10
	v_subrev_u32_e32 v11, 29, v10
	v_bfe_u32 v9, v3, 2, 5
	v_lshlrev_b32_e32 v3, v11, v3
	v_sub_u32_e32 v10, 30, v10
	v_and_b32_e32 v3, 3, v3
	v_cmp_eq_u32_e32 vcc, 0, v9
	v_cndmask_b32_e32 v9, v9, v10, vcc
	v_cndmask_b32_e32 v3, v8, v3, vcc
	v_mov_b32_e32 v8, 0x37800000
	v_lshlrev_b32_e32 v3, 21, v3
	v_and_b32_e32 v5, 0x80000000, v5
	v_lshl_add_u32 v8, v9, 23, v8
	v_or3_b32 v45, v5, v8, v3
.LBB231_3489:
	s_or_b64 exec, exec, s[12:13]
	s_mov_b64 s[6:7], 0
	s_branch .LBB231_3495
.LBB231_3490:
	s_mov_b64 s[6:7], -1
                                        ; implicit-def: $vgpr45
	s_branch .LBB231_3501
.LBB231_3491:
	s_or_saveexec_b64 s[14:15], s[14:15]
	v_mov_b32_e32 v45, s18
	s_xor_b64 exec, exec, s[14:15]
	s_cbranch_execz .LBB231_3474
.LBB231_3492:
	v_cmp_ne_u16_e32 vcc, 0, v3
	s_andn2_b64 s[12:13], s[12:13], exec
	s_and_b64 s[16:17], vcc, exec
	v_mov_b32_e32 v45, 0
	s_or_b64 s[12:13], s[12:13], s[16:17]
	s_or_b64 exec, exec, s[14:15]
	s_and_saveexec_b64 s[14:15], s[12:13]
	s_cbranch_execnz .LBB231_3475
	s_branch .LBB231_3476
.LBB231_3493:
	s_mov_b64 s[6:7], -1
                                        ; implicit-def: $vgpr45
	s_branch .LBB231_3498
.LBB231_3494:
	s_mov_b64 s[6:7], -1
                                        ; implicit-def: $vgpr45
.LBB231_3495:
	s_and_b64 vcc, exec, s[6:7]
	s_cbranch_vccz .LBB231_3497
; %bb.3496:
	global_load_ubyte v3, v[6:7], off
	s_mov_b32 s6, 0x7f800000
	s_waitcnt vmcnt(0)
	v_lshlrev_b32_e32 v3, 24, v3
	v_and_b32_e32 v5, 0x7f000000, v3
	v_ffbh_u32_e32 v8, v5
	v_min_u32_e32 v8, 32, v8
	v_sub_u32_e64 v8, v8, 4 clamp
	v_lshlrev_b32_e32 v10, v8, v5
	v_lshlrev_b32_e32 v8, 23, v8
	v_lshrrev_b32_e32 v10, 4, v10
	v_add_u32_e32 v9, 0x1000000, v5
	v_sub_u32_e32 v8, v10, v8
	v_ashrrev_i32_e32 v9, 8, v9
	v_add_u32_e32 v8, 0x3c000000, v8
	v_and_or_b32 v8, v9, s6, v8
	v_cmp_ne_u32_e32 vcc, 0, v5
	v_cndmask_b32_e32 v5, 0, v8, vcc
	s_brev_b32 s6, 1
	v_and_or_b32 v45, v3, s6, v5
.LBB231_3497:
	s_mov_b64 s[6:7], 0
.LBB231_3498:
	s_andn2_b64 vcc, exec, s[6:7]
	s_cbranch_vccnz .LBB231_3500
; %bb.3499:
	global_load_ubyte v3, v[6:7], off
	s_movk_i32 s6, 0x7f00
	s_brev_b32 s7, 16
	s_waitcnt vmcnt(0)
	v_lshlrev_b16_e32 v5, 8, v3
	v_lshlrev_b32_e32 v3, 25, v3
	v_lshrrev_b32_e32 v8, 4, v3
	v_and_or_b32 v9, v5, s6, 0.5
	v_or_b32_e32 v8, 0x70000000, v8
	v_add_f32_e32 v9, -0.5, v9
	v_mul_f32_e32 v8, 0x7800000, v8
	v_cmp_gt_u32_e32 vcc, s7, v3
	v_bfe_i32 v5, v5, 0, 16
	v_cndmask_b32_e32 v3, v8, v9, vcc
	s_brev_b32 s6, 1
	v_and_or_b32 v45, v5, s6, v3
.LBB231_3500:
	s_mov_b64 s[6:7], 0
	s_mov_b64 s[12:13], -1
.LBB231_3501:
	s_andn2_b64 vcc, exec, s[6:7]
	s_mov_b64 s[6:7], 0
	s_cbranch_vccnz .LBB231_3512
; %bb.3502:
	v_cmp_gt_i16_e64 s[6:7], s24, 14
	s_and_b64 vcc, exec, s[6:7]
	s_cbranch_vccz .LBB231_3505
; %bb.3503:
	v_cmp_eq_u16_e64 s[4:5], s24, 15
	s_and_b64 vcc, exec, s[4:5]
	s_cbranch_vccz .LBB231_3508
; %bb.3504:
	global_load_ushort v3, v[6:7], off
	s_mov_b64 s[4:5], 0
	s_mov_b64 s[12:13], -1
	s_waitcnt vmcnt(0)
	v_lshlrev_b32_e32 v45, 16, v3
	s_branch .LBB231_3509
.LBB231_3505:
	s_mov_b64 s[14:15], -1
                                        ; implicit-def: $vgpr45
	s_branch .LBB231_3510
.LBB231_3506:
	s_or_saveexec_b64 s[12:13], s[12:13]
	v_mov_b32_e32 v45, s16
	s_xor_b64 exec, exec, s[12:13]
	s_cbranch_execz .LBB231_3487
.LBB231_3507:
	v_cmp_ne_u16_e32 vcc, 0, v3
	s_andn2_b64 s[6:7], s[6:7], exec
	s_and_b64 s[14:15], vcc, exec
	v_mov_b32_e32 v45, 0
	s_or_b64 s[6:7], s[6:7], s[14:15]
	s_or_b64 exec, exec, s[12:13]
	s_and_saveexec_b64 s[12:13], s[6:7]
	s_cbranch_execnz .LBB231_3488
	s_branch .LBB231_3489
.LBB231_3508:
	s_mov_b64 s[4:5], -1
                                        ; implicit-def: $vgpr45
.LBB231_3509:
	s_mov_b64 s[14:15], 0
.LBB231_3510:
	s_mov_b64 s[6:7], 0
	s_and_b64 vcc, exec, s[14:15]
	s_cbranch_vccz .LBB231_3512
; %bb.3511:
	v_cmp_ne_u16_e64 s[4:5], s24, 11
	s_mov_b64 s[6:7], -1
                                        ; implicit-def: $vgpr45
.LBB231_3512:
	s_and_b64 vcc, exec, s[4:5]
	s_cbranch_vccnz .LBB231_3577
; %bb.3513:
	s_andn2_b64 vcc, exec, s[6:7]
	s_cbranch_vccnz .LBB231_3515
.LBB231_3514:
	global_load_ubyte v3, v[6:7], off
	s_mov_b64 s[12:13], -1
	s_waitcnt vmcnt(0)
	v_cmp_ne_u16_e32 vcc, 0, v3
	v_cndmask_b32_e64 v45, 0, 1.0, vcc
.LBB231_3515:
	s_mov_b64 s[4:5], 0
.LBB231_3516:
	s_and_b64 vcc, exec, s[4:5]
	s_cbranch_vccz .LBB231_3565
; %bb.3517:
	v_cmp_lt_i16_e64 s[4:5], s24, 5
	s_and_b64 vcc, exec, s[4:5]
	s_cbranch_vccnz .LBB231_3522
; %bb.3518:
	v_cmp_lt_i16_e64 s[4:5], s24, 8
	s_and_b64 vcc, exec, s[4:5]
	s_cbranch_vccnz .LBB231_3523
	;; [unrolled: 4-line block ×3, first 2 shown]
; %bb.3520:
	v_cmp_gt_i16_e64 s[4:5], s24, 9
	s_and_b64 vcc, exec, s[4:5]
	s_cbranch_vccz .LBB231_3525
; %bb.3521:
	global_load_dwordx2 v[8:9], v[6:7], off
	s_mov_b64 s[4:5], 0
	s_waitcnt vmcnt(0)
	v_cvt_f32_f64_e32 v45, v[8:9]
	s_branch .LBB231_3526
.LBB231_3522:
	s_mov_b64 s[4:5], -1
                                        ; implicit-def: $vgpr45
	s_branch .LBB231_3544
.LBB231_3523:
	s_mov_b64 s[4:5], -1
                                        ; implicit-def: $vgpr45
	s_branch .LBB231_3532
.LBB231_3524:
	s_mov_b64 s[4:5], -1
                                        ; implicit-def: $vgpr45
	s_branch .LBB231_3529
.LBB231_3525:
	s_mov_b64 s[4:5], -1
                                        ; implicit-def: $vgpr45
.LBB231_3526:
	s_andn2_b64 vcc, exec, s[4:5]
	s_cbranch_vccnz .LBB231_3528
; %bb.3527:
	global_load_dword v45, v[6:7], off
.LBB231_3528:
	s_mov_b64 s[4:5], 0
.LBB231_3529:
	s_andn2_b64 vcc, exec, s[4:5]
	s_cbranch_vccnz .LBB231_3531
; %bb.3530:
	global_load_dword v3, v[6:7], off
	s_waitcnt vmcnt(0)
	v_cvt_f32_f16_e32 v45, v3
.LBB231_3531:
	s_mov_b64 s[4:5], 0
.LBB231_3532:
	s_andn2_b64 vcc, exec, s[4:5]
	s_cbranch_vccnz .LBB231_3543
; %bb.3533:
	v_cmp_lt_i16_e64 s[4:5], s24, 6
	s_and_b64 vcc, exec, s[4:5]
	s_cbranch_vccnz .LBB231_3536
; %bb.3534:
	v_cmp_gt_i16_e64 s[4:5], s24, 6
	s_and_b64 vcc, exec, s[4:5]
	s_cbranch_vccz .LBB231_3537
; %bb.3535:
	global_load_dwordx2 v[8:9], v[6:7], off
	s_mov_b64 s[4:5], 0
	s_waitcnt vmcnt(0)
	v_cvt_f32_f64_e32 v45, v[8:9]
	s_branch .LBB231_3538
.LBB231_3536:
	s_mov_b64 s[4:5], -1
                                        ; implicit-def: $vgpr45
	s_branch .LBB231_3541
.LBB231_3537:
	s_mov_b64 s[4:5], -1
                                        ; implicit-def: $vgpr45
.LBB231_3538:
	s_andn2_b64 vcc, exec, s[4:5]
	s_cbranch_vccnz .LBB231_3540
; %bb.3539:
	global_load_dword v45, v[6:7], off
.LBB231_3540:
	s_mov_b64 s[4:5], 0
.LBB231_3541:
	s_andn2_b64 vcc, exec, s[4:5]
	s_cbranch_vccnz .LBB231_3543
; %bb.3542:
	global_load_ushort v3, v[6:7], off
	s_waitcnt vmcnt(0)
	v_cvt_f32_f16_e32 v45, v3
.LBB231_3543:
	s_mov_b64 s[4:5], 0
.LBB231_3544:
	s_andn2_b64 vcc, exec, s[4:5]
	s_cbranch_vccnz .LBB231_3564
; %bb.3545:
	v_cmp_lt_i16_e64 s[4:5], s24, 2
	s_and_b64 vcc, exec, s[4:5]
	s_cbranch_vccnz .LBB231_3549
; %bb.3546:
	v_cmp_lt_i16_e64 s[4:5], s24, 3
	s_and_b64 vcc, exec, s[4:5]
	s_cbranch_vccnz .LBB231_3550
; %bb.3547:
	v_cmp_gt_i16_e64 s[4:5], s24, 3
	s_and_b64 vcc, exec, s[4:5]
	s_cbranch_vccz .LBB231_3551
; %bb.3548:
	global_load_dwordx2 v[8:9], v[6:7], off
	s_mov_b64 s[4:5], 0
	s_waitcnt vmcnt(0)
	v_xor_b32_e32 v5, v8, v9
	v_ffbh_i32_e32 v3, v9
	v_ashrrev_i32_e32 v5, 31, v5
	v_add_u32_e32 v3, -1, v3
	v_add_u32_e32 v5, 32, v5
	v_min_u32_e32 v3, v3, v5
	v_lshlrev_b64 v[8:9], v3, v[8:9]
	v_min_u32_e32 v5, 1, v8
	v_or_b32_e32 v5, v9, v5
	v_cvt_f32_i32_e32 v5, v5
	v_sub_u32_e32 v3, 32, v3
	v_ldexp_f32 v45, v5, v3
	s_branch .LBB231_3552
.LBB231_3549:
	s_mov_b64 s[4:5], -1
                                        ; implicit-def: $vgpr45
	s_branch .LBB231_3558
.LBB231_3550:
	s_mov_b64 s[4:5], -1
                                        ; implicit-def: $vgpr45
	s_branch .LBB231_3555
.LBB231_3551:
	s_mov_b64 s[4:5], -1
                                        ; implicit-def: $vgpr45
.LBB231_3552:
	s_andn2_b64 vcc, exec, s[4:5]
	s_cbranch_vccnz .LBB231_3554
; %bb.3553:
	global_load_dword v3, v[6:7], off
	s_waitcnt vmcnt(0)
	v_cvt_f32_i32_e32 v45, v3
.LBB231_3554:
	s_mov_b64 s[4:5], 0
.LBB231_3555:
	s_andn2_b64 vcc, exec, s[4:5]
	s_cbranch_vccnz .LBB231_3557
; %bb.3556:
	global_load_sshort v3, v[6:7], off
	s_waitcnt vmcnt(0)
	v_cvt_f32_i32_e32 v45, v3
.LBB231_3557:
	s_mov_b64 s[4:5], 0
.LBB231_3558:
	s_andn2_b64 vcc, exec, s[4:5]
	s_cbranch_vccnz .LBB231_3564
; %bb.3559:
	v_cmp_gt_i16_e64 s[4:5], s24, 0
	s_and_b64 vcc, exec, s[4:5]
	s_cbranch_vccz .LBB231_3561
; %bb.3560:
	global_load_sbyte v3, v[6:7], off
	s_mov_b64 s[4:5], 0
	s_waitcnt vmcnt(0)
	v_cvt_f32_i32_e32 v45, v3
	s_branch .LBB231_3562
.LBB231_3561:
	s_mov_b64 s[4:5], -1
                                        ; implicit-def: $vgpr45
.LBB231_3562:
	s_andn2_b64 vcc, exec, s[4:5]
	s_cbranch_vccnz .LBB231_3564
; %bb.3563:
	global_load_ubyte v3, v[6:7], off
	s_waitcnt vmcnt(0)
	v_cvt_f32_ubyte0_e32 v45, v3
.LBB231_3564:
	s_mov_b64 s[12:13], -1
.LBB231_3565:
	s_andn2_b64 vcc, exec, s[12:13]
	s_cbranch_vccnz .LBB231_4149
; %bb.3566:
	v_mov_b32_e32 v3, s9
	v_add_co_u32_e32 v4, vcc, s8, v4
	v_addc_co_u32_e32 v5, vcc, 0, v3, vcc
	s_and_b64 vcc, exec, s[10:11]
	s_cbranch_vccnz .LBB231_3573
; %bb.3567:
	v_cmp_gt_i16_e64 s[4:5], s25, 25
	s_mov_b64 s[6:7], 0
	s_and_b64 vcc, exec, s[4:5]
	s_cbranch_vccz .LBB231_3574
; %bb.3568:
	v_cmp_gt_i16_e64 s[4:5], s25, 28
	s_and_b64 vcc, exec, s[4:5]
	s_cbranch_vccz .LBB231_3575
; %bb.3569:
	v_cmp_gt_i16_e64 s[4:5], s25, 43
	s_and_b64 vcc, exec, s[4:5]
	s_cbranch_vccz .LBB231_3576
; %bb.3570:
	v_cmp_gt_i16_e64 s[4:5], s25, 45
	s_and_b64 vcc, exec, s[4:5]
	s_cbranch_vccz .LBB231_3578
; %bb.3571:
	v_cmp_eq_u16_e64 s[4:5], s25, 46
	s_mov_b64 s[10:11], 0
	s_and_b64 vcc, exec, s[4:5]
	s_cbranch_vccz .LBB231_3579
; %bb.3572:
	global_load_dword v3, v[4:5], off
	s_mov_b64 s[4:5], 0
	s_mov_b64 s[8:9], -1
	s_waitcnt vmcnt(0)
	v_lshlrev_b32_e32 v46, 16, v3
	s_branch .LBB231_3580
.LBB231_3573:
	s_mov_b64 s[4:5], -1
	s_mov_b64 s[8:9], 0
                                        ; implicit-def: $vgpr46
	s_branch .LBB231_3646
.LBB231_3574:
	s_mov_b64 s[10:11], -1
	s_mov_b64 s[8:9], 0
	s_mov_b64 s[4:5], 0
                                        ; implicit-def: $vgpr46
	s_branch .LBB231_3609
.LBB231_3575:
	s_mov_b64 s[10:11], -1
	s_mov_b64 s[8:9], 0
	s_mov_b64 s[4:5], 0
                                        ; implicit-def: $vgpr46
	s_branch .LBB231_3590
.LBB231_3576:
	s_mov_b64 s[10:11], -1
	s_mov_b64 s[8:9], 0
	s_mov_b64 s[4:5], 0
                                        ; implicit-def: $vgpr46
	s_branch .LBB231_3585
.LBB231_3577:
	s_trap 2
	s_or_b64 s[40:41], s[40:41], exec
                                        ; implicit-def: $vgpr45
	s_cbranch_execz .LBB231_3514
	s_branch .LBB231_3515
.LBB231_3578:
	s_mov_b64 s[10:11], -1
	s_mov_b64 s[8:9], 0
	s_mov_b64 s[4:5], 0
                                        ; implicit-def: $vgpr46
	s_branch .LBB231_3580
.LBB231_3579:
	s_mov_b64 s[4:5], -1
                                        ; implicit-def: $vgpr46
	s_mov_b64 s[8:9], 0
.LBB231_3580:
	s_and_b64 vcc, exec, s[10:11]
	s_cbranch_vccz .LBB231_3584
; %bb.3581:
	v_cmp_eq_u16_e64 s[4:5], s25, 44
	s_and_b64 vcc, exec, s[4:5]
	s_cbranch_vccz .LBB231_3583
; %bb.3582:
	global_load_ubyte v3, v[4:5], off
	s_movk_i32 s8, 0xff
	v_mov_b32_e32 v6, 0x7f800001
	v_mov_b32_e32 v7, 0x400000
	s_mov_b64 s[4:5], 0
	s_waitcnt vmcnt(0)
	v_lshlrev_b32_e32 v8, 23, v3
	v_cmp_ne_u32_e32 vcc, s8, v3
	v_cndmask_b32_e32 v6, v6, v8, vcc
	v_cmp_ne_u32_e32 vcc, 0, v3
	v_cndmask_b32_e32 v46, v7, v6, vcc
	s_mov_b64 s[8:9], -1
	s_branch .LBB231_3584
.LBB231_3583:
	s_mov_b64 s[4:5], -1
                                        ; implicit-def: $vgpr46
.LBB231_3584:
	s_mov_b64 s[10:11], 0
.LBB231_3585:
	s_and_b64 vcc, exec, s[10:11]
	s_cbranch_vccz .LBB231_3589
; %bb.3586:
	v_cmp_eq_u16_e64 s[4:5], s25, 29
	s_and_b64 vcc, exec, s[4:5]
	s_cbranch_vccz .LBB231_3588
; %bb.3587:
	global_load_dwordx2 v[6:7], v[4:5], off
	s_mov_b64 s[4:5], 0
	s_mov_b64 s[8:9], -1
	s_mov_b64 s[10:11], 0
	s_waitcnt vmcnt(0)
	v_ffbh_u32_e32 v3, v7
	v_min_u32_e32 v3, 32, v3
	v_lshlrev_b64 v[6:7], v3, v[6:7]
	v_min_u32_e32 v6, 1, v6
	v_or_b32_e32 v6, v7, v6
	v_cvt_f32_u32_e32 v6, v6
	v_sub_u32_e32 v3, 32, v3
	v_ldexp_f32 v46, v6, v3
	s_branch .LBB231_3590
.LBB231_3588:
	s_mov_b64 s[4:5], -1
                                        ; implicit-def: $vgpr46
.LBB231_3589:
	s_mov_b64 s[10:11], 0
.LBB231_3590:
	s_and_b64 vcc, exec, s[10:11]
	s_cbranch_vccz .LBB231_3608
; %bb.3591:
	v_cmp_lt_i16_e64 s[8:9], s25, 27
	s_and_b64 vcc, exec, s[8:9]
	s_cbranch_vccnz .LBB231_3594
; %bb.3592:
	v_cmp_gt_i16_e64 s[8:9], s25, 27
	s_and_b64 vcc, exec, s[8:9]
	s_cbranch_vccz .LBB231_3595
; %bb.3593:
	global_load_dword v3, v[4:5], off
	s_mov_b64 s[8:9], 0
	s_waitcnt vmcnt(0)
	v_cvt_f32_u32_e32 v46, v3
	s_branch .LBB231_3596
.LBB231_3594:
	s_mov_b64 s[8:9], -1
                                        ; implicit-def: $vgpr46
	s_branch .LBB231_3599
.LBB231_3595:
	s_mov_b64 s[8:9], -1
                                        ; implicit-def: $vgpr46
.LBB231_3596:
	s_andn2_b64 vcc, exec, s[8:9]
	s_cbranch_vccnz .LBB231_3598
; %bb.3597:
	global_load_ushort v3, v[4:5], off
	s_waitcnt vmcnt(0)
	v_cvt_f32_u32_e32 v46, v3
.LBB231_3598:
	s_mov_b64 s[8:9], 0
.LBB231_3599:
	s_andn2_b64 vcc, exec, s[8:9]
	s_cbranch_vccnz .LBB231_3607
; %bb.3600:
	global_load_ubyte v3, v[4:5], off
	s_movk_i32 s8, 0x7f
                                        ; implicit-def: $sgpr14
	s_waitcnt vmcnt(0)
	v_cmp_lt_i16_e32 vcc, s8, v3
	s_mov_b64 s[8:9], 0
	s_and_saveexec_b64 s[10:11], vcc
	s_xor_b64 s[10:11], exec, s[10:11]
	s_cbranch_execz .LBB231_3621
; %bb.3601:
	s_movk_i32 s8, 0x80
	v_cmp_eq_u16_e32 vcc, s8, v3
	s_mov_b64 s[8:9], -1
                                        ; implicit-def: $sgpr14
	s_and_saveexec_b64 s[12:13], vcc
; %bb.3602:
	s_mov_b32 s14, 0x7f800001
	s_xor_b64 s[8:9], exec, -1
; %bb.3603:
	s_or_b64 exec, exec, s[12:13]
	s_and_b64 s[8:9], s[8:9], exec
	s_or_saveexec_b64 s[10:11], s[10:11]
	v_mov_b32_e32 v46, s14
	s_xor_b64 exec, exec, s[10:11]
	s_cbranch_execnz .LBB231_3622
.LBB231_3604:
	s_or_b64 exec, exec, s[10:11]
	s_and_saveexec_b64 s[10:11], s[8:9]
	s_cbranch_execz .LBB231_3606
.LBB231_3605:
	v_lshlrev_b32_e32 v6, 24, v3
	v_and_b32_e32 v3, 0xffff, v3
	v_and_b32_e32 v7, 7, v3
	v_ffbh_u32_e32 v9, v7
	v_min_u32_e32 v9, 32, v9
	v_subrev_u32_e32 v10, 28, v9
	v_bfe_u32 v8, v3, 3, 4
	v_lshlrev_b32_e32 v3, v10, v3
	v_sub_u32_e32 v9, 29, v9
	v_and_b32_e32 v3, 7, v3
	v_cmp_eq_u32_e32 vcc, 0, v8
	v_cndmask_b32_e32 v8, v8, v9, vcc
	v_cndmask_b32_e32 v3, v7, v3, vcc
	v_mov_b32_e32 v7, 0x3b800000
	v_lshlrev_b32_e32 v3, 20, v3
	v_and_b32_e32 v6, 0x80000000, v6
	v_lshl_add_u32 v7, v8, 23, v7
	v_or3_b32 v46, v6, v7, v3
.LBB231_3606:
	s_or_b64 exec, exec, s[10:11]
.LBB231_3607:
	s_mov_b64 s[8:9], -1
.LBB231_3608:
	s_mov_b64 s[10:11], 0
.LBB231_3609:
	s_and_b64 vcc, exec, s[10:11]
	s_cbranch_vccz .LBB231_3642
; %bb.3610:
	v_cmp_gt_i16_e64 s[6:7], s25, 22
	s_and_b64 vcc, exec, s[6:7]
	s_cbranch_vccz .LBB231_3620
; %bb.3611:
	v_cmp_lt_i16_e64 s[6:7], s25, 24
	s_and_b64 vcc, exec, s[6:7]
	s_cbranch_vccnz .LBB231_3623
; %bb.3612:
	v_cmp_gt_i16_e64 s[6:7], s25, 24
	s_and_b64 vcc, exec, s[6:7]
	s_cbranch_vccz .LBB231_3624
; %bb.3613:
	global_load_ubyte v3, v[4:5], off
	s_movk_i32 s6, 0x7f
                                        ; implicit-def: $sgpr12
	s_waitcnt vmcnt(0)
	v_cmp_lt_i16_e32 vcc, s6, v3
	s_mov_b64 s[6:7], 0
	s_and_saveexec_b64 s[8:9], vcc
	s_xor_b64 s[8:9], exec, s[8:9]
	s_cbranch_execz .LBB231_3636
; %bb.3614:
	s_movk_i32 s6, 0x80
	v_cmp_eq_u16_e32 vcc, s6, v3
	s_mov_b64 s[6:7], -1
                                        ; implicit-def: $sgpr12
	s_and_saveexec_b64 s[10:11], vcc
; %bb.3615:
	s_mov_b32 s12, 0x7f800001
	s_xor_b64 s[6:7], exec, -1
; %bb.3616:
	s_or_b64 exec, exec, s[10:11]
	s_and_b64 s[6:7], s[6:7], exec
	s_or_saveexec_b64 s[8:9], s[8:9]
	v_mov_b32_e32 v46, s12
	s_xor_b64 exec, exec, s[8:9]
	s_cbranch_execnz .LBB231_3637
.LBB231_3617:
	s_or_b64 exec, exec, s[8:9]
	s_and_saveexec_b64 s[8:9], s[6:7]
	s_cbranch_execz .LBB231_3619
.LBB231_3618:
	v_lshlrev_b32_e32 v6, 24, v3
	v_and_b32_e32 v3, 0xffff, v3
	v_and_b32_e32 v7, 3, v3
	v_ffbh_u32_e32 v9, v7
	v_min_u32_e32 v9, 32, v9
	v_subrev_u32_e32 v10, 29, v9
	v_bfe_u32 v8, v3, 2, 5
	v_lshlrev_b32_e32 v3, v10, v3
	v_sub_u32_e32 v9, 30, v9
	v_and_b32_e32 v3, 3, v3
	v_cmp_eq_u32_e32 vcc, 0, v8
	v_cndmask_b32_e32 v8, v8, v9, vcc
	v_cndmask_b32_e32 v3, v7, v3, vcc
	v_mov_b32_e32 v7, 0x37800000
	v_lshlrev_b32_e32 v3, 21, v3
	v_and_b32_e32 v6, 0x80000000, v6
	v_lshl_add_u32 v7, v8, 23, v7
	v_or3_b32 v46, v6, v7, v3
.LBB231_3619:
	s_or_b64 exec, exec, s[8:9]
	s_mov_b64 s[6:7], 0
	s_branch .LBB231_3625
.LBB231_3620:
	s_mov_b64 s[6:7], -1
                                        ; implicit-def: $vgpr46
	s_branch .LBB231_3631
.LBB231_3621:
	s_or_saveexec_b64 s[10:11], s[10:11]
	v_mov_b32_e32 v46, s14
	s_xor_b64 exec, exec, s[10:11]
	s_cbranch_execz .LBB231_3604
.LBB231_3622:
	v_cmp_ne_u16_e32 vcc, 0, v3
	s_andn2_b64 s[8:9], s[8:9], exec
	s_and_b64 s[12:13], vcc, exec
	v_mov_b32_e32 v46, 0
	s_or_b64 s[8:9], s[8:9], s[12:13]
	s_or_b64 exec, exec, s[10:11]
	s_and_saveexec_b64 s[10:11], s[8:9]
	s_cbranch_execnz .LBB231_3605
	s_branch .LBB231_3606
.LBB231_3623:
	s_mov_b64 s[6:7], -1
                                        ; implicit-def: $vgpr46
	s_branch .LBB231_3628
.LBB231_3624:
	s_mov_b64 s[6:7], -1
                                        ; implicit-def: $vgpr46
.LBB231_3625:
	s_and_b64 vcc, exec, s[6:7]
	s_cbranch_vccz .LBB231_3627
; %bb.3626:
	global_load_ubyte v3, v[4:5], off
	s_mov_b32 s6, 0x7f800000
	s_waitcnt vmcnt(0)
	v_lshlrev_b32_e32 v3, 24, v3
	v_and_b32_e32 v6, 0x7f000000, v3
	v_ffbh_u32_e32 v7, v6
	v_min_u32_e32 v7, 32, v7
	v_sub_u32_e64 v7, v7, 4 clamp
	v_lshlrev_b32_e32 v9, v7, v6
	v_lshlrev_b32_e32 v7, 23, v7
	v_lshrrev_b32_e32 v9, 4, v9
	v_add_u32_e32 v8, 0x1000000, v6
	v_sub_u32_e32 v7, v9, v7
	v_ashrrev_i32_e32 v8, 8, v8
	v_add_u32_e32 v7, 0x3c000000, v7
	v_and_or_b32 v7, v8, s6, v7
	v_cmp_ne_u32_e32 vcc, 0, v6
	v_cndmask_b32_e32 v6, 0, v7, vcc
	s_brev_b32 s6, 1
	v_and_or_b32 v46, v3, s6, v6
.LBB231_3627:
	s_mov_b64 s[6:7], 0
.LBB231_3628:
	s_andn2_b64 vcc, exec, s[6:7]
	s_cbranch_vccnz .LBB231_3630
; %bb.3629:
	global_load_ubyte v3, v[4:5], off
	s_movk_i32 s6, 0x7f00
	s_brev_b32 s7, 16
	s_waitcnt vmcnt(0)
	v_lshlrev_b16_e32 v6, 8, v3
	v_lshlrev_b32_e32 v3, 25, v3
	v_lshrrev_b32_e32 v7, 4, v3
	v_and_or_b32 v8, v6, s6, 0.5
	v_or_b32_e32 v7, 0x70000000, v7
	v_add_f32_e32 v8, -0.5, v8
	v_mul_f32_e32 v7, 0x7800000, v7
	v_cmp_gt_u32_e32 vcc, s7, v3
	v_bfe_i32 v6, v6, 0, 16
	v_cndmask_b32_e32 v3, v7, v8, vcc
	s_brev_b32 s6, 1
	v_and_or_b32 v46, v6, s6, v3
.LBB231_3630:
	s_mov_b64 s[6:7], 0
	s_mov_b64 s[8:9], -1
.LBB231_3631:
	s_andn2_b64 vcc, exec, s[6:7]
	s_mov_b64 s[6:7], 0
	s_cbranch_vccnz .LBB231_3642
; %bb.3632:
	v_cmp_gt_i16_e64 s[6:7], s25, 14
	s_and_b64 vcc, exec, s[6:7]
	s_cbranch_vccz .LBB231_3635
; %bb.3633:
	v_cmp_eq_u16_e64 s[4:5], s25, 15
	s_and_b64 vcc, exec, s[4:5]
	s_cbranch_vccz .LBB231_3638
; %bb.3634:
	global_load_ushort v3, v[4:5], off
	s_mov_b64 s[4:5], 0
	s_mov_b64 s[8:9], -1
	s_waitcnt vmcnt(0)
	v_lshlrev_b32_e32 v46, 16, v3
	s_branch .LBB231_3639
.LBB231_3635:
	s_mov_b64 s[10:11], -1
                                        ; implicit-def: $vgpr46
	s_branch .LBB231_3640
.LBB231_3636:
	s_or_saveexec_b64 s[8:9], s[8:9]
	v_mov_b32_e32 v46, s12
	s_xor_b64 exec, exec, s[8:9]
	s_cbranch_execz .LBB231_3617
.LBB231_3637:
	v_cmp_ne_u16_e32 vcc, 0, v3
	s_andn2_b64 s[6:7], s[6:7], exec
	s_and_b64 s[10:11], vcc, exec
	v_mov_b32_e32 v46, 0
	s_or_b64 s[6:7], s[6:7], s[10:11]
	s_or_b64 exec, exec, s[8:9]
	s_and_saveexec_b64 s[8:9], s[6:7]
	s_cbranch_execnz .LBB231_3618
	s_branch .LBB231_3619
.LBB231_3638:
	s_mov_b64 s[4:5], -1
                                        ; implicit-def: $vgpr46
.LBB231_3639:
	s_mov_b64 s[10:11], 0
.LBB231_3640:
	s_mov_b64 s[6:7], 0
	s_and_b64 vcc, exec, s[10:11]
	s_cbranch_vccz .LBB231_3642
; %bb.3641:
	v_cmp_ne_u16_e64 s[4:5], s25, 11
	s_mov_b64 s[6:7], -1
                                        ; implicit-def: $vgpr46
.LBB231_3642:
	s_and_b64 vcc, exec, s[4:5]
	s_cbranch_vccnz .LBB231_3706
; %bb.3643:
	s_andn2_b64 vcc, exec, s[6:7]
	s_cbranch_vccnz .LBB231_3645
.LBB231_3644:
	global_load_ubyte v3, v[4:5], off
	s_mov_b64 s[8:9], -1
	s_waitcnt vmcnt(0)
	v_cmp_ne_u16_e32 vcc, 0, v3
	v_cndmask_b32_e64 v46, 0, 1.0, vcc
.LBB231_3645:
	s_mov_b64 s[4:5], 0
.LBB231_3646:
	s_and_b64 vcc, exec, s[4:5]
	s_cbranch_vccz .LBB231_3695
; %bb.3647:
	v_cmp_lt_i16_e64 s[4:5], s25, 5
	s_and_b64 vcc, exec, s[4:5]
	s_cbranch_vccnz .LBB231_3652
; %bb.3648:
	v_cmp_lt_i16_e64 s[4:5], s25, 8
	s_and_b64 vcc, exec, s[4:5]
	s_cbranch_vccnz .LBB231_3653
	;; [unrolled: 4-line block ×3, first 2 shown]
; %bb.3650:
	v_cmp_gt_i16_e64 s[4:5], s25, 9
	s_and_b64 vcc, exec, s[4:5]
	s_cbranch_vccz .LBB231_3655
; %bb.3651:
	global_load_dwordx2 v[6:7], v[4:5], off
	s_mov_b64 s[4:5], 0
	s_waitcnt vmcnt(0)
	v_cvt_f32_f64_e32 v46, v[6:7]
	s_branch .LBB231_3656
.LBB231_3652:
	s_mov_b64 s[4:5], -1
                                        ; implicit-def: $vgpr46
	s_branch .LBB231_3674
.LBB231_3653:
	s_mov_b64 s[4:5], -1
                                        ; implicit-def: $vgpr46
	s_branch .LBB231_3662
.LBB231_3654:
	s_mov_b64 s[4:5], -1
                                        ; implicit-def: $vgpr46
	s_branch .LBB231_3659
.LBB231_3655:
	s_mov_b64 s[4:5], -1
                                        ; implicit-def: $vgpr46
.LBB231_3656:
	s_andn2_b64 vcc, exec, s[4:5]
	s_cbranch_vccnz .LBB231_3658
; %bb.3657:
	global_load_dword v46, v[4:5], off
.LBB231_3658:
	s_mov_b64 s[4:5], 0
.LBB231_3659:
	s_andn2_b64 vcc, exec, s[4:5]
	s_cbranch_vccnz .LBB231_3661
; %bb.3660:
	global_load_dword v3, v[4:5], off
	s_waitcnt vmcnt(0)
	v_cvt_f32_f16_e32 v46, v3
.LBB231_3661:
	s_mov_b64 s[4:5], 0
.LBB231_3662:
	s_andn2_b64 vcc, exec, s[4:5]
	s_cbranch_vccnz .LBB231_3673
; %bb.3663:
	v_cmp_lt_i16_e64 s[4:5], s25, 6
	s_and_b64 vcc, exec, s[4:5]
	s_cbranch_vccnz .LBB231_3666
; %bb.3664:
	v_cmp_gt_i16_e64 s[4:5], s25, 6
	s_and_b64 vcc, exec, s[4:5]
	s_cbranch_vccz .LBB231_3667
; %bb.3665:
	global_load_dwordx2 v[6:7], v[4:5], off
	s_mov_b64 s[4:5], 0
	s_waitcnt vmcnt(0)
	v_cvt_f32_f64_e32 v46, v[6:7]
	s_branch .LBB231_3668
.LBB231_3666:
	s_mov_b64 s[4:5], -1
                                        ; implicit-def: $vgpr46
	s_branch .LBB231_3671
.LBB231_3667:
	s_mov_b64 s[4:5], -1
                                        ; implicit-def: $vgpr46
.LBB231_3668:
	s_andn2_b64 vcc, exec, s[4:5]
	s_cbranch_vccnz .LBB231_3670
; %bb.3669:
	global_load_dword v46, v[4:5], off
.LBB231_3670:
	s_mov_b64 s[4:5], 0
.LBB231_3671:
	s_andn2_b64 vcc, exec, s[4:5]
	s_cbranch_vccnz .LBB231_3673
; %bb.3672:
	global_load_ushort v3, v[4:5], off
	s_waitcnt vmcnt(0)
	v_cvt_f32_f16_e32 v46, v3
.LBB231_3673:
	s_mov_b64 s[4:5], 0
.LBB231_3674:
	s_andn2_b64 vcc, exec, s[4:5]
	s_cbranch_vccnz .LBB231_3694
; %bb.3675:
	v_cmp_lt_i16_e64 s[4:5], s25, 2
	s_and_b64 vcc, exec, s[4:5]
	s_cbranch_vccnz .LBB231_3679
; %bb.3676:
	v_cmp_lt_i16_e64 s[4:5], s25, 3
	s_and_b64 vcc, exec, s[4:5]
	s_cbranch_vccnz .LBB231_3680
; %bb.3677:
	v_cmp_gt_i16_e64 s[4:5], s25, 3
	s_and_b64 vcc, exec, s[4:5]
	s_cbranch_vccz .LBB231_3681
; %bb.3678:
	global_load_dwordx2 v[6:7], v[4:5], off
	s_mov_b64 s[4:5], 0
	s_waitcnt vmcnt(0)
	v_xor_b32_e32 v8, v6, v7
	v_ffbh_i32_e32 v3, v7
	v_ashrrev_i32_e32 v8, 31, v8
	v_add_u32_e32 v3, -1, v3
	v_add_u32_e32 v8, 32, v8
	v_min_u32_e32 v3, v3, v8
	v_lshlrev_b64 v[6:7], v3, v[6:7]
	v_min_u32_e32 v6, 1, v6
	v_or_b32_e32 v6, v7, v6
	v_cvt_f32_i32_e32 v6, v6
	v_sub_u32_e32 v3, 32, v3
	v_ldexp_f32 v46, v6, v3
	s_branch .LBB231_3682
.LBB231_3679:
	s_mov_b64 s[4:5], -1
                                        ; implicit-def: $vgpr46
	s_branch .LBB231_3688
.LBB231_3680:
	s_mov_b64 s[4:5], -1
                                        ; implicit-def: $vgpr46
	s_branch .LBB231_3685
.LBB231_3681:
	s_mov_b64 s[4:5], -1
                                        ; implicit-def: $vgpr46
.LBB231_3682:
	s_andn2_b64 vcc, exec, s[4:5]
	s_cbranch_vccnz .LBB231_3684
; %bb.3683:
	global_load_dword v3, v[4:5], off
	s_waitcnt vmcnt(0)
	v_cvt_f32_i32_e32 v46, v3
.LBB231_3684:
	s_mov_b64 s[4:5], 0
.LBB231_3685:
	s_andn2_b64 vcc, exec, s[4:5]
	s_cbranch_vccnz .LBB231_3687
; %bb.3686:
	global_load_sshort v3, v[4:5], off
	s_waitcnt vmcnt(0)
	v_cvt_f32_i32_e32 v46, v3
.LBB231_3687:
	s_mov_b64 s[4:5], 0
.LBB231_3688:
	s_andn2_b64 vcc, exec, s[4:5]
	s_cbranch_vccnz .LBB231_3694
; %bb.3689:
	v_cmp_gt_i16_e64 s[4:5], s25, 0
	s_and_b64 vcc, exec, s[4:5]
	s_cbranch_vccz .LBB231_3691
; %bb.3690:
	global_load_sbyte v3, v[4:5], off
	s_mov_b64 s[4:5], 0
	s_waitcnt vmcnt(0)
	v_cvt_f32_i32_e32 v46, v3
	s_branch .LBB231_3692
.LBB231_3691:
	s_mov_b64 s[4:5], -1
                                        ; implicit-def: $vgpr46
.LBB231_3692:
	s_andn2_b64 vcc, exec, s[4:5]
	s_cbranch_vccnz .LBB231_3694
; %bb.3693:
	global_load_ubyte v3, v[4:5], off
	s_waitcnt vmcnt(0)
	v_cvt_f32_ubyte0_e32 v46, v3
.LBB231_3694:
	s_mov_b64 s[8:9], -1
.LBB231_3695:
	s_andn2_b64 vcc, exec, s[8:9]
	s_cbranch_vccnz .LBB231_4149
; %bb.3696:
	s_lshr_b32 s33, s22, 8
	s_getpc_b64 s[4:5]
	s_add_u32 s4, s4, _ZZZZN2at6native28launch_dirichlet_grad_kernelERNS_18TensorIteratorBaseEENKUlvE_clEvENKUlvE0_clEvENKUlfffE_clEfff@rel32@lo+4
	s_addc_u32 s5, s5, _ZZZZN2at6native28launch_dirichlet_grad_kernelERNS_18TensorIteratorBaseEENKUlvE_clEvENKUlvE0_clEvENKUlfffE_clEfff@rel32@hi+12
	s_swappc_b64 s[30:31], s[4:5]
	v_mov_b32_e32 v1, s29
	v_add_co_u32_e32 v2, vcc, s28, v54
	v_addc_co_u32_e32 v3, vcc, 0, v1, vcc
	v_mov_b32_e32 v1, 11
	v_cmp_lt_i16_sdwa s[4:5], s33, v1 src0_sel:BYTE_0 src1_sel:DWORD
	s_and_b64 vcc, exec, s[4:5]
	s_cbranch_vccnz .LBB231_3703
; %bb.3697:
	v_mov_b32_e32 v1, 25
	v_cmp_gt_i16_sdwa s[4:5], s33, v1 src0_sel:BYTE_0 src1_sel:DWORD
	s_mov_b64 s[10:11], -1
	s_mov_b64 s[6:7], 0
	s_and_b64 vcc, exec, s[4:5]
	s_mov_b64 s[8:9], 0
	s_mov_b64 s[4:5], 0
	s_cbranch_vccz .LBB231_3735
; %bb.3698:
	v_mov_b32_e32 v1, 28
	v_cmp_gt_i16_sdwa s[4:5], s33, v1 src0_sel:BYTE_0 src1_sel:DWORD
	s_and_b64 vcc, exec, s[4:5]
	s_cbranch_vccz .LBB231_3704
; %bb.3699:
	v_mov_b32_e32 v1, 43
	v_cmp_gt_i16_sdwa s[4:5], s33, v1 src0_sel:BYTE_0 src1_sel:DWORD
	s_and_b64 vcc, exec, s[4:5]
	;; [unrolled: 5-line block ×3, first 2 shown]
	s_cbranch_vccz .LBB231_3707
; %bb.3701:
	v_mov_b32_e32 v1, 46
	v_cmp_eq_u16_sdwa s[8:9], s33, v1 src0_sel:BYTE_0 src1_sel:DWORD
	s_mov_b64 s[4:5], -1
	s_mov_b64 s[10:11], 0
	s_and_b64 vcc, exec, s[8:9]
	s_mov_b64 s[8:9], 0
	s_cbranch_vccz .LBB231_3708
; %bb.3702:
	v_bfe_u32 v1, v0, 16, 1
	s_movk_i32 s4, 0x7fff
	v_add3_u32 v1, v0, v1, s4
	v_lshrrev_b32_e32 v1, 16, v1
	v_mov_b32_e32 v4, 0x7fc0
	v_cmp_o_f32_e32 vcc, v0, v0
	v_cndmask_b32_e32 v1, v4, v1, vcc
	global_store_dword v[2:3], v1, off
	s_mov_b64 s[4:5], 0
	s_mov_b64 s[8:9], -1
	s_branch .LBB231_3708
.LBB231_3703:
	s_mov_b64 s[4:5], -1
	s_mov_b64 s[8:9], 0
	s_branch .LBB231_3779
.LBB231_3704:
	s_mov_b64 s[4:5], 0
	s_branch .LBB231_3718
.LBB231_3705:
	s_mov_b64 s[4:5], 0
	s_branch .LBB231_3714
.LBB231_3706:
	s_trap 2
	s_or_b64 s[40:41], s[40:41], exec
                                        ; implicit-def: $vgpr46
	s_cbranch_execz .LBB231_3644
	s_branch .LBB231_3645
.LBB231_3707:
	s_mov_b64 s[4:5], 0
.LBB231_3708:
	s_and_b64 vcc, exec, s[10:11]
	s_cbranch_vccz .LBB231_3713
; %bb.3709:
	v_mov_b32_e32 v1, 44
	v_cmp_eq_u16_sdwa s[10:11], s33, v1 src0_sel:BYTE_0 src1_sel:DWORD
	s_mov_b64 s[4:5], -1
	s_and_b64 vcc, exec, s[10:11]
	s_cbranch_vccz .LBB231_3713
; %bb.3710:
	v_bfe_u32 v1, v0, 23, 8
	s_movk_i32 s4, 0xff
	v_cmp_ne_u32_e32 vcc, s4, v1
	v_mov_b32_e32 v4, 0xff
	s_and_saveexec_b64 s[8:9], vcc
; %bb.3711:
	s_mov_b32 s4, 0x3fffff
	v_and_b32_e32 v5, 0x400000, v0
	v_and_or_b32 v1, v0, s4, v1
	v_cmp_ne_u32_e32 vcc, 0, v5
	v_cmp_ne_u32_e64 s[4:5], 0, v1
	s_and_b64 s[4:5], vcc, s[4:5]
	v_lshrrev_b32_e32 v4, 23, v0
	v_cndmask_b32_e64 v1, 0, 1, s[4:5]
	v_add_u32_e32 v4, v4, v1
; %bb.3712:
	s_or_b64 exec, exec, s[8:9]
	s_mov_b64 s[4:5], 0
	s_mov_b64 s[8:9], -1
	global_store_byte v[2:3], v4, off
.LBB231_3713:
	s_mov_b64 s[10:11], 0
.LBB231_3714:
	s_and_b64 vcc, exec, s[10:11]
	s_cbranch_vccz .LBB231_3717
; %bb.3715:
	v_mov_b32_e32 v1, 29
	v_cmp_eq_u16_sdwa s[10:11], s33, v1 src0_sel:BYTE_0 src1_sel:DWORD
	s_mov_b64 s[4:5], -1
	s_and_b64 vcc, exec, s[10:11]
	s_cbranch_vccz .LBB231_3717
; %bb.3716:
	v_trunc_f32_e32 v1, v0
	v_mul_f32_e32 v4, 0x2f800000, v1
	v_floor_f32_e32 v4, v4
	v_fmac_f32_e32 v1, 0xcf800000, v4
	v_cvt_u32_f32_e32 v5, v4
	v_cvt_u32_f32_e32 v4, v1
	s_mov_b64 s[4:5], 0
	s_mov_b64 s[8:9], -1
	s_mov_b64 s[10:11], 0
	global_store_dwordx2 v[2:3], v[4:5], off
	s_branch .LBB231_3718
.LBB231_3717:
	s_mov_b64 s[10:11], 0
.LBB231_3718:
	s_and_b64 vcc, exec, s[10:11]
	s_cbranch_vccz .LBB231_3734
; %bb.3719:
	v_mov_b32_e32 v1, 27
	v_cmp_lt_i16_sdwa s[10:11], s33, v1 src0_sel:BYTE_0 src1_sel:DWORD
	s_mov_b64 s[8:9], -1
	s_and_b64 vcc, exec, s[10:11]
	s_cbranch_vccnz .LBB231_3725
; %bb.3720:
	v_cmp_gt_i16_sdwa s[10:11], s33, v1 src0_sel:BYTE_0 src1_sel:DWORD
	v_cvt_u32_f32_e32 v1, v0
	s_and_b64 vcc, exec, s[10:11]
	s_cbranch_vccz .LBB231_3722
; %bb.3721:
	s_mov_b64 s[8:9], 0
	global_store_dword v[2:3], v1, off
.LBB231_3722:
	s_andn2_b64 vcc, exec, s[8:9]
	s_cbranch_vccnz .LBB231_3724
; %bb.3723:
	global_store_short v[2:3], v1, off
.LBB231_3724:
	s_mov_b64 s[8:9], 0
.LBB231_3725:
	s_andn2_b64 vcc, exec, s[8:9]
	s_cbranch_vccnz .LBB231_3733
; %bb.3726:
	v_and_b32_e32 v1, 0x7fffffff, v0
	s_mov_b32 s8, 0x43800000
	v_cmp_gt_u32_e32 vcc, s8, v1
	v_mov_b32_e32 v4, 0x80
	s_and_saveexec_b64 s[8:9], vcc
	s_cbranch_execz .LBB231_3732
; %bb.3727:
	s_mov_b32 s10, 0x3bffffff
	v_cmp_lt_u32_e32 vcc, s10, v1
	s_mov_b64 s[10:11], 0
                                        ; implicit-def: $vgpr1
	s_and_saveexec_b64 s[12:13], vcc
	s_xor_b64 s[12:13], exec, s[12:13]
	s_cbranch_execz .LBB231_3828
; %bb.3728:
	v_bfe_u32 v1, v0, 20, 1
	s_mov_b32 s14, 0x487ffff
	v_add3_u32 v1, v0, v1, s14
	s_mov_b64 s[10:11], exec
	v_lshrrev_b32_e32 v1, 20, v1
	s_or_saveexec_b64 s[12:13], s[12:13]
                                        ; implicit-def: $sgpr14
	s_xor_b64 exec, exec, s[12:13]
	s_cbranch_execnz .LBB231_3829
.LBB231_3729:
	s_or_b64 exec, exec, s[12:13]
	v_mov_b32_e32 v4, s14
	s_and_saveexec_b64 s[12:13], s[10:11]
.LBB231_3730:
	v_lshrrev_b32_e32 v4, 24, v0
	s_movk_i32 s10, 0x80
	v_and_or_b32 v4, v4, s10, v1
.LBB231_3731:
	s_or_b64 exec, exec, s[12:13]
.LBB231_3732:
	s_or_b64 exec, exec, s[8:9]
	global_store_byte v[2:3], v4, off
.LBB231_3733:
	s_mov_b64 s[8:9], -1
.LBB231_3734:
	s_mov_b64 s[10:11], 0
.LBB231_3735:
	s_and_b64 vcc, exec, s[10:11]
	s_cbranch_vccz .LBB231_3775
; %bb.3736:
	v_mov_b32_e32 v1, 22
	v_cmp_gt_i16_sdwa s[10:11], s33, v1 src0_sel:BYTE_0 src1_sel:DWORD
	s_mov_b64 s[6:7], -1
	s_and_b64 vcc, exec, s[10:11]
	s_cbranch_vccz .LBB231_3768
; %bb.3737:
	v_mov_b32_e32 v1, 24
	v_cmp_lt_i16_sdwa s[8:9], s33, v1 src0_sel:BYTE_0 src1_sel:DWORD
	s_and_b64 vcc, exec, s[8:9]
	s_cbranch_vccnz .LBB231_3757
; %bb.3738:
	v_cmp_gt_i16_sdwa s[8:9], s33, v1 src0_sel:BYTE_0 src1_sel:DWORD
	s_and_b64 vcc, exec, s[8:9]
	s_cbranch_vccz .LBB231_3746
; %bb.3739:
	v_and_b32_e32 v1, 0x7fffffff, v0
	s_mov_b32 s6, 0x47800000
	v_cmp_gt_u32_e32 vcc, s6, v1
	v_mov_b32_e32 v4, 0x80
	s_and_saveexec_b64 s[6:7], vcc
	s_cbranch_execz .LBB231_3745
; %bb.3740:
	s_mov_b32 s8, 0x37ffffff
	v_cmp_lt_u32_e32 vcc, s8, v1
	s_mov_b64 s[8:9], 0
                                        ; implicit-def: $vgpr1
	s_and_saveexec_b64 s[10:11], vcc
	s_xor_b64 s[10:11], exec, s[10:11]
	s_cbranch_execz .LBB231_3832
; %bb.3741:
	v_bfe_u32 v1, v0, 21, 1
	s_mov_b32 s12, 0x88fffff
	v_add3_u32 v1, v0, v1, s12
	s_mov_b64 s[8:9], exec
	v_lshrrev_b32_e32 v1, 21, v1
	s_or_saveexec_b64 s[10:11], s[10:11]
                                        ; implicit-def: $sgpr12
	s_xor_b64 exec, exec, s[10:11]
	s_cbranch_execnz .LBB231_3833
.LBB231_3742:
	s_or_b64 exec, exec, s[10:11]
	v_mov_b32_e32 v4, s12
	s_and_saveexec_b64 s[10:11], s[8:9]
.LBB231_3743:
	v_lshrrev_b32_e32 v4, 24, v0
	s_movk_i32 s8, 0x80
	v_and_or_b32 v4, v4, s8, v1
.LBB231_3744:
	s_or_b64 exec, exec, s[10:11]
.LBB231_3745:
	s_or_b64 exec, exec, s[6:7]
	s_mov_b64 s[6:7], 0
	global_store_byte v[2:3], v4, off
.LBB231_3746:
	s_and_b64 vcc, exec, s[6:7]
	s_cbranch_vccz .LBB231_3756
; %bb.3747:
	v_and_b32_e32 v4, 0x7fffffff, v0
	s_mov_b32 s6, 0x43f00000
	v_cmp_gt_u32_e32 vcc, s6, v4
                                        ; implicit-def: $vgpr1
	s_and_saveexec_b64 s[6:7], vcc
	s_xor_b64 s[6:7], exec, s[6:7]
	s_cbranch_execz .LBB231_3753
; %bb.3748:
	s_mov_b32 s8, 0x3c7fffff
	v_cmp_lt_u32_e32 vcc, s8, v4
                                        ; implicit-def: $vgpr1
	s_and_saveexec_b64 s[8:9], vcc
	s_xor_b64 s[8:9], exec, s[8:9]
; %bb.3749:
	v_bfe_u32 v1, v0, 20, 1
	s_mov_b32 s10, 0x407ffff
	v_add3_u32 v1, v0, v1, s10
	v_lshrrev_b32_e32 v4, 20, v1
	v_and_b32_e32 v1, 0xff00000, v1
	s_mov_b32 s10, 0x7f00000
	v_mov_b32_e32 v5, 0x7e
	v_cmp_ne_u32_e32 vcc, s10, v1
	v_cndmask_b32_e32 v1, v5, v4, vcc
; %bb.3750:
	s_andn2_saveexec_b64 s[8:9], s[8:9]
; %bb.3751:
	s_mov_b32 s10, 0x46800000
	v_add_f32_e64 v1, |v0|, s10
; %bb.3752:
	s_or_b64 exec, exec, s[8:9]
                                        ; implicit-def: $vgpr4
.LBB231_3753:
	s_andn2_saveexec_b64 s[6:7], s[6:7]
; %bb.3754:
	s_mov_b32 s8, 0x7f800000
	v_mov_b32_e32 v1, 0x7e
	v_mov_b32_e32 v5, 0x7f
	v_cmp_lt_u32_e32 vcc, s8, v4
	v_cndmask_b32_e32 v1, v1, v5, vcc
; %bb.3755:
	s_or_b64 exec, exec, s[6:7]
	v_lshrrev_b32_e32 v4, 24, v0
	s_movk_i32 s6, 0x80
	v_and_or_b32 v1, v4, s6, v1
	global_store_byte v[2:3], v1, off
.LBB231_3756:
	s_mov_b64 s[6:7], 0
.LBB231_3757:
	s_andn2_b64 vcc, exec, s[6:7]
	s_cbranch_vccnz .LBB231_3767
; %bb.3758:
	v_and_b32_e32 v4, 0x7fffffff, v0
	s_mov_b32 s6, 0x47800000
	v_cmp_gt_u32_e32 vcc, s6, v4
                                        ; implicit-def: $vgpr1
	s_and_saveexec_b64 s[6:7], vcc
	s_xor_b64 s[6:7], exec, s[6:7]
	s_cbranch_execz .LBB231_3764
; %bb.3759:
	s_mov_b32 s8, 0x387fffff
	v_cmp_lt_u32_e32 vcc, s8, v4
                                        ; implicit-def: $vgpr1
	s_and_saveexec_b64 s[8:9], vcc
	s_xor_b64 s[8:9], exec, s[8:9]
; %bb.3760:
	v_bfe_u32 v1, v0, 21, 1
	s_mov_b32 s10, 0x80fffff
	v_add3_u32 v1, v0, v1, s10
	v_lshrrev_b32_e32 v1, 21, v1
; %bb.3761:
	s_andn2_saveexec_b64 s[8:9], s[8:9]
; %bb.3762:
	s_mov_b32 s10, 0x43000000
	v_add_f32_e64 v1, |v0|, s10
; %bb.3763:
	s_or_b64 exec, exec, s[8:9]
                                        ; implicit-def: $vgpr4
.LBB231_3764:
	s_andn2_saveexec_b64 s[6:7], s[6:7]
; %bb.3765:
	s_mov_b32 s8, 0x7f800000
	v_mov_b32_e32 v1, 0x7c
	v_mov_b32_e32 v5, 0x7f
	v_cmp_lt_u32_e32 vcc, s8, v4
	v_cndmask_b32_e32 v1, v1, v5, vcc
; %bb.3766:
	s_or_b64 exec, exec, s[6:7]
	v_lshrrev_b32_e32 v4, 24, v0
	s_movk_i32 s6, 0x80
	v_and_or_b32 v1, v4, s6, v1
	global_store_byte v[2:3], v1, off
.LBB231_3767:
	s_mov_b64 s[6:7], 0
	s_mov_b64 s[8:9], -1
.LBB231_3768:
	s_andn2_b64 vcc, exec, s[6:7]
	s_mov_b64 s[6:7], 0
	s_cbranch_vccnz .LBB231_3775
; %bb.3769:
	v_mov_b32_e32 v1, 14
	v_cmp_gt_i16_sdwa s[6:7], s33, v1 src0_sel:BYTE_0 src1_sel:DWORD
	s_mov_b64 s[10:11], -1
	s_and_b64 vcc, exec, s[6:7]
	s_cbranch_vccz .LBB231_3773
; %bb.3770:
	v_mov_b32_e32 v1, 15
	v_cmp_eq_u16_sdwa s[6:7], s33, v1 src0_sel:BYTE_0 src1_sel:DWORD
	s_mov_b64 s[4:5], -1
	s_and_b64 vcc, exec, s[6:7]
	s_cbranch_vccz .LBB231_3772
; %bb.3771:
	v_bfe_u32 v1, v0, 16, 1
	s_movk_i32 s4, 0x7fff
	v_add3_u32 v1, v0, v1, s4
	v_lshrrev_b32_e32 v1, 16, v1
	v_mov_b32_e32 v4, 0x7fc0
	v_cmp_o_f32_e32 vcc, v0, v0
	v_cndmask_b32_e32 v1, v4, v1, vcc
	global_store_short v[2:3], v1, off
	s_mov_b64 s[4:5], 0
	s_mov_b64 s[8:9], -1
.LBB231_3772:
	s_mov_b64 s[10:11], 0
.LBB231_3773:
	s_mov_b64 s[6:7], 0
	s_and_b64 vcc, exec, s[10:11]
	s_cbranch_vccz .LBB231_3775
; %bb.3774:
	v_mov_b32_e32 v1, 11
	v_cmp_ne_u16_sdwa s[4:5], s33, v1 src0_sel:BYTE_0 src1_sel:DWORD
	s_mov_b64 s[6:7], -1
.LBB231_3775:
	s_and_b64 vcc, exec, s[4:5]
	s_cbranch_vccnz .LBB231_3831
; %bb.3776:
	s_andn2_b64 vcc, exec, s[6:7]
	s_cbranch_vccnz .LBB231_3778
.LBB231_3777:
	v_cmp_neq_f32_e32 vcc, 0, v0
	v_cndmask_b32_e64 v1, 0, 1, vcc
	s_mov_b64 s[8:9], -1
	global_store_byte v[2:3], v1, off
.LBB231_3778:
	s_mov_b64 s[4:5], 0
.LBB231_3779:
	s_and_b64 vcc, exec, s[4:5]
	s_cbranch_vccz .LBB231_3818
; %bb.3780:
	v_mov_b32_e32 v1, 5
	v_cmp_lt_i16_sdwa s[6:7], s33, v1 src0_sel:BYTE_0 src1_sel:DWORD
	s_mov_b64 s[4:5], -1
	s_and_b64 vcc, exec, s[6:7]
	s_cbranch_vccnz .LBB231_3801
; %bb.3781:
	v_mov_b32_e32 v1, 8
	v_cmp_lt_i16_sdwa s[6:7], s33, v1 src0_sel:BYTE_0 src1_sel:DWORD
	s_and_b64 vcc, exec, s[6:7]
	s_cbranch_vccnz .LBB231_3791
; %bb.3782:
	v_mov_b32_e32 v1, 9
	v_cmp_lt_i16_sdwa s[6:7], s33, v1 src0_sel:BYTE_0 src1_sel:DWORD
	s_and_b64 vcc, exec, s[6:7]
	s_cbranch_vccnz .LBB231_3788
; %bb.3783:
	v_cmp_gt_i16_sdwa s[6:7], s33, v1 src0_sel:BYTE_0 src1_sel:DWORD
	s_and_b64 vcc, exec, s[6:7]
	s_cbranch_vccz .LBB231_3785
; %bb.3784:
	v_mov_b32_e32 v6, 0
	v_cvt_f64_f32_e32 v[4:5], v0
	v_mov_b32_e32 v7, v6
	global_store_dwordx4 v[2:3], v[4:7], off
	s_mov_b64 s[4:5], 0
.LBB231_3785:
	s_andn2_b64 vcc, exec, s[4:5]
	s_cbranch_vccnz .LBB231_3787
; %bb.3786:
	v_mov_b32_e32 v1, 0
	global_store_dwordx2 v[2:3], v[0:1], off
.LBB231_3787:
	s_mov_b64 s[4:5], 0
.LBB231_3788:
	s_andn2_b64 vcc, exec, s[4:5]
	s_cbranch_vccnz .LBB231_3790
; %bb.3789:
	v_cvt_f16_f32_e32 v1, v0
	global_store_dword v[2:3], v1, off
.LBB231_3790:
	s_mov_b64 s[4:5], 0
.LBB231_3791:
	s_andn2_b64 vcc, exec, s[4:5]
	s_cbranch_vccnz .LBB231_3800
; %bb.3792:
	v_mov_b32_e32 v1, 6
	v_cmp_lt_i16_sdwa s[6:7], s33, v1 src0_sel:BYTE_0 src1_sel:DWORD
	s_mov_b64 s[4:5], -1
	s_and_b64 vcc, exec, s[6:7]
	s_cbranch_vccnz .LBB231_3798
; %bb.3793:
	v_cmp_gt_i16_sdwa s[6:7], s33, v1 src0_sel:BYTE_0 src1_sel:DWORD
	s_and_b64 vcc, exec, s[6:7]
	s_cbranch_vccz .LBB231_3795
; %bb.3794:
	v_cvt_f64_f32_e32 v[4:5], v0
	global_store_dwordx2 v[2:3], v[4:5], off
	s_mov_b64 s[4:5], 0
.LBB231_3795:
	s_andn2_b64 vcc, exec, s[4:5]
	s_cbranch_vccnz .LBB231_3797
; %bb.3796:
	global_store_dword v[2:3], v0, off
.LBB231_3797:
	s_mov_b64 s[4:5], 0
.LBB231_3798:
	s_andn2_b64 vcc, exec, s[4:5]
	s_cbranch_vccnz .LBB231_3800
; %bb.3799:
	v_cvt_f16_f32_e32 v1, v0
	global_store_short v[2:3], v1, off
.LBB231_3800:
	s_mov_b64 s[4:5], 0
.LBB231_3801:
	s_andn2_b64 vcc, exec, s[4:5]
	s_cbranch_vccnz .LBB231_3817
; %bb.3802:
	v_mov_b32_e32 v1, 2
	v_cmp_lt_i16_sdwa s[6:7], s33, v1 src0_sel:BYTE_0 src1_sel:DWORD
	s_mov_b64 s[4:5], -1
	s_and_b64 vcc, exec, s[6:7]
	s_cbranch_vccnz .LBB231_3812
; %bb.3803:
	v_mov_b32_e32 v1, 3
	v_cmp_lt_i16_sdwa s[6:7], s33, v1 src0_sel:BYTE_0 src1_sel:DWORD
	s_and_b64 vcc, exec, s[6:7]
	s_cbranch_vccnz .LBB231_3809
; %bb.3804:
	v_cmp_gt_i16_sdwa s[6:7], s33, v1 src0_sel:BYTE_0 src1_sel:DWORD
	s_and_b64 vcc, exec, s[6:7]
	s_cbranch_vccz .LBB231_3806
; %bb.3805:
	v_trunc_f32_e32 v1, v0
	s_mov_b32 s4, 0x2f800000
	v_mul_f32_e64 v4, |v1|, s4
	v_floor_f32_e32 v4, v4
	s_mov_b32 s4, 0xcf800000
	v_cvt_u32_f32_e32 v5, v4
	v_fma_f32 v4, v4, s4, |v1|
	v_cvt_u32_f32_e32 v4, v4
	v_ashrrev_i32_e32 v1, 31, v1
	v_xor_b32_e32 v5, v5, v1
	s_mov_b64 s[4:5], 0
	v_xor_b32_e32 v4, v4, v1
	v_sub_co_u32_e32 v4, vcc, v4, v1
	v_subb_co_u32_e32 v5, vcc, v5, v1, vcc
	global_store_dwordx2 v[2:3], v[4:5], off
.LBB231_3806:
	s_andn2_b64 vcc, exec, s[4:5]
	s_cbranch_vccnz .LBB231_3808
; %bb.3807:
	v_cvt_i32_f32_e32 v1, v0
	global_store_dword v[2:3], v1, off
.LBB231_3808:
	s_mov_b64 s[4:5], 0
.LBB231_3809:
	s_andn2_b64 vcc, exec, s[4:5]
	s_cbranch_vccnz .LBB231_3811
; %bb.3810:
	v_cvt_i32_f32_e32 v1, v0
	global_store_short v[2:3], v1, off
.LBB231_3811:
	s_mov_b64 s[4:5], 0
.LBB231_3812:
	s_andn2_b64 vcc, exec, s[4:5]
	s_cbranch_vccnz .LBB231_3817
; %bb.3813:
	v_mov_b32_e32 v1, 0
	v_cmp_gt_i16_sdwa s[6:7], s33, v1 src0_sel:BYTE_0 src1_sel:DWORD
	s_mov_b64 s[4:5], -1
	s_and_b64 vcc, exec, s[6:7]
	s_cbranch_vccz .LBB231_3815
; %bb.3814:
	v_cvt_i32_f32_e32 v1, v0
	s_mov_b64 s[4:5], 0
	global_store_byte v[2:3], v1, off
.LBB231_3815:
	s_andn2_b64 vcc, exec, s[4:5]
	s_cbranch_vccnz .LBB231_3817
; %bb.3816:
	v_trunc_f32_e32 v0, v0
	s_mov_b32 s4, 0x2f800000
	v_mul_f32_e64 v1, |v0|, s4
	v_floor_f32_e32 v1, v1
	s_mov_b32 s4, 0xcf800000
	v_fma_f32 v1, v1, s4, |v0|
	v_cvt_u32_f32_e32 v1, v1
	v_ashrrev_i32_e32 v0, 31, v0
	v_xor_b32_e32 v1, v1, v0
	v_sub_u32_e32 v0, v1, v0
	global_store_byte v[2:3], v0, off
.LBB231_3817:
	s_mov_b64 s[8:9], -1
.LBB231_3818:
	s_andn2_b64 vcc, exec, s[8:9]
	s_cbranch_vccnz .LBB231_4149
; %bb.3819:
	v_mov_b32_e32 v0, v38
	v_mov_b32_e32 v1, v39
	;; [unrolled: 1-line block ×3, first 2 shown]
	s_getpc_b64 s[4:5]
	s_add_u32 s4, s4, _ZZZZN2at6native28launch_dirichlet_grad_kernelERNS_18TensorIteratorBaseEENKUlvE_clEvENKUlvE0_clEvENKUlfffE_clEfff@rel32@lo+4
	s_addc_u32 s5, s5, _ZZZZN2at6native28launch_dirichlet_grad_kernelERNS_18TensorIteratorBaseEENKUlvE_clEvENKUlvE0_clEvENKUlfffE_clEfff@rel32@hi+12
	s_swappc_b64 s[30:31], s[4:5]
	v_mov_b32_e32 v1, s29
	v_add_co_u32_e32 v2, vcc, s28, v52
	v_addc_co_u32_e32 v3, vcc, 0, v1, vcc
	v_mov_b32_e32 v1, 11
	v_cmp_lt_i16_sdwa s[4:5], s33, v1 src0_sel:BYTE_0 src1_sel:DWORD
	s_and_b64 vcc, exec, s[4:5]
	s_cbranch_vccnz .LBB231_3826
; %bb.3820:
	v_mov_b32_e32 v1, 25
	v_cmp_gt_i16_sdwa s[4:5], s33, v1 src0_sel:BYTE_0 src1_sel:DWORD
	s_mov_b64 s[10:11], -1
	s_mov_b64 s[6:7], 0
	s_and_b64 vcc, exec, s[4:5]
	s_mov_b64 s[8:9], 0
	s_mov_b64 s[4:5], 0
	s_cbranch_vccz .LBB231_3862
; %bb.3821:
	v_mov_b32_e32 v1, 28
	v_cmp_gt_i16_sdwa s[4:5], s33, v1 src0_sel:BYTE_0 src1_sel:DWORD
	s_and_b64 vcc, exec, s[4:5]
	s_cbranch_vccz .LBB231_3827
; %bb.3822:
	v_mov_b32_e32 v1, 43
	v_cmp_gt_i16_sdwa s[4:5], s33, v1 src0_sel:BYTE_0 src1_sel:DWORD
	s_and_b64 vcc, exec, s[4:5]
	;; [unrolled: 5-line block ×3, first 2 shown]
	s_cbranch_vccz .LBB231_3834
; %bb.3824:
	v_mov_b32_e32 v1, 46
	v_cmp_eq_u16_sdwa s[8:9], s33, v1 src0_sel:BYTE_0 src1_sel:DWORD
	s_mov_b64 s[4:5], -1
	s_mov_b64 s[10:11], 0
	s_and_b64 vcc, exec, s[8:9]
	s_mov_b64 s[8:9], 0
	s_cbranch_vccz .LBB231_3835
; %bb.3825:
	v_bfe_u32 v1, v0, 16, 1
	s_movk_i32 s4, 0x7fff
	v_add3_u32 v1, v0, v1, s4
	v_lshrrev_b32_e32 v1, 16, v1
	v_mov_b32_e32 v4, 0x7fc0
	v_cmp_o_f32_e32 vcc, v0, v0
	v_cndmask_b32_e32 v1, v4, v1, vcc
	global_store_dword v[2:3], v1, off
	s_mov_b64 s[4:5], 0
	s_mov_b64 s[8:9], -1
	s_branch .LBB231_3835
.LBB231_3826:
	s_mov_b64 s[4:5], -1
	s_mov_b64 s[8:9], 0
	s_branch .LBB231_3906
.LBB231_3827:
	s_mov_b64 s[4:5], 0
	s_branch .LBB231_3845
.LBB231_3828:
	s_or_saveexec_b64 s[12:13], s[12:13]
                                        ; implicit-def: $sgpr14
	s_xor_b64 exec, exec, s[12:13]
	s_cbranch_execz .LBB231_3729
.LBB231_3829:
	s_mov_b32 s14, 0x46000000
	v_add_f32_e64 v1, |v0|, s14
	v_and_b32_e32 v1, 0xff, v1
	v_cmp_ne_u32_e32 vcc, 0, v1
	s_andn2_b64 s[10:11], s[10:11], exec
	s_and_b64 s[16:17], vcc, exec
	s_mov_b32 s14, 0
	s_or_b64 s[10:11], s[10:11], s[16:17]
	s_or_b64 exec, exec, s[12:13]
	v_mov_b32_e32 v4, s14
	s_and_saveexec_b64 s[12:13], s[10:11]
	s_cbranch_execnz .LBB231_3730
	s_branch .LBB231_3731
.LBB231_3830:
	s_mov_b64 s[4:5], 0
	s_branch .LBB231_3841
.LBB231_3831:
	s_trap 2
	s_or_b64 s[40:41], s[40:41], exec
	s_cbranch_execz .LBB231_3777
	s_branch .LBB231_3778
.LBB231_3832:
	s_or_saveexec_b64 s[10:11], s[10:11]
                                        ; implicit-def: $sgpr12
	s_xor_b64 exec, exec, s[10:11]
	s_cbranch_execz .LBB231_3742
.LBB231_3833:
	s_mov_b32 s12, 0x42800000
	v_add_f32_e64 v1, |v0|, s12
	v_and_b32_e32 v1, 0xff, v1
	v_cmp_ne_u32_e32 vcc, 0, v1
	s_andn2_b64 s[8:9], s[8:9], exec
	s_and_b64 s[14:15], vcc, exec
	s_mov_b32 s12, 0
	s_or_b64 s[8:9], s[8:9], s[14:15]
	s_or_b64 exec, exec, s[10:11]
	v_mov_b32_e32 v4, s12
	s_and_saveexec_b64 s[10:11], s[8:9]
	s_cbranch_execnz .LBB231_3743
	s_branch .LBB231_3744
.LBB231_3834:
	s_mov_b64 s[4:5], 0
.LBB231_3835:
	s_and_b64 vcc, exec, s[10:11]
	s_cbranch_vccz .LBB231_3840
; %bb.3836:
	v_mov_b32_e32 v1, 44
	v_cmp_eq_u16_sdwa s[10:11], s33, v1 src0_sel:BYTE_0 src1_sel:DWORD
	s_mov_b64 s[4:5], -1
	s_and_b64 vcc, exec, s[10:11]
	s_cbranch_vccz .LBB231_3840
; %bb.3837:
	v_bfe_u32 v1, v0, 23, 8
	s_movk_i32 s4, 0xff
	v_cmp_ne_u32_e32 vcc, s4, v1
	v_mov_b32_e32 v4, 0xff
	s_and_saveexec_b64 s[8:9], vcc
; %bb.3838:
	s_mov_b32 s4, 0x3fffff
	v_and_b32_e32 v5, 0x400000, v0
	v_and_or_b32 v1, v0, s4, v1
	v_cmp_ne_u32_e32 vcc, 0, v5
	v_cmp_ne_u32_e64 s[4:5], 0, v1
	s_and_b64 s[4:5], vcc, s[4:5]
	v_lshrrev_b32_e32 v4, 23, v0
	v_cndmask_b32_e64 v1, 0, 1, s[4:5]
	v_add_u32_e32 v4, v4, v1
; %bb.3839:
	s_or_b64 exec, exec, s[8:9]
	s_mov_b64 s[4:5], 0
	s_mov_b64 s[8:9], -1
	global_store_byte v[2:3], v4, off
.LBB231_3840:
	s_mov_b64 s[10:11], 0
.LBB231_3841:
	s_and_b64 vcc, exec, s[10:11]
	s_cbranch_vccz .LBB231_3844
; %bb.3842:
	v_mov_b32_e32 v1, 29
	v_cmp_eq_u16_sdwa s[10:11], s33, v1 src0_sel:BYTE_0 src1_sel:DWORD
	s_mov_b64 s[4:5], -1
	s_and_b64 vcc, exec, s[10:11]
	s_cbranch_vccz .LBB231_3844
; %bb.3843:
	v_trunc_f32_e32 v1, v0
	v_mul_f32_e32 v4, 0x2f800000, v1
	v_floor_f32_e32 v4, v4
	v_fmac_f32_e32 v1, 0xcf800000, v4
	v_cvt_u32_f32_e32 v5, v4
	v_cvt_u32_f32_e32 v4, v1
	s_mov_b64 s[4:5], 0
	s_mov_b64 s[8:9], -1
	s_mov_b64 s[10:11], 0
	global_store_dwordx2 v[2:3], v[4:5], off
	s_branch .LBB231_3845
.LBB231_3844:
	s_mov_b64 s[10:11], 0
.LBB231_3845:
	s_and_b64 vcc, exec, s[10:11]
	s_cbranch_vccz .LBB231_3861
; %bb.3846:
	v_mov_b32_e32 v1, 27
	v_cmp_lt_i16_sdwa s[10:11], s33, v1 src0_sel:BYTE_0 src1_sel:DWORD
	s_mov_b64 s[8:9], -1
	s_and_b64 vcc, exec, s[10:11]
	s_cbranch_vccnz .LBB231_3852
; %bb.3847:
	v_cmp_gt_i16_sdwa s[10:11], s33, v1 src0_sel:BYTE_0 src1_sel:DWORD
	s_and_b64 vcc, exec, s[10:11]
	s_cbranch_vccz .LBB231_3849
; %bb.3848:
	v_cvt_u32_f32_e32 v1, v0
	s_mov_b64 s[8:9], 0
	global_store_dword v[2:3], v1, off
.LBB231_3849:
	s_andn2_b64 vcc, exec, s[8:9]
	s_cbranch_vccnz .LBB231_3851
; %bb.3850:
	v_cvt_u32_f32_e32 v1, v0
	global_store_short v[2:3], v1, off
.LBB231_3851:
	s_mov_b64 s[8:9], 0
.LBB231_3852:
	s_andn2_b64 vcc, exec, s[8:9]
	s_cbranch_vccnz .LBB231_3860
; %bb.3853:
	v_and_b32_e32 v1, 0x7fffffff, v0
	s_mov_b32 s8, 0x43800000
	v_cmp_gt_u32_e32 vcc, s8, v1
	v_mov_b32_e32 v4, 0x80
	s_and_saveexec_b64 s[8:9], vcc
	s_cbranch_execz .LBB231_3859
; %bb.3854:
	s_mov_b32 s10, 0x3bffffff
	v_cmp_lt_u32_e32 vcc, s10, v1
	s_mov_b64 s[10:11], 0
                                        ; implicit-def: $vgpr1
	s_and_saveexec_b64 s[12:13], vcc
	s_xor_b64 s[12:13], exec, s[12:13]
	s_cbranch_execz .LBB231_3955
; %bb.3855:
	v_bfe_u32 v1, v0, 20, 1
	s_mov_b32 s14, 0x487ffff
	v_add3_u32 v1, v0, v1, s14
	s_mov_b64 s[10:11], exec
	v_lshrrev_b32_e32 v1, 20, v1
	s_or_saveexec_b64 s[12:13], s[12:13]
                                        ; implicit-def: $sgpr14
	s_xor_b64 exec, exec, s[12:13]
	s_cbranch_execnz .LBB231_3956
.LBB231_3856:
	s_or_b64 exec, exec, s[12:13]
	v_mov_b32_e32 v4, s14
	s_and_saveexec_b64 s[12:13], s[10:11]
.LBB231_3857:
	v_lshrrev_b32_e32 v4, 24, v0
	s_movk_i32 s10, 0x80
	v_and_or_b32 v4, v4, s10, v1
.LBB231_3858:
	s_or_b64 exec, exec, s[12:13]
.LBB231_3859:
	s_or_b64 exec, exec, s[8:9]
	global_store_byte v[2:3], v4, off
.LBB231_3860:
	s_mov_b64 s[8:9], -1
.LBB231_3861:
	s_mov_b64 s[10:11], 0
.LBB231_3862:
	s_and_b64 vcc, exec, s[10:11]
	s_cbranch_vccz .LBB231_3902
; %bb.3863:
	v_mov_b32_e32 v1, 22
	v_cmp_gt_i16_sdwa s[10:11], s33, v1 src0_sel:BYTE_0 src1_sel:DWORD
	s_mov_b64 s[6:7], -1
	s_and_b64 vcc, exec, s[10:11]
	s_cbranch_vccz .LBB231_3895
; %bb.3864:
	v_mov_b32_e32 v1, 24
	v_cmp_lt_i16_sdwa s[8:9], s33, v1 src0_sel:BYTE_0 src1_sel:DWORD
	s_and_b64 vcc, exec, s[8:9]
	s_cbranch_vccnz .LBB231_3884
; %bb.3865:
	v_cmp_gt_i16_sdwa s[8:9], s33, v1 src0_sel:BYTE_0 src1_sel:DWORD
	s_and_b64 vcc, exec, s[8:9]
	s_cbranch_vccz .LBB231_3873
; %bb.3866:
	v_and_b32_e32 v1, 0x7fffffff, v0
	s_mov_b32 s6, 0x47800000
	v_cmp_gt_u32_e32 vcc, s6, v1
	v_mov_b32_e32 v4, 0x80
	s_and_saveexec_b64 s[6:7], vcc
	s_cbranch_execz .LBB231_3872
; %bb.3867:
	s_mov_b32 s8, 0x37ffffff
	v_cmp_lt_u32_e32 vcc, s8, v1
	s_mov_b64 s[8:9], 0
                                        ; implicit-def: $vgpr1
	s_and_saveexec_b64 s[10:11], vcc
	s_xor_b64 s[10:11], exec, s[10:11]
	s_cbranch_execz .LBB231_3959
; %bb.3868:
	v_bfe_u32 v1, v0, 21, 1
	s_mov_b32 s12, 0x88fffff
	v_add3_u32 v1, v0, v1, s12
	s_mov_b64 s[8:9], exec
	v_lshrrev_b32_e32 v1, 21, v1
	s_or_saveexec_b64 s[10:11], s[10:11]
                                        ; implicit-def: $sgpr12
	s_xor_b64 exec, exec, s[10:11]
	s_cbranch_execnz .LBB231_3960
.LBB231_3869:
	s_or_b64 exec, exec, s[10:11]
	v_mov_b32_e32 v4, s12
	s_and_saveexec_b64 s[10:11], s[8:9]
.LBB231_3870:
	v_lshrrev_b32_e32 v4, 24, v0
	s_movk_i32 s8, 0x80
	v_and_or_b32 v4, v4, s8, v1
.LBB231_3871:
	s_or_b64 exec, exec, s[10:11]
.LBB231_3872:
	s_or_b64 exec, exec, s[6:7]
	s_mov_b64 s[6:7], 0
	global_store_byte v[2:3], v4, off
.LBB231_3873:
	s_and_b64 vcc, exec, s[6:7]
	s_cbranch_vccz .LBB231_3883
; %bb.3874:
	v_and_b32_e32 v4, 0x7fffffff, v0
	s_mov_b32 s6, 0x43f00000
	v_cmp_gt_u32_e32 vcc, s6, v4
                                        ; implicit-def: $vgpr1
	s_and_saveexec_b64 s[6:7], vcc
	s_xor_b64 s[6:7], exec, s[6:7]
	s_cbranch_execz .LBB231_3880
; %bb.3875:
	s_mov_b32 s8, 0x3c7fffff
	v_cmp_lt_u32_e32 vcc, s8, v4
                                        ; implicit-def: $vgpr1
	s_and_saveexec_b64 s[8:9], vcc
	s_xor_b64 s[8:9], exec, s[8:9]
; %bb.3876:
	v_bfe_u32 v1, v0, 20, 1
	s_mov_b32 s10, 0x407ffff
	v_add3_u32 v1, v0, v1, s10
	v_lshrrev_b32_e32 v4, 20, v1
	v_and_b32_e32 v1, 0xff00000, v1
	s_mov_b32 s10, 0x7f00000
	v_mov_b32_e32 v5, 0x7e
	v_cmp_ne_u32_e32 vcc, s10, v1
	v_cndmask_b32_e32 v1, v5, v4, vcc
; %bb.3877:
	s_andn2_saveexec_b64 s[8:9], s[8:9]
; %bb.3878:
	s_mov_b32 s10, 0x46800000
	v_add_f32_e64 v1, |v0|, s10
; %bb.3879:
	s_or_b64 exec, exec, s[8:9]
                                        ; implicit-def: $vgpr4
.LBB231_3880:
	s_andn2_saveexec_b64 s[6:7], s[6:7]
; %bb.3881:
	s_mov_b32 s8, 0x7f800000
	v_mov_b32_e32 v1, 0x7e
	v_mov_b32_e32 v5, 0x7f
	v_cmp_lt_u32_e32 vcc, s8, v4
	v_cndmask_b32_e32 v1, v1, v5, vcc
; %bb.3882:
	s_or_b64 exec, exec, s[6:7]
	v_lshrrev_b32_e32 v4, 24, v0
	s_movk_i32 s6, 0x80
	v_and_or_b32 v1, v4, s6, v1
	global_store_byte v[2:3], v1, off
.LBB231_3883:
	s_mov_b64 s[6:7], 0
.LBB231_3884:
	s_andn2_b64 vcc, exec, s[6:7]
	s_cbranch_vccnz .LBB231_3894
; %bb.3885:
	v_and_b32_e32 v4, 0x7fffffff, v0
	s_mov_b32 s6, 0x47800000
	v_cmp_gt_u32_e32 vcc, s6, v4
                                        ; implicit-def: $vgpr1
	s_and_saveexec_b64 s[6:7], vcc
	s_xor_b64 s[6:7], exec, s[6:7]
	s_cbranch_execz .LBB231_3891
; %bb.3886:
	s_mov_b32 s8, 0x387fffff
	v_cmp_lt_u32_e32 vcc, s8, v4
                                        ; implicit-def: $vgpr1
	s_and_saveexec_b64 s[8:9], vcc
	s_xor_b64 s[8:9], exec, s[8:9]
; %bb.3887:
	v_bfe_u32 v1, v0, 21, 1
	s_mov_b32 s10, 0x80fffff
	v_add3_u32 v1, v0, v1, s10
	v_lshrrev_b32_e32 v1, 21, v1
; %bb.3888:
	s_andn2_saveexec_b64 s[8:9], s[8:9]
; %bb.3889:
	s_mov_b32 s10, 0x43000000
	v_add_f32_e64 v1, |v0|, s10
; %bb.3890:
	s_or_b64 exec, exec, s[8:9]
                                        ; implicit-def: $vgpr4
.LBB231_3891:
	s_andn2_saveexec_b64 s[6:7], s[6:7]
; %bb.3892:
	s_mov_b32 s8, 0x7f800000
	v_mov_b32_e32 v1, 0x7c
	v_mov_b32_e32 v5, 0x7f
	v_cmp_lt_u32_e32 vcc, s8, v4
	v_cndmask_b32_e32 v1, v1, v5, vcc
; %bb.3893:
	s_or_b64 exec, exec, s[6:7]
	v_lshrrev_b32_e32 v4, 24, v0
	s_movk_i32 s6, 0x80
	v_and_or_b32 v1, v4, s6, v1
	global_store_byte v[2:3], v1, off
.LBB231_3894:
	s_mov_b64 s[6:7], 0
	s_mov_b64 s[8:9], -1
.LBB231_3895:
	s_andn2_b64 vcc, exec, s[6:7]
	s_mov_b64 s[6:7], 0
	s_cbranch_vccnz .LBB231_3902
; %bb.3896:
	v_mov_b32_e32 v1, 14
	v_cmp_gt_i16_sdwa s[6:7], s33, v1 src0_sel:BYTE_0 src1_sel:DWORD
	s_mov_b64 s[10:11], -1
	s_and_b64 vcc, exec, s[6:7]
	s_cbranch_vccz .LBB231_3900
; %bb.3897:
	v_mov_b32_e32 v1, 15
	v_cmp_eq_u16_sdwa s[6:7], s33, v1 src0_sel:BYTE_0 src1_sel:DWORD
	s_mov_b64 s[4:5], -1
	s_and_b64 vcc, exec, s[6:7]
	s_cbranch_vccz .LBB231_3899
; %bb.3898:
	v_bfe_u32 v1, v0, 16, 1
	s_movk_i32 s4, 0x7fff
	v_add3_u32 v1, v0, v1, s4
	v_lshrrev_b32_e32 v1, 16, v1
	v_mov_b32_e32 v4, 0x7fc0
	v_cmp_o_f32_e32 vcc, v0, v0
	v_cndmask_b32_e32 v1, v4, v1, vcc
	global_store_short v[2:3], v1, off
	s_mov_b64 s[4:5], 0
	s_mov_b64 s[8:9], -1
.LBB231_3899:
	s_mov_b64 s[10:11], 0
.LBB231_3900:
	s_mov_b64 s[6:7], 0
	s_and_b64 vcc, exec, s[10:11]
	s_cbranch_vccz .LBB231_3902
; %bb.3901:
	v_mov_b32_e32 v1, 11
	v_cmp_ne_u16_sdwa s[4:5], s33, v1 src0_sel:BYTE_0 src1_sel:DWORD
	s_mov_b64 s[6:7], -1
.LBB231_3902:
	s_and_b64 vcc, exec, s[4:5]
	s_cbranch_vccnz .LBB231_3958
; %bb.3903:
	s_andn2_b64 vcc, exec, s[6:7]
	s_cbranch_vccnz .LBB231_3905
.LBB231_3904:
	v_cmp_neq_f32_e32 vcc, 0, v0
	v_cndmask_b32_e64 v1, 0, 1, vcc
	s_mov_b64 s[8:9], -1
	global_store_byte v[2:3], v1, off
.LBB231_3905:
	s_mov_b64 s[4:5], 0
.LBB231_3906:
	s_and_b64 vcc, exec, s[4:5]
	s_cbranch_vccz .LBB231_3945
; %bb.3907:
	v_mov_b32_e32 v1, 5
	v_cmp_lt_i16_sdwa s[6:7], s33, v1 src0_sel:BYTE_0 src1_sel:DWORD
	s_mov_b64 s[4:5], -1
	s_and_b64 vcc, exec, s[6:7]
	s_cbranch_vccnz .LBB231_3928
; %bb.3908:
	v_mov_b32_e32 v1, 8
	v_cmp_lt_i16_sdwa s[6:7], s33, v1 src0_sel:BYTE_0 src1_sel:DWORD
	s_and_b64 vcc, exec, s[6:7]
	s_cbranch_vccnz .LBB231_3918
; %bb.3909:
	v_mov_b32_e32 v1, 9
	v_cmp_lt_i16_sdwa s[6:7], s33, v1 src0_sel:BYTE_0 src1_sel:DWORD
	s_and_b64 vcc, exec, s[6:7]
	s_cbranch_vccnz .LBB231_3915
; %bb.3910:
	v_cmp_gt_i16_sdwa s[6:7], s33, v1 src0_sel:BYTE_0 src1_sel:DWORD
	s_and_b64 vcc, exec, s[6:7]
	s_cbranch_vccz .LBB231_3912
; %bb.3911:
	v_mov_b32_e32 v6, 0
	v_cvt_f64_f32_e32 v[4:5], v0
	v_mov_b32_e32 v7, v6
	global_store_dwordx4 v[2:3], v[4:7], off
	s_mov_b64 s[4:5], 0
.LBB231_3912:
	s_andn2_b64 vcc, exec, s[4:5]
	s_cbranch_vccnz .LBB231_3914
; %bb.3913:
	v_mov_b32_e32 v1, 0
	global_store_dwordx2 v[2:3], v[0:1], off
.LBB231_3914:
	s_mov_b64 s[4:5], 0
.LBB231_3915:
	s_andn2_b64 vcc, exec, s[4:5]
	s_cbranch_vccnz .LBB231_3917
; %bb.3916:
	v_cvt_f16_f32_e32 v1, v0
	global_store_dword v[2:3], v1, off
.LBB231_3917:
	s_mov_b64 s[4:5], 0
.LBB231_3918:
	s_andn2_b64 vcc, exec, s[4:5]
	s_cbranch_vccnz .LBB231_3927
; %bb.3919:
	v_mov_b32_e32 v1, 6
	v_cmp_lt_i16_sdwa s[6:7], s33, v1 src0_sel:BYTE_0 src1_sel:DWORD
	s_mov_b64 s[4:5], -1
	s_and_b64 vcc, exec, s[6:7]
	s_cbranch_vccnz .LBB231_3925
; %bb.3920:
	v_cmp_gt_i16_sdwa s[6:7], s33, v1 src0_sel:BYTE_0 src1_sel:DWORD
	s_and_b64 vcc, exec, s[6:7]
	s_cbranch_vccz .LBB231_3922
; %bb.3921:
	v_cvt_f64_f32_e32 v[4:5], v0
	global_store_dwordx2 v[2:3], v[4:5], off
	s_mov_b64 s[4:5], 0
.LBB231_3922:
	s_andn2_b64 vcc, exec, s[4:5]
	s_cbranch_vccnz .LBB231_3924
; %bb.3923:
	global_store_dword v[2:3], v0, off
.LBB231_3924:
	s_mov_b64 s[4:5], 0
.LBB231_3925:
	s_andn2_b64 vcc, exec, s[4:5]
	s_cbranch_vccnz .LBB231_3927
; %bb.3926:
	v_cvt_f16_f32_e32 v1, v0
	global_store_short v[2:3], v1, off
.LBB231_3927:
	s_mov_b64 s[4:5], 0
.LBB231_3928:
	s_andn2_b64 vcc, exec, s[4:5]
	s_cbranch_vccnz .LBB231_3944
; %bb.3929:
	v_mov_b32_e32 v1, 2
	v_cmp_lt_i16_sdwa s[6:7], s33, v1 src0_sel:BYTE_0 src1_sel:DWORD
	s_mov_b64 s[4:5], -1
	s_and_b64 vcc, exec, s[6:7]
	s_cbranch_vccnz .LBB231_3939
; %bb.3930:
	v_mov_b32_e32 v1, 3
	v_cmp_lt_i16_sdwa s[6:7], s33, v1 src0_sel:BYTE_0 src1_sel:DWORD
	s_and_b64 vcc, exec, s[6:7]
	s_cbranch_vccnz .LBB231_3936
; %bb.3931:
	v_cmp_gt_i16_sdwa s[6:7], s33, v1 src0_sel:BYTE_0 src1_sel:DWORD
	s_and_b64 vcc, exec, s[6:7]
	s_cbranch_vccz .LBB231_3933
; %bb.3932:
	v_trunc_f32_e32 v1, v0
	s_mov_b32 s4, 0x2f800000
	v_mul_f32_e64 v4, |v1|, s4
	v_floor_f32_e32 v4, v4
	s_mov_b32 s4, 0xcf800000
	v_cvt_u32_f32_e32 v5, v4
	v_fma_f32 v4, v4, s4, |v1|
	v_cvt_u32_f32_e32 v4, v4
	v_ashrrev_i32_e32 v1, 31, v1
	v_xor_b32_e32 v5, v5, v1
	s_mov_b64 s[4:5], 0
	v_xor_b32_e32 v4, v4, v1
	v_sub_co_u32_e32 v4, vcc, v4, v1
	v_subb_co_u32_e32 v5, vcc, v5, v1, vcc
	global_store_dwordx2 v[2:3], v[4:5], off
.LBB231_3933:
	s_andn2_b64 vcc, exec, s[4:5]
	s_cbranch_vccnz .LBB231_3935
; %bb.3934:
	v_cvt_i32_f32_e32 v1, v0
	global_store_dword v[2:3], v1, off
.LBB231_3935:
	s_mov_b64 s[4:5], 0
.LBB231_3936:
	s_andn2_b64 vcc, exec, s[4:5]
	s_cbranch_vccnz .LBB231_3938
; %bb.3937:
	v_cvt_i32_f32_e32 v1, v0
	global_store_short v[2:3], v1, off
.LBB231_3938:
	s_mov_b64 s[4:5], 0
.LBB231_3939:
	s_andn2_b64 vcc, exec, s[4:5]
	s_cbranch_vccnz .LBB231_3944
; %bb.3940:
	v_mov_b32_e32 v1, 0
	v_cmp_gt_i16_sdwa s[6:7], s33, v1 src0_sel:BYTE_0 src1_sel:DWORD
	s_mov_b64 s[4:5], -1
	s_and_b64 vcc, exec, s[6:7]
	s_cbranch_vccz .LBB231_3942
; %bb.3941:
	v_cvt_i32_f32_e32 v1, v0
	s_mov_b64 s[4:5], 0
	global_store_byte v[2:3], v1, off
.LBB231_3942:
	s_andn2_b64 vcc, exec, s[4:5]
	s_cbranch_vccnz .LBB231_3944
; %bb.3943:
	v_trunc_f32_e32 v0, v0
	s_mov_b32 s4, 0x2f800000
	v_mul_f32_e64 v1, |v0|, s4
	v_floor_f32_e32 v1, v1
	s_mov_b32 s4, 0xcf800000
	v_fma_f32 v1, v1, s4, |v0|
	v_cvt_u32_f32_e32 v1, v1
	v_ashrrev_i32_e32 v0, 31, v0
	v_xor_b32_e32 v1, v1, v0
	v_sub_u32_e32 v0, v1, v0
	global_store_byte v[2:3], v0, off
.LBB231_3944:
	s_mov_b64 s[8:9], -1
.LBB231_3945:
	s_andn2_b64 vcc, exec, s[8:9]
	s_cbranch_vccnz .LBB231_4149
; %bb.3946:
	v_mov_b32_e32 v0, v41
	v_mov_b32_e32 v1, v42
	;; [unrolled: 1-line block ×3, first 2 shown]
	s_getpc_b64 s[4:5]
	s_add_u32 s4, s4, _ZZZZN2at6native28launch_dirichlet_grad_kernelERNS_18TensorIteratorBaseEENKUlvE_clEvENKUlvE0_clEvENKUlfffE_clEfff@rel32@lo+4
	s_addc_u32 s5, s5, _ZZZZN2at6native28launch_dirichlet_grad_kernelERNS_18TensorIteratorBaseEENKUlvE_clEvENKUlvE0_clEvENKUlfffE_clEfff@rel32@hi+12
	s_swappc_b64 s[30:31], s[4:5]
	v_mov_b32_e32 v1, s29
	v_add_co_u32_e32 v2, vcc, s28, v50
	v_addc_co_u32_e32 v3, vcc, 0, v1, vcc
	v_mov_b32_e32 v1, 11
	v_cmp_lt_i16_sdwa s[4:5], s33, v1 src0_sel:BYTE_0 src1_sel:DWORD
	s_and_b64 vcc, exec, s[4:5]
	s_cbranch_vccnz .LBB231_3953
; %bb.3947:
	v_mov_b32_e32 v1, 25
	v_cmp_gt_i16_sdwa s[4:5], s33, v1 src0_sel:BYTE_0 src1_sel:DWORD
	s_mov_b64 s[10:11], -1
	s_mov_b64 s[6:7], 0
	s_and_b64 vcc, exec, s[4:5]
	s_mov_b64 s[8:9], 0
	s_mov_b64 s[4:5], 0
	s_cbranch_vccz .LBB231_3989
; %bb.3948:
	v_mov_b32_e32 v1, 28
	v_cmp_gt_i16_sdwa s[4:5], s33, v1 src0_sel:BYTE_0 src1_sel:DWORD
	s_and_b64 vcc, exec, s[4:5]
	s_cbranch_vccz .LBB231_3954
; %bb.3949:
	v_mov_b32_e32 v1, 43
	v_cmp_gt_i16_sdwa s[4:5], s33, v1 src0_sel:BYTE_0 src1_sel:DWORD
	s_and_b64 vcc, exec, s[4:5]
	;; [unrolled: 5-line block ×3, first 2 shown]
	s_cbranch_vccz .LBB231_3961
; %bb.3951:
	v_mov_b32_e32 v1, 46
	v_cmp_eq_u16_sdwa s[8:9], s33, v1 src0_sel:BYTE_0 src1_sel:DWORD
	s_mov_b64 s[4:5], -1
	s_mov_b64 s[10:11], 0
	s_and_b64 vcc, exec, s[8:9]
	s_mov_b64 s[8:9], 0
	s_cbranch_vccz .LBB231_3962
; %bb.3952:
	v_bfe_u32 v1, v0, 16, 1
	s_movk_i32 s4, 0x7fff
	v_add3_u32 v1, v0, v1, s4
	v_lshrrev_b32_e32 v1, 16, v1
	v_mov_b32_e32 v4, 0x7fc0
	v_cmp_o_f32_e32 vcc, v0, v0
	v_cndmask_b32_e32 v1, v4, v1, vcc
	global_store_dword v[2:3], v1, off
	s_mov_b64 s[4:5], 0
	s_mov_b64 s[8:9], -1
	s_branch .LBB231_3962
.LBB231_3953:
	s_mov_b64 s[4:5], -1
	s_mov_b64 s[8:9], 0
	s_branch .LBB231_4033
.LBB231_3954:
	s_mov_b64 s[4:5], 0
	s_branch .LBB231_3972
.LBB231_3955:
	s_or_saveexec_b64 s[12:13], s[12:13]
                                        ; implicit-def: $sgpr14
	s_xor_b64 exec, exec, s[12:13]
	s_cbranch_execz .LBB231_3856
.LBB231_3956:
	s_mov_b32 s14, 0x46000000
	v_add_f32_e64 v1, |v0|, s14
	v_and_b32_e32 v1, 0xff, v1
	v_cmp_ne_u32_e32 vcc, 0, v1
	s_andn2_b64 s[10:11], s[10:11], exec
	s_and_b64 s[16:17], vcc, exec
	s_mov_b32 s14, 0
	s_or_b64 s[10:11], s[10:11], s[16:17]
	s_or_b64 exec, exec, s[12:13]
	v_mov_b32_e32 v4, s14
	s_and_saveexec_b64 s[12:13], s[10:11]
	s_cbranch_execnz .LBB231_3857
	s_branch .LBB231_3858
.LBB231_3957:
	s_mov_b64 s[4:5], 0
	s_branch .LBB231_3968
.LBB231_3958:
	s_trap 2
	s_or_b64 s[40:41], s[40:41], exec
	s_cbranch_execz .LBB231_3904
	s_branch .LBB231_3905
.LBB231_3959:
	s_or_saveexec_b64 s[10:11], s[10:11]
                                        ; implicit-def: $sgpr12
	s_xor_b64 exec, exec, s[10:11]
	s_cbranch_execz .LBB231_3869
.LBB231_3960:
	s_mov_b32 s12, 0x42800000
	v_add_f32_e64 v1, |v0|, s12
	v_and_b32_e32 v1, 0xff, v1
	v_cmp_ne_u32_e32 vcc, 0, v1
	s_andn2_b64 s[8:9], s[8:9], exec
	s_and_b64 s[14:15], vcc, exec
	s_mov_b32 s12, 0
	s_or_b64 s[8:9], s[8:9], s[14:15]
	s_or_b64 exec, exec, s[10:11]
	v_mov_b32_e32 v4, s12
	s_and_saveexec_b64 s[10:11], s[8:9]
	s_cbranch_execnz .LBB231_3870
	s_branch .LBB231_3871
.LBB231_3961:
	s_mov_b64 s[4:5], 0
.LBB231_3962:
	s_and_b64 vcc, exec, s[10:11]
	s_cbranch_vccz .LBB231_3967
; %bb.3963:
	v_mov_b32_e32 v1, 44
	v_cmp_eq_u16_sdwa s[10:11], s33, v1 src0_sel:BYTE_0 src1_sel:DWORD
	s_mov_b64 s[4:5], -1
	s_and_b64 vcc, exec, s[10:11]
	s_cbranch_vccz .LBB231_3967
; %bb.3964:
	v_bfe_u32 v1, v0, 23, 8
	s_movk_i32 s4, 0xff
	v_cmp_ne_u32_e32 vcc, s4, v1
	v_mov_b32_e32 v4, 0xff
	s_and_saveexec_b64 s[8:9], vcc
; %bb.3965:
	s_mov_b32 s4, 0x3fffff
	v_and_b32_e32 v5, 0x400000, v0
	v_and_or_b32 v1, v0, s4, v1
	v_cmp_ne_u32_e32 vcc, 0, v5
	v_cmp_ne_u32_e64 s[4:5], 0, v1
	s_and_b64 s[4:5], vcc, s[4:5]
	v_lshrrev_b32_e32 v4, 23, v0
	v_cndmask_b32_e64 v1, 0, 1, s[4:5]
	v_add_u32_e32 v4, v4, v1
; %bb.3966:
	s_or_b64 exec, exec, s[8:9]
	s_mov_b64 s[4:5], 0
	s_mov_b64 s[8:9], -1
	global_store_byte v[2:3], v4, off
.LBB231_3967:
	s_mov_b64 s[10:11], 0
.LBB231_3968:
	s_and_b64 vcc, exec, s[10:11]
	s_cbranch_vccz .LBB231_3971
; %bb.3969:
	v_mov_b32_e32 v1, 29
	v_cmp_eq_u16_sdwa s[10:11], s33, v1 src0_sel:BYTE_0 src1_sel:DWORD
	s_mov_b64 s[4:5], -1
	s_and_b64 vcc, exec, s[10:11]
	s_cbranch_vccz .LBB231_3971
; %bb.3970:
	v_trunc_f32_e32 v1, v0
	v_mul_f32_e32 v4, 0x2f800000, v1
	v_floor_f32_e32 v4, v4
	v_fmac_f32_e32 v1, 0xcf800000, v4
	v_cvt_u32_f32_e32 v5, v4
	v_cvt_u32_f32_e32 v4, v1
	s_mov_b64 s[4:5], 0
	s_mov_b64 s[8:9], -1
	s_mov_b64 s[10:11], 0
	global_store_dwordx2 v[2:3], v[4:5], off
	s_branch .LBB231_3972
.LBB231_3971:
	s_mov_b64 s[10:11], 0
.LBB231_3972:
	s_and_b64 vcc, exec, s[10:11]
	s_cbranch_vccz .LBB231_3988
; %bb.3973:
	v_mov_b32_e32 v1, 27
	v_cmp_lt_i16_sdwa s[10:11], s33, v1 src0_sel:BYTE_0 src1_sel:DWORD
	s_mov_b64 s[8:9], -1
	s_and_b64 vcc, exec, s[10:11]
	s_cbranch_vccnz .LBB231_3979
; %bb.3974:
	v_cmp_gt_i16_sdwa s[10:11], s33, v1 src0_sel:BYTE_0 src1_sel:DWORD
	s_and_b64 vcc, exec, s[10:11]
	s_cbranch_vccz .LBB231_3976
; %bb.3975:
	v_cvt_u32_f32_e32 v1, v0
	s_mov_b64 s[8:9], 0
	global_store_dword v[2:3], v1, off
.LBB231_3976:
	s_andn2_b64 vcc, exec, s[8:9]
	s_cbranch_vccnz .LBB231_3978
; %bb.3977:
	v_cvt_u32_f32_e32 v1, v0
	global_store_short v[2:3], v1, off
.LBB231_3978:
	s_mov_b64 s[8:9], 0
.LBB231_3979:
	s_andn2_b64 vcc, exec, s[8:9]
	s_cbranch_vccnz .LBB231_3987
; %bb.3980:
	v_and_b32_e32 v1, 0x7fffffff, v0
	s_mov_b32 s8, 0x43800000
	v_cmp_gt_u32_e32 vcc, s8, v1
	v_mov_b32_e32 v4, 0x80
	s_and_saveexec_b64 s[8:9], vcc
	s_cbranch_execz .LBB231_3986
; %bb.3981:
	s_mov_b32 s10, 0x3bffffff
	v_cmp_lt_u32_e32 vcc, s10, v1
	s_mov_b64 s[10:11], 0
                                        ; implicit-def: $vgpr1
	s_and_saveexec_b64 s[12:13], vcc
	s_xor_b64 s[12:13], exec, s[12:13]
	s_cbranch_execz .LBB231_4195
; %bb.3982:
	v_bfe_u32 v1, v0, 20, 1
	s_mov_b32 s14, 0x487ffff
	v_add3_u32 v1, v0, v1, s14
	s_mov_b64 s[10:11], exec
	v_lshrrev_b32_e32 v1, 20, v1
	s_or_saveexec_b64 s[12:13], s[12:13]
                                        ; implicit-def: $sgpr14
	s_xor_b64 exec, exec, s[12:13]
	s_cbranch_execnz .LBB231_4196
.LBB231_3983:
	s_or_b64 exec, exec, s[12:13]
	v_mov_b32_e32 v4, s14
	s_and_saveexec_b64 s[12:13], s[10:11]
.LBB231_3984:
	v_lshrrev_b32_e32 v4, 24, v0
	s_movk_i32 s10, 0x80
	v_and_or_b32 v4, v4, s10, v1
.LBB231_3985:
	s_or_b64 exec, exec, s[12:13]
.LBB231_3986:
	s_or_b64 exec, exec, s[8:9]
	global_store_byte v[2:3], v4, off
.LBB231_3987:
	s_mov_b64 s[8:9], -1
.LBB231_3988:
	s_mov_b64 s[10:11], 0
.LBB231_3989:
	s_and_b64 vcc, exec, s[10:11]
	s_cbranch_vccz .LBB231_4029
; %bb.3990:
	v_mov_b32_e32 v1, 22
	v_cmp_gt_i16_sdwa s[10:11], s33, v1 src0_sel:BYTE_0 src1_sel:DWORD
	s_mov_b64 s[6:7], -1
	s_and_b64 vcc, exec, s[10:11]
	s_cbranch_vccz .LBB231_4022
; %bb.3991:
	v_mov_b32_e32 v1, 24
	v_cmp_lt_i16_sdwa s[8:9], s33, v1 src0_sel:BYTE_0 src1_sel:DWORD
	s_and_b64 vcc, exec, s[8:9]
	s_cbranch_vccnz .LBB231_4011
; %bb.3992:
	v_cmp_gt_i16_sdwa s[8:9], s33, v1 src0_sel:BYTE_0 src1_sel:DWORD
	s_and_b64 vcc, exec, s[8:9]
	s_cbranch_vccz .LBB231_4000
; %bb.3993:
	v_and_b32_e32 v1, 0x7fffffff, v0
	s_mov_b32 s6, 0x47800000
	v_cmp_gt_u32_e32 vcc, s6, v1
	v_mov_b32_e32 v4, 0x80
	s_and_saveexec_b64 s[6:7], vcc
	s_cbranch_execz .LBB231_3999
; %bb.3994:
	s_mov_b32 s8, 0x37ffffff
	v_cmp_lt_u32_e32 vcc, s8, v1
	s_mov_b64 s[8:9], 0
                                        ; implicit-def: $vgpr1
	s_and_saveexec_b64 s[10:11], vcc
	s_xor_b64 s[10:11], exec, s[10:11]
	s_cbranch_execz .LBB231_4198
; %bb.3995:
	v_bfe_u32 v1, v0, 21, 1
	s_mov_b32 s12, 0x88fffff
	v_add3_u32 v1, v0, v1, s12
	s_mov_b64 s[8:9], exec
	v_lshrrev_b32_e32 v1, 21, v1
	s_or_saveexec_b64 s[10:11], s[10:11]
                                        ; implicit-def: $sgpr12
	s_xor_b64 exec, exec, s[10:11]
	s_cbranch_execnz .LBB231_4199
.LBB231_3996:
	s_or_b64 exec, exec, s[10:11]
	v_mov_b32_e32 v4, s12
	s_and_saveexec_b64 s[10:11], s[8:9]
.LBB231_3997:
	v_lshrrev_b32_e32 v4, 24, v0
	s_movk_i32 s8, 0x80
	v_and_or_b32 v4, v4, s8, v1
.LBB231_3998:
	s_or_b64 exec, exec, s[10:11]
.LBB231_3999:
	s_or_b64 exec, exec, s[6:7]
	s_mov_b64 s[6:7], 0
	global_store_byte v[2:3], v4, off
.LBB231_4000:
	s_and_b64 vcc, exec, s[6:7]
	s_cbranch_vccz .LBB231_4010
; %bb.4001:
	v_and_b32_e32 v4, 0x7fffffff, v0
	s_mov_b32 s6, 0x43f00000
	v_cmp_gt_u32_e32 vcc, s6, v4
                                        ; implicit-def: $vgpr1
	s_and_saveexec_b64 s[6:7], vcc
	s_xor_b64 s[6:7], exec, s[6:7]
	s_cbranch_execz .LBB231_4007
; %bb.4002:
	s_mov_b32 s8, 0x3c7fffff
	v_cmp_lt_u32_e32 vcc, s8, v4
                                        ; implicit-def: $vgpr1
	s_and_saveexec_b64 s[8:9], vcc
	s_xor_b64 s[8:9], exec, s[8:9]
; %bb.4003:
	v_bfe_u32 v1, v0, 20, 1
	s_mov_b32 s10, 0x407ffff
	v_add3_u32 v1, v0, v1, s10
	v_lshrrev_b32_e32 v4, 20, v1
	v_and_b32_e32 v1, 0xff00000, v1
	s_mov_b32 s10, 0x7f00000
	v_mov_b32_e32 v5, 0x7e
	v_cmp_ne_u32_e32 vcc, s10, v1
	v_cndmask_b32_e32 v1, v5, v4, vcc
; %bb.4004:
	s_andn2_saveexec_b64 s[8:9], s[8:9]
; %bb.4005:
	s_mov_b32 s10, 0x46800000
	v_add_f32_e64 v1, |v0|, s10
; %bb.4006:
	s_or_b64 exec, exec, s[8:9]
                                        ; implicit-def: $vgpr4
.LBB231_4007:
	s_andn2_saveexec_b64 s[6:7], s[6:7]
; %bb.4008:
	s_mov_b32 s8, 0x7f800000
	v_mov_b32_e32 v1, 0x7e
	v_mov_b32_e32 v5, 0x7f
	v_cmp_lt_u32_e32 vcc, s8, v4
	v_cndmask_b32_e32 v1, v1, v5, vcc
; %bb.4009:
	s_or_b64 exec, exec, s[6:7]
	v_lshrrev_b32_e32 v4, 24, v0
	s_movk_i32 s6, 0x80
	v_and_or_b32 v1, v4, s6, v1
	global_store_byte v[2:3], v1, off
.LBB231_4010:
	s_mov_b64 s[6:7], 0
.LBB231_4011:
	s_andn2_b64 vcc, exec, s[6:7]
	s_cbranch_vccnz .LBB231_4021
; %bb.4012:
	v_and_b32_e32 v4, 0x7fffffff, v0
	s_mov_b32 s6, 0x47800000
	v_cmp_gt_u32_e32 vcc, s6, v4
                                        ; implicit-def: $vgpr1
	s_and_saveexec_b64 s[6:7], vcc
	s_xor_b64 s[6:7], exec, s[6:7]
	s_cbranch_execz .LBB231_4018
; %bb.4013:
	s_mov_b32 s8, 0x387fffff
	v_cmp_lt_u32_e32 vcc, s8, v4
                                        ; implicit-def: $vgpr1
	s_and_saveexec_b64 s[8:9], vcc
	s_xor_b64 s[8:9], exec, s[8:9]
; %bb.4014:
	v_bfe_u32 v1, v0, 21, 1
	s_mov_b32 s10, 0x80fffff
	v_add3_u32 v1, v0, v1, s10
	v_lshrrev_b32_e32 v1, 21, v1
; %bb.4015:
	s_andn2_saveexec_b64 s[8:9], s[8:9]
; %bb.4016:
	s_mov_b32 s10, 0x43000000
	v_add_f32_e64 v1, |v0|, s10
; %bb.4017:
	s_or_b64 exec, exec, s[8:9]
                                        ; implicit-def: $vgpr4
.LBB231_4018:
	s_andn2_saveexec_b64 s[6:7], s[6:7]
; %bb.4019:
	s_mov_b32 s8, 0x7f800000
	v_mov_b32_e32 v1, 0x7c
	v_mov_b32_e32 v5, 0x7f
	v_cmp_lt_u32_e32 vcc, s8, v4
	v_cndmask_b32_e32 v1, v1, v5, vcc
; %bb.4020:
	s_or_b64 exec, exec, s[6:7]
	v_lshrrev_b32_e32 v4, 24, v0
	s_movk_i32 s6, 0x80
	v_and_or_b32 v1, v4, s6, v1
	global_store_byte v[2:3], v1, off
.LBB231_4021:
	s_mov_b64 s[6:7], 0
	s_mov_b64 s[8:9], -1
.LBB231_4022:
	s_andn2_b64 vcc, exec, s[6:7]
	s_mov_b64 s[6:7], 0
	s_cbranch_vccnz .LBB231_4029
; %bb.4023:
	v_mov_b32_e32 v1, 14
	v_cmp_gt_i16_sdwa s[6:7], s33, v1 src0_sel:BYTE_0 src1_sel:DWORD
	s_mov_b64 s[10:11], -1
	s_and_b64 vcc, exec, s[6:7]
	s_cbranch_vccz .LBB231_4027
; %bb.4024:
	v_mov_b32_e32 v1, 15
	v_cmp_eq_u16_sdwa s[6:7], s33, v1 src0_sel:BYTE_0 src1_sel:DWORD
	s_mov_b64 s[4:5], -1
	s_and_b64 vcc, exec, s[6:7]
	s_cbranch_vccz .LBB231_4026
; %bb.4025:
	v_bfe_u32 v1, v0, 16, 1
	s_movk_i32 s4, 0x7fff
	v_add3_u32 v1, v0, v1, s4
	v_lshrrev_b32_e32 v1, 16, v1
	v_mov_b32_e32 v4, 0x7fc0
	v_cmp_o_f32_e32 vcc, v0, v0
	v_cndmask_b32_e32 v1, v4, v1, vcc
	global_store_short v[2:3], v1, off
	s_mov_b64 s[4:5], 0
	s_mov_b64 s[8:9], -1
.LBB231_4026:
	s_mov_b64 s[10:11], 0
.LBB231_4027:
	s_mov_b64 s[6:7], 0
	s_and_b64 vcc, exec, s[10:11]
	s_cbranch_vccz .LBB231_4029
; %bb.4028:
	v_mov_b32_e32 v1, 11
	v_cmp_ne_u16_sdwa s[4:5], s33, v1 src0_sel:BYTE_0 src1_sel:DWORD
	s_mov_b64 s[6:7], -1
.LBB231_4029:
	s_and_b64 vcc, exec, s[4:5]
	s_cbranch_vccnz .LBB231_4197
; %bb.4030:
	s_andn2_b64 vcc, exec, s[6:7]
	s_cbranch_vccnz .LBB231_4032
.LBB231_4031:
	v_cmp_neq_f32_e32 vcc, 0, v0
	v_cndmask_b32_e64 v1, 0, 1, vcc
	s_mov_b64 s[8:9], -1
	global_store_byte v[2:3], v1, off
.LBB231_4032:
	s_mov_b64 s[4:5], 0
.LBB231_4033:
	s_and_b64 vcc, exec, s[4:5]
	s_cbranch_vccz .LBB231_4072
; %bb.4034:
	v_mov_b32_e32 v1, 5
	v_cmp_lt_i16_sdwa s[6:7], s33, v1 src0_sel:BYTE_0 src1_sel:DWORD
	s_mov_b64 s[4:5], -1
	s_and_b64 vcc, exec, s[6:7]
	s_cbranch_vccnz .LBB231_4055
; %bb.4035:
	v_mov_b32_e32 v1, 8
	v_cmp_lt_i16_sdwa s[6:7], s33, v1 src0_sel:BYTE_0 src1_sel:DWORD
	s_and_b64 vcc, exec, s[6:7]
	s_cbranch_vccnz .LBB231_4045
; %bb.4036:
	v_mov_b32_e32 v1, 9
	v_cmp_lt_i16_sdwa s[6:7], s33, v1 src0_sel:BYTE_0 src1_sel:DWORD
	s_and_b64 vcc, exec, s[6:7]
	s_cbranch_vccnz .LBB231_4042
; %bb.4037:
	v_cmp_gt_i16_sdwa s[6:7], s33, v1 src0_sel:BYTE_0 src1_sel:DWORD
	s_and_b64 vcc, exec, s[6:7]
	s_cbranch_vccz .LBB231_4039
; %bb.4038:
	v_mov_b32_e32 v6, 0
	v_cvt_f64_f32_e32 v[4:5], v0
	v_mov_b32_e32 v7, v6
	global_store_dwordx4 v[2:3], v[4:7], off
	s_mov_b64 s[4:5], 0
.LBB231_4039:
	s_andn2_b64 vcc, exec, s[4:5]
	s_cbranch_vccnz .LBB231_4041
; %bb.4040:
	v_mov_b32_e32 v1, 0
	global_store_dwordx2 v[2:3], v[0:1], off
.LBB231_4041:
	s_mov_b64 s[4:5], 0
.LBB231_4042:
	s_andn2_b64 vcc, exec, s[4:5]
	s_cbranch_vccnz .LBB231_4044
; %bb.4043:
	v_cvt_f16_f32_e32 v1, v0
	global_store_dword v[2:3], v1, off
.LBB231_4044:
	s_mov_b64 s[4:5], 0
.LBB231_4045:
	s_andn2_b64 vcc, exec, s[4:5]
	s_cbranch_vccnz .LBB231_4054
; %bb.4046:
	v_mov_b32_e32 v1, 6
	v_cmp_lt_i16_sdwa s[6:7], s33, v1 src0_sel:BYTE_0 src1_sel:DWORD
	s_mov_b64 s[4:5], -1
	s_and_b64 vcc, exec, s[6:7]
	s_cbranch_vccnz .LBB231_4052
; %bb.4047:
	v_cmp_gt_i16_sdwa s[6:7], s33, v1 src0_sel:BYTE_0 src1_sel:DWORD
	s_and_b64 vcc, exec, s[6:7]
	s_cbranch_vccz .LBB231_4049
; %bb.4048:
	v_cvt_f64_f32_e32 v[4:5], v0
	global_store_dwordx2 v[2:3], v[4:5], off
	s_mov_b64 s[4:5], 0
.LBB231_4049:
	s_andn2_b64 vcc, exec, s[4:5]
	s_cbranch_vccnz .LBB231_4051
; %bb.4050:
	global_store_dword v[2:3], v0, off
.LBB231_4051:
	s_mov_b64 s[4:5], 0
.LBB231_4052:
	s_andn2_b64 vcc, exec, s[4:5]
	s_cbranch_vccnz .LBB231_4054
; %bb.4053:
	v_cvt_f16_f32_e32 v1, v0
	global_store_short v[2:3], v1, off
.LBB231_4054:
	s_mov_b64 s[4:5], 0
.LBB231_4055:
	s_andn2_b64 vcc, exec, s[4:5]
	s_cbranch_vccnz .LBB231_4071
; %bb.4056:
	v_mov_b32_e32 v1, 2
	v_cmp_lt_i16_sdwa s[6:7], s33, v1 src0_sel:BYTE_0 src1_sel:DWORD
	s_mov_b64 s[4:5], -1
	s_and_b64 vcc, exec, s[6:7]
	s_cbranch_vccnz .LBB231_4066
; %bb.4057:
	v_mov_b32_e32 v1, 3
	v_cmp_lt_i16_sdwa s[6:7], s33, v1 src0_sel:BYTE_0 src1_sel:DWORD
	s_and_b64 vcc, exec, s[6:7]
	s_cbranch_vccnz .LBB231_4063
; %bb.4058:
	v_cmp_gt_i16_sdwa s[6:7], s33, v1 src0_sel:BYTE_0 src1_sel:DWORD
	s_and_b64 vcc, exec, s[6:7]
	s_cbranch_vccz .LBB231_4060
; %bb.4059:
	v_trunc_f32_e32 v1, v0
	s_mov_b32 s4, 0x2f800000
	v_mul_f32_e64 v4, |v1|, s4
	v_floor_f32_e32 v4, v4
	s_mov_b32 s4, 0xcf800000
	v_cvt_u32_f32_e32 v5, v4
	v_fma_f32 v4, v4, s4, |v1|
	v_cvt_u32_f32_e32 v4, v4
	v_ashrrev_i32_e32 v1, 31, v1
	v_xor_b32_e32 v5, v5, v1
	s_mov_b64 s[4:5], 0
	v_xor_b32_e32 v4, v4, v1
	v_sub_co_u32_e32 v4, vcc, v4, v1
	v_subb_co_u32_e32 v5, vcc, v5, v1, vcc
	global_store_dwordx2 v[2:3], v[4:5], off
.LBB231_4060:
	s_andn2_b64 vcc, exec, s[4:5]
	s_cbranch_vccnz .LBB231_4062
; %bb.4061:
	v_cvt_i32_f32_e32 v1, v0
	global_store_dword v[2:3], v1, off
.LBB231_4062:
	s_mov_b64 s[4:5], 0
.LBB231_4063:
	s_andn2_b64 vcc, exec, s[4:5]
	s_cbranch_vccnz .LBB231_4065
; %bb.4064:
	v_cvt_i32_f32_e32 v1, v0
	global_store_short v[2:3], v1, off
.LBB231_4065:
	s_mov_b64 s[4:5], 0
.LBB231_4066:
	s_andn2_b64 vcc, exec, s[4:5]
	s_cbranch_vccnz .LBB231_4071
; %bb.4067:
	v_mov_b32_e32 v1, 0
	v_cmp_gt_i16_sdwa s[6:7], s33, v1 src0_sel:BYTE_0 src1_sel:DWORD
	s_mov_b64 s[4:5], -1
	s_and_b64 vcc, exec, s[6:7]
	s_cbranch_vccz .LBB231_4069
; %bb.4068:
	v_cvt_i32_f32_e32 v1, v0
	s_mov_b64 s[4:5], 0
	global_store_byte v[2:3], v1, off
.LBB231_4069:
	s_andn2_b64 vcc, exec, s[4:5]
	s_cbranch_vccnz .LBB231_4071
; %bb.4070:
	v_trunc_f32_e32 v0, v0
	s_mov_b32 s4, 0x2f800000
	v_mul_f32_e64 v1, |v0|, s4
	v_floor_f32_e32 v1, v1
	s_mov_b32 s4, 0xcf800000
	v_fma_f32 v1, v1, s4, |v0|
	v_cvt_u32_f32_e32 v1, v1
	v_ashrrev_i32_e32 v0, 31, v0
	v_xor_b32_e32 v1, v1, v0
	v_sub_u32_e32 v0, v1, v0
	global_store_byte v[2:3], v0, off
.LBB231_4071:
	s_mov_b64 s[8:9], -1
.LBB231_4072:
	s_andn2_b64 vcc, exec, s[8:9]
	s_cbranch_vccnz .LBB231_4149
; %bb.4073:
	v_mov_b32_e32 v0, v44
	v_mov_b32_e32 v1, v45
	;; [unrolled: 1-line block ×3, first 2 shown]
	s_getpc_b64 s[4:5]
	s_add_u32 s4, s4, _ZZZZN2at6native28launch_dirichlet_grad_kernelERNS_18TensorIteratorBaseEENKUlvE_clEvENKUlvE0_clEvENKUlfffE_clEfff@rel32@lo+4
	s_addc_u32 s5, s5, _ZZZZN2at6native28launch_dirichlet_grad_kernelERNS_18TensorIteratorBaseEENKUlvE_clEvENKUlvE0_clEvENKUlfffE_clEfff@rel32@hi+12
	s_swappc_b64 s[30:31], s[4:5]
	v_mov_b32_e32 v1, 0xff
	v_and_b32_e32 v4, s33, v1
	v_mov_b32_e32 v1, s29
	v_add_co_u32_e32 v2, vcc, s28, v48
	v_addc_co_u32_e32 v3, vcc, 0, v1, vcc
	v_cmp_gt_i16_e32 vcc, 11, v4
	s_cbranch_vccnz .LBB231_4194
; %bb.4074:
	v_cmp_lt_i16_e32 vcc, 25, v4
	s_mov_b64 s[8:9], -1
	s_mov_b64 s[6:7], 0
	s_mov_b64 s[4:5], 0
	s_cbranch_vccz .LBB231_4107
; %bb.4075:
	v_cmp_lt_i16_e32 vcc, 28, v4
	s_cbranch_vccz .LBB231_4091
; %bb.4076:
	v_cmp_lt_i16_e32 vcc, 43, v4
	;; [unrolled: 3-line block ×3, first 2 shown]
	s_cbranch_vccz .LBB231_4081
; %bb.4078:
	v_cmp_eq_u16_e32 vcc, 46, v4
	s_mov_b64 s[4:5], -1
	s_cbranch_vccz .LBB231_4080
; %bb.4079:
	v_bfe_u32 v1, v0, 16, 1
	s_movk_i32 s4, 0x7fff
	v_add3_u32 v1, v0, v1, s4
	v_lshrrev_b32_e32 v1, 16, v1
	v_mov_b32_e32 v5, 0x7fc0
	v_cmp_o_f32_e32 vcc, v0, v0
	v_cndmask_b32_e32 v1, v5, v1, vcc
	global_store_dword v[2:3], v1, off
	s_mov_b64 s[4:5], 0
.LBB231_4080:
	s_mov_b64 s[8:9], 0
.LBB231_4081:
	s_and_b64 vcc, exec, s[8:9]
	s_cbranch_vccz .LBB231_4086
; %bb.4082:
	v_cmp_eq_u16_e32 vcc, 44, v4
	s_mov_b64 s[4:5], -1
	s_cbranch_vccz .LBB231_4086
; %bb.4083:
	v_bfe_u32 v1, v0, 23, 8
	s_movk_i32 s4, 0xff
	v_cmp_ne_u32_e32 vcc, s4, v1
	v_mov_b32_e32 v5, 0xff
	s_and_saveexec_b64 s[8:9], vcc
; %bb.4084:
	s_mov_b32 s4, 0x3fffff
	v_and_b32_e32 v6, 0x400000, v0
	v_and_or_b32 v1, v0, s4, v1
	v_cmp_ne_u32_e32 vcc, 0, v6
	v_cmp_ne_u32_e64 s[4:5], 0, v1
	s_and_b64 s[4:5], vcc, s[4:5]
	v_lshrrev_b32_e32 v5, 23, v0
	v_cndmask_b32_e64 v1, 0, 1, s[4:5]
	v_add_u32_e32 v5, v5, v1
; %bb.4085:
	s_or_b64 exec, exec, s[8:9]
	s_mov_b64 s[4:5], 0
	global_store_byte v[2:3], v5, off
.LBB231_4086:
	s_mov_b64 s[8:9], 0
.LBB231_4087:
	s_and_b64 vcc, exec, s[8:9]
	s_cbranch_vccz .LBB231_4090
; %bb.4088:
	v_cmp_eq_u16_e32 vcc, 29, v4
	s_mov_b64 s[4:5], -1
	s_cbranch_vccz .LBB231_4090
; %bb.4089:
	v_trunc_f32_e32 v1, v0
	v_mul_f32_e32 v5, 0x2f800000, v1
	v_floor_f32_e32 v5, v5
	v_fmac_f32_e32 v1, 0xcf800000, v5
	v_cvt_u32_f32_e32 v7, v5
	v_cvt_u32_f32_e32 v6, v1
	s_mov_b64 s[4:5], 0
	global_store_dwordx2 v[2:3], v[6:7], off
.LBB231_4090:
	s_mov_b64 s[8:9], 0
.LBB231_4091:
	s_and_b64 vcc, exec, s[8:9]
	s_cbranch_vccz .LBB231_4106
; %bb.4092:
	v_cmp_gt_i16_e32 vcc, 27, v4
	s_mov_b64 s[8:9], -1
	s_cbranch_vccnz .LBB231_4098
; %bb.4093:
	v_cvt_u32_f32_e32 v1, v0
	v_cmp_lt_i16_e32 vcc, 27, v4
	s_cbranch_vccz .LBB231_4095
; %bb.4094:
	global_store_dword v[2:3], v1, off
	s_mov_b64 s[8:9], 0
.LBB231_4095:
	s_andn2_b64 vcc, exec, s[8:9]
	s_cbranch_vccnz .LBB231_4097
; %bb.4096:
	global_store_short v[2:3], v1, off
.LBB231_4097:
	s_mov_b64 s[8:9], 0
.LBB231_4098:
	s_andn2_b64 vcc, exec, s[8:9]
	s_cbranch_vccnz .LBB231_4106
; %bb.4099:
	v_and_b32_e32 v1, 0x7fffffff, v0
	s_mov_b32 s8, 0x43800000
	v_cmp_gt_u32_e32 vcc, s8, v1
	v_mov_b32_e32 v5, 0x80
	s_and_saveexec_b64 s[8:9], vcc
	s_cbranch_execz .LBB231_4105
; %bb.4100:
	s_mov_b32 s10, 0x3bffffff
	v_cmp_lt_u32_e32 vcc, s10, v1
	s_mov_b64 s[10:11], 0
                                        ; implicit-def: $vgpr1
	s_and_saveexec_b64 s[12:13], vcc
	s_xor_b64 s[12:13], exec, s[12:13]
	s_cbranch_execz .LBB231_4200
; %bb.4101:
	v_bfe_u32 v1, v0, 20, 1
	s_mov_b32 s14, 0x487ffff
	v_add3_u32 v1, v0, v1, s14
	s_mov_b64 s[10:11], exec
	v_lshrrev_b32_e32 v1, 20, v1
	s_or_saveexec_b64 s[12:13], s[12:13]
                                        ; implicit-def: $sgpr14
	s_xor_b64 exec, exec, s[12:13]
	s_cbranch_execnz .LBB231_4201
.LBB231_4102:
	s_or_b64 exec, exec, s[12:13]
	v_mov_b32_e32 v5, s14
	s_and_saveexec_b64 s[12:13], s[10:11]
.LBB231_4103:
	v_lshrrev_b32_e32 v5, 24, v0
	s_movk_i32 s10, 0x80
	v_and_or_b32 v5, v5, s10, v1
.LBB231_4104:
	s_or_b64 exec, exec, s[12:13]
.LBB231_4105:
	s_or_b64 exec, exec, s[8:9]
	global_store_byte v[2:3], v5, off
.LBB231_4106:
	s_mov_b64 s[8:9], 0
.LBB231_4107:
	s_and_b64 vcc, exec, s[8:9]
	s_cbranch_vccz .LBB231_4147
; %bb.4108:
	v_cmp_lt_i16_e32 vcc, 22, v4
	s_mov_b64 s[6:7], -1
	s_cbranch_vccz .LBB231_4140
; %bb.4109:
	v_cmp_gt_i16_e32 vcc, 24, v4
	s_cbranch_vccnz .LBB231_4129
; %bb.4110:
	v_cmp_lt_i16_e32 vcc, 24, v4
	s_cbranch_vccz .LBB231_4118
; %bb.4111:
	v_and_b32_e32 v1, 0x7fffffff, v0
	s_mov_b32 s6, 0x47800000
	v_cmp_gt_u32_e32 vcc, s6, v1
	v_mov_b32_e32 v5, 0x80
	s_and_saveexec_b64 s[6:7], vcc
	s_cbranch_execz .LBB231_4117
; %bb.4112:
	s_mov_b32 s8, 0x37ffffff
	v_cmp_lt_u32_e32 vcc, s8, v1
	s_mov_b64 s[8:9], 0
                                        ; implicit-def: $vgpr1
	s_and_saveexec_b64 s[10:11], vcc
	s_xor_b64 s[10:11], exec, s[10:11]
	s_cbranch_execz .LBB231_4203
; %bb.4113:
	v_bfe_u32 v1, v0, 21, 1
	s_mov_b32 s12, 0x88fffff
	v_add3_u32 v1, v0, v1, s12
	s_mov_b64 s[8:9], exec
	v_lshrrev_b32_e32 v1, 21, v1
	s_or_saveexec_b64 s[10:11], s[10:11]
                                        ; implicit-def: $sgpr12
	s_xor_b64 exec, exec, s[10:11]
	s_cbranch_execnz .LBB231_4204
.LBB231_4114:
	s_or_b64 exec, exec, s[10:11]
	v_mov_b32_e32 v5, s12
	s_and_saveexec_b64 s[10:11], s[8:9]
.LBB231_4115:
	v_lshrrev_b32_e32 v5, 24, v0
	s_movk_i32 s8, 0x80
	v_and_or_b32 v5, v5, s8, v1
.LBB231_4116:
	s_or_b64 exec, exec, s[10:11]
.LBB231_4117:
	s_or_b64 exec, exec, s[6:7]
	s_mov_b64 s[6:7], 0
	global_store_byte v[2:3], v5, off
.LBB231_4118:
	s_and_b64 vcc, exec, s[6:7]
	s_cbranch_vccz .LBB231_4128
; %bb.4119:
	v_and_b32_e32 v5, 0x7fffffff, v0
	s_mov_b32 s6, 0x43f00000
	v_cmp_gt_u32_e32 vcc, s6, v5
                                        ; implicit-def: $vgpr1
	s_and_saveexec_b64 s[6:7], vcc
	s_xor_b64 s[6:7], exec, s[6:7]
	s_cbranch_execz .LBB231_4125
; %bb.4120:
	s_mov_b32 s8, 0x3c7fffff
	v_cmp_lt_u32_e32 vcc, s8, v5
                                        ; implicit-def: $vgpr1
	s_and_saveexec_b64 s[8:9], vcc
	s_xor_b64 s[8:9], exec, s[8:9]
; %bb.4121:
	v_bfe_u32 v1, v0, 20, 1
	s_mov_b32 s10, 0x407ffff
	v_add3_u32 v1, v0, v1, s10
	v_lshrrev_b32_e32 v5, 20, v1
	v_and_b32_e32 v1, 0xff00000, v1
	s_mov_b32 s10, 0x7f00000
	v_mov_b32_e32 v6, 0x7e
	v_cmp_ne_u32_e32 vcc, s10, v1
	v_cndmask_b32_e32 v1, v6, v5, vcc
; %bb.4122:
	s_andn2_saveexec_b64 s[8:9], s[8:9]
; %bb.4123:
	s_mov_b32 s10, 0x46800000
	v_add_f32_e64 v1, |v0|, s10
; %bb.4124:
	s_or_b64 exec, exec, s[8:9]
                                        ; implicit-def: $vgpr5
.LBB231_4125:
	s_andn2_saveexec_b64 s[6:7], s[6:7]
; %bb.4126:
	s_mov_b32 s8, 0x7f800000
	v_mov_b32_e32 v1, 0x7e
	v_mov_b32_e32 v6, 0x7f
	v_cmp_lt_u32_e32 vcc, s8, v5
	v_cndmask_b32_e32 v1, v1, v6, vcc
; %bb.4127:
	s_or_b64 exec, exec, s[6:7]
	v_lshrrev_b32_e32 v5, 24, v0
	s_movk_i32 s6, 0x80
	v_and_or_b32 v1, v5, s6, v1
	global_store_byte v[2:3], v1, off
.LBB231_4128:
	s_mov_b64 s[6:7], 0
.LBB231_4129:
	s_andn2_b64 vcc, exec, s[6:7]
	s_cbranch_vccnz .LBB231_4139
; %bb.4130:
	v_and_b32_e32 v5, 0x7fffffff, v0
	s_mov_b32 s6, 0x47800000
	v_cmp_gt_u32_e32 vcc, s6, v5
                                        ; implicit-def: $vgpr1
	s_and_saveexec_b64 s[6:7], vcc
	s_xor_b64 s[6:7], exec, s[6:7]
	s_cbranch_execz .LBB231_4136
; %bb.4131:
	s_mov_b32 s8, 0x387fffff
	v_cmp_lt_u32_e32 vcc, s8, v5
                                        ; implicit-def: $vgpr1
	s_and_saveexec_b64 s[8:9], vcc
	s_xor_b64 s[8:9], exec, s[8:9]
; %bb.4132:
	v_bfe_u32 v1, v0, 21, 1
	s_mov_b32 s10, 0x80fffff
	v_add3_u32 v1, v0, v1, s10
	v_lshrrev_b32_e32 v1, 21, v1
; %bb.4133:
	s_andn2_saveexec_b64 s[8:9], s[8:9]
; %bb.4134:
	s_mov_b32 s10, 0x43000000
	v_add_f32_e64 v1, |v0|, s10
; %bb.4135:
	s_or_b64 exec, exec, s[8:9]
                                        ; implicit-def: $vgpr5
.LBB231_4136:
	s_andn2_saveexec_b64 s[6:7], s[6:7]
; %bb.4137:
	s_mov_b32 s8, 0x7f800000
	v_mov_b32_e32 v1, 0x7c
	v_mov_b32_e32 v6, 0x7f
	v_cmp_lt_u32_e32 vcc, s8, v5
	v_cndmask_b32_e32 v1, v1, v6, vcc
; %bb.4138:
	s_or_b64 exec, exec, s[6:7]
	v_lshrrev_b32_e32 v5, 24, v0
	s_movk_i32 s6, 0x80
	v_and_or_b32 v1, v5, s6, v1
	global_store_byte v[2:3], v1, off
.LBB231_4139:
	s_mov_b64 s[6:7], 0
.LBB231_4140:
	s_andn2_b64 vcc, exec, s[6:7]
	s_mov_b64 s[6:7], 0
	s_cbranch_vccnz .LBB231_4147
; %bb.4141:
	v_cmp_lt_i16_e32 vcc, 14, v4
	s_mov_b64 s[8:9], -1
	s_cbranch_vccz .LBB231_4145
; %bb.4142:
	v_cmp_eq_u16_e32 vcc, 15, v4
	s_mov_b64 s[4:5], -1
	s_cbranch_vccz .LBB231_4144
; %bb.4143:
	v_bfe_u32 v1, v0, 16, 1
	s_movk_i32 s4, 0x7fff
	v_add3_u32 v1, v0, v1, s4
	v_lshrrev_b32_e32 v1, 16, v1
	v_mov_b32_e32 v5, 0x7fc0
	v_cmp_o_f32_e32 vcc, v0, v0
	v_cndmask_b32_e32 v1, v5, v1, vcc
	global_store_short v[2:3], v1, off
	s_mov_b64 s[4:5], 0
.LBB231_4144:
	s_mov_b64 s[8:9], 0
.LBB231_4145:
	s_and_b64 vcc, exec, s[8:9]
	s_cbranch_vccz .LBB231_4147
; %bb.4146:
	v_cmp_ne_u16_e64 s[4:5], 11, v4
	s_mov_b64 s[6:7], -1
.LBB231_4147:
	s_and_b64 vcc, exec, s[4:5]
	s_cbranch_vccnz .LBB231_4202
.LBB231_4148:
	s_mov_b64 s[4:5], 0
	s_branch .LBB231_4150
.LBB231_4149:
	s_mov_b64 s[4:5], 0
	s_mov_b64 s[6:7], 0
                                        ; implicit-def: $vgpr2_vgpr3
                                        ; implicit-def: $vgpr4
                                        ; implicit-def: $vgpr0
.LBB231_4150:
	s_and_b64 s[8:9], s[4:5], exec
	s_and_b64 s[28:29], s[6:7], exec
	s_andn2_b64 s[4:5], s[36:37], exec
	s_and_b64 s[6:7], s[40:41], exec
	s_or_b64 s[36:37], s[4:5], s[6:7]
.LBB231_4151:
	s_or_b64 exec, exec, s[38:39]
	s_and_saveexec_b64 s[4:5], s[36:37]
	s_cbranch_execz .LBB231_4154
; %bb.4152:
	; divergent unreachable
	s_or_b64 exec, exec, s[4:5]
	s_and_saveexec_b64 s[4:5], s[28:29]
	s_xor_b64 s[4:5], exec, s[4:5]
	s_cbranch_execnz .LBB231_4155
.LBB231_4153:
	s_or_b64 exec, exec, s[4:5]
	s_and_saveexec_b64 s[4:5], s[8:9]
	s_cbranch_execnz .LBB231_4156
	s_branch .LBB231_4193
.LBB231_4154:
	s_or_b64 exec, exec, s[4:5]
	s_and_saveexec_b64 s[4:5], s[28:29]
	s_xor_b64 s[4:5], exec, s[4:5]
	s_cbranch_execz .LBB231_4153
.LBB231_4155:
	s_waitcnt vmcnt(0)
	v_cmp_neq_f32_e32 vcc, 0, v0
	v_cndmask_b32_e64 v1, 0, 1, vcc
	global_store_byte v[2:3], v1, off
	s_or_b64 exec, exec, s[4:5]
	s_and_saveexec_b64 s[4:5], s[8:9]
	s_cbranch_execz .LBB231_4193
.LBB231_4156:
	v_cmp_gt_i16_e32 vcc, 5, v4
	s_mov_b64 s[4:5], -1
	s_cbranch_vccnz .LBB231_4177
; %bb.4157:
	v_cmp_gt_i16_e32 vcc, 8, v4
	s_cbranch_vccnz .LBB231_4167
; %bb.4158:
	v_cmp_gt_i16_e32 vcc, 9, v4
	s_cbranch_vccnz .LBB231_4164
; %bb.4159:
	v_cmp_lt_i16_e32 vcc, 9, v4
	s_cbranch_vccz .LBB231_4161
; %bb.4160:
	v_mov_b32_e32 v8, 0
	s_waitcnt vmcnt(0)
	v_cvt_f64_f32_e32 v[6:7], v0
	v_mov_b32_e32 v9, v8
	global_store_dwordx4 v[2:3], v[6:9], off
	s_mov_b64 s[4:5], 0
.LBB231_4161:
	s_andn2_b64 vcc, exec, s[4:5]
	s_cbranch_vccnz .LBB231_4163
; %bb.4162:
	s_waitcnt vmcnt(0)
	v_mov_b32_e32 v1, 0
	global_store_dwordx2 v[2:3], v[0:1], off
.LBB231_4163:
	s_mov_b64 s[4:5], 0
.LBB231_4164:
	s_andn2_b64 vcc, exec, s[4:5]
	s_cbranch_vccnz .LBB231_4166
; %bb.4165:
	s_waitcnt vmcnt(0)
	v_cvt_f16_f32_e32 v1, v0
	global_store_dword v[2:3], v1, off
.LBB231_4166:
	s_mov_b64 s[4:5], 0
.LBB231_4167:
	s_andn2_b64 vcc, exec, s[4:5]
	s_cbranch_vccnz .LBB231_4176
; %bb.4168:
	v_cmp_gt_i16_e32 vcc, 6, v4
	s_mov_b64 s[4:5], -1
	s_cbranch_vccnz .LBB231_4174
; %bb.4169:
	v_cmp_lt_i16_e32 vcc, 6, v4
	s_cbranch_vccz .LBB231_4171
; %bb.4170:
	s_waitcnt vmcnt(0)
	v_cvt_f64_f32_e32 v[6:7], v0
	global_store_dwordx2 v[2:3], v[6:7], off
	s_mov_b64 s[4:5], 0
.LBB231_4171:
	s_andn2_b64 vcc, exec, s[4:5]
	s_cbranch_vccnz .LBB231_4173
; %bb.4172:
	s_waitcnt vmcnt(0)
	global_store_dword v[2:3], v0, off
.LBB231_4173:
	s_mov_b64 s[4:5], 0
.LBB231_4174:
	s_andn2_b64 vcc, exec, s[4:5]
	s_cbranch_vccnz .LBB231_4176
; %bb.4175:
	s_waitcnt vmcnt(0)
	v_cvt_f16_f32_e32 v1, v0
	global_store_short v[2:3], v1, off
.LBB231_4176:
	s_mov_b64 s[4:5], 0
.LBB231_4177:
	s_andn2_b64 vcc, exec, s[4:5]
	s_cbranch_vccnz .LBB231_4193
; %bb.4178:
	v_cmp_gt_i16_e32 vcc, 2, v4
	s_mov_b64 s[4:5], -1
	s_cbranch_vccnz .LBB231_4188
; %bb.4179:
	v_cmp_gt_i16_e32 vcc, 3, v4
	s_cbranch_vccnz .LBB231_4185
; %bb.4180:
	v_cmp_lt_i16_e32 vcc, 3, v4
	s_cbranch_vccz .LBB231_4182
; %bb.4181:
	s_waitcnt vmcnt(0)
	v_trunc_f32_e32 v1, v0
	s_mov_b32 s4, 0x2f800000
	v_mul_f32_e64 v5, |v1|, s4
	v_floor_f32_e32 v5, v5
	s_mov_b32 s4, 0xcf800000
	v_cvt_u32_f32_e32 v6, v5
	v_fma_f32 v5, v5, s4, |v1|
	v_cvt_u32_f32_e32 v5, v5
	v_ashrrev_i32_e32 v1, 31, v1
	v_xor_b32_e32 v7, v6, v1
	s_mov_b64 s[4:5], 0
	v_xor_b32_e32 v5, v5, v1
	v_sub_co_u32_e32 v6, vcc, v5, v1
	v_subb_co_u32_e32 v7, vcc, v7, v1, vcc
	global_store_dwordx2 v[2:3], v[6:7], off
.LBB231_4182:
	s_andn2_b64 vcc, exec, s[4:5]
	s_cbranch_vccnz .LBB231_4184
; %bb.4183:
	s_waitcnt vmcnt(0)
	v_cvt_i32_f32_e32 v1, v0
	global_store_dword v[2:3], v1, off
.LBB231_4184:
	s_mov_b64 s[4:5], 0
.LBB231_4185:
	s_andn2_b64 vcc, exec, s[4:5]
	s_cbranch_vccnz .LBB231_4187
; %bb.4186:
	s_waitcnt vmcnt(0)
	v_cvt_i32_f32_e32 v1, v0
	global_store_short v[2:3], v1, off
.LBB231_4187:
	s_mov_b64 s[4:5], 0
.LBB231_4188:
	s_andn2_b64 vcc, exec, s[4:5]
	s_cbranch_vccnz .LBB231_4193
; %bb.4189:
	v_cmp_lt_i16_e32 vcc, 0, v4
	s_mov_b64 s[4:5], -1
	s_cbranch_vccz .LBB231_4191
; %bb.4190:
	s_waitcnt vmcnt(0)
	v_cvt_i32_f32_e32 v1, v0
	s_mov_b64 s[4:5], 0
	global_store_byte v[2:3], v1, off
.LBB231_4191:
	s_andn2_b64 vcc, exec, s[4:5]
	s_cbranch_vccnz .LBB231_4193
; %bb.4192:
	s_waitcnt vmcnt(0)
	v_trunc_f32_e32 v0, v0
	s_mov_b32 s4, 0x2f800000
	v_mul_f32_e64 v1, |v0|, s4
	v_floor_f32_e32 v1, v1
	s_mov_b32 s4, 0xcf800000
	v_fma_f32 v1, v1, s4, |v0|
	v_cvt_u32_f32_e32 v1, v1
	v_ashrrev_i32_e32 v0, 31, v0
	v_xor_b32_e32 v1, v1, v0
	v_sub_u32_e32 v0, v1, v0
	global_store_byte v[2:3], v0, off
	s_endpgm
.LBB231_4193:
	s_endpgm
.LBB231_4194:
	s_mov_b64 s[6:7], 0
	s_mov_b64 s[4:5], -1
	s_branch .LBB231_4150
.LBB231_4195:
	s_or_saveexec_b64 s[12:13], s[12:13]
                                        ; implicit-def: $sgpr14
	s_xor_b64 exec, exec, s[12:13]
	s_cbranch_execz .LBB231_3983
.LBB231_4196:
	s_mov_b32 s14, 0x46000000
	v_add_f32_e64 v1, |v0|, s14
	v_and_b32_e32 v1, 0xff, v1
	v_cmp_ne_u32_e32 vcc, 0, v1
	s_andn2_b64 s[10:11], s[10:11], exec
	s_and_b64 s[16:17], vcc, exec
	s_mov_b32 s14, 0
	s_or_b64 s[10:11], s[10:11], s[16:17]
	s_or_b64 exec, exec, s[12:13]
	v_mov_b32_e32 v4, s14
	s_and_saveexec_b64 s[12:13], s[10:11]
	s_cbranch_execnz .LBB231_3984
	s_branch .LBB231_3985
.LBB231_4197:
	s_trap 2
	s_or_b64 s[40:41], s[40:41], exec
	s_cbranch_execz .LBB231_4031
	s_branch .LBB231_4032
.LBB231_4198:
	s_or_saveexec_b64 s[10:11], s[10:11]
                                        ; implicit-def: $sgpr12
	s_xor_b64 exec, exec, s[10:11]
	s_cbranch_execz .LBB231_3996
.LBB231_4199:
	s_mov_b32 s12, 0x42800000
	v_add_f32_e64 v1, |v0|, s12
	v_and_b32_e32 v1, 0xff, v1
	v_cmp_ne_u32_e32 vcc, 0, v1
	s_andn2_b64 s[8:9], s[8:9], exec
	s_and_b64 s[14:15], vcc, exec
	s_mov_b32 s12, 0
	s_or_b64 s[8:9], s[8:9], s[14:15]
	s_or_b64 exec, exec, s[10:11]
	v_mov_b32_e32 v4, s12
	s_and_saveexec_b64 s[10:11], s[8:9]
	s_cbranch_execnz .LBB231_3997
	s_branch .LBB231_3998
.LBB231_4200:
	s_or_saveexec_b64 s[12:13], s[12:13]
                                        ; implicit-def: $sgpr14
	s_xor_b64 exec, exec, s[12:13]
	s_cbranch_execz .LBB231_4102
.LBB231_4201:
	s_mov_b32 s14, 0x46000000
	v_add_f32_e64 v1, |v0|, s14
	v_and_b32_e32 v1, 0xff, v1
	v_cmp_ne_u32_e32 vcc, 0, v1
	s_andn2_b64 s[10:11], s[10:11], exec
	s_and_b64 s[16:17], vcc, exec
	s_mov_b32 s14, 0
	s_or_b64 s[10:11], s[10:11], s[16:17]
	s_or_b64 exec, exec, s[12:13]
	v_mov_b32_e32 v5, s14
	s_and_saveexec_b64 s[12:13], s[10:11]
	s_cbranch_execnz .LBB231_4103
	s_branch .LBB231_4104
.LBB231_4202:
	s_mov_b64 s[6:7], 0
	s_or_b64 s[40:41], s[40:41], exec
	s_trap 2
	s_branch .LBB231_4148
.LBB231_4203:
	s_or_saveexec_b64 s[10:11], s[10:11]
                                        ; implicit-def: $sgpr12
	s_xor_b64 exec, exec, s[10:11]
	s_cbranch_execz .LBB231_4114
.LBB231_4204:
	s_mov_b32 s12, 0x42800000
	v_add_f32_e64 v1, |v0|, s12
	v_and_b32_e32 v1, 0xff, v1
	v_cmp_ne_u32_e32 vcc, 0, v1
	s_andn2_b64 s[8:9], s[8:9], exec
	s_and_b64 s[14:15], vcc, exec
	s_mov_b32 s12, 0
	s_or_b64 s[8:9], s[8:9], s[14:15]
	s_or_b64 exec, exec, s[10:11]
	v_mov_b32_e32 v5, s12
	s_and_saveexec_b64 s[10:11], s[8:9]
	s_cbranch_execnz .LBB231_4115
	s_branch .LBB231_4116
	.section	.rodata,"a",@progbits
	.p2align	6, 0x0
	.amdhsa_kernel _ZN2at6native32elementwise_kernel_manual_unrollILi128ELi4EZNS0_15gpu_kernel_implIZZZNS0_28launch_dirichlet_grad_kernelERNS_18TensorIteratorBaseEENKUlvE_clEvENKUlvE0_clEvEUlfffE_EEvS4_RKT_EUlibE0_EEviT1_
		.amdhsa_group_segment_fixed_size 0
		.amdhsa_private_segment_fixed_size 0
		.amdhsa_kernarg_size 504
		.amdhsa_user_sgpr_count 8
		.amdhsa_user_sgpr_private_segment_buffer 1
		.amdhsa_user_sgpr_dispatch_ptr 0
		.amdhsa_user_sgpr_queue_ptr 0
		.amdhsa_user_sgpr_kernarg_segment_ptr 1
		.amdhsa_user_sgpr_dispatch_id 0
		.amdhsa_user_sgpr_flat_scratch_init 1
		.amdhsa_user_sgpr_kernarg_preload_length 0
		.amdhsa_user_sgpr_kernarg_preload_offset 0
		.amdhsa_user_sgpr_private_segment_size 0
		.amdhsa_uses_dynamic_stack 0
		.amdhsa_system_sgpr_private_segment_wavefront_offset 0
		.amdhsa_system_sgpr_workgroup_id_x 1
		.amdhsa_system_sgpr_workgroup_id_y 0
		.amdhsa_system_sgpr_workgroup_id_z 0
		.amdhsa_system_sgpr_workgroup_info 0
		.amdhsa_system_vgpr_workitem_id 0
		.amdhsa_next_free_vgpr 56
		.amdhsa_next_free_sgpr 98
		.amdhsa_accum_offset 56
		.amdhsa_reserve_vcc 1
		.amdhsa_reserve_flat_scratch 1
		.amdhsa_float_round_mode_32 0
		.amdhsa_float_round_mode_16_64 0
		.amdhsa_float_denorm_mode_32 3
		.amdhsa_float_denorm_mode_16_64 3
		.amdhsa_dx10_clamp 1
		.amdhsa_ieee_mode 1
		.amdhsa_fp16_overflow 0
		.amdhsa_tg_split 0
		.amdhsa_exception_fp_ieee_invalid_op 0
		.amdhsa_exception_fp_denorm_src 0
		.amdhsa_exception_fp_ieee_div_zero 0
		.amdhsa_exception_fp_ieee_overflow 0
		.amdhsa_exception_fp_ieee_underflow 0
		.amdhsa_exception_fp_ieee_inexact 0
		.amdhsa_exception_int_div_zero 0
	.end_amdhsa_kernel
	.section	.text._ZN2at6native32elementwise_kernel_manual_unrollILi128ELi4EZNS0_15gpu_kernel_implIZZZNS0_28launch_dirichlet_grad_kernelERNS_18TensorIteratorBaseEENKUlvE_clEvENKUlvE0_clEvEUlfffE_EEvS4_RKT_EUlibE0_EEviT1_,"axG",@progbits,_ZN2at6native32elementwise_kernel_manual_unrollILi128ELi4EZNS0_15gpu_kernel_implIZZZNS0_28launch_dirichlet_grad_kernelERNS_18TensorIteratorBaseEENKUlvE_clEvENKUlvE0_clEvEUlfffE_EEvS4_RKT_EUlibE0_EEviT1_,comdat
.Lfunc_end231:
	.size	_ZN2at6native32elementwise_kernel_manual_unrollILi128ELi4EZNS0_15gpu_kernel_implIZZZNS0_28launch_dirichlet_grad_kernelERNS_18TensorIteratorBaseEENKUlvE_clEvENKUlvE0_clEvEUlfffE_EEvS4_RKT_EUlibE0_EEviT1_, .Lfunc_end231-_ZN2at6native32elementwise_kernel_manual_unrollILi128ELi4EZNS0_15gpu_kernel_implIZZZNS0_28launch_dirichlet_grad_kernelERNS_18TensorIteratorBaseEENKUlvE_clEvENKUlvE0_clEvEUlfffE_EEvS4_RKT_EUlibE0_EEviT1_
                                        ; -- End function
	.section	.AMDGPU.csdata,"",@progbits
; Kernel info:
; codeLenInByte = 73640
; NumSgprs: 104
; NumVgprs: 56
; NumAgprs: 0
; TotalNumVgprs: 56
; ScratchSize: 0
; MemoryBound: 1
; FloatMode: 240
; IeeeMode: 1
; LDSByteSize: 0 bytes/workgroup (compile time only)
; SGPRBlocks: 12
; VGPRBlocks: 6
; NumSGPRsForWavesPerEU: 104
; NumVGPRsForWavesPerEU: 56
; AccumOffset: 56
; Occupancy: 7
; WaveLimiterHint : 1
; COMPUTE_PGM_RSRC2:SCRATCH_EN: 0
; COMPUTE_PGM_RSRC2:USER_SGPR: 8
; COMPUTE_PGM_RSRC2:TRAP_HANDLER: 0
; COMPUTE_PGM_RSRC2:TGID_X_EN: 1
; COMPUTE_PGM_RSRC2:TGID_Y_EN: 0
; COMPUTE_PGM_RSRC2:TGID_Z_EN: 0
; COMPUTE_PGM_RSRC2:TIDIG_COMP_CNT: 0
; COMPUTE_PGM_RSRC3_GFX90A:ACCUM_OFFSET: 13
; COMPUTE_PGM_RSRC3_GFX90A:TG_SPLIT: 0
	.text
	.p2alignl 6, 3212836864
	.fill 256, 4, 3212836864
	.type	.str,@object                    ; @.str
	.section	.rodata.str1.1,"aMS",@progbits,1
.str:
	.asciz	"invalid Poisson rate, expected rate to be non-negative"
	.size	.str, 55

	.type	_ZZN12_GLOBAL__N_120stirling_approx_tailIdEET_S1_E11kTailValues.const,@object ; @_ZZN12_GLOBAL__N_120stirling_approx_tailIdEET_S1_E11kTailValues.const
	.section	.rodata,"a",@progbits
	.p2align	4, 0x0
_ZZN12_GLOBAL__N_120stirling_approx_tailIdEET_S1_E11kTailValues.const:
	.quad	0x3fb4c071bcda0a57              ; double 0.081061466795327206
	.quad	0x3fa52a9b923ea63b              ; double 0.0413406959554092
	;; [unrolled: 1-line block ×10, first 2 shown]
	.size	_ZZN12_GLOBAL__N_120stirling_approx_tailIdEET_S1_E11kTailValues.const, 80

	.type	_ZZN12_GLOBAL__N_120stirling_approx_tailIfEET_S1_E11kTailValues.const,@object ; @_ZZN12_GLOBAL__N_120stirling_approx_tailIfEET_S1_E11kTailValues.const
	.p2align	4, 0x0
_ZZN12_GLOBAL__N_120stirling_approx_tailIfEET_S1_E11kTailValues.const:
	.long	0x3da6038e                      ; float 0.0810614675
	.long	0x3d2954dd                      ; float 0.0413406976
	;; [unrolled: 1-line block ×10, first 2 shown]
	.size	_ZZN12_GLOBAL__N_120stirling_approx_tailIfEET_S1_E11kTailValues.const, 40

	.type	__hip_cuid_3bb338ff46f7c0a1,@object ; @__hip_cuid_3bb338ff46f7c0a1
	.section	.bss,"aw",@nobits
	.globl	__hip_cuid_3bb338ff46f7c0a1
__hip_cuid_3bb338ff46f7c0a1:
	.byte	0                               ; 0x0
	.size	__hip_cuid_3bb338ff46f7c0a1, 1

	.ident	"AMD clang version 19.0.0git (https://github.com/RadeonOpenCompute/llvm-project roc-6.4.0 25133 c7fe45cf4b819c5991fe208aaa96edf142730f1d)"
	.section	".note.GNU-stack","",@progbits
	.addrsig
	.addrsig_sym __hip_cuid_3bb338ff46f7c0a1
	.amdgpu_metadata
---
amdhsa.kernels:
  - .agpr_count:     0
    .args:
      - .offset:         0
        .size:           4
        .value_kind:     by_value
      - .offset:         4
        .size:           1
        .value_kind:     by_value
      - .offset:         8
        .size:           24
        .value_kind:     by_value
    .group_segment_fixed_size: 0
    .kernarg_segment_align: 8
    .kernarg_segment_size: 32
    .language:       OpenCL C
    .language_version:
      - 2
      - 0
    .max_flat_workgroup_size: 256
    .name:           _ZN2at6native29vectorized_elementwise_kernelILi16EZZZNS0_23launch_dirichlet_kernelERNS_18TensorIteratorBaseEENKUlvE_clEvENKUlvE_clEvEUlddE_St5arrayIPcLm3EEEEviT0_T1_
    .private_segment_fixed_size: 0
    .sgpr_count:     26
    .sgpr_spill_count: 0
    .symbol:         _ZN2at6native29vectorized_elementwise_kernelILi16EZZZNS0_23launch_dirichlet_kernelERNS_18TensorIteratorBaseEENKUlvE_clEvENKUlvE_clEvEUlddE_St5arrayIPcLm3EEEEviT0_T1_.kd
    .uniform_work_group_size: 1
    .uses_dynamic_stack: false
    .vgpr_count:     52
    .vgpr_spill_count: 0
    .wavefront_size: 64
  - .agpr_count:     0
    .args:
      - .offset:         0
        .size:           4
        .value_kind:     by_value
      - .offset:         4
        .size:           1
        .value_kind:     by_value
      - .offset:         8
        .size:           24
        .value_kind:     by_value
    .group_segment_fixed_size: 0
    .kernarg_segment_align: 8
    .kernarg_segment_size: 32
    .language:       OpenCL C
    .language_version:
      - 2
      - 0
    .max_flat_workgroup_size: 256
    .name:           _ZN2at6native29vectorized_elementwise_kernelILi8EZZZNS0_23launch_dirichlet_kernelERNS_18TensorIteratorBaseEENKUlvE_clEvENKUlvE_clEvEUlddE_St5arrayIPcLm3EEEEviT0_T1_
    .private_segment_fixed_size: 0
    .sgpr_count:     26
    .sgpr_spill_count: 0
    .symbol:         _ZN2at6native29vectorized_elementwise_kernelILi8EZZZNS0_23launch_dirichlet_kernelERNS_18TensorIteratorBaseEENKUlvE_clEvENKUlvE_clEvEUlddE_St5arrayIPcLm3EEEEviT0_T1_.kd
    .uniform_work_group_size: 1
    .uses_dynamic_stack: false
    .vgpr_count:     52
    .vgpr_spill_count: 0
    .wavefront_size: 64
  - .agpr_count:     0
    .args:
      - .offset:         0
        .size:           4
        .value_kind:     by_value
      - .offset:         4
        .size:           1
        .value_kind:     by_value
      - .offset:         8
        .size:           24
        .value_kind:     by_value
    .group_segment_fixed_size: 0
    .kernarg_segment_align: 8
    .kernarg_segment_size: 32
    .language:       OpenCL C
    .language_version:
      - 2
      - 0
    .max_flat_workgroup_size: 256
    .name:           _ZN2at6native29vectorized_elementwise_kernelILi4EZZZNS0_23launch_dirichlet_kernelERNS_18TensorIteratorBaseEENKUlvE_clEvENKUlvE_clEvEUlddE_St5arrayIPcLm3EEEEviT0_T1_
    .private_segment_fixed_size: 0
    .sgpr_count:     26
    .sgpr_spill_count: 0
    .symbol:         _ZN2at6native29vectorized_elementwise_kernelILi4EZZZNS0_23launch_dirichlet_kernelERNS_18TensorIteratorBaseEENKUlvE_clEvENKUlvE_clEvEUlddE_St5arrayIPcLm3EEEEviT0_T1_.kd
    .uniform_work_group_size: 1
    .uses_dynamic_stack: false
    .vgpr_count:     52
    .vgpr_spill_count: 0
    .wavefront_size: 64
  - .agpr_count:     0
    .args:
      - .offset:         0
        .size:           4
        .value_kind:     by_value
      - .offset:         4
        .size:           1
        .value_kind:     by_value
      - .offset:         8
        .size:           24
        .value_kind:     by_value
    .group_segment_fixed_size: 0
    .kernarg_segment_align: 8
    .kernarg_segment_size: 32
    .language:       OpenCL C
    .language_version:
      - 2
      - 0
    .max_flat_workgroup_size: 256
    .name:           _ZN2at6native29vectorized_elementwise_kernelILi2EZZZNS0_23launch_dirichlet_kernelERNS_18TensorIteratorBaseEENKUlvE_clEvENKUlvE_clEvEUlddE_St5arrayIPcLm3EEEEviT0_T1_
    .private_segment_fixed_size: 0
    .sgpr_count:     25
    .sgpr_spill_count: 0
    .symbol:         _ZN2at6native29vectorized_elementwise_kernelILi2EZZZNS0_23launch_dirichlet_kernelERNS_18TensorIteratorBaseEENKUlvE_clEvENKUlvE_clEvEUlddE_St5arrayIPcLm3EEEEviT0_T1_.kd
    .uniform_work_group_size: 1
    .uses_dynamic_stack: false
    .vgpr_count:     52
    .vgpr_spill_count: 0
    .wavefront_size: 64
  - .agpr_count:     0
    .args:
      - .offset:         0
        .size:           4
        .value_kind:     by_value
      - .offset:         4
        .size:           1
        .value_kind:     by_value
      - .offset:         8
        .size:           24
        .value_kind:     by_value
      - .offset:         32
        .size:           1
        .value_kind:     by_value
      - .offset:         33
        .size:           1
        .value_kind:     by_value
      - .offset:         34
        .size:           1
        .value_kind:     by_value
      - .offset:         35
        .size:           1
        .value_kind:     by_value
    .group_segment_fixed_size: 0
    .kernarg_segment_align: 8
    .kernarg_segment_size: 36
    .language:       OpenCL C
    .language_version:
      - 2
      - 0
    .max_flat_workgroup_size: 256
    .name:           _ZN2at6native27unrolled_elementwise_kernelIZZZNS0_23launch_dirichlet_kernelERNS_18TensorIteratorBaseEENKUlvE_clEvENKUlvE_clEvEUlddE_St5arrayIPcLm3EELi4E23TrivialOffsetCalculatorILi2EjESA_ILi1EjENS0_6memory15LoadWithoutCastENSD_16StoreWithoutCastEEEviT_T0_T2_T3_T4_T5_
    .private_segment_fixed_size: 0
    .sgpr_count:     16
    .sgpr_spill_count: 0
    .symbol:         _ZN2at6native27unrolled_elementwise_kernelIZZZNS0_23launch_dirichlet_kernelERNS_18TensorIteratorBaseEENKUlvE_clEvENKUlvE_clEvEUlddE_St5arrayIPcLm3EELi4E23TrivialOffsetCalculatorILi2EjESA_ILi1EjENS0_6memory15LoadWithoutCastENSD_16StoreWithoutCastEEEviT_T0_T2_T3_T4_T5_.kd
    .uniform_work_group_size: 1
    .uses_dynamic_stack: false
    .vgpr_count:     30
    .vgpr_spill_count: 0
    .wavefront_size: 64
  - .agpr_count:     0
    .args:
      - .offset:         0
        .size:           4
        .value_kind:     by_value
      - .offset:         8
        .size:           424
        .value_kind:     by_value
    .group_segment_fixed_size: 0
    .kernarg_segment_align: 8
    .kernarg_segment_size: 432
    .language:       OpenCL C
    .language_version:
      - 2
      - 0
    .max_flat_workgroup_size: 128
    .name:           _ZN2at6native32elementwise_kernel_manual_unrollILi128ELi4EZNS0_22gpu_kernel_impl_nocastIZZZNS0_23launch_dirichlet_kernelERNS_18TensorIteratorBaseEENKUlvE_clEvENKUlvE_clEvEUlddE_EEvS4_RKT_EUlibE_EEviT1_
    .private_segment_fixed_size: 0
    .sgpr_count:     56
    .sgpr_spill_count: 0
    .symbol:         _ZN2at6native32elementwise_kernel_manual_unrollILi128ELi4EZNS0_22gpu_kernel_impl_nocastIZZZNS0_23launch_dirichlet_kernelERNS_18TensorIteratorBaseEENKUlvE_clEvENKUlvE_clEvEUlddE_EEvS4_RKT_EUlibE_EEviT1_.kd
    .uniform_work_group_size: 1
    .uses_dynamic_stack: false
    .vgpr_count:     56
    .vgpr_spill_count: 0
    .wavefront_size: 64
  - .agpr_count:     0
    .args:
      - .offset:         0
        .size:           4
        .value_kind:     by_value
      - .offset:         8
        .size:           40
        .value_kind:     by_value
    .group_segment_fixed_size: 0
    .kernarg_segment_align: 8
    .kernarg_segment_size: 48
    .language:       OpenCL C
    .language_version:
      - 2
      - 0
    .max_flat_workgroup_size: 128
    .name:           _ZN2at6native32elementwise_kernel_manual_unrollILi128ELi4EZNS0_15gpu_kernel_implIZZZNS0_23launch_dirichlet_kernelERNS_18TensorIteratorBaseEENKUlvE_clEvENKUlvE_clEvEUlddE_EEvS4_RKT_EUlibE_EEviT1_
    .private_segment_fixed_size: 0
    .sgpr_count:     58
    .sgpr_spill_count: 0
    .symbol:         _ZN2at6native32elementwise_kernel_manual_unrollILi128ELi4EZNS0_15gpu_kernel_implIZZZNS0_23launch_dirichlet_kernelERNS_18TensorIteratorBaseEENKUlvE_clEvENKUlvE_clEvEUlddE_EEvS4_RKT_EUlibE_EEviT1_.kd
    .uniform_work_group_size: 1
    .uses_dynamic_stack: false
    .vgpr_count:     26
    .vgpr_spill_count: 0
    .wavefront_size: 64
  - .agpr_count:     0
    .args:
      - .offset:         0
        .size:           4
        .value_kind:     by_value
      - .offset:         8
        .size:           424
        .value_kind:     by_value
    .group_segment_fixed_size: 0
    .kernarg_segment_align: 8
    .kernarg_segment_size: 432
    .language:       OpenCL C
    .language_version:
      - 2
      - 0
    .max_flat_workgroup_size: 128
    .name:           _ZN2at6native32elementwise_kernel_manual_unrollILi128ELi4EZNS0_15gpu_kernel_implIZZZNS0_23launch_dirichlet_kernelERNS_18TensorIteratorBaseEENKUlvE_clEvENKUlvE_clEvEUlddE_EEvS4_RKT_EUlibE0_EEviT1_
    .private_segment_fixed_size: 0
    .sgpr_count:     82
    .sgpr_spill_count: 0
    .symbol:         _ZN2at6native32elementwise_kernel_manual_unrollILi128ELi4EZNS0_15gpu_kernel_implIZZZNS0_23launch_dirichlet_kernelERNS_18TensorIteratorBaseEENKUlvE_clEvENKUlvE_clEvEUlddE_EEvS4_RKT_EUlibE0_EEviT1_.kd
    .uniform_work_group_size: 1
    .uses_dynamic_stack: false
    .vgpr_count:     32
    .vgpr_spill_count: 0
    .wavefront_size: 64
  - .agpr_count:     0
    .args:
      - .offset:         0
        .size:           4
        .value_kind:     by_value
      - .offset:         4
        .size:           1
        .value_kind:     by_value
      - .offset:         8
        .size:           24
        .value_kind:     by_value
    .group_segment_fixed_size: 0
    .kernarg_segment_align: 8
    .kernarg_segment_size: 32
    .language:       OpenCL C
    .language_version:
      - 2
      - 0
    .max_flat_workgroup_size: 256
    .name:           _ZN2at6native29vectorized_elementwise_kernelILi16EZZZNS0_23launch_dirichlet_kernelERNS_18TensorIteratorBaseEENKUlvE_clEvENKUlvE0_clEvEUlffE_St5arrayIPcLm3EEEEviT0_T1_
    .private_segment_fixed_size: 0
    .sgpr_count:     22
    .sgpr_spill_count: 0
    .symbol:         _ZN2at6native29vectorized_elementwise_kernelILi16EZZZNS0_23launch_dirichlet_kernelERNS_18TensorIteratorBaseEENKUlvE_clEvENKUlvE0_clEvEUlffE_St5arrayIPcLm3EEEEviT0_T1_.kd
    .uniform_work_group_size: 1
    .uses_dynamic_stack: false
    .vgpr_count:     32
    .vgpr_spill_count: 0
    .wavefront_size: 64
  - .agpr_count:     0
    .args:
      - .offset:         0
        .size:           4
        .value_kind:     by_value
      - .offset:         4
        .size:           1
        .value_kind:     by_value
      - .offset:         8
        .size:           24
        .value_kind:     by_value
    .group_segment_fixed_size: 0
    .kernarg_segment_align: 8
    .kernarg_segment_size: 32
    .language:       OpenCL C
    .language_version:
      - 2
      - 0
    .max_flat_workgroup_size: 256
    .name:           _ZN2at6native29vectorized_elementwise_kernelILi8EZZZNS0_23launch_dirichlet_kernelERNS_18TensorIteratorBaseEENKUlvE_clEvENKUlvE0_clEvEUlffE_St5arrayIPcLm3EEEEviT0_T1_
    .private_segment_fixed_size: 0
    .sgpr_count:     22
    .sgpr_spill_count: 0
    .symbol:         _ZN2at6native29vectorized_elementwise_kernelILi8EZZZNS0_23launch_dirichlet_kernelERNS_18TensorIteratorBaseEENKUlvE_clEvENKUlvE0_clEvEUlffE_St5arrayIPcLm3EEEEviT0_T1_.kd
    .uniform_work_group_size: 1
    .uses_dynamic_stack: false
    .vgpr_count:     32
    .vgpr_spill_count: 0
    .wavefront_size: 64
  - .agpr_count:     0
    .args:
      - .offset:         0
        .size:           4
        .value_kind:     by_value
      - .offset:         4
        .size:           1
        .value_kind:     by_value
      - .offset:         8
        .size:           24
        .value_kind:     by_value
    .group_segment_fixed_size: 0
    .kernarg_segment_align: 8
    .kernarg_segment_size: 32
    .language:       OpenCL C
    .language_version:
      - 2
      - 0
    .max_flat_workgroup_size: 256
    .name:           _ZN2at6native29vectorized_elementwise_kernelILi4EZZZNS0_23launch_dirichlet_kernelERNS_18TensorIteratorBaseEENKUlvE_clEvENKUlvE0_clEvEUlffE_St5arrayIPcLm3EEEEviT0_T1_
    .private_segment_fixed_size: 0
    .sgpr_count:     22
    .sgpr_spill_count: 0
    .symbol:         _ZN2at6native29vectorized_elementwise_kernelILi4EZZZNS0_23launch_dirichlet_kernelERNS_18TensorIteratorBaseEENKUlvE_clEvENKUlvE0_clEvEUlffE_St5arrayIPcLm3EEEEviT0_T1_.kd
    .uniform_work_group_size: 1
    .uses_dynamic_stack: false
    .vgpr_count:     32
    .vgpr_spill_count: 0
    .wavefront_size: 64
  - .agpr_count:     0
    .args:
      - .offset:         0
        .size:           4
        .value_kind:     by_value
      - .offset:         4
        .size:           1
        .value_kind:     by_value
      - .offset:         8
        .size:           24
        .value_kind:     by_value
    .group_segment_fixed_size: 0
    .kernarg_segment_align: 8
    .kernarg_segment_size: 32
    .language:       OpenCL C
    .language_version:
      - 2
      - 0
    .max_flat_workgroup_size: 256
    .name:           _ZN2at6native29vectorized_elementwise_kernelILi2EZZZNS0_23launch_dirichlet_kernelERNS_18TensorIteratorBaseEENKUlvE_clEvENKUlvE0_clEvEUlffE_St5arrayIPcLm3EEEEviT0_T1_
    .private_segment_fixed_size: 0
    .sgpr_count:     22
    .sgpr_spill_count: 0
    .symbol:         _ZN2at6native29vectorized_elementwise_kernelILi2EZZZNS0_23launch_dirichlet_kernelERNS_18TensorIteratorBaseEENKUlvE_clEvENKUlvE0_clEvEUlffE_St5arrayIPcLm3EEEEviT0_T1_.kd
    .uniform_work_group_size: 1
    .uses_dynamic_stack: false
    .vgpr_count:     32
    .vgpr_spill_count: 0
    .wavefront_size: 64
  - .agpr_count:     0
    .args:
      - .offset:         0
        .size:           4
        .value_kind:     by_value
      - .offset:         4
        .size:           1
        .value_kind:     by_value
      - .offset:         8
        .size:           24
        .value_kind:     by_value
      - .offset:         32
        .size:           1
        .value_kind:     by_value
      - .offset:         33
        .size:           1
        .value_kind:     by_value
      - .offset:         34
        .size:           1
        .value_kind:     by_value
      - .offset:         35
        .size:           1
        .value_kind:     by_value
    .group_segment_fixed_size: 0
    .kernarg_segment_align: 8
    .kernarg_segment_size: 36
    .language:       OpenCL C
    .language_version:
      - 2
      - 0
    .max_flat_workgroup_size: 256
    .name:           _ZN2at6native27unrolled_elementwise_kernelIZZZNS0_23launch_dirichlet_kernelERNS_18TensorIteratorBaseEENKUlvE_clEvENKUlvE0_clEvEUlffE_St5arrayIPcLm3EELi4E23TrivialOffsetCalculatorILi2EjESA_ILi1EjENS0_6memory15LoadWithoutCastENSD_16StoreWithoutCastEEEviT_T0_T2_T3_T4_T5_
    .private_segment_fixed_size: 0
    .sgpr_count:     16
    .sgpr_spill_count: 0
    .symbol:         _ZN2at6native27unrolled_elementwise_kernelIZZZNS0_23launch_dirichlet_kernelERNS_18TensorIteratorBaseEENKUlvE_clEvENKUlvE0_clEvEUlffE_St5arrayIPcLm3EELi4E23TrivialOffsetCalculatorILi2EjESA_ILi1EjENS0_6memory15LoadWithoutCastENSD_16StoreWithoutCastEEEviT_T0_T2_T3_T4_T5_.kd
    .uniform_work_group_size: 1
    .uses_dynamic_stack: false
    .vgpr_count:     17
    .vgpr_spill_count: 0
    .wavefront_size: 64
  - .agpr_count:     0
    .args:
      - .offset:         0
        .size:           4
        .value_kind:     by_value
      - .offset:         8
        .size:           424
        .value_kind:     by_value
    .group_segment_fixed_size: 0
    .kernarg_segment_align: 8
    .kernarg_segment_size: 432
    .language:       OpenCL C
    .language_version:
      - 2
      - 0
    .max_flat_workgroup_size: 128
    .name:           _ZN2at6native32elementwise_kernel_manual_unrollILi128ELi4EZNS0_22gpu_kernel_impl_nocastIZZZNS0_23launch_dirichlet_kernelERNS_18TensorIteratorBaseEENKUlvE_clEvENKUlvE0_clEvEUlffE_EEvS4_RKT_EUlibE_EEviT1_
    .private_segment_fixed_size: 0
    .sgpr_count:     56
    .sgpr_spill_count: 0
    .symbol:         _ZN2at6native32elementwise_kernel_manual_unrollILi128ELi4EZNS0_22gpu_kernel_impl_nocastIZZZNS0_23launch_dirichlet_kernelERNS_18TensorIteratorBaseEENKUlvE_clEvENKUlvE0_clEvEUlffE_EEvS4_RKT_EUlibE_EEviT1_.kd
    .uniform_work_group_size: 1
    .uses_dynamic_stack: false
    .vgpr_count:     34
    .vgpr_spill_count: 0
    .wavefront_size: 64
  - .agpr_count:     0
    .args:
      - .offset:         0
        .size:           4
        .value_kind:     by_value
      - .offset:         4
        .size:           1
        .value_kind:     by_value
      - .offset:         8
        .size:           24
        .value_kind:     by_value
      - .offset:         32
        .size:           1
        .value_kind:     by_value
      - .offset:         33
        .size:           1
        .value_kind:     by_value
      - .offset:         36
        .size:           12
        .value_kind:     by_value
      - .offset:         48
        .size:           8
        .value_kind:     by_value
      - .offset:         56
        .size:           4
        .value_kind:     hidden_block_count_x
      - .offset:         60
        .size:           4
        .value_kind:     hidden_block_count_y
      - .offset:         64
        .size:           4
        .value_kind:     hidden_block_count_z
      - .offset:         68
        .size:           2
        .value_kind:     hidden_group_size_x
      - .offset:         70
        .size:           2
        .value_kind:     hidden_group_size_y
      - .offset:         72
        .size:           2
        .value_kind:     hidden_group_size_z
      - .offset:         74
        .size:           2
        .value_kind:     hidden_remainder_x
      - .offset:         76
        .size:           2
        .value_kind:     hidden_remainder_y
      - .offset:         78
        .size:           2
        .value_kind:     hidden_remainder_z
      - .offset:         96
        .size:           8
        .value_kind:     hidden_global_offset_x
      - .offset:         104
        .size:           8
        .value_kind:     hidden_global_offset_y
      - .offset:         112
        .size:           8
        .value_kind:     hidden_global_offset_z
      - .offset:         120
        .size:           2
        .value_kind:     hidden_grid_dims
    .group_segment_fixed_size: 0
    .kernarg_segment_align: 8
    .kernarg_segment_size: 312
    .language:       OpenCL C
    .language_version:
      - 2
      - 0
    .max_flat_workgroup_size: 512
    .name:           _ZN2at6native39vectorized_templated_elementwise_kernelILi8EZZZNS0_23launch_dirichlet_kernelERNS_18TensorIteratorBaseEENKUlvE_clEvENKUlvE0_clEvEUlffE_St5arrayIPcLm3EE23TrivialOffsetCalculatorILi2EjESA_ILi1EjENS0_6memory12LoadWithCastILi2EEENSD_13StoreWithCastILi1EEEfJfN3c108BFloat16EEEEviT0_T1_T2_T3_T4_T5_
    .private_segment_fixed_size: 288
    .sgpr_count:     104
    .sgpr_spill_count: 0
    .symbol:         _ZN2at6native39vectorized_templated_elementwise_kernelILi8EZZZNS0_23launch_dirichlet_kernelERNS_18TensorIteratorBaseEENKUlvE_clEvENKUlvE0_clEvEUlffE_St5arrayIPcLm3EE23TrivialOffsetCalculatorILi2EjESA_ILi1EjENS0_6memory12LoadWithCastILi2EEENSD_13StoreWithCastILi1EEEfJfN3c108BFloat16EEEEviT0_T1_T2_T3_T4_T5_.kd
    .uniform_work_group_size: 1
    .uses_dynamic_stack: false
    .vgpr_count:     118
    .vgpr_spill_count: 0
    .wavefront_size: 64
  - .agpr_count:     0
    .args:
      - .offset:         0
        .size:           4
        .value_kind:     by_value
      - .offset:         4
        .size:           1
        .value_kind:     by_value
      - .offset:         8
        .size:           24
        .value_kind:     by_value
      - .offset:         32
        .size:           1
        .value_kind:     by_value
      - .offset:         33
        .size:           1
        .value_kind:     by_value
      - .offset:         36
        .size:           12
        .value_kind:     by_value
      - .offset:         48
        .size:           8
        .value_kind:     by_value
      - .offset:         56
        .size:           4
        .value_kind:     hidden_block_count_x
      - .offset:         60
        .size:           4
        .value_kind:     hidden_block_count_y
      - .offset:         64
        .size:           4
        .value_kind:     hidden_block_count_z
      - .offset:         68
        .size:           2
        .value_kind:     hidden_group_size_x
      - .offset:         70
        .size:           2
        .value_kind:     hidden_group_size_y
      - .offset:         72
        .size:           2
        .value_kind:     hidden_group_size_z
      - .offset:         74
        .size:           2
        .value_kind:     hidden_remainder_x
      - .offset:         76
        .size:           2
        .value_kind:     hidden_remainder_y
      - .offset:         78
        .size:           2
        .value_kind:     hidden_remainder_z
      - .offset:         96
        .size:           8
        .value_kind:     hidden_global_offset_x
      - .offset:         104
        .size:           8
        .value_kind:     hidden_global_offset_y
      - .offset:         112
        .size:           8
        .value_kind:     hidden_global_offset_z
      - .offset:         120
        .size:           2
        .value_kind:     hidden_grid_dims
    .group_segment_fixed_size: 0
    .kernarg_segment_align: 8
    .kernarg_segment_size: 312
    .language:       OpenCL C
    .language_version:
      - 2
      - 0
    .max_flat_workgroup_size: 512
    .name:           _ZN2at6native39vectorized_templated_elementwise_kernelILi4EZZZNS0_23launch_dirichlet_kernelERNS_18TensorIteratorBaseEENKUlvE_clEvENKUlvE0_clEvEUlffE_St5arrayIPcLm3EE23TrivialOffsetCalculatorILi2EjESA_ILi1EjENS0_6memory12LoadWithCastILi2EEENSD_13StoreWithCastILi1EEEfJfN3c108BFloat16EEEEviT0_T1_T2_T3_T4_T5_
    .private_segment_fixed_size: 288
    .sgpr_count:     104
    .sgpr_spill_count: 0
    .symbol:         _ZN2at6native39vectorized_templated_elementwise_kernelILi4EZZZNS0_23launch_dirichlet_kernelERNS_18TensorIteratorBaseEENKUlvE_clEvENKUlvE0_clEvEUlffE_St5arrayIPcLm3EE23TrivialOffsetCalculatorILi2EjESA_ILi1EjENS0_6memory12LoadWithCastILi2EEENSD_13StoreWithCastILi1EEEfJfN3c108BFloat16EEEEviT0_T1_T2_T3_T4_T5_.kd
    .uniform_work_group_size: 1
    .uses_dynamic_stack: false
    .vgpr_count:     118
    .vgpr_spill_count: 0
    .wavefront_size: 64
  - .agpr_count:     0
    .args:
      - .offset:         0
        .size:           4
        .value_kind:     by_value
      - .offset:         4
        .size:           1
        .value_kind:     by_value
      - .offset:         8
        .size:           24
        .value_kind:     by_value
      - .offset:         32
        .size:           1
        .value_kind:     by_value
      - .offset:         33
        .size:           1
        .value_kind:     by_value
      - .offset:         36
        .size:           12
        .value_kind:     by_value
      - .offset:         48
        .size:           8
        .value_kind:     by_value
      - .offset:         56
        .size:           4
        .value_kind:     hidden_block_count_x
      - .offset:         60
        .size:           4
        .value_kind:     hidden_block_count_y
      - .offset:         64
        .size:           4
        .value_kind:     hidden_block_count_z
      - .offset:         68
        .size:           2
        .value_kind:     hidden_group_size_x
      - .offset:         70
        .size:           2
        .value_kind:     hidden_group_size_y
      - .offset:         72
        .size:           2
        .value_kind:     hidden_group_size_z
      - .offset:         74
        .size:           2
        .value_kind:     hidden_remainder_x
      - .offset:         76
        .size:           2
        .value_kind:     hidden_remainder_y
      - .offset:         78
        .size:           2
        .value_kind:     hidden_remainder_z
      - .offset:         96
        .size:           8
        .value_kind:     hidden_global_offset_x
      - .offset:         104
        .size:           8
        .value_kind:     hidden_global_offset_y
      - .offset:         112
        .size:           8
        .value_kind:     hidden_global_offset_z
      - .offset:         120
        .size:           2
        .value_kind:     hidden_grid_dims
    .group_segment_fixed_size: 0
    .kernarg_segment_align: 8
    .kernarg_segment_size: 312
    .language:       OpenCL C
    .language_version:
      - 2
      - 0
    .max_flat_workgroup_size: 512
    .name:           _ZN2at6native39vectorized_templated_elementwise_kernelILi2EZZZNS0_23launch_dirichlet_kernelERNS_18TensorIteratorBaseEENKUlvE_clEvENKUlvE0_clEvEUlffE_St5arrayIPcLm3EE23TrivialOffsetCalculatorILi2EjESA_ILi1EjENS0_6memory12LoadWithCastILi2EEENSD_13StoreWithCastILi1EEEfJfN3c108BFloat16EEEEviT0_T1_T2_T3_T4_T5_
    .private_segment_fixed_size: 288
    .sgpr_count:     104
    .sgpr_spill_count: 0
    .symbol:         _ZN2at6native39vectorized_templated_elementwise_kernelILi2EZZZNS0_23launch_dirichlet_kernelERNS_18TensorIteratorBaseEENKUlvE_clEvENKUlvE0_clEvEUlffE_St5arrayIPcLm3EE23TrivialOffsetCalculatorILi2EjESA_ILi1EjENS0_6memory12LoadWithCastILi2EEENSD_13StoreWithCastILi1EEEfJfN3c108BFloat16EEEEviT0_T1_T2_T3_T4_T5_.kd
    .uniform_work_group_size: 1
    .uses_dynamic_stack: false
    .vgpr_count:     118
    .vgpr_spill_count: 0
    .wavefront_size: 64
  - .agpr_count:     0
    .args:
      - .offset:         0
        .size:           4
        .value_kind:     by_value
      - .offset:         4
        .size:           1
        .value_kind:     by_value
      - .offset:         8
        .size:           24
        .value_kind:     by_value
      - .offset:         32
        .size:           1
        .value_kind:     by_value
      - .offset:         33
        .size:           1
        .value_kind:     by_value
      - .offset:         36
        .size:           12
        .value_kind:     by_value
      - .offset:         48
        .size:           8
        .value_kind:     by_value
      - .offset:         56
        .size:           4
        .value_kind:     hidden_block_count_x
      - .offset:         60
        .size:           4
        .value_kind:     hidden_block_count_y
      - .offset:         64
        .size:           4
        .value_kind:     hidden_block_count_z
      - .offset:         68
        .size:           2
        .value_kind:     hidden_group_size_x
      - .offset:         70
        .size:           2
        .value_kind:     hidden_group_size_y
      - .offset:         72
        .size:           2
        .value_kind:     hidden_group_size_z
      - .offset:         74
        .size:           2
        .value_kind:     hidden_remainder_x
      - .offset:         76
        .size:           2
        .value_kind:     hidden_remainder_y
      - .offset:         78
        .size:           2
        .value_kind:     hidden_remainder_z
      - .offset:         96
        .size:           8
        .value_kind:     hidden_global_offset_x
      - .offset:         104
        .size:           8
        .value_kind:     hidden_global_offset_y
      - .offset:         112
        .size:           8
        .value_kind:     hidden_global_offset_z
      - .offset:         120
        .size:           2
        .value_kind:     hidden_grid_dims
    .group_segment_fixed_size: 0
    .kernarg_segment_align: 8
    .kernarg_segment_size: 312
    .language:       OpenCL C
    .language_version:
      - 2
      - 0
    .max_flat_workgroup_size: 512
    .name:           _ZN2at6native39vectorized_templated_elementwise_kernelILi8EZZZNS0_23launch_dirichlet_kernelERNS_18TensorIteratorBaseEENKUlvE_clEvENKUlvE0_clEvEUlffE_St5arrayIPcLm3EE23TrivialOffsetCalculatorILi2EjESA_ILi1EjENS0_6memory12LoadWithCastILi2EEENSD_13StoreWithCastILi1EEEfJN3c108BFloat16EfEEEviT0_T1_T2_T3_T4_T5_
    .private_segment_fixed_size: 288
    .sgpr_count:     104
    .sgpr_spill_count: 0
    .symbol:         _ZN2at6native39vectorized_templated_elementwise_kernelILi8EZZZNS0_23launch_dirichlet_kernelERNS_18TensorIteratorBaseEENKUlvE_clEvENKUlvE0_clEvEUlffE_St5arrayIPcLm3EE23TrivialOffsetCalculatorILi2EjESA_ILi1EjENS0_6memory12LoadWithCastILi2EEENSD_13StoreWithCastILi1EEEfJN3c108BFloat16EfEEEviT0_T1_T2_T3_T4_T5_.kd
    .uniform_work_group_size: 1
    .uses_dynamic_stack: false
    .vgpr_count:     118
    .vgpr_spill_count: 0
    .wavefront_size: 64
  - .agpr_count:     0
    .args:
      - .offset:         0
        .size:           4
        .value_kind:     by_value
      - .offset:         4
        .size:           1
        .value_kind:     by_value
      - .offset:         8
        .size:           24
        .value_kind:     by_value
      - .offset:         32
        .size:           1
        .value_kind:     by_value
      - .offset:         33
        .size:           1
        .value_kind:     by_value
      - .offset:         36
        .size:           12
        .value_kind:     by_value
      - .offset:         48
        .size:           8
        .value_kind:     by_value
      - .offset:         56
        .size:           4
        .value_kind:     hidden_block_count_x
      - .offset:         60
        .size:           4
        .value_kind:     hidden_block_count_y
      - .offset:         64
        .size:           4
        .value_kind:     hidden_block_count_z
      - .offset:         68
        .size:           2
        .value_kind:     hidden_group_size_x
      - .offset:         70
        .size:           2
        .value_kind:     hidden_group_size_y
      - .offset:         72
        .size:           2
        .value_kind:     hidden_group_size_z
      - .offset:         74
        .size:           2
        .value_kind:     hidden_remainder_x
      - .offset:         76
        .size:           2
        .value_kind:     hidden_remainder_y
      - .offset:         78
        .size:           2
        .value_kind:     hidden_remainder_z
      - .offset:         96
        .size:           8
        .value_kind:     hidden_global_offset_x
      - .offset:         104
        .size:           8
        .value_kind:     hidden_global_offset_y
      - .offset:         112
        .size:           8
        .value_kind:     hidden_global_offset_z
      - .offset:         120
        .size:           2
        .value_kind:     hidden_grid_dims
    .group_segment_fixed_size: 0
    .kernarg_segment_align: 8
    .kernarg_segment_size: 312
    .language:       OpenCL C
    .language_version:
      - 2
      - 0
    .max_flat_workgroup_size: 512
    .name:           _ZN2at6native39vectorized_templated_elementwise_kernelILi4EZZZNS0_23launch_dirichlet_kernelERNS_18TensorIteratorBaseEENKUlvE_clEvENKUlvE0_clEvEUlffE_St5arrayIPcLm3EE23TrivialOffsetCalculatorILi2EjESA_ILi1EjENS0_6memory12LoadWithCastILi2EEENSD_13StoreWithCastILi1EEEfJN3c108BFloat16EfEEEviT0_T1_T2_T3_T4_T5_
    .private_segment_fixed_size: 288
    .sgpr_count:     104
    .sgpr_spill_count: 0
    .symbol:         _ZN2at6native39vectorized_templated_elementwise_kernelILi4EZZZNS0_23launch_dirichlet_kernelERNS_18TensorIteratorBaseEENKUlvE_clEvENKUlvE0_clEvEUlffE_St5arrayIPcLm3EE23TrivialOffsetCalculatorILi2EjESA_ILi1EjENS0_6memory12LoadWithCastILi2EEENSD_13StoreWithCastILi1EEEfJN3c108BFloat16EfEEEviT0_T1_T2_T3_T4_T5_.kd
    .uniform_work_group_size: 1
    .uses_dynamic_stack: false
    .vgpr_count:     118
    .vgpr_spill_count: 0
    .wavefront_size: 64
  - .agpr_count:     0
    .args:
      - .offset:         0
        .size:           4
        .value_kind:     by_value
      - .offset:         4
        .size:           1
        .value_kind:     by_value
      - .offset:         8
        .size:           24
        .value_kind:     by_value
      - .offset:         32
        .size:           1
        .value_kind:     by_value
      - .offset:         33
        .size:           1
        .value_kind:     by_value
      - .offset:         36
        .size:           12
        .value_kind:     by_value
      - .offset:         48
        .size:           8
        .value_kind:     by_value
      - .offset:         56
        .size:           4
        .value_kind:     hidden_block_count_x
      - .offset:         60
        .size:           4
        .value_kind:     hidden_block_count_y
      - .offset:         64
        .size:           4
        .value_kind:     hidden_block_count_z
      - .offset:         68
        .size:           2
        .value_kind:     hidden_group_size_x
      - .offset:         70
        .size:           2
        .value_kind:     hidden_group_size_y
      - .offset:         72
        .size:           2
        .value_kind:     hidden_group_size_z
      - .offset:         74
        .size:           2
        .value_kind:     hidden_remainder_x
      - .offset:         76
        .size:           2
        .value_kind:     hidden_remainder_y
      - .offset:         78
        .size:           2
        .value_kind:     hidden_remainder_z
      - .offset:         96
        .size:           8
        .value_kind:     hidden_global_offset_x
      - .offset:         104
        .size:           8
        .value_kind:     hidden_global_offset_y
      - .offset:         112
        .size:           8
        .value_kind:     hidden_global_offset_z
      - .offset:         120
        .size:           2
        .value_kind:     hidden_grid_dims
    .group_segment_fixed_size: 0
    .kernarg_segment_align: 8
    .kernarg_segment_size: 312
    .language:       OpenCL C
    .language_version:
      - 2
      - 0
    .max_flat_workgroup_size: 512
    .name:           _ZN2at6native39vectorized_templated_elementwise_kernelILi2EZZZNS0_23launch_dirichlet_kernelERNS_18TensorIteratorBaseEENKUlvE_clEvENKUlvE0_clEvEUlffE_St5arrayIPcLm3EE23TrivialOffsetCalculatorILi2EjESA_ILi1EjENS0_6memory12LoadWithCastILi2EEENSD_13StoreWithCastILi1EEEfJN3c108BFloat16EfEEEviT0_T1_T2_T3_T4_T5_
    .private_segment_fixed_size: 288
    .sgpr_count:     104
    .sgpr_spill_count: 0
    .symbol:         _ZN2at6native39vectorized_templated_elementwise_kernelILi2EZZZNS0_23launch_dirichlet_kernelERNS_18TensorIteratorBaseEENKUlvE_clEvENKUlvE0_clEvEUlffE_St5arrayIPcLm3EE23TrivialOffsetCalculatorILi2EjESA_ILi1EjENS0_6memory12LoadWithCastILi2EEENSD_13StoreWithCastILi1EEEfJN3c108BFloat16EfEEEviT0_T1_T2_T3_T4_T5_.kd
    .uniform_work_group_size: 1
    .uses_dynamic_stack: false
    .vgpr_count:     118
    .vgpr_spill_count: 0
    .wavefront_size: 64
  - .agpr_count:     0
    .args:
      - .offset:         0
        .size:           4
        .value_kind:     by_value
      - .offset:         4
        .size:           1
        .value_kind:     by_value
      - .offset:         8
        .size:           24
        .value_kind:     by_value
      - .offset:         32
        .size:           1
        .value_kind:     by_value
      - .offset:         33
        .size:           1
        .value_kind:     by_value
      - .offset:         36
        .size:           12
        .value_kind:     by_value
      - .offset:         48
        .size:           8
        .value_kind:     by_value
      - .offset:         56
        .size:           4
        .value_kind:     hidden_block_count_x
      - .offset:         60
        .size:           4
        .value_kind:     hidden_block_count_y
      - .offset:         64
        .size:           4
        .value_kind:     hidden_block_count_z
      - .offset:         68
        .size:           2
        .value_kind:     hidden_group_size_x
      - .offset:         70
        .size:           2
        .value_kind:     hidden_group_size_y
      - .offset:         72
        .size:           2
        .value_kind:     hidden_group_size_z
      - .offset:         74
        .size:           2
        .value_kind:     hidden_remainder_x
      - .offset:         76
        .size:           2
        .value_kind:     hidden_remainder_y
      - .offset:         78
        .size:           2
        .value_kind:     hidden_remainder_z
      - .offset:         96
        .size:           8
        .value_kind:     hidden_global_offset_x
      - .offset:         104
        .size:           8
        .value_kind:     hidden_global_offset_y
      - .offset:         112
        .size:           8
        .value_kind:     hidden_global_offset_z
      - .offset:         120
        .size:           2
        .value_kind:     hidden_grid_dims
    .group_segment_fixed_size: 0
    .kernarg_segment_align: 8
    .kernarg_segment_size: 312
    .language:       OpenCL C
    .language_version:
      - 2
      - 0
    .max_flat_workgroup_size: 512
    .name:           _ZN2at6native39vectorized_templated_elementwise_kernelILi8EZZZNS0_23launch_dirichlet_kernelERNS_18TensorIteratorBaseEENKUlvE_clEvENKUlvE0_clEvEUlffE_St5arrayIPcLm3EE23TrivialOffsetCalculatorILi2EjESA_ILi1EjENS0_6memory12LoadWithCastILi2EEENSD_13StoreWithCastILi1EEEN3c108BFloat16EJSJ_fEEEviT0_T1_T2_T3_T4_T5_
    .private_segment_fixed_size: 288
    .sgpr_count:     104
    .sgpr_spill_count: 0
    .symbol:         _ZN2at6native39vectorized_templated_elementwise_kernelILi8EZZZNS0_23launch_dirichlet_kernelERNS_18TensorIteratorBaseEENKUlvE_clEvENKUlvE0_clEvEUlffE_St5arrayIPcLm3EE23TrivialOffsetCalculatorILi2EjESA_ILi1EjENS0_6memory12LoadWithCastILi2EEENSD_13StoreWithCastILi1EEEN3c108BFloat16EJSJ_fEEEviT0_T1_T2_T3_T4_T5_.kd
    .uniform_work_group_size: 1
    .uses_dynamic_stack: false
    .vgpr_count:     118
    .vgpr_spill_count: 0
    .wavefront_size: 64
  - .agpr_count:     0
    .args:
      - .offset:         0
        .size:           4
        .value_kind:     by_value
      - .offset:         4
        .size:           1
        .value_kind:     by_value
      - .offset:         8
        .size:           24
        .value_kind:     by_value
      - .offset:         32
        .size:           1
        .value_kind:     by_value
      - .offset:         33
        .size:           1
        .value_kind:     by_value
      - .offset:         36
        .size:           12
        .value_kind:     by_value
      - .offset:         48
        .size:           8
        .value_kind:     by_value
      - .offset:         56
        .size:           4
        .value_kind:     hidden_block_count_x
      - .offset:         60
        .size:           4
        .value_kind:     hidden_block_count_y
      - .offset:         64
        .size:           4
        .value_kind:     hidden_block_count_z
      - .offset:         68
        .size:           2
        .value_kind:     hidden_group_size_x
      - .offset:         70
        .size:           2
        .value_kind:     hidden_group_size_y
      - .offset:         72
        .size:           2
        .value_kind:     hidden_group_size_z
      - .offset:         74
        .size:           2
        .value_kind:     hidden_remainder_x
      - .offset:         76
        .size:           2
        .value_kind:     hidden_remainder_y
      - .offset:         78
        .size:           2
        .value_kind:     hidden_remainder_z
      - .offset:         96
        .size:           8
        .value_kind:     hidden_global_offset_x
      - .offset:         104
        .size:           8
        .value_kind:     hidden_global_offset_y
      - .offset:         112
        .size:           8
        .value_kind:     hidden_global_offset_z
      - .offset:         120
        .size:           2
        .value_kind:     hidden_grid_dims
    .group_segment_fixed_size: 0
    .kernarg_segment_align: 8
    .kernarg_segment_size: 312
    .language:       OpenCL C
    .language_version:
      - 2
      - 0
    .max_flat_workgroup_size: 512
    .name:           _ZN2at6native39vectorized_templated_elementwise_kernelILi4EZZZNS0_23launch_dirichlet_kernelERNS_18TensorIteratorBaseEENKUlvE_clEvENKUlvE0_clEvEUlffE_St5arrayIPcLm3EE23TrivialOffsetCalculatorILi2EjESA_ILi1EjENS0_6memory12LoadWithCastILi2EEENSD_13StoreWithCastILi1EEEN3c108BFloat16EJSJ_fEEEviT0_T1_T2_T3_T4_T5_
    .private_segment_fixed_size: 288
    .sgpr_count:     104
    .sgpr_spill_count: 0
    .symbol:         _ZN2at6native39vectorized_templated_elementwise_kernelILi4EZZZNS0_23launch_dirichlet_kernelERNS_18TensorIteratorBaseEENKUlvE_clEvENKUlvE0_clEvEUlffE_St5arrayIPcLm3EE23TrivialOffsetCalculatorILi2EjESA_ILi1EjENS0_6memory12LoadWithCastILi2EEENSD_13StoreWithCastILi1EEEN3c108BFloat16EJSJ_fEEEviT0_T1_T2_T3_T4_T5_.kd
    .uniform_work_group_size: 1
    .uses_dynamic_stack: false
    .vgpr_count:     118
    .vgpr_spill_count: 0
    .wavefront_size: 64
  - .agpr_count:     0
    .args:
      - .offset:         0
        .size:           4
        .value_kind:     by_value
      - .offset:         4
        .size:           1
        .value_kind:     by_value
      - .offset:         8
        .size:           24
        .value_kind:     by_value
      - .offset:         32
        .size:           1
        .value_kind:     by_value
      - .offset:         33
        .size:           1
        .value_kind:     by_value
      - .offset:         36
        .size:           12
        .value_kind:     by_value
      - .offset:         48
        .size:           8
        .value_kind:     by_value
      - .offset:         56
        .size:           4
        .value_kind:     hidden_block_count_x
      - .offset:         60
        .size:           4
        .value_kind:     hidden_block_count_y
      - .offset:         64
        .size:           4
        .value_kind:     hidden_block_count_z
      - .offset:         68
        .size:           2
        .value_kind:     hidden_group_size_x
      - .offset:         70
        .size:           2
        .value_kind:     hidden_group_size_y
      - .offset:         72
        .size:           2
        .value_kind:     hidden_group_size_z
      - .offset:         74
        .size:           2
        .value_kind:     hidden_remainder_x
      - .offset:         76
        .size:           2
        .value_kind:     hidden_remainder_y
      - .offset:         78
        .size:           2
        .value_kind:     hidden_remainder_z
      - .offset:         96
        .size:           8
        .value_kind:     hidden_global_offset_x
      - .offset:         104
        .size:           8
        .value_kind:     hidden_global_offset_y
      - .offset:         112
        .size:           8
        .value_kind:     hidden_global_offset_z
      - .offset:         120
        .size:           2
        .value_kind:     hidden_grid_dims
    .group_segment_fixed_size: 0
    .kernarg_segment_align: 8
    .kernarg_segment_size: 312
    .language:       OpenCL C
    .language_version:
      - 2
      - 0
    .max_flat_workgroup_size: 512
    .name:           _ZN2at6native39vectorized_templated_elementwise_kernelILi2EZZZNS0_23launch_dirichlet_kernelERNS_18TensorIteratorBaseEENKUlvE_clEvENKUlvE0_clEvEUlffE_St5arrayIPcLm3EE23TrivialOffsetCalculatorILi2EjESA_ILi1EjENS0_6memory12LoadWithCastILi2EEENSD_13StoreWithCastILi1EEEN3c108BFloat16EJSJ_fEEEviT0_T1_T2_T3_T4_T5_
    .private_segment_fixed_size: 288
    .sgpr_count:     104
    .sgpr_spill_count: 0
    .symbol:         _ZN2at6native39vectorized_templated_elementwise_kernelILi2EZZZNS0_23launch_dirichlet_kernelERNS_18TensorIteratorBaseEENKUlvE_clEvENKUlvE0_clEvEUlffE_St5arrayIPcLm3EE23TrivialOffsetCalculatorILi2EjESA_ILi1EjENS0_6memory12LoadWithCastILi2EEENSD_13StoreWithCastILi1EEEN3c108BFloat16EJSJ_fEEEviT0_T1_T2_T3_T4_T5_.kd
    .uniform_work_group_size: 1
    .uses_dynamic_stack: false
    .vgpr_count:     118
    .vgpr_spill_count: 0
    .wavefront_size: 64
  - .agpr_count:     0
    .args:
      - .offset:         0
        .size:           4
        .value_kind:     by_value
      - .offset:         4
        .size:           1
        .value_kind:     by_value
      - .offset:         8
        .size:           24
        .value_kind:     by_value
      - .offset:         32
        .size:           1
        .value_kind:     by_value
      - .offset:         33
        .size:           1
        .value_kind:     by_value
      - .offset:         36
        .size:           12
        .value_kind:     by_value
      - .offset:         48
        .size:           8
        .value_kind:     by_value
      - .offset:         56
        .size:           4
        .value_kind:     hidden_block_count_x
      - .offset:         60
        .size:           4
        .value_kind:     hidden_block_count_y
      - .offset:         64
        .size:           4
        .value_kind:     hidden_block_count_z
      - .offset:         68
        .size:           2
        .value_kind:     hidden_group_size_x
      - .offset:         70
        .size:           2
        .value_kind:     hidden_group_size_y
      - .offset:         72
        .size:           2
        .value_kind:     hidden_group_size_z
      - .offset:         74
        .size:           2
        .value_kind:     hidden_remainder_x
      - .offset:         76
        .size:           2
        .value_kind:     hidden_remainder_y
      - .offset:         78
        .size:           2
        .value_kind:     hidden_remainder_z
      - .offset:         96
        .size:           8
        .value_kind:     hidden_global_offset_x
      - .offset:         104
        .size:           8
        .value_kind:     hidden_global_offset_y
      - .offset:         112
        .size:           8
        .value_kind:     hidden_global_offset_z
      - .offset:         120
        .size:           2
        .value_kind:     hidden_grid_dims
    .group_segment_fixed_size: 0
    .kernarg_segment_align: 8
    .kernarg_segment_size: 312
    .language:       OpenCL C
    .language_version:
      - 2
      - 0
    .max_flat_workgroup_size: 512
    .name:           _ZN2at6native39vectorized_templated_elementwise_kernelILi8EZZZNS0_23launch_dirichlet_kernelERNS_18TensorIteratorBaseEENKUlvE_clEvENKUlvE0_clEvEUlffE_St5arrayIPcLm3EE23TrivialOffsetCalculatorILi2EjESA_ILi1EjENS0_6memory12LoadWithCastILi2EEENSD_13StoreWithCastILi1EEEfJfN3c104HalfEEEEviT0_T1_T2_T3_T4_T5_
    .private_segment_fixed_size: 288
    .sgpr_count:     104
    .sgpr_spill_count: 0
    .symbol:         _ZN2at6native39vectorized_templated_elementwise_kernelILi8EZZZNS0_23launch_dirichlet_kernelERNS_18TensorIteratorBaseEENKUlvE_clEvENKUlvE0_clEvEUlffE_St5arrayIPcLm3EE23TrivialOffsetCalculatorILi2EjESA_ILi1EjENS0_6memory12LoadWithCastILi2EEENSD_13StoreWithCastILi1EEEfJfN3c104HalfEEEEviT0_T1_T2_T3_T4_T5_.kd
    .uniform_work_group_size: 1
    .uses_dynamic_stack: false
    .vgpr_count:     118
    .vgpr_spill_count: 0
    .wavefront_size: 64
  - .agpr_count:     0
    .args:
      - .offset:         0
        .size:           4
        .value_kind:     by_value
      - .offset:         4
        .size:           1
        .value_kind:     by_value
      - .offset:         8
        .size:           24
        .value_kind:     by_value
      - .offset:         32
        .size:           1
        .value_kind:     by_value
      - .offset:         33
        .size:           1
        .value_kind:     by_value
      - .offset:         36
        .size:           12
        .value_kind:     by_value
      - .offset:         48
        .size:           8
        .value_kind:     by_value
      - .offset:         56
        .size:           4
        .value_kind:     hidden_block_count_x
      - .offset:         60
        .size:           4
        .value_kind:     hidden_block_count_y
      - .offset:         64
        .size:           4
        .value_kind:     hidden_block_count_z
      - .offset:         68
        .size:           2
        .value_kind:     hidden_group_size_x
      - .offset:         70
        .size:           2
        .value_kind:     hidden_group_size_y
      - .offset:         72
        .size:           2
        .value_kind:     hidden_group_size_z
      - .offset:         74
        .size:           2
        .value_kind:     hidden_remainder_x
      - .offset:         76
        .size:           2
        .value_kind:     hidden_remainder_y
      - .offset:         78
        .size:           2
        .value_kind:     hidden_remainder_z
      - .offset:         96
        .size:           8
        .value_kind:     hidden_global_offset_x
      - .offset:         104
        .size:           8
        .value_kind:     hidden_global_offset_y
      - .offset:         112
        .size:           8
        .value_kind:     hidden_global_offset_z
      - .offset:         120
        .size:           2
        .value_kind:     hidden_grid_dims
    .group_segment_fixed_size: 0
    .kernarg_segment_align: 8
    .kernarg_segment_size: 312
    .language:       OpenCL C
    .language_version:
      - 2
      - 0
    .max_flat_workgroup_size: 512
    .name:           _ZN2at6native39vectorized_templated_elementwise_kernelILi4EZZZNS0_23launch_dirichlet_kernelERNS_18TensorIteratorBaseEENKUlvE_clEvENKUlvE0_clEvEUlffE_St5arrayIPcLm3EE23TrivialOffsetCalculatorILi2EjESA_ILi1EjENS0_6memory12LoadWithCastILi2EEENSD_13StoreWithCastILi1EEEfJfN3c104HalfEEEEviT0_T1_T2_T3_T4_T5_
    .private_segment_fixed_size: 288
    .sgpr_count:     104
    .sgpr_spill_count: 0
    .symbol:         _ZN2at6native39vectorized_templated_elementwise_kernelILi4EZZZNS0_23launch_dirichlet_kernelERNS_18TensorIteratorBaseEENKUlvE_clEvENKUlvE0_clEvEUlffE_St5arrayIPcLm3EE23TrivialOffsetCalculatorILi2EjESA_ILi1EjENS0_6memory12LoadWithCastILi2EEENSD_13StoreWithCastILi1EEEfJfN3c104HalfEEEEviT0_T1_T2_T3_T4_T5_.kd
    .uniform_work_group_size: 1
    .uses_dynamic_stack: false
    .vgpr_count:     118
    .vgpr_spill_count: 0
    .wavefront_size: 64
  - .agpr_count:     0
    .args:
      - .offset:         0
        .size:           4
        .value_kind:     by_value
      - .offset:         4
        .size:           1
        .value_kind:     by_value
      - .offset:         8
        .size:           24
        .value_kind:     by_value
      - .offset:         32
        .size:           1
        .value_kind:     by_value
      - .offset:         33
        .size:           1
        .value_kind:     by_value
      - .offset:         36
        .size:           12
        .value_kind:     by_value
      - .offset:         48
        .size:           8
        .value_kind:     by_value
      - .offset:         56
        .size:           4
        .value_kind:     hidden_block_count_x
      - .offset:         60
        .size:           4
        .value_kind:     hidden_block_count_y
      - .offset:         64
        .size:           4
        .value_kind:     hidden_block_count_z
      - .offset:         68
        .size:           2
        .value_kind:     hidden_group_size_x
      - .offset:         70
        .size:           2
        .value_kind:     hidden_group_size_y
      - .offset:         72
        .size:           2
        .value_kind:     hidden_group_size_z
      - .offset:         74
        .size:           2
        .value_kind:     hidden_remainder_x
      - .offset:         76
        .size:           2
        .value_kind:     hidden_remainder_y
      - .offset:         78
        .size:           2
        .value_kind:     hidden_remainder_z
      - .offset:         96
        .size:           8
        .value_kind:     hidden_global_offset_x
      - .offset:         104
        .size:           8
        .value_kind:     hidden_global_offset_y
      - .offset:         112
        .size:           8
        .value_kind:     hidden_global_offset_z
      - .offset:         120
        .size:           2
        .value_kind:     hidden_grid_dims
    .group_segment_fixed_size: 0
    .kernarg_segment_align: 8
    .kernarg_segment_size: 312
    .language:       OpenCL C
    .language_version:
      - 2
      - 0
    .max_flat_workgroup_size: 512
    .name:           _ZN2at6native39vectorized_templated_elementwise_kernelILi2EZZZNS0_23launch_dirichlet_kernelERNS_18TensorIteratorBaseEENKUlvE_clEvENKUlvE0_clEvEUlffE_St5arrayIPcLm3EE23TrivialOffsetCalculatorILi2EjESA_ILi1EjENS0_6memory12LoadWithCastILi2EEENSD_13StoreWithCastILi1EEEfJfN3c104HalfEEEEviT0_T1_T2_T3_T4_T5_
    .private_segment_fixed_size: 288
    .sgpr_count:     104
    .sgpr_spill_count: 0
    .symbol:         _ZN2at6native39vectorized_templated_elementwise_kernelILi2EZZZNS0_23launch_dirichlet_kernelERNS_18TensorIteratorBaseEENKUlvE_clEvENKUlvE0_clEvEUlffE_St5arrayIPcLm3EE23TrivialOffsetCalculatorILi2EjESA_ILi1EjENS0_6memory12LoadWithCastILi2EEENSD_13StoreWithCastILi1EEEfJfN3c104HalfEEEEviT0_T1_T2_T3_T4_T5_.kd
    .uniform_work_group_size: 1
    .uses_dynamic_stack: false
    .vgpr_count:     118
    .vgpr_spill_count: 0
    .wavefront_size: 64
  - .agpr_count:     0
    .args:
      - .offset:         0
        .size:           4
        .value_kind:     by_value
      - .offset:         4
        .size:           1
        .value_kind:     by_value
      - .offset:         8
        .size:           24
        .value_kind:     by_value
      - .offset:         32
        .size:           1
        .value_kind:     by_value
      - .offset:         33
        .size:           1
        .value_kind:     by_value
      - .offset:         36
        .size:           12
        .value_kind:     by_value
      - .offset:         48
        .size:           8
        .value_kind:     by_value
      - .offset:         56
        .size:           4
        .value_kind:     hidden_block_count_x
      - .offset:         60
        .size:           4
        .value_kind:     hidden_block_count_y
      - .offset:         64
        .size:           4
        .value_kind:     hidden_block_count_z
      - .offset:         68
        .size:           2
        .value_kind:     hidden_group_size_x
      - .offset:         70
        .size:           2
        .value_kind:     hidden_group_size_y
      - .offset:         72
        .size:           2
        .value_kind:     hidden_group_size_z
      - .offset:         74
        .size:           2
        .value_kind:     hidden_remainder_x
      - .offset:         76
        .size:           2
        .value_kind:     hidden_remainder_y
      - .offset:         78
        .size:           2
        .value_kind:     hidden_remainder_z
      - .offset:         96
        .size:           8
        .value_kind:     hidden_global_offset_x
      - .offset:         104
        .size:           8
        .value_kind:     hidden_global_offset_y
      - .offset:         112
        .size:           8
        .value_kind:     hidden_global_offset_z
      - .offset:         120
        .size:           2
        .value_kind:     hidden_grid_dims
    .group_segment_fixed_size: 0
    .kernarg_segment_align: 8
    .kernarg_segment_size: 312
    .language:       OpenCL C
    .language_version:
      - 2
      - 0
    .max_flat_workgroup_size: 512
    .name:           _ZN2at6native39vectorized_templated_elementwise_kernelILi8EZZZNS0_23launch_dirichlet_kernelERNS_18TensorIteratorBaseEENKUlvE_clEvENKUlvE0_clEvEUlffE_St5arrayIPcLm3EE23TrivialOffsetCalculatorILi2EjESA_ILi1EjENS0_6memory12LoadWithCastILi2EEENSD_13StoreWithCastILi1EEEfJN3c104HalfEfEEEviT0_T1_T2_T3_T4_T5_
    .private_segment_fixed_size: 288
    .sgpr_count:     104
    .sgpr_spill_count: 0
    .symbol:         _ZN2at6native39vectorized_templated_elementwise_kernelILi8EZZZNS0_23launch_dirichlet_kernelERNS_18TensorIteratorBaseEENKUlvE_clEvENKUlvE0_clEvEUlffE_St5arrayIPcLm3EE23TrivialOffsetCalculatorILi2EjESA_ILi1EjENS0_6memory12LoadWithCastILi2EEENSD_13StoreWithCastILi1EEEfJN3c104HalfEfEEEviT0_T1_T2_T3_T4_T5_.kd
    .uniform_work_group_size: 1
    .uses_dynamic_stack: false
    .vgpr_count:     118
    .vgpr_spill_count: 0
    .wavefront_size: 64
  - .agpr_count:     0
    .args:
      - .offset:         0
        .size:           4
        .value_kind:     by_value
      - .offset:         4
        .size:           1
        .value_kind:     by_value
      - .offset:         8
        .size:           24
        .value_kind:     by_value
      - .offset:         32
        .size:           1
        .value_kind:     by_value
      - .offset:         33
        .size:           1
        .value_kind:     by_value
      - .offset:         36
        .size:           12
        .value_kind:     by_value
      - .offset:         48
        .size:           8
        .value_kind:     by_value
      - .offset:         56
        .size:           4
        .value_kind:     hidden_block_count_x
      - .offset:         60
        .size:           4
        .value_kind:     hidden_block_count_y
      - .offset:         64
        .size:           4
        .value_kind:     hidden_block_count_z
      - .offset:         68
        .size:           2
        .value_kind:     hidden_group_size_x
      - .offset:         70
        .size:           2
        .value_kind:     hidden_group_size_y
      - .offset:         72
        .size:           2
        .value_kind:     hidden_group_size_z
      - .offset:         74
        .size:           2
        .value_kind:     hidden_remainder_x
      - .offset:         76
        .size:           2
        .value_kind:     hidden_remainder_y
      - .offset:         78
        .size:           2
        .value_kind:     hidden_remainder_z
      - .offset:         96
        .size:           8
        .value_kind:     hidden_global_offset_x
      - .offset:         104
        .size:           8
        .value_kind:     hidden_global_offset_y
      - .offset:         112
        .size:           8
        .value_kind:     hidden_global_offset_z
      - .offset:         120
        .size:           2
        .value_kind:     hidden_grid_dims
    .group_segment_fixed_size: 0
    .kernarg_segment_align: 8
    .kernarg_segment_size: 312
    .language:       OpenCL C
    .language_version:
      - 2
      - 0
    .max_flat_workgroup_size: 512
    .name:           _ZN2at6native39vectorized_templated_elementwise_kernelILi4EZZZNS0_23launch_dirichlet_kernelERNS_18TensorIteratorBaseEENKUlvE_clEvENKUlvE0_clEvEUlffE_St5arrayIPcLm3EE23TrivialOffsetCalculatorILi2EjESA_ILi1EjENS0_6memory12LoadWithCastILi2EEENSD_13StoreWithCastILi1EEEfJN3c104HalfEfEEEviT0_T1_T2_T3_T4_T5_
    .private_segment_fixed_size: 288
    .sgpr_count:     104
    .sgpr_spill_count: 0
    .symbol:         _ZN2at6native39vectorized_templated_elementwise_kernelILi4EZZZNS0_23launch_dirichlet_kernelERNS_18TensorIteratorBaseEENKUlvE_clEvENKUlvE0_clEvEUlffE_St5arrayIPcLm3EE23TrivialOffsetCalculatorILi2EjESA_ILi1EjENS0_6memory12LoadWithCastILi2EEENSD_13StoreWithCastILi1EEEfJN3c104HalfEfEEEviT0_T1_T2_T3_T4_T5_.kd
    .uniform_work_group_size: 1
    .uses_dynamic_stack: false
    .vgpr_count:     118
    .vgpr_spill_count: 0
    .wavefront_size: 64
  - .agpr_count:     0
    .args:
      - .offset:         0
        .size:           4
        .value_kind:     by_value
      - .offset:         4
        .size:           1
        .value_kind:     by_value
      - .offset:         8
        .size:           24
        .value_kind:     by_value
      - .offset:         32
        .size:           1
        .value_kind:     by_value
      - .offset:         33
        .size:           1
        .value_kind:     by_value
      - .offset:         36
        .size:           12
        .value_kind:     by_value
      - .offset:         48
        .size:           8
        .value_kind:     by_value
      - .offset:         56
        .size:           4
        .value_kind:     hidden_block_count_x
      - .offset:         60
        .size:           4
        .value_kind:     hidden_block_count_y
      - .offset:         64
        .size:           4
        .value_kind:     hidden_block_count_z
      - .offset:         68
        .size:           2
        .value_kind:     hidden_group_size_x
      - .offset:         70
        .size:           2
        .value_kind:     hidden_group_size_y
      - .offset:         72
        .size:           2
        .value_kind:     hidden_group_size_z
      - .offset:         74
        .size:           2
        .value_kind:     hidden_remainder_x
      - .offset:         76
        .size:           2
        .value_kind:     hidden_remainder_y
      - .offset:         78
        .size:           2
        .value_kind:     hidden_remainder_z
      - .offset:         96
        .size:           8
        .value_kind:     hidden_global_offset_x
      - .offset:         104
        .size:           8
        .value_kind:     hidden_global_offset_y
      - .offset:         112
        .size:           8
        .value_kind:     hidden_global_offset_z
      - .offset:         120
        .size:           2
        .value_kind:     hidden_grid_dims
    .group_segment_fixed_size: 0
    .kernarg_segment_align: 8
    .kernarg_segment_size: 312
    .language:       OpenCL C
    .language_version:
      - 2
      - 0
    .max_flat_workgroup_size: 512
    .name:           _ZN2at6native39vectorized_templated_elementwise_kernelILi2EZZZNS0_23launch_dirichlet_kernelERNS_18TensorIteratorBaseEENKUlvE_clEvENKUlvE0_clEvEUlffE_St5arrayIPcLm3EE23TrivialOffsetCalculatorILi2EjESA_ILi1EjENS0_6memory12LoadWithCastILi2EEENSD_13StoreWithCastILi1EEEfJN3c104HalfEfEEEviT0_T1_T2_T3_T4_T5_
    .private_segment_fixed_size: 288
    .sgpr_count:     104
    .sgpr_spill_count: 0
    .symbol:         _ZN2at6native39vectorized_templated_elementwise_kernelILi2EZZZNS0_23launch_dirichlet_kernelERNS_18TensorIteratorBaseEENKUlvE_clEvENKUlvE0_clEvEUlffE_St5arrayIPcLm3EE23TrivialOffsetCalculatorILi2EjESA_ILi1EjENS0_6memory12LoadWithCastILi2EEENSD_13StoreWithCastILi1EEEfJN3c104HalfEfEEEviT0_T1_T2_T3_T4_T5_.kd
    .uniform_work_group_size: 1
    .uses_dynamic_stack: false
    .vgpr_count:     118
    .vgpr_spill_count: 0
    .wavefront_size: 64
  - .agpr_count:     0
    .args:
      - .offset:         0
        .size:           4
        .value_kind:     by_value
      - .offset:         4
        .size:           1
        .value_kind:     by_value
      - .offset:         8
        .size:           24
        .value_kind:     by_value
      - .offset:         32
        .size:           1
        .value_kind:     by_value
      - .offset:         33
        .size:           1
        .value_kind:     by_value
      - .offset:         36
        .size:           12
        .value_kind:     by_value
      - .offset:         48
        .size:           8
        .value_kind:     by_value
      - .offset:         56
        .size:           4
        .value_kind:     hidden_block_count_x
      - .offset:         60
        .size:           4
        .value_kind:     hidden_block_count_y
      - .offset:         64
        .size:           4
        .value_kind:     hidden_block_count_z
      - .offset:         68
        .size:           2
        .value_kind:     hidden_group_size_x
      - .offset:         70
        .size:           2
        .value_kind:     hidden_group_size_y
      - .offset:         72
        .size:           2
        .value_kind:     hidden_group_size_z
      - .offset:         74
        .size:           2
        .value_kind:     hidden_remainder_x
      - .offset:         76
        .size:           2
        .value_kind:     hidden_remainder_y
      - .offset:         78
        .size:           2
        .value_kind:     hidden_remainder_z
      - .offset:         96
        .size:           8
        .value_kind:     hidden_global_offset_x
      - .offset:         104
        .size:           8
        .value_kind:     hidden_global_offset_y
      - .offset:         112
        .size:           8
        .value_kind:     hidden_global_offset_z
      - .offset:         120
        .size:           2
        .value_kind:     hidden_grid_dims
    .group_segment_fixed_size: 0
    .kernarg_segment_align: 8
    .kernarg_segment_size: 312
    .language:       OpenCL C
    .language_version:
      - 2
      - 0
    .max_flat_workgroup_size: 512
    .name:           _ZN2at6native39vectorized_templated_elementwise_kernelILi8EZZZNS0_23launch_dirichlet_kernelERNS_18TensorIteratorBaseEENKUlvE_clEvENKUlvE0_clEvEUlffE_St5arrayIPcLm3EE23TrivialOffsetCalculatorILi2EjESA_ILi1EjENS0_6memory12LoadWithCastILi2EEENSD_13StoreWithCastILi1EEEN3c104HalfEJSJ_fEEEviT0_T1_T2_T3_T4_T5_
    .private_segment_fixed_size: 288
    .sgpr_count:     104
    .sgpr_spill_count: 0
    .symbol:         _ZN2at6native39vectorized_templated_elementwise_kernelILi8EZZZNS0_23launch_dirichlet_kernelERNS_18TensorIteratorBaseEENKUlvE_clEvENKUlvE0_clEvEUlffE_St5arrayIPcLm3EE23TrivialOffsetCalculatorILi2EjESA_ILi1EjENS0_6memory12LoadWithCastILi2EEENSD_13StoreWithCastILi1EEEN3c104HalfEJSJ_fEEEviT0_T1_T2_T3_T4_T5_.kd
    .uniform_work_group_size: 1
    .uses_dynamic_stack: false
    .vgpr_count:     118
    .vgpr_spill_count: 0
    .wavefront_size: 64
  - .agpr_count:     0
    .args:
      - .offset:         0
        .size:           4
        .value_kind:     by_value
      - .offset:         4
        .size:           1
        .value_kind:     by_value
      - .offset:         8
        .size:           24
        .value_kind:     by_value
      - .offset:         32
        .size:           1
        .value_kind:     by_value
      - .offset:         33
        .size:           1
        .value_kind:     by_value
      - .offset:         36
        .size:           12
        .value_kind:     by_value
      - .offset:         48
        .size:           8
        .value_kind:     by_value
      - .offset:         56
        .size:           4
        .value_kind:     hidden_block_count_x
      - .offset:         60
        .size:           4
        .value_kind:     hidden_block_count_y
      - .offset:         64
        .size:           4
        .value_kind:     hidden_block_count_z
      - .offset:         68
        .size:           2
        .value_kind:     hidden_group_size_x
      - .offset:         70
        .size:           2
        .value_kind:     hidden_group_size_y
      - .offset:         72
        .size:           2
        .value_kind:     hidden_group_size_z
      - .offset:         74
        .size:           2
        .value_kind:     hidden_remainder_x
      - .offset:         76
        .size:           2
        .value_kind:     hidden_remainder_y
      - .offset:         78
        .size:           2
        .value_kind:     hidden_remainder_z
      - .offset:         96
        .size:           8
        .value_kind:     hidden_global_offset_x
      - .offset:         104
        .size:           8
        .value_kind:     hidden_global_offset_y
      - .offset:         112
        .size:           8
        .value_kind:     hidden_global_offset_z
      - .offset:         120
        .size:           2
        .value_kind:     hidden_grid_dims
    .group_segment_fixed_size: 0
    .kernarg_segment_align: 8
    .kernarg_segment_size: 312
    .language:       OpenCL C
    .language_version:
      - 2
      - 0
    .max_flat_workgroup_size: 512
    .name:           _ZN2at6native39vectorized_templated_elementwise_kernelILi4EZZZNS0_23launch_dirichlet_kernelERNS_18TensorIteratorBaseEENKUlvE_clEvENKUlvE0_clEvEUlffE_St5arrayIPcLm3EE23TrivialOffsetCalculatorILi2EjESA_ILi1EjENS0_6memory12LoadWithCastILi2EEENSD_13StoreWithCastILi1EEEN3c104HalfEJSJ_fEEEviT0_T1_T2_T3_T4_T5_
    .private_segment_fixed_size: 288
    .sgpr_count:     104
    .sgpr_spill_count: 0
    .symbol:         _ZN2at6native39vectorized_templated_elementwise_kernelILi4EZZZNS0_23launch_dirichlet_kernelERNS_18TensorIteratorBaseEENKUlvE_clEvENKUlvE0_clEvEUlffE_St5arrayIPcLm3EE23TrivialOffsetCalculatorILi2EjESA_ILi1EjENS0_6memory12LoadWithCastILi2EEENSD_13StoreWithCastILi1EEEN3c104HalfEJSJ_fEEEviT0_T1_T2_T3_T4_T5_.kd
    .uniform_work_group_size: 1
    .uses_dynamic_stack: false
    .vgpr_count:     118
    .vgpr_spill_count: 0
    .wavefront_size: 64
  - .agpr_count:     0
    .args:
      - .offset:         0
        .size:           4
        .value_kind:     by_value
      - .offset:         4
        .size:           1
        .value_kind:     by_value
      - .offset:         8
        .size:           24
        .value_kind:     by_value
      - .offset:         32
        .size:           1
        .value_kind:     by_value
      - .offset:         33
        .size:           1
        .value_kind:     by_value
      - .offset:         36
        .size:           12
        .value_kind:     by_value
      - .offset:         48
        .size:           8
        .value_kind:     by_value
      - .offset:         56
        .size:           4
        .value_kind:     hidden_block_count_x
      - .offset:         60
        .size:           4
        .value_kind:     hidden_block_count_y
      - .offset:         64
        .size:           4
        .value_kind:     hidden_block_count_z
      - .offset:         68
        .size:           2
        .value_kind:     hidden_group_size_x
      - .offset:         70
        .size:           2
        .value_kind:     hidden_group_size_y
      - .offset:         72
        .size:           2
        .value_kind:     hidden_group_size_z
      - .offset:         74
        .size:           2
        .value_kind:     hidden_remainder_x
      - .offset:         76
        .size:           2
        .value_kind:     hidden_remainder_y
      - .offset:         78
        .size:           2
        .value_kind:     hidden_remainder_z
      - .offset:         96
        .size:           8
        .value_kind:     hidden_global_offset_x
      - .offset:         104
        .size:           8
        .value_kind:     hidden_global_offset_y
      - .offset:         112
        .size:           8
        .value_kind:     hidden_global_offset_z
      - .offset:         120
        .size:           2
        .value_kind:     hidden_grid_dims
    .group_segment_fixed_size: 0
    .kernarg_segment_align: 8
    .kernarg_segment_size: 312
    .language:       OpenCL C
    .language_version:
      - 2
      - 0
    .max_flat_workgroup_size: 512
    .name:           _ZN2at6native39vectorized_templated_elementwise_kernelILi2EZZZNS0_23launch_dirichlet_kernelERNS_18TensorIteratorBaseEENKUlvE_clEvENKUlvE0_clEvEUlffE_St5arrayIPcLm3EE23TrivialOffsetCalculatorILi2EjESA_ILi1EjENS0_6memory12LoadWithCastILi2EEENSD_13StoreWithCastILi1EEEN3c104HalfEJSJ_fEEEviT0_T1_T2_T3_T4_T5_
    .private_segment_fixed_size: 288
    .sgpr_count:     104
    .sgpr_spill_count: 0
    .symbol:         _ZN2at6native39vectorized_templated_elementwise_kernelILi2EZZZNS0_23launch_dirichlet_kernelERNS_18TensorIteratorBaseEENKUlvE_clEvENKUlvE0_clEvEUlffE_St5arrayIPcLm3EE23TrivialOffsetCalculatorILi2EjESA_ILi1EjENS0_6memory12LoadWithCastILi2EEENSD_13StoreWithCastILi1EEEN3c104HalfEJSJ_fEEEviT0_T1_T2_T3_T4_T5_.kd
    .uniform_work_group_size: 1
    .uses_dynamic_stack: false
    .vgpr_count:     118
    .vgpr_spill_count: 0
    .wavefront_size: 64
  - .agpr_count:     0
    .args:
      - .offset:         0
        .size:           4
        .value_kind:     by_value
      - .offset:         8
        .size:           40
        .value_kind:     by_value
    .group_segment_fixed_size: 0
    .kernarg_segment_align: 8
    .kernarg_segment_size: 48
    .language:       OpenCL C
    .language_version:
      - 2
      - 0
    .max_flat_workgroup_size: 128
    .name:           _ZN2at6native32elementwise_kernel_manual_unrollILi128ELi4EZNS0_15gpu_kernel_implIZZZNS0_23launch_dirichlet_kernelERNS_18TensorIteratorBaseEENKUlvE_clEvENKUlvE0_clEvEUlffE_EEvS4_RKT_EUlibE_EEviT1_
    .private_segment_fixed_size: 0
    .sgpr_count:     58
    .sgpr_spill_count: 0
    .symbol:         _ZN2at6native32elementwise_kernel_manual_unrollILi128ELi4EZNS0_15gpu_kernel_implIZZZNS0_23launch_dirichlet_kernelERNS_18TensorIteratorBaseEENKUlvE_clEvENKUlvE0_clEvEUlffE_EEvS4_RKT_EUlibE_EEviT1_.kd
    .uniform_work_group_size: 1
    .uses_dynamic_stack: false
    .vgpr_count:     19
    .vgpr_spill_count: 0
    .wavefront_size: 64
  - .agpr_count:     0
    .args:
      - .offset:         0
        .size:           4
        .value_kind:     by_value
      - .offset:         8
        .size:           424
        .value_kind:     by_value
    .group_segment_fixed_size: 0
    .kernarg_segment_align: 8
    .kernarg_segment_size: 432
    .language:       OpenCL C
    .language_version:
      - 2
      - 0
    .max_flat_workgroup_size: 128
    .name:           _ZN2at6native32elementwise_kernel_manual_unrollILi128ELi4EZNS0_12_GLOBAL__N_142type_specialized_broadcast_kernel_launcherILi0EE5applyIZZZNS0_23launch_dirichlet_kernelERNS_18TensorIteratorBaseEENKUlvE_clEvENKUlvE0_clEvEUlffE_St5arrayIPcLm3EESB_IN3c1010ScalarTypeELm3EE16OffsetCalculatorILi3EjLb0EEEEvlT_T0_T1_T2_EUlibE_EEviSL_
    .private_segment_fixed_size: 0
    .sgpr_count:     56
    .sgpr_spill_count: 0
    .symbol:         _ZN2at6native32elementwise_kernel_manual_unrollILi128ELi4EZNS0_12_GLOBAL__N_142type_specialized_broadcast_kernel_launcherILi0EE5applyIZZZNS0_23launch_dirichlet_kernelERNS_18TensorIteratorBaseEENKUlvE_clEvENKUlvE0_clEvEUlffE_St5arrayIPcLm3EESB_IN3c1010ScalarTypeELm3EE16OffsetCalculatorILi3EjLb0EEEEvlT_T0_T1_T2_EUlibE_EEviSL_.kd
    .uniform_work_group_size: 1
    .uses_dynamic_stack: false
    .vgpr_count:     34
    .vgpr_spill_count: 0
    .wavefront_size: 64
  - .agpr_count:     0
    .args:
      - .offset:         0
        .size:           4
        .value_kind:     by_value
      - .offset:         8
        .size:           424
        .value_kind:     by_value
    .group_segment_fixed_size: 0
    .kernarg_segment_align: 8
    .kernarg_segment_size: 432
    .language:       OpenCL C
    .language_version:
      - 2
      - 0
    .max_flat_workgroup_size: 128
    .name:           _ZN2at6native32elementwise_kernel_manual_unrollILi128ELi4EZNS0_12_GLOBAL__N_142type_specialized_broadcast_kernel_launcherILi1EE5applyIZZZNS0_23launch_dirichlet_kernelERNS_18TensorIteratorBaseEENKUlvE_clEvENKUlvE0_clEvEUlffE_St5arrayIPcLm3EESB_IN3c1010ScalarTypeELm3EE16OffsetCalculatorILi3EjLb0EEEEvlT_T0_T1_T2_EUlibE_EEviSL_
    .private_segment_fixed_size: 0
    .sgpr_count:     56
    .sgpr_spill_count: 0
    .symbol:         _ZN2at6native32elementwise_kernel_manual_unrollILi128ELi4EZNS0_12_GLOBAL__N_142type_specialized_broadcast_kernel_launcherILi1EE5applyIZZZNS0_23launch_dirichlet_kernelERNS_18TensorIteratorBaseEENKUlvE_clEvENKUlvE0_clEvEUlffE_St5arrayIPcLm3EESB_IN3c1010ScalarTypeELm3EE16OffsetCalculatorILi3EjLb0EEEEvlT_T0_T1_T2_EUlibE_EEviSL_.kd
    .uniform_work_group_size: 1
    .uses_dynamic_stack: false
    .vgpr_count:     34
    .vgpr_spill_count: 0
    .wavefront_size: 64
  - .agpr_count:     0
    .args:
      - .offset:         0
        .size:           4
        .value_kind:     by_value
      - .offset:         8
        .size:           424
        .value_kind:     by_value
    .group_segment_fixed_size: 0
    .kernarg_segment_align: 8
    .kernarg_segment_size: 432
    .language:       OpenCL C
    .language_version:
      - 2
      - 0
    .max_flat_workgroup_size: 128
    .name:           _ZN2at6native32elementwise_kernel_manual_unrollILi128ELi4EZNS0_12_GLOBAL__N_142type_specialized_broadcast_kernel_launcherILi2EE5applyIZZZNS0_23launch_dirichlet_kernelERNS_18TensorIteratorBaseEENKUlvE_clEvENKUlvE0_clEvEUlffE_St5arrayIPcLm3EESB_IN3c1010ScalarTypeELm3EE16OffsetCalculatorILi3EjLb0EEEEvlT_T0_T1_T2_EUlibE_EEviSL_
    .private_segment_fixed_size: 0
    .sgpr_count:     56
    .sgpr_spill_count: 0
    .symbol:         _ZN2at6native32elementwise_kernel_manual_unrollILi128ELi4EZNS0_12_GLOBAL__N_142type_specialized_broadcast_kernel_launcherILi2EE5applyIZZZNS0_23launch_dirichlet_kernelERNS_18TensorIteratorBaseEENKUlvE_clEvENKUlvE0_clEvEUlffE_St5arrayIPcLm3EESB_IN3c1010ScalarTypeELm3EE16OffsetCalculatorILi3EjLb0EEEEvlT_T0_T1_T2_EUlibE_EEviSL_.kd
    .uniform_work_group_size: 1
    .uses_dynamic_stack: false
    .vgpr_count:     36
    .vgpr_spill_count: 0
    .wavefront_size: 64
  - .agpr_count:     0
    .args:
      - .offset:         0
        .size:           4
        .value_kind:     by_value
      - .offset:         8
        .size:           424
        .value_kind:     by_value
    .group_segment_fixed_size: 0
    .kernarg_segment_align: 8
    .kernarg_segment_size: 432
    .language:       OpenCL C
    .language_version:
      - 2
      - 0
    .max_flat_workgroup_size: 128
    .name:           _ZN2at6native32elementwise_kernel_manual_unrollILi128ELi4EZNS0_12_GLOBAL__N_142type_specialized_broadcast_kernel_launcherILi3EE5applyIZZZNS0_23launch_dirichlet_kernelERNS_18TensorIteratorBaseEENKUlvE_clEvENKUlvE0_clEvEUlffE_St5arrayIPcLm3EESB_IN3c1010ScalarTypeELm3EE16OffsetCalculatorILi3EjLb0EEEEvlT_T0_T1_T2_EUlibE_EEviSL_
    .private_segment_fixed_size: 0
    .sgpr_count:     56
    .sgpr_spill_count: 0
    .symbol:         _ZN2at6native32elementwise_kernel_manual_unrollILi128ELi4EZNS0_12_GLOBAL__N_142type_specialized_broadcast_kernel_launcherILi3EE5applyIZZZNS0_23launch_dirichlet_kernelERNS_18TensorIteratorBaseEENKUlvE_clEvENKUlvE0_clEvEUlffE_St5arrayIPcLm3EESB_IN3c1010ScalarTypeELm3EE16OffsetCalculatorILi3EjLb0EEEEvlT_T0_T1_T2_EUlibE_EEviSL_.kd
    .uniform_work_group_size: 1
    .uses_dynamic_stack: false
    .vgpr_count:     34
    .vgpr_spill_count: 0
    .wavefront_size: 64
  - .agpr_count:     0
    .args:
      - .offset:         0
        .size:           4
        .value_kind:     by_value
      - .offset:         8
        .size:           424
        .value_kind:     by_value
    .group_segment_fixed_size: 0
    .kernarg_segment_align: 8
    .kernarg_segment_size: 432
    .language:       OpenCL C
    .language_version:
      - 2
      - 0
    .max_flat_workgroup_size: 128
    .name:           _ZN2at6native32elementwise_kernel_manual_unrollILi128ELi4EZNS0_12_GLOBAL__N_142type_specialized_broadcast_kernel_launcherILi4EE5applyIZZZNS0_23launch_dirichlet_kernelERNS_18TensorIteratorBaseEENKUlvE_clEvENKUlvE0_clEvEUlffE_St5arrayIPcLm3EESB_IN3c1010ScalarTypeELm3EE16OffsetCalculatorILi3EjLb0EEEEvlT_T0_T1_T2_EUlibE_EEviSL_
    .private_segment_fixed_size: 0
    .sgpr_count:     56
    .sgpr_spill_count: 0
    .symbol:         _ZN2at6native32elementwise_kernel_manual_unrollILi128ELi4EZNS0_12_GLOBAL__N_142type_specialized_broadcast_kernel_launcherILi4EE5applyIZZZNS0_23launch_dirichlet_kernelERNS_18TensorIteratorBaseEENKUlvE_clEvENKUlvE0_clEvEUlffE_St5arrayIPcLm3EESB_IN3c1010ScalarTypeELm3EE16OffsetCalculatorILi3EjLb0EEEEvlT_T0_T1_T2_EUlibE_EEviSL_.kd
    .uniform_work_group_size: 1
    .uses_dynamic_stack: false
    .vgpr_count:     34
    .vgpr_spill_count: 0
    .wavefront_size: 64
  - .agpr_count:     0
    .args:
      - .offset:         0
        .size:           4
        .value_kind:     by_value
      - .offset:         8
        .size:           424
        .value_kind:     by_value
    .group_segment_fixed_size: 0
    .kernarg_segment_align: 8
    .kernarg_segment_size: 432
    .language:       OpenCL C
    .language_version:
      - 2
      - 0
    .max_flat_workgroup_size: 128
    .name:           _ZN2at6native32elementwise_kernel_manual_unrollILi128ELi4EZNS0_12_GLOBAL__N_142type_specialized_broadcast_kernel_launcherILi5EE5applyIZZZNS0_23launch_dirichlet_kernelERNS_18TensorIteratorBaseEENKUlvE_clEvENKUlvE0_clEvEUlffE_St5arrayIPcLm3EESB_IN3c1010ScalarTypeELm3EE16OffsetCalculatorILi3EjLb0EEEEvlT_T0_T1_T2_EUlibE_EEviSL_
    .private_segment_fixed_size: 0
    .sgpr_count:     56
    .sgpr_spill_count: 0
    .symbol:         _ZN2at6native32elementwise_kernel_manual_unrollILi128ELi4EZNS0_12_GLOBAL__N_142type_specialized_broadcast_kernel_launcherILi5EE5applyIZZZNS0_23launch_dirichlet_kernelERNS_18TensorIteratorBaseEENKUlvE_clEvENKUlvE0_clEvEUlffE_St5arrayIPcLm3EESB_IN3c1010ScalarTypeELm3EE16OffsetCalculatorILi3EjLb0EEEEvlT_T0_T1_T2_EUlibE_EEviSL_.kd
    .uniform_work_group_size: 1
    .uses_dynamic_stack: false
    .vgpr_count:     35
    .vgpr_spill_count: 0
    .wavefront_size: 64
  - .agpr_count:     0
    .args:
      - .offset:         0
        .size:           4
        .value_kind:     by_value
      - .offset:         8
        .size:           424
        .value_kind:     by_value
    .group_segment_fixed_size: 0
    .kernarg_segment_align: 8
    .kernarg_segment_size: 432
    .language:       OpenCL C
    .language_version:
      - 2
      - 0
    .max_flat_workgroup_size: 128
    .name:           _ZN2at6native32elementwise_kernel_manual_unrollILi128ELi4EZNS0_15gpu_kernel_implIZZZNS0_23launch_dirichlet_kernelERNS_18TensorIteratorBaseEENKUlvE_clEvENKUlvE0_clEvEUlffE_EEvS4_RKT_EUlibE0_EEviT1_
    .private_segment_fixed_size: 0
    .sgpr_count:     82
    .sgpr_spill_count: 0
    .symbol:         _ZN2at6native32elementwise_kernel_manual_unrollILi128ELi4EZNS0_15gpu_kernel_implIZZZNS0_23launch_dirichlet_kernelERNS_18TensorIteratorBaseEENKUlvE_clEvENKUlvE0_clEvEUlffE_EEvS4_RKT_EUlibE0_EEviT1_.kd
    .uniform_work_group_size: 1
    .uses_dynamic_stack: false
    .vgpr_count:     26
    .vgpr_spill_count: 0
    .wavefront_size: 64
  - .agpr_count:     0
    .args:
      - .offset:         0
        .size:           4
        .value_kind:     by_value
      - .offset:         4
        .size:           1
        .value_kind:     by_value
      - .offset:         8
        .size:           24
        .value_kind:     by_value
    .group_segment_fixed_size: 0
    .kernarg_segment_align: 8
    .kernarg_segment_size: 32
    .language:       OpenCL C
    .language_version:
      - 2
      - 0
    .max_flat_workgroup_size: 256
    .name:           _ZN2at6native29vectorized_elementwise_kernelILi16EZZZNS0_23launch_dirichlet_kernelERNS_18TensorIteratorBaseEENKUlvE_clEvENKUlvE1_clEvEUlN3c104HalfES7_E_St5arrayIPcLm3EEEEviT0_T1_
    .private_segment_fixed_size: 0
    .sgpr_count:     18
    .sgpr_spill_count: 0
    .symbol:         _ZN2at6native29vectorized_elementwise_kernelILi16EZZZNS0_23launch_dirichlet_kernelERNS_18TensorIteratorBaseEENKUlvE_clEvENKUlvE1_clEvEUlN3c104HalfES7_E_St5arrayIPcLm3EEEEviT0_T1_.kd
    .uniform_work_group_size: 1
    .uses_dynamic_stack: false
    .vgpr_count:     48
    .vgpr_spill_count: 0
    .wavefront_size: 64
  - .agpr_count:     0
    .args:
      - .offset:         0
        .size:           4
        .value_kind:     by_value
      - .offset:         4
        .size:           1
        .value_kind:     by_value
      - .offset:         8
        .size:           24
        .value_kind:     by_value
    .group_segment_fixed_size: 0
    .kernarg_segment_align: 8
    .kernarg_segment_size: 32
    .language:       OpenCL C
    .language_version:
      - 2
      - 0
    .max_flat_workgroup_size: 256
    .name:           _ZN2at6native29vectorized_elementwise_kernelILi8EZZZNS0_23launch_dirichlet_kernelERNS_18TensorIteratorBaseEENKUlvE_clEvENKUlvE1_clEvEUlN3c104HalfES7_E_St5arrayIPcLm3EEEEviT0_T1_
    .private_segment_fixed_size: 0
    .sgpr_count:     18
    .sgpr_spill_count: 0
    .symbol:         _ZN2at6native29vectorized_elementwise_kernelILi8EZZZNS0_23launch_dirichlet_kernelERNS_18TensorIteratorBaseEENKUlvE_clEvENKUlvE1_clEvEUlN3c104HalfES7_E_St5arrayIPcLm3EEEEviT0_T1_.kd
    .uniform_work_group_size: 1
    .uses_dynamic_stack: false
    .vgpr_count:     48
    .vgpr_spill_count: 0
    .wavefront_size: 64
  - .agpr_count:     0
    .args:
      - .offset:         0
        .size:           4
        .value_kind:     by_value
      - .offset:         4
        .size:           1
        .value_kind:     by_value
      - .offset:         8
        .size:           24
        .value_kind:     by_value
    .group_segment_fixed_size: 0
    .kernarg_segment_align: 8
    .kernarg_segment_size: 32
    .language:       OpenCL C
    .language_version:
      - 2
      - 0
    .max_flat_workgroup_size: 256
    .name:           _ZN2at6native29vectorized_elementwise_kernelILi4EZZZNS0_23launch_dirichlet_kernelERNS_18TensorIteratorBaseEENKUlvE_clEvENKUlvE1_clEvEUlN3c104HalfES7_E_St5arrayIPcLm3EEEEviT0_T1_
    .private_segment_fixed_size: 0
    .sgpr_count:     18
    .sgpr_spill_count: 0
    .symbol:         _ZN2at6native29vectorized_elementwise_kernelILi4EZZZNS0_23launch_dirichlet_kernelERNS_18TensorIteratorBaseEENKUlvE_clEvENKUlvE1_clEvEUlN3c104HalfES7_E_St5arrayIPcLm3EEEEviT0_T1_.kd
    .uniform_work_group_size: 1
    .uses_dynamic_stack: false
    .vgpr_count:     47
    .vgpr_spill_count: 0
    .wavefront_size: 64
  - .agpr_count:     0
    .args:
      - .offset:         0
        .size:           4
        .value_kind:     by_value
      - .offset:         4
        .size:           1
        .value_kind:     by_value
      - .offset:         8
        .size:           24
        .value_kind:     by_value
    .group_segment_fixed_size: 0
    .kernarg_segment_align: 8
    .kernarg_segment_size: 32
    .language:       OpenCL C
    .language_version:
      - 2
      - 0
    .max_flat_workgroup_size: 256
    .name:           _ZN2at6native29vectorized_elementwise_kernelILi2EZZZNS0_23launch_dirichlet_kernelERNS_18TensorIteratorBaseEENKUlvE_clEvENKUlvE1_clEvEUlN3c104HalfES7_E_St5arrayIPcLm3EEEEviT0_T1_
    .private_segment_fixed_size: 0
    .sgpr_count:     18
    .sgpr_spill_count: 0
    .symbol:         _ZN2at6native29vectorized_elementwise_kernelILi2EZZZNS0_23launch_dirichlet_kernelERNS_18TensorIteratorBaseEENKUlvE_clEvENKUlvE1_clEvEUlN3c104HalfES7_E_St5arrayIPcLm3EEEEviT0_T1_.kd
    .uniform_work_group_size: 1
    .uses_dynamic_stack: false
    .vgpr_count:     47
    .vgpr_spill_count: 0
    .wavefront_size: 64
  - .agpr_count:     0
    .args:
      - .offset:         0
        .size:           4
        .value_kind:     by_value
      - .offset:         4
        .size:           1
        .value_kind:     by_value
      - .offset:         8
        .size:           24
        .value_kind:     by_value
      - .offset:         32
        .size:           1
        .value_kind:     by_value
      - .offset:         33
        .size:           1
        .value_kind:     by_value
      - .offset:         34
        .size:           1
        .value_kind:     by_value
      - .offset:         35
        .size:           1
        .value_kind:     by_value
    .group_segment_fixed_size: 0
    .kernarg_segment_align: 8
    .kernarg_segment_size: 36
    .language:       OpenCL C
    .language_version:
      - 2
      - 0
    .max_flat_workgroup_size: 256
    .name:           _ZN2at6native27unrolled_elementwise_kernelIZZZNS0_23launch_dirichlet_kernelERNS_18TensorIteratorBaseEENKUlvE_clEvENKUlvE1_clEvEUlN3c104HalfES7_E_St5arrayIPcLm3EELi4E23TrivialOffsetCalculatorILi2EjESC_ILi1EjENS0_6memory15LoadWithoutCastENSF_16StoreWithoutCastEEEviT_T0_T2_T3_T4_T5_
    .private_segment_fixed_size: 0
    .sgpr_count:     16
    .sgpr_spill_count: 0
    .symbol:         _ZN2at6native27unrolled_elementwise_kernelIZZZNS0_23launch_dirichlet_kernelERNS_18TensorIteratorBaseEENKUlvE_clEvENKUlvE1_clEvEUlN3c104HalfES7_E_St5arrayIPcLm3EELi4E23TrivialOffsetCalculatorILi2EjESC_ILi1EjENS0_6memory15LoadWithoutCastENSF_16StoreWithoutCastEEEviT_T0_T2_T3_T4_T5_.kd
    .uniform_work_group_size: 1
    .uses_dynamic_stack: false
    .vgpr_count:     16
    .vgpr_spill_count: 0
    .wavefront_size: 64
  - .agpr_count:     0
    .args:
      - .offset:         0
        .size:           4
        .value_kind:     by_value
      - .offset:         8
        .size:           424
        .value_kind:     by_value
    .group_segment_fixed_size: 0
    .kernarg_segment_align: 8
    .kernarg_segment_size: 432
    .language:       OpenCL C
    .language_version:
      - 2
      - 0
    .max_flat_workgroup_size: 128
    .name:           _ZN2at6native32elementwise_kernel_manual_unrollILi128ELi8EZNS0_22gpu_kernel_impl_nocastIZZZNS0_23launch_dirichlet_kernelERNS_18TensorIteratorBaseEENKUlvE_clEvENKUlvE1_clEvEUlN3c104HalfES8_E_EEvS4_RKT_EUlibE_EEviT1_
    .private_segment_fixed_size: 0
    .sgpr_count:     56
    .sgpr_spill_count: 0
    .symbol:         _ZN2at6native32elementwise_kernel_manual_unrollILi128ELi8EZNS0_22gpu_kernel_impl_nocastIZZZNS0_23launch_dirichlet_kernelERNS_18TensorIteratorBaseEENKUlvE_clEvENKUlvE1_clEvEUlN3c104HalfES8_E_EEvS4_RKT_EUlibE_EEviT1_.kd
    .uniform_work_group_size: 1
    .uses_dynamic_stack: false
    .vgpr_count:     52
    .vgpr_spill_count: 0
    .wavefront_size: 64
  - .agpr_count:     0
    .args:
      - .offset:         0
        .size:           4
        .value_kind:     by_value
      - .offset:         8
        .size:           40
        .value_kind:     by_value
    .group_segment_fixed_size: 0
    .kernarg_segment_align: 8
    .kernarg_segment_size: 48
    .language:       OpenCL C
    .language_version:
      - 2
      - 0
    .max_flat_workgroup_size: 128
    .name:           _ZN2at6native32elementwise_kernel_manual_unrollILi128ELi4EZNS0_15gpu_kernel_implIZZZNS0_23launch_dirichlet_kernelERNS_18TensorIteratorBaseEENKUlvE_clEvENKUlvE1_clEvEUlN3c104HalfES8_E_EEvS4_RKT_EUlibE_EEviT1_
    .private_segment_fixed_size: 0
    .sgpr_count:     58
    .sgpr_spill_count: 0
    .symbol:         _ZN2at6native32elementwise_kernel_manual_unrollILi128ELi4EZNS0_15gpu_kernel_implIZZZNS0_23launch_dirichlet_kernelERNS_18TensorIteratorBaseEENKUlvE_clEvENKUlvE1_clEvEUlN3c104HalfES8_E_EEvS4_RKT_EUlibE_EEviT1_.kd
    .uniform_work_group_size: 1
    .uses_dynamic_stack: false
    .vgpr_count:     19
    .vgpr_spill_count: 0
    .wavefront_size: 64
  - .agpr_count:     0
    .args:
      - .offset:         0
        .size:           4
        .value_kind:     by_value
      - .offset:         8
        .size:           424
        .value_kind:     by_value
    .group_segment_fixed_size: 0
    .kernarg_segment_align: 8
    .kernarg_segment_size: 432
    .language:       OpenCL C
    .language_version:
      - 2
      - 0
    .max_flat_workgroup_size: 128
    .name:           _ZN2at6native32elementwise_kernel_manual_unrollILi128ELi4EZNS0_15gpu_kernel_implIZZZNS0_23launch_dirichlet_kernelERNS_18TensorIteratorBaseEENKUlvE_clEvENKUlvE1_clEvEUlN3c104HalfES8_E_EEvS4_RKT_EUlibE0_EEviT1_
    .private_segment_fixed_size: 0
    .sgpr_count:     82
    .sgpr_spill_count: 0
    .symbol:         _ZN2at6native32elementwise_kernel_manual_unrollILi128ELi4EZNS0_15gpu_kernel_implIZZZNS0_23launch_dirichlet_kernelERNS_18TensorIteratorBaseEENKUlvE_clEvENKUlvE1_clEvEUlN3c104HalfES8_E_EEvS4_RKT_EUlibE0_EEviT1_.kd
    .uniform_work_group_size: 1
    .uses_dynamic_stack: false
    .vgpr_count:     26
    .vgpr_spill_count: 0
    .wavefront_size: 64
  - .agpr_count:     0
    .args:
      - .offset:         0
        .size:           4
        .value_kind:     by_value
      - .offset:         4
        .size:           1
        .value_kind:     by_value
      - .offset:         8
        .size:           24
        .value_kind:     by_value
    .group_segment_fixed_size: 0
    .kernarg_segment_align: 8
    .kernarg_segment_size: 32
    .language:       OpenCL C
    .language_version:
      - 2
      - 0
    .max_flat_workgroup_size: 256
    .name:           _ZN2at6native29vectorized_elementwise_kernelILi16EZZZNS0_23launch_dirichlet_kernelERNS_18TensorIteratorBaseEENKUlvE_clEvENKUlvE2_clEvEUlN3c108BFloat16ES7_E_St5arrayIPcLm3EEEEviT0_T1_
    .private_segment_fixed_size: 0
    .sgpr_count:     23
    .sgpr_spill_count: 0
    .symbol:         _ZN2at6native29vectorized_elementwise_kernelILi16EZZZNS0_23launch_dirichlet_kernelERNS_18TensorIteratorBaseEENKUlvE_clEvENKUlvE2_clEvEUlN3c108BFloat16ES7_E_St5arrayIPcLm3EEEEviT0_T1_.kd
    .uniform_work_group_size: 1
    .uses_dynamic_stack: false
    .vgpr_count:     37
    .vgpr_spill_count: 0
    .wavefront_size: 64
  - .agpr_count:     0
    .args:
      - .offset:         0
        .size:           4
        .value_kind:     by_value
      - .offset:         4
        .size:           1
        .value_kind:     by_value
      - .offset:         8
        .size:           24
        .value_kind:     by_value
    .group_segment_fixed_size: 0
    .kernarg_segment_align: 8
    .kernarg_segment_size: 32
    .language:       OpenCL C
    .language_version:
      - 2
      - 0
    .max_flat_workgroup_size: 256
    .name:           _ZN2at6native29vectorized_elementwise_kernelILi8EZZZNS0_23launch_dirichlet_kernelERNS_18TensorIteratorBaseEENKUlvE_clEvENKUlvE2_clEvEUlN3c108BFloat16ES7_E_St5arrayIPcLm3EEEEviT0_T1_
    .private_segment_fixed_size: 0
    .sgpr_count:     23
    .sgpr_spill_count: 0
    .symbol:         _ZN2at6native29vectorized_elementwise_kernelILi8EZZZNS0_23launch_dirichlet_kernelERNS_18TensorIteratorBaseEENKUlvE_clEvENKUlvE2_clEvEUlN3c108BFloat16ES7_E_St5arrayIPcLm3EEEEviT0_T1_.kd
    .uniform_work_group_size: 1
    .uses_dynamic_stack: false
    .vgpr_count:     37
    .vgpr_spill_count: 0
    .wavefront_size: 64
  - .agpr_count:     0
    .args:
      - .offset:         0
        .size:           4
        .value_kind:     by_value
      - .offset:         4
        .size:           1
        .value_kind:     by_value
      - .offset:         8
        .size:           24
        .value_kind:     by_value
    .group_segment_fixed_size: 0
    .kernarg_segment_align: 8
    .kernarg_segment_size: 32
    .language:       OpenCL C
    .language_version:
      - 2
      - 0
    .max_flat_workgroup_size: 256
    .name:           _ZN2at6native29vectorized_elementwise_kernelILi4EZZZNS0_23launch_dirichlet_kernelERNS_18TensorIteratorBaseEENKUlvE_clEvENKUlvE2_clEvEUlN3c108BFloat16ES7_E_St5arrayIPcLm3EEEEviT0_T1_
    .private_segment_fixed_size: 0
    .sgpr_count:     22
    .sgpr_spill_count: 0
    .symbol:         _ZN2at6native29vectorized_elementwise_kernelILi4EZZZNS0_23launch_dirichlet_kernelERNS_18TensorIteratorBaseEENKUlvE_clEvENKUlvE2_clEvEUlN3c108BFloat16ES7_E_St5arrayIPcLm3EEEEviT0_T1_.kd
    .uniform_work_group_size: 1
    .uses_dynamic_stack: false
    .vgpr_count:     36
    .vgpr_spill_count: 0
    .wavefront_size: 64
  - .agpr_count:     0
    .args:
      - .offset:         0
        .size:           4
        .value_kind:     by_value
      - .offset:         4
        .size:           1
        .value_kind:     by_value
      - .offset:         8
        .size:           24
        .value_kind:     by_value
    .group_segment_fixed_size: 0
    .kernarg_segment_align: 8
    .kernarg_segment_size: 32
    .language:       OpenCL C
    .language_version:
      - 2
      - 0
    .max_flat_workgroup_size: 256
    .name:           _ZN2at6native29vectorized_elementwise_kernelILi2EZZZNS0_23launch_dirichlet_kernelERNS_18TensorIteratorBaseEENKUlvE_clEvENKUlvE2_clEvEUlN3c108BFloat16ES7_E_St5arrayIPcLm3EEEEviT0_T1_
    .private_segment_fixed_size: 0
    .sgpr_count:     22
    .sgpr_spill_count: 0
    .symbol:         _ZN2at6native29vectorized_elementwise_kernelILi2EZZZNS0_23launch_dirichlet_kernelERNS_18TensorIteratorBaseEENKUlvE_clEvENKUlvE2_clEvEUlN3c108BFloat16ES7_E_St5arrayIPcLm3EEEEviT0_T1_.kd
    .uniform_work_group_size: 1
    .uses_dynamic_stack: false
    .vgpr_count:     38
    .vgpr_spill_count: 0
    .wavefront_size: 64
  - .agpr_count:     0
    .args:
      - .offset:         0
        .size:           4
        .value_kind:     by_value
      - .offset:         4
        .size:           1
        .value_kind:     by_value
      - .offset:         8
        .size:           24
        .value_kind:     by_value
      - .offset:         32
        .size:           1
        .value_kind:     by_value
      - .offset:         33
        .size:           1
        .value_kind:     by_value
      - .offset:         34
        .size:           1
        .value_kind:     by_value
      - .offset:         35
        .size:           1
        .value_kind:     by_value
    .group_segment_fixed_size: 0
    .kernarg_segment_align: 8
    .kernarg_segment_size: 36
    .language:       OpenCL C
    .language_version:
      - 2
      - 0
    .max_flat_workgroup_size: 256
    .name:           _ZN2at6native27unrolled_elementwise_kernelIZZZNS0_23launch_dirichlet_kernelERNS_18TensorIteratorBaseEENKUlvE_clEvENKUlvE2_clEvEUlN3c108BFloat16ES7_E_St5arrayIPcLm3EELi4E23TrivialOffsetCalculatorILi2EjESC_ILi1EjENS0_6memory15LoadWithoutCastENSF_16StoreWithoutCastEEEviT_T0_T2_T3_T4_T5_
    .private_segment_fixed_size: 0
    .sgpr_count:     16
    .sgpr_spill_count: 0
    .symbol:         _ZN2at6native27unrolled_elementwise_kernelIZZZNS0_23launch_dirichlet_kernelERNS_18TensorIteratorBaseEENKUlvE_clEvENKUlvE2_clEvEUlN3c108BFloat16ES7_E_St5arrayIPcLm3EELi4E23TrivialOffsetCalculatorILi2EjESC_ILi1EjENS0_6memory15LoadWithoutCastENSF_16StoreWithoutCastEEEviT_T0_T2_T3_T4_T5_.kd
    .uniform_work_group_size: 1
    .uses_dynamic_stack: false
    .vgpr_count:     16
    .vgpr_spill_count: 0
    .wavefront_size: 64
  - .agpr_count:     0
    .args:
      - .offset:         0
        .size:           4
        .value_kind:     by_value
      - .offset:         8
        .size:           424
        .value_kind:     by_value
    .group_segment_fixed_size: 0
    .kernarg_segment_align: 8
    .kernarg_segment_size: 432
    .language:       OpenCL C
    .language_version:
      - 2
      - 0
    .max_flat_workgroup_size: 128
    .name:           _ZN2at6native32elementwise_kernel_manual_unrollILi128ELi8EZNS0_22gpu_kernel_impl_nocastIZZZNS0_23launch_dirichlet_kernelERNS_18TensorIteratorBaseEENKUlvE_clEvENKUlvE2_clEvEUlN3c108BFloat16ES8_E_EEvS4_RKT_EUlibE_EEviT1_
    .private_segment_fixed_size: 0
    .sgpr_count:     56
    .sgpr_spill_count: 0
    .symbol:         _ZN2at6native32elementwise_kernel_manual_unrollILi128ELi8EZNS0_22gpu_kernel_impl_nocastIZZZNS0_23launch_dirichlet_kernelERNS_18TensorIteratorBaseEENKUlvE_clEvENKUlvE2_clEvEUlN3c108BFloat16ES8_E_EEvS4_RKT_EUlibE_EEviT1_.kd
    .uniform_work_group_size: 1
    .uses_dynamic_stack: false
    .vgpr_count:     49
    .vgpr_spill_count: 0
    .wavefront_size: 64
  - .agpr_count:     0
    .args:
      - .offset:         0
        .size:           4
        .value_kind:     by_value
      - .offset:         8
        .size:           40
        .value_kind:     by_value
    .group_segment_fixed_size: 0
    .kernarg_segment_align: 8
    .kernarg_segment_size: 48
    .language:       OpenCL C
    .language_version:
      - 2
      - 0
    .max_flat_workgroup_size: 128
    .name:           _ZN2at6native32elementwise_kernel_manual_unrollILi128ELi4EZNS0_15gpu_kernel_implIZZZNS0_23launch_dirichlet_kernelERNS_18TensorIteratorBaseEENKUlvE_clEvENKUlvE2_clEvEUlN3c108BFloat16ES8_E_EEvS4_RKT_EUlibE_EEviT1_
    .private_segment_fixed_size: 0
    .sgpr_count:     58
    .sgpr_spill_count: 0
    .symbol:         _ZN2at6native32elementwise_kernel_manual_unrollILi128ELi4EZNS0_15gpu_kernel_implIZZZNS0_23launch_dirichlet_kernelERNS_18TensorIteratorBaseEENKUlvE_clEvENKUlvE2_clEvEUlN3c108BFloat16ES8_E_EEvS4_RKT_EUlibE_EEviT1_.kd
    .uniform_work_group_size: 1
    .uses_dynamic_stack: false
    .vgpr_count:     19
    .vgpr_spill_count: 0
    .wavefront_size: 64
  - .agpr_count:     0
    .args:
      - .offset:         0
        .size:           4
        .value_kind:     by_value
      - .offset:         8
        .size:           424
        .value_kind:     by_value
    .group_segment_fixed_size: 0
    .kernarg_segment_align: 8
    .kernarg_segment_size: 432
    .language:       OpenCL C
    .language_version:
      - 2
      - 0
    .max_flat_workgroup_size: 128
    .name:           _ZN2at6native32elementwise_kernel_manual_unrollILi128ELi4EZNS0_15gpu_kernel_implIZZZNS0_23launch_dirichlet_kernelERNS_18TensorIteratorBaseEENKUlvE_clEvENKUlvE2_clEvEUlN3c108BFloat16ES8_E_EEvS4_RKT_EUlibE0_EEviT1_
    .private_segment_fixed_size: 0
    .sgpr_count:     82
    .sgpr_spill_count: 0
    .symbol:         _ZN2at6native32elementwise_kernel_manual_unrollILi128ELi4EZNS0_15gpu_kernel_implIZZZNS0_23launch_dirichlet_kernelERNS_18TensorIteratorBaseEENKUlvE_clEvENKUlvE2_clEvEUlN3c108BFloat16ES8_E_EEvS4_RKT_EUlibE0_EEviT1_.kd
    .uniform_work_group_size: 1
    .uses_dynamic_stack: false
    .vgpr_count:     26
    .vgpr_spill_count: 0
    .wavefront_size: 64
  - .agpr_count:     0
    .args:
      - .offset:         0
        .size:           216
        .value_kind:     by_value
      - .offset:         216
        .size:           216
        .value_kind:     by_value
      - .offset:         432
        .size:           4
        .value_kind:     by_value
      - .offset:         440
        .size:           32
        .value_kind:     by_value
      - .offset:         472
        .size:           4
        .value_kind:     hidden_block_count_x
      - .offset:         476
        .size:           4
        .value_kind:     hidden_block_count_y
      - .offset:         480
        .size:           4
        .value_kind:     hidden_block_count_z
      - .offset:         484
        .size:           2
        .value_kind:     hidden_group_size_x
      - .offset:         486
        .size:           2
        .value_kind:     hidden_group_size_y
      - .offset:         488
        .size:           2
        .value_kind:     hidden_group_size_z
      - .offset:         490
        .size:           2
        .value_kind:     hidden_remainder_x
      - .offset:         492
        .size:           2
        .value_kind:     hidden_remainder_y
      - .offset:         494
        .size:           2
        .value_kind:     hidden_remainder_z
      - .offset:         512
        .size:           8
        .value_kind:     hidden_global_offset_x
      - .offset:         520
        .size:           8
        .value_kind:     hidden_global_offset_y
      - .offset:         528
        .size:           8
        .value_kind:     hidden_global_offset_z
      - .offset:         536
        .size:           2
        .value_kind:     hidden_grid_dims
    .group_segment_fixed_size: 0
    .kernarg_segment_align: 8
    .kernarg_segment_size: 728
    .language:       OpenCL C
    .language_version:
      - 2
      - 0
    .max_flat_workgroup_size: 512
    .name:           _ZN2at4cuda12_GLOBAL__N_121kernelPointwiseApply2IZN12_GLOBAL__N_119poisson_cuda_kernelIdEEvRKNS_10TensorBaseES7_NS_15PhiloxCudaStateEEUlRdRKdE_ddjLi1ELi1ELi1ELi512ELi2EEEvNS0_6detail10TensorInfoIT0_T2_EENSE_IT1_SG_EESG_T_
    .private_segment_fixed_size: 0
    .sgpr_count:     100
    .sgpr_spill_count: 17
    .symbol:         _ZN2at4cuda12_GLOBAL__N_121kernelPointwiseApply2IZN12_GLOBAL__N_119poisson_cuda_kernelIdEEvRKNS_10TensorBaseES7_NS_15PhiloxCudaStateEEUlRdRKdE_ddjLi1ELi1ELi1ELi512ELi2EEEvNS0_6detail10TensorInfoIT0_T2_EENSE_IT1_SG_EESG_T_.kd
    .uniform_work_group_size: 1
    .uses_dynamic_stack: false
    .vgpr_count:     133
    .vgpr_spill_count: 0
    .wavefront_size: 64
  - .agpr_count:     0
    .args:
      - .offset:         0
        .size:           216
        .value_kind:     by_value
      - .offset:         216
        .size:           216
        .value_kind:     by_value
      - .offset:         432
        .size:           4
        .value_kind:     by_value
      - .offset:         440
        .size:           32
        .value_kind:     by_value
      - .offset:         472
        .size:           4
        .value_kind:     hidden_block_count_x
      - .offset:         476
        .size:           4
        .value_kind:     hidden_block_count_y
      - .offset:         480
        .size:           4
        .value_kind:     hidden_block_count_z
      - .offset:         484
        .size:           2
        .value_kind:     hidden_group_size_x
      - .offset:         486
        .size:           2
        .value_kind:     hidden_group_size_y
      - .offset:         488
        .size:           2
        .value_kind:     hidden_group_size_z
      - .offset:         490
        .size:           2
        .value_kind:     hidden_remainder_x
      - .offset:         492
        .size:           2
        .value_kind:     hidden_remainder_y
      - .offset:         494
        .size:           2
        .value_kind:     hidden_remainder_z
      - .offset:         512
        .size:           8
        .value_kind:     hidden_global_offset_x
      - .offset:         520
        .size:           8
        .value_kind:     hidden_global_offset_y
      - .offset:         528
        .size:           8
        .value_kind:     hidden_global_offset_z
      - .offset:         536
        .size:           2
        .value_kind:     hidden_grid_dims
    .group_segment_fixed_size: 0
    .kernarg_segment_align: 8
    .kernarg_segment_size: 728
    .language:       OpenCL C
    .language_version:
      - 2
      - 0
    .max_flat_workgroup_size: 512
    .name:           _ZN2at4cuda12_GLOBAL__N_121kernelPointwiseApply2IZN12_GLOBAL__N_119poisson_cuda_kernelIdEEvRKNS_10TensorBaseES7_NS_15PhiloxCudaStateEEUlRdRKdE_ddjLi1ELi2ELi1ELi512ELi2EEEvNS0_6detail10TensorInfoIT0_T2_EENSE_IT1_SG_EESG_T_
    .private_segment_fixed_size: 0
    .sgpr_count:     100
    .sgpr_spill_count: 15
    .symbol:         _ZN2at4cuda12_GLOBAL__N_121kernelPointwiseApply2IZN12_GLOBAL__N_119poisson_cuda_kernelIdEEvRKNS_10TensorBaseES7_NS_15PhiloxCudaStateEEUlRdRKdE_ddjLi1ELi2ELi1ELi512ELi2EEEvNS0_6detail10TensorInfoIT0_T2_EENSE_IT1_SG_EESG_T_.kd
    .uniform_work_group_size: 1
    .uses_dynamic_stack: false
    .vgpr_count:     135
    .vgpr_spill_count: 0
    .wavefront_size: 64
  - .agpr_count:     0
    .args:
      - .offset:         0
        .size:           216
        .value_kind:     by_value
      - .offset:         216
        .size:           216
        .value_kind:     by_value
      - .offset:         432
        .size:           4
        .value_kind:     by_value
      - .offset:         440
        .size:           32
        .value_kind:     by_value
      - .offset:         472
        .size:           4
        .value_kind:     hidden_block_count_x
      - .offset:         476
        .size:           4
        .value_kind:     hidden_block_count_y
      - .offset:         480
        .size:           4
        .value_kind:     hidden_block_count_z
      - .offset:         484
        .size:           2
        .value_kind:     hidden_group_size_x
      - .offset:         486
        .size:           2
        .value_kind:     hidden_group_size_y
      - .offset:         488
        .size:           2
        .value_kind:     hidden_group_size_z
      - .offset:         490
        .size:           2
        .value_kind:     hidden_remainder_x
      - .offset:         492
        .size:           2
        .value_kind:     hidden_remainder_y
      - .offset:         494
        .size:           2
        .value_kind:     hidden_remainder_z
      - .offset:         512
        .size:           8
        .value_kind:     hidden_global_offset_x
      - .offset:         520
        .size:           8
        .value_kind:     hidden_global_offset_y
      - .offset:         528
        .size:           8
        .value_kind:     hidden_global_offset_z
      - .offset:         536
        .size:           2
        .value_kind:     hidden_grid_dims
    .group_segment_fixed_size: 0
    .kernarg_segment_align: 8
    .kernarg_segment_size: 728
    .language:       OpenCL C
    .language_version:
      - 2
      - 0
    .max_flat_workgroup_size: 512
    .name:           _ZN2at4cuda12_GLOBAL__N_121kernelPointwiseApply2IZN12_GLOBAL__N_119poisson_cuda_kernelIdEEvRKNS_10TensorBaseES7_NS_15PhiloxCudaStateEEUlRdRKdE_ddjLi1ELin1ELi1ELi512ELi2EEEvNS0_6detail10TensorInfoIT0_T2_EENSE_IT1_SG_EESG_T_
    .private_segment_fixed_size: 0
    .sgpr_count:     100
    .sgpr_spill_count: 19
    .symbol:         _ZN2at4cuda12_GLOBAL__N_121kernelPointwiseApply2IZN12_GLOBAL__N_119poisson_cuda_kernelIdEEvRKNS_10TensorBaseES7_NS_15PhiloxCudaStateEEUlRdRKdE_ddjLi1ELin1ELi1ELi512ELi2EEEvNS0_6detail10TensorInfoIT0_T2_EENSE_IT1_SG_EESG_T_.kd
    .uniform_work_group_size: 1
    .uses_dynamic_stack: false
    .vgpr_count:     135
    .vgpr_spill_count: 0
    .wavefront_size: 64
  - .agpr_count:     0
    .args:
      - .offset:         0
        .size:           216
        .value_kind:     by_value
      - .offset:         216
        .size:           216
        .value_kind:     by_value
      - .offset:         432
        .size:           4
        .value_kind:     by_value
      - .offset:         440
        .size:           32
        .value_kind:     by_value
      - .offset:         472
        .size:           4
        .value_kind:     hidden_block_count_x
      - .offset:         476
        .size:           4
        .value_kind:     hidden_block_count_y
      - .offset:         480
        .size:           4
        .value_kind:     hidden_block_count_z
      - .offset:         484
        .size:           2
        .value_kind:     hidden_group_size_x
      - .offset:         486
        .size:           2
        .value_kind:     hidden_group_size_y
      - .offset:         488
        .size:           2
        .value_kind:     hidden_group_size_z
      - .offset:         490
        .size:           2
        .value_kind:     hidden_remainder_x
      - .offset:         492
        .size:           2
        .value_kind:     hidden_remainder_y
      - .offset:         494
        .size:           2
        .value_kind:     hidden_remainder_z
      - .offset:         512
        .size:           8
        .value_kind:     hidden_global_offset_x
      - .offset:         520
        .size:           8
        .value_kind:     hidden_global_offset_y
      - .offset:         528
        .size:           8
        .value_kind:     hidden_global_offset_z
      - .offset:         536
        .size:           2
        .value_kind:     hidden_grid_dims
    .group_segment_fixed_size: 0
    .kernarg_segment_align: 8
    .kernarg_segment_size: 728
    .language:       OpenCL C
    .language_version:
      - 2
      - 0
    .max_flat_workgroup_size: 512
    .name:           _ZN2at4cuda12_GLOBAL__N_121kernelPointwiseApply2IZN12_GLOBAL__N_119poisson_cuda_kernelIdEEvRKNS_10TensorBaseES7_NS_15PhiloxCudaStateEEUlRdRKdE_ddjLi2ELi1ELi1ELi512ELi2EEEvNS0_6detail10TensorInfoIT0_T2_EENSE_IT1_SG_EESG_T_
    .private_segment_fixed_size: 0
    .sgpr_count:     100
    .sgpr_spill_count: 17
    .symbol:         _ZN2at4cuda12_GLOBAL__N_121kernelPointwiseApply2IZN12_GLOBAL__N_119poisson_cuda_kernelIdEEvRKNS_10TensorBaseES7_NS_15PhiloxCudaStateEEUlRdRKdE_ddjLi2ELi1ELi1ELi512ELi2EEEvNS0_6detail10TensorInfoIT0_T2_EENSE_IT1_SG_EESG_T_.kd
    .uniform_work_group_size: 1
    .uses_dynamic_stack: false
    .vgpr_count:     135
    .vgpr_spill_count: 0
    .wavefront_size: 64
  - .agpr_count:     0
    .args:
      - .offset:         0
        .size:           216
        .value_kind:     by_value
      - .offset:         216
        .size:           216
        .value_kind:     by_value
      - .offset:         432
        .size:           4
        .value_kind:     by_value
      - .offset:         440
        .size:           32
        .value_kind:     by_value
      - .offset:         472
        .size:           4
        .value_kind:     hidden_block_count_x
      - .offset:         476
        .size:           4
        .value_kind:     hidden_block_count_y
      - .offset:         480
        .size:           4
        .value_kind:     hidden_block_count_z
      - .offset:         484
        .size:           2
        .value_kind:     hidden_group_size_x
      - .offset:         486
        .size:           2
        .value_kind:     hidden_group_size_y
      - .offset:         488
        .size:           2
        .value_kind:     hidden_group_size_z
      - .offset:         490
        .size:           2
        .value_kind:     hidden_remainder_x
      - .offset:         492
        .size:           2
        .value_kind:     hidden_remainder_y
      - .offset:         494
        .size:           2
        .value_kind:     hidden_remainder_z
      - .offset:         512
        .size:           8
        .value_kind:     hidden_global_offset_x
      - .offset:         520
        .size:           8
        .value_kind:     hidden_global_offset_y
      - .offset:         528
        .size:           8
        .value_kind:     hidden_global_offset_z
      - .offset:         536
        .size:           2
        .value_kind:     hidden_grid_dims
    .group_segment_fixed_size: 0
    .kernarg_segment_align: 8
    .kernarg_segment_size: 728
    .language:       OpenCL C
    .language_version:
      - 2
      - 0
    .max_flat_workgroup_size: 512
    .name:           _ZN2at4cuda12_GLOBAL__N_121kernelPointwiseApply2IZN12_GLOBAL__N_119poisson_cuda_kernelIdEEvRKNS_10TensorBaseES7_NS_15PhiloxCudaStateEEUlRdRKdE_ddjLi2ELi2ELi1ELi512ELi2EEEvNS0_6detail10TensorInfoIT0_T2_EENSE_IT1_SG_EESG_T_
    .private_segment_fixed_size: 0
    .sgpr_count:     100
    .sgpr_spill_count: 19
    .symbol:         _ZN2at4cuda12_GLOBAL__N_121kernelPointwiseApply2IZN12_GLOBAL__N_119poisson_cuda_kernelIdEEvRKNS_10TensorBaseES7_NS_15PhiloxCudaStateEEUlRdRKdE_ddjLi2ELi2ELi1ELi512ELi2EEEvNS0_6detail10TensorInfoIT0_T2_EENSE_IT1_SG_EESG_T_.kd
    .uniform_work_group_size: 1
    .uses_dynamic_stack: false
    .vgpr_count:     137
    .vgpr_spill_count: 0
    .wavefront_size: 64
  - .agpr_count:     0
    .args:
      - .offset:         0
        .size:           216
        .value_kind:     by_value
      - .offset:         216
        .size:           216
        .value_kind:     by_value
      - .offset:         432
        .size:           4
        .value_kind:     by_value
      - .offset:         440
        .size:           32
        .value_kind:     by_value
      - .offset:         472
        .size:           4
        .value_kind:     hidden_block_count_x
      - .offset:         476
        .size:           4
        .value_kind:     hidden_block_count_y
      - .offset:         480
        .size:           4
        .value_kind:     hidden_block_count_z
      - .offset:         484
        .size:           2
        .value_kind:     hidden_group_size_x
      - .offset:         486
        .size:           2
        .value_kind:     hidden_group_size_y
      - .offset:         488
        .size:           2
        .value_kind:     hidden_group_size_z
      - .offset:         490
        .size:           2
        .value_kind:     hidden_remainder_x
      - .offset:         492
        .size:           2
        .value_kind:     hidden_remainder_y
      - .offset:         494
        .size:           2
        .value_kind:     hidden_remainder_z
      - .offset:         512
        .size:           8
        .value_kind:     hidden_global_offset_x
      - .offset:         520
        .size:           8
        .value_kind:     hidden_global_offset_y
      - .offset:         528
        .size:           8
        .value_kind:     hidden_global_offset_z
      - .offset:         536
        .size:           2
        .value_kind:     hidden_grid_dims
    .group_segment_fixed_size: 0
    .kernarg_segment_align: 8
    .kernarg_segment_size: 728
    .language:       OpenCL C
    .language_version:
      - 2
      - 0
    .max_flat_workgroup_size: 512
    .name:           _ZN2at4cuda12_GLOBAL__N_121kernelPointwiseApply2IZN12_GLOBAL__N_119poisson_cuda_kernelIdEEvRKNS_10TensorBaseES7_NS_15PhiloxCudaStateEEUlRdRKdE_ddjLi2ELin1ELi1ELi512ELi2EEEvNS0_6detail10TensorInfoIT0_T2_EENSE_IT1_SG_EESG_T_
    .private_segment_fixed_size: 0
    .sgpr_count:     100
    .sgpr_spill_count: 19
    .symbol:         _ZN2at4cuda12_GLOBAL__N_121kernelPointwiseApply2IZN12_GLOBAL__N_119poisson_cuda_kernelIdEEvRKNS_10TensorBaseES7_NS_15PhiloxCudaStateEEUlRdRKdE_ddjLi2ELin1ELi1ELi512ELi2EEEvNS0_6detail10TensorInfoIT0_T2_EENSE_IT1_SG_EESG_T_.kd
    .uniform_work_group_size: 1
    .uses_dynamic_stack: false
    .vgpr_count:     135
    .vgpr_spill_count: 0
    .wavefront_size: 64
  - .agpr_count:     0
    .args:
      - .offset:         0
        .size:           216
        .value_kind:     by_value
      - .offset:         216
        .size:           216
        .value_kind:     by_value
      - .offset:         432
        .size:           4
        .value_kind:     by_value
      - .offset:         440
        .size:           32
        .value_kind:     by_value
      - .offset:         472
        .size:           4
        .value_kind:     hidden_block_count_x
      - .offset:         476
        .size:           4
        .value_kind:     hidden_block_count_y
      - .offset:         480
        .size:           4
        .value_kind:     hidden_block_count_z
      - .offset:         484
        .size:           2
        .value_kind:     hidden_group_size_x
      - .offset:         486
        .size:           2
        .value_kind:     hidden_group_size_y
      - .offset:         488
        .size:           2
        .value_kind:     hidden_group_size_z
      - .offset:         490
        .size:           2
        .value_kind:     hidden_remainder_x
      - .offset:         492
        .size:           2
        .value_kind:     hidden_remainder_y
      - .offset:         494
        .size:           2
        .value_kind:     hidden_remainder_z
      - .offset:         512
        .size:           8
        .value_kind:     hidden_global_offset_x
      - .offset:         520
        .size:           8
        .value_kind:     hidden_global_offset_y
      - .offset:         528
        .size:           8
        .value_kind:     hidden_global_offset_z
      - .offset:         536
        .size:           2
        .value_kind:     hidden_grid_dims
    .group_segment_fixed_size: 0
    .kernarg_segment_align: 8
    .kernarg_segment_size: 728
    .language:       OpenCL C
    .language_version:
      - 2
      - 0
    .max_flat_workgroup_size: 512
    .name:           _ZN2at4cuda12_GLOBAL__N_121kernelPointwiseApply2IZN12_GLOBAL__N_119poisson_cuda_kernelIdEEvRKNS_10TensorBaseES7_NS_15PhiloxCudaStateEEUlRdRKdE_ddjLin1ELi1ELi1ELi512ELi2EEEvNS0_6detail10TensorInfoIT0_T2_EENSE_IT1_SG_EESG_T_
    .private_segment_fixed_size: 0
    .sgpr_count:     100
    .sgpr_spill_count: 17
    .symbol:         _ZN2at4cuda12_GLOBAL__N_121kernelPointwiseApply2IZN12_GLOBAL__N_119poisson_cuda_kernelIdEEvRKNS_10TensorBaseES7_NS_15PhiloxCudaStateEEUlRdRKdE_ddjLin1ELi1ELi1ELi512ELi2EEEvNS0_6detail10TensorInfoIT0_T2_EENSE_IT1_SG_EESG_T_.kd
    .uniform_work_group_size: 1
    .uses_dynamic_stack: false
    .vgpr_count:     135
    .vgpr_spill_count: 0
    .wavefront_size: 64
  - .agpr_count:     0
    .args:
      - .offset:         0
        .size:           216
        .value_kind:     by_value
      - .offset:         216
        .size:           216
        .value_kind:     by_value
      - .offset:         432
        .size:           4
        .value_kind:     by_value
      - .offset:         440
        .size:           32
        .value_kind:     by_value
      - .offset:         472
        .size:           4
        .value_kind:     hidden_block_count_x
      - .offset:         476
        .size:           4
        .value_kind:     hidden_block_count_y
      - .offset:         480
        .size:           4
        .value_kind:     hidden_block_count_z
      - .offset:         484
        .size:           2
        .value_kind:     hidden_group_size_x
      - .offset:         486
        .size:           2
        .value_kind:     hidden_group_size_y
      - .offset:         488
        .size:           2
        .value_kind:     hidden_group_size_z
      - .offset:         490
        .size:           2
        .value_kind:     hidden_remainder_x
      - .offset:         492
        .size:           2
        .value_kind:     hidden_remainder_y
      - .offset:         494
        .size:           2
        .value_kind:     hidden_remainder_z
      - .offset:         512
        .size:           8
        .value_kind:     hidden_global_offset_x
      - .offset:         520
        .size:           8
        .value_kind:     hidden_global_offset_y
      - .offset:         528
        .size:           8
        .value_kind:     hidden_global_offset_z
      - .offset:         536
        .size:           2
        .value_kind:     hidden_grid_dims
    .group_segment_fixed_size: 0
    .kernarg_segment_align: 8
    .kernarg_segment_size: 728
    .language:       OpenCL C
    .language_version:
      - 2
      - 0
    .max_flat_workgroup_size: 512
    .name:           _ZN2at4cuda12_GLOBAL__N_121kernelPointwiseApply2IZN12_GLOBAL__N_119poisson_cuda_kernelIdEEvRKNS_10TensorBaseES7_NS_15PhiloxCudaStateEEUlRdRKdE_ddjLin1ELi2ELi1ELi512ELi2EEEvNS0_6detail10TensorInfoIT0_T2_EENSE_IT1_SG_EESG_T_
    .private_segment_fixed_size: 0
    .sgpr_count:     100
    .sgpr_spill_count: 22
    .symbol:         _ZN2at4cuda12_GLOBAL__N_121kernelPointwiseApply2IZN12_GLOBAL__N_119poisson_cuda_kernelIdEEvRKNS_10TensorBaseES7_NS_15PhiloxCudaStateEEUlRdRKdE_ddjLin1ELi2ELi1ELi512ELi2EEEvNS0_6detail10TensorInfoIT0_T2_EENSE_IT1_SG_EESG_T_.kd
    .uniform_work_group_size: 1
    .uses_dynamic_stack: false
    .vgpr_count:     135
    .vgpr_spill_count: 0
    .wavefront_size: 64
  - .agpr_count:     0
    .args:
      - .offset:         0
        .size:           216
        .value_kind:     by_value
      - .offset:         216
        .size:           216
        .value_kind:     by_value
      - .offset:         432
        .size:           4
        .value_kind:     by_value
      - .offset:         440
        .size:           32
        .value_kind:     by_value
      - .offset:         472
        .size:           4
        .value_kind:     hidden_block_count_x
      - .offset:         476
        .size:           4
        .value_kind:     hidden_block_count_y
      - .offset:         480
        .size:           4
        .value_kind:     hidden_block_count_z
      - .offset:         484
        .size:           2
        .value_kind:     hidden_group_size_x
      - .offset:         486
        .size:           2
        .value_kind:     hidden_group_size_y
      - .offset:         488
        .size:           2
        .value_kind:     hidden_group_size_z
      - .offset:         490
        .size:           2
        .value_kind:     hidden_remainder_x
      - .offset:         492
        .size:           2
        .value_kind:     hidden_remainder_y
      - .offset:         494
        .size:           2
        .value_kind:     hidden_remainder_z
      - .offset:         512
        .size:           8
        .value_kind:     hidden_global_offset_x
      - .offset:         520
        .size:           8
        .value_kind:     hidden_global_offset_y
      - .offset:         528
        .size:           8
        .value_kind:     hidden_global_offset_z
      - .offset:         536
        .size:           2
        .value_kind:     hidden_grid_dims
    .group_segment_fixed_size: 0
    .kernarg_segment_align: 8
    .kernarg_segment_size: 728
    .language:       OpenCL C
    .language_version:
      - 2
      - 0
    .max_flat_workgroup_size: 512
    .name:           _ZN2at4cuda12_GLOBAL__N_121kernelPointwiseApply2IZN12_GLOBAL__N_119poisson_cuda_kernelIdEEvRKNS_10TensorBaseES7_NS_15PhiloxCudaStateEEUlRdRKdE_ddjLin1ELin1ELi1ELi512ELi2EEEvNS0_6detail10TensorInfoIT0_T2_EENSE_IT1_SG_EESG_T_
    .private_segment_fixed_size: 0
    .sgpr_count:     100
    .sgpr_spill_count: 25
    .symbol:         _ZN2at4cuda12_GLOBAL__N_121kernelPointwiseApply2IZN12_GLOBAL__N_119poisson_cuda_kernelIdEEvRKNS_10TensorBaseES7_NS_15PhiloxCudaStateEEUlRdRKdE_ddjLin1ELin1ELi1ELi512ELi2EEEvNS0_6detail10TensorInfoIT0_T2_EENSE_IT1_SG_EESG_T_.kd
    .uniform_work_group_size: 1
    .uses_dynamic_stack: false
    .vgpr_count:     135
    .vgpr_spill_count: 0
    .wavefront_size: 64
  - .agpr_count:     0
    .args:
      - .offset:         0
        .size:           416
        .value_kind:     by_value
      - .offset:         416
        .size:           416
        .value_kind:     by_value
      - .offset:         832
        .size:           8
        .value_kind:     by_value
      - .offset:         840
        .size:           32
        .value_kind:     by_value
      - .offset:         872
        .size:           4
        .value_kind:     hidden_block_count_x
      - .offset:         876
        .size:           4
        .value_kind:     hidden_block_count_y
      - .offset:         880
        .size:           4
        .value_kind:     hidden_block_count_z
      - .offset:         884
        .size:           2
        .value_kind:     hidden_group_size_x
      - .offset:         886
        .size:           2
        .value_kind:     hidden_group_size_y
      - .offset:         888
        .size:           2
        .value_kind:     hidden_group_size_z
      - .offset:         890
        .size:           2
        .value_kind:     hidden_remainder_x
      - .offset:         892
        .size:           2
        .value_kind:     hidden_remainder_y
      - .offset:         894
        .size:           2
        .value_kind:     hidden_remainder_z
      - .offset:         912
        .size:           8
        .value_kind:     hidden_global_offset_x
      - .offset:         920
        .size:           8
        .value_kind:     hidden_global_offset_y
      - .offset:         928
        .size:           8
        .value_kind:     hidden_global_offset_z
      - .offset:         936
        .size:           2
        .value_kind:     hidden_grid_dims
    .group_segment_fixed_size: 0
    .kernarg_segment_align: 8
    .kernarg_segment_size: 1128
    .language:       OpenCL C
    .language_version:
      - 2
      - 0
    .max_flat_workgroup_size: 512
    .name:           _ZN2at4cuda12_GLOBAL__N_121kernelPointwiseApply2IZN12_GLOBAL__N_119poisson_cuda_kernelIdEEvRKNS_10TensorBaseES7_NS_15PhiloxCudaStateEEUlRdRKdE_ddmLi1ELi1ELi1ELi512ELi2EEEvNS0_6detail10TensorInfoIT0_T2_EENSE_IT1_SG_EESG_T_
    .private_segment_fixed_size: 0
    .sgpr_count:     100
    .sgpr_spill_count: 23
    .symbol:         _ZN2at4cuda12_GLOBAL__N_121kernelPointwiseApply2IZN12_GLOBAL__N_119poisson_cuda_kernelIdEEvRKNS_10TensorBaseES7_NS_15PhiloxCudaStateEEUlRdRKdE_ddmLi1ELi1ELi1ELi512ELi2EEEvNS0_6detail10TensorInfoIT0_T2_EENSE_IT1_SG_EESG_T_.kd
    .uniform_work_group_size: 1
    .uses_dynamic_stack: false
    .vgpr_count:     133
    .vgpr_spill_count: 0
    .wavefront_size: 64
  - .agpr_count:     0
    .args:
      - .offset:         0
        .size:           416
        .value_kind:     by_value
      - .offset:         416
        .size:           416
        .value_kind:     by_value
      - .offset:         832
        .size:           8
        .value_kind:     by_value
      - .offset:         840
        .size:           32
        .value_kind:     by_value
      - .offset:         872
        .size:           4
        .value_kind:     hidden_block_count_x
      - .offset:         876
        .size:           4
        .value_kind:     hidden_block_count_y
      - .offset:         880
        .size:           4
        .value_kind:     hidden_block_count_z
      - .offset:         884
        .size:           2
        .value_kind:     hidden_group_size_x
      - .offset:         886
        .size:           2
        .value_kind:     hidden_group_size_y
      - .offset:         888
        .size:           2
        .value_kind:     hidden_group_size_z
      - .offset:         890
        .size:           2
        .value_kind:     hidden_remainder_x
      - .offset:         892
        .size:           2
        .value_kind:     hidden_remainder_y
      - .offset:         894
        .size:           2
        .value_kind:     hidden_remainder_z
      - .offset:         912
        .size:           8
        .value_kind:     hidden_global_offset_x
      - .offset:         920
        .size:           8
        .value_kind:     hidden_global_offset_y
      - .offset:         928
        .size:           8
        .value_kind:     hidden_global_offset_z
      - .offset:         936
        .size:           2
        .value_kind:     hidden_grid_dims
    .group_segment_fixed_size: 0
    .kernarg_segment_align: 8
    .kernarg_segment_size: 1128
    .language:       OpenCL C
    .language_version:
      - 2
      - 0
    .max_flat_workgroup_size: 512
    .name:           _ZN2at4cuda12_GLOBAL__N_121kernelPointwiseApply2IZN12_GLOBAL__N_119poisson_cuda_kernelIdEEvRKNS_10TensorBaseES7_NS_15PhiloxCudaStateEEUlRdRKdE_ddmLin1ELin1ELi1ELi512ELi2EEEvNS0_6detail10TensorInfoIT0_T2_EENSE_IT1_SG_EESG_T_
    .private_segment_fixed_size: 0
    .sgpr_count:     100
    .sgpr_spill_count: 29
    .symbol:         _ZN2at4cuda12_GLOBAL__N_121kernelPointwiseApply2IZN12_GLOBAL__N_119poisson_cuda_kernelIdEEvRKNS_10TensorBaseES7_NS_15PhiloxCudaStateEEUlRdRKdE_ddmLin1ELin1ELi1ELi512ELi2EEEvNS0_6detail10TensorInfoIT0_T2_EENSE_IT1_SG_EESG_T_.kd
    .uniform_work_group_size: 1
    .uses_dynamic_stack: false
    .vgpr_count:     135
    .vgpr_spill_count: 0
    .wavefront_size: 64
  - .agpr_count:     0
    .args:
      - .offset:         0
        .size:           216
        .value_kind:     by_value
      - .offset:         216
        .size:           216
        .value_kind:     by_value
      - .offset:         432
        .size:           4
        .value_kind:     by_value
      - .offset:         440
        .size:           32
        .value_kind:     by_value
      - .offset:         472
        .size:           4
        .value_kind:     hidden_block_count_x
      - .offset:         476
        .size:           4
        .value_kind:     hidden_block_count_y
      - .offset:         480
        .size:           4
        .value_kind:     hidden_block_count_z
      - .offset:         484
        .size:           2
        .value_kind:     hidden_group_size_x
      - .offset:         486
        .size:           2
        .value_kind:     hidden_group_size_y
      - .offset:         488
        .size:           2
        .value_kind:     hidden_group_size_z
      - .offset:         490
        .size:           2
        .value_kind:     hidden_remainder_x
      - .offset:         492
        .size:           2
        .value_kind:     hidden_remainder_y
      - .offset:         494
        .size:           2
        .value_kind:     hidden_remainder_z
      - .offset:         512
        .size:           8
        .value_kind:     hidden_global_offset_x
      - .offset:         520
        .size:           8
        .value_kind:     hidden_global_offset_y
      - .offset:         528
        .size:           8
        .value_kind:     hidden_global_offset_z
      - .offset:         536
        .size:           2
        .value_kind:     hidden_grid_dims
    .group_segment_fixed_size: 0
    .kernarg_segment_align: 8
    .kernarg_segment_size: 728
    .language:       OpenCL C
    .language_version:
      - 2
      - 0
    .max_flat_workgroup_size: 512
    .name:           _ZN2at4cuda12_GLOBAL__N_121kernelPointwiseApply2IZN12_GLOBAL__N_119poisson_cuda_kernelIfEEvRKNS_10TensorBaseES7_NS_15PhiloxCudaStateEEUlRfRKfE_ffjLi1ELi1ELi1ELi512ELi2EEEvNS0_6detail10TensorInfoIT0_T2_EENSE_IT1_SG_EESG_T_
    .private_segment_fixed_size: 0
    .sgpr_count:     100
    .sgpr_spill_count: 17
    .symbol:         _ZN2at4cuda12_GLOBAL__N_121kernelPointwiseApply2IZN12_GLOBAL__N_119poisson_cuda_kernelIfEEvRKNS_10TensorBaseES7_NS_15PhiloxCudaStateEEUlRfRKfE_ffjLi1ELi1ELi1ELi512ELi2EEEvNS0_6detail10TensorInfoIT0_T2_EENSE_IT1_SG_EESG_T_.kd
    .uniform_work_group_size: 1
    .uses_dynamic_stack: false
    .vgpr_count:     133
    .vgpr_spill_count: 0
    .wavefront_size: 64
  - .agpr_count:     0
    .args:
      - .offset:         0
        .size:           216
        .value_kind:     by_value
      - .offset:         216
        .size:           216
        .value_kind:     by_value
      - .offset:         432
        .size:           4
        .value_kind:     by_value
      - .offset:         440
        .size:           32
        .value_kind:     by_value
      - .offset:         472
        .size:           4
        .value_kind:     hidden_block_count_x
      - .offset:         476
        .size:           4
        .value_kind:     hidden_block_count_y
      - .offset:         480
        .size:           4
        .value_kind:     hidden_block_count_z
      - .offset:         484
        .size:           2
        .value_kind:     hidden_group_size_x
      - .offset:         486
        .size:           2
        .value_kind:     hidden_group_size_y
      - .offset:         488
        .size:           2
        .value_kind:     hidden_group_size_z
      - .offset:         490
        .size:           2
        .value_kind:     hidden_remainder_x
      - .offset:         492
        .size:           2
        .value_kind:     hidden_remainder_y
      - .offset:         494
        .size:           2
        .value_kind:     hidden_remainder_z
      - .offset:         512
        .size:           8
        .value_kind:     hidden_global_offset_x
      - .offset:         520
        .size:           8
        .value_kind:     hidden_global_offset_y
      - .offset:         528
        .size:           8
        .value_kind:     hidden_global_offset_z
      - .offset:         536
        .size:           2
        .value_kind:     hidden_grid_dims
    .group_segment_fixed_size: 0
    .kernarg_segment_align: 8
    .kernarg_segment_size: 728
    .language:       OpenCL C
    .language_version:
      - 2
      - 0
    .max_flat_workgroup_size: 512
    .name:           _ZN2at4cuda12_GLOBAL__N_121kernelPointwiseApply2IZN12_GLOBAL__N_119poisson_cuda_kernelIfEEvRKNS_10TensorBaseES7_NS_15PhiloxCudaStateEEUlRfRKfE_ffjLi1ELi2ELi1ELi512ELi2EEEvNS0_6detail10TensorInfoIT0_T2_EENSE_IT1_SG_EESG_T_
    .private_segment_fixed_size: 0
    .sgpr_count:     100
    .sgpr_spill_count: 15
    .symbol:         _ZN2at4cuda12_GLOBAL__N_121kernelPointwiseApply2IZN12_GLOBAL__N_119poisson_cuda_kernelIfEEvRKNS_10TensorBaseES7_NS_15PhiloxCudaStateEEUlRfRKfE_ffjLi1ELi2ELi1ELi512ELi2EEEvNS0_6detail10TensorInfoIT0_T2_EENSE_IT1_SG_EESG_T_.kd
    .uniform_work_group_size: 1
    .uses_dynamic_stack: false
    .vgpr_count:     135
    .vgpr_spill_count: 0
    .wavefront_size: 64
  - .agpr_count:     0
    .args:
      - .offset:         0
        .size:           216
        .value_kind:     by_value
      - .offset:         216
        .size:           216
        .value_kind:     by_value
      - .offset:         432
        .size:           4
        .value_kind:     by_value
      - .offset:         440
        .size:           32
        .value_kind:     by_value
      - .offset:         472
        .size:           4
        .value_kind:     hidden_block_count_x
      - .offset:         476
        .size:           4
        .value_kind:     hidden_block_count_y
      - .offset:         480
        .size:           4
        .value_kind:     hidden_block_count_z
      - .offset:         484
        .size:           2
        .value_kind:     hidden_group_size_x
      - .offset:         486
        .size:           2
        .value_kind:     hidden_group_size_y
      - .offset:         488
        .size:           2
        .value_kind:     hidden_group_size_z
      - .offset:         490
        .size:           2
        .value_kind:     hidden_remainder_x
      - .offset:         492
        .size:           2
        .value_kind:     hidden_remainder_y
      - .offset:         494
        .size:           2
        .value_kind:     hidden_remainder_z
      - .offset:         512
        .size:           8
        .value_kind:     hidden_global_offset_x
      - .offset:         520
        .size:           8
        .value_kind:     hidden_global_offset_y
      - .offset:         528
        .size:           8
        .value_kind:     hidden_global_offset_z
      - .offset:         536
        .size:           2
        .value_kind:     hidden_grid_dims
    .group_segment_fixed_size: 0
    .kernarg_segment_align: 8
    .kernarg_segment_size: 728
    .language:       OpenCL C
    .language_version:
      - 2
      - 0
    .max_flat_workgroup_size: 512
    .name:           _ZN2at4cuda12_GLOBAL__N_121kernelPointwiseApply2IZN12_GLOBAL__N_119poisson_cuda_kernelIfEEvRKNS_10TensorBaseES7_NS_15PhiloxCudaStateEEUlRfRKfE_ffjLi1ELin1ELi1ELi512ELi2EEEvNS0_6detail10TensorInfoIT0_T2_EENSE_IT1_SG_EESG_T_
    .private_segment_fixed_size: 0
    .sgpr_count:     100
    .sgpr_spill_count: 19
    .symbol:         _ZN2at4cuda12_GLOBAL__N_121kernelPointwiseApply2IZN12_GLOBAL__N_119poisson_cuda_kernelIfEEvRKNS_10TensorBaseES7_NS_15PhiloxCudaStateEEUlRfRKfE_ffjLi1ELin1ELi1ELi512ELi2EEEvNS0_6detail10TensorInfoIT0_T2_EENSE_IT1_SG_EESG_T_.kd
    .uniform_work_group_size: 1
    .uses_dynamic_stack: false
    .vgpr_count:     135
    .vgpr_spill_count: 0
    .wavefront_size: 64
  - .agpr_count:     0
    .args:
      - .offset:         0
        .size:           216
        .value_kind:     by_value
      - .offset:         216
        .size:           216
        .value_kind:     by_value
      - .offset:         432
        .size:           4
        .value_kind:     by_value
      - .offset:         440
        .size:           32
        .value_kind:     by_value
      - .offset:         472
        .size:           4
        .value_kind:     hidden_block_count_x
      - .offset:         476
        .size:           4
        .value_kind:     hidden_block_count_y
      - .offset:         480
        .size:           4
        .value_kind:     hidden_block_count_z
      - .offset:         484
        .size:           2
        .value_kind:     hidden_group_size_x
      - .offset:         486
        .size:           2
        .value_kind:     hidden_group_size_y
      - .offset:         488
        .size:           2
        .value_kind:     hidden_group_size_z
      - .offset:         490
        .size:           2
        .value_kind:     hidden_remainder_x
      - .offset:         492
        .size:           2
        .value_kind:     hidden_remainder_y
      - .offset:         494
        .size:           2
        .value_kind:     hidden_remainder_z
      - .offset:         512
        .size:           8
        .value_kind:     hidden_global_offset_x
      - .offset:         520
        .size:           8
        .value_kind:     hidden_global_offset_y
      - .offset:         528
        .size:           8
        .value_kind:     hidden_global_offset_z
      - .offset:         536
        .size:           2
        .value_kind:     hidden_grid_dims
    .group_segment_fixed_size: 0
    .kernarg_segment_align: 8
    .kernarg_segment_size: 728
    .language:       OpenCL C
    .language_version:
      - 2
      - 0
    .max_flat_workgroup_size: 512
    .name:           _ZN2at4cuda12_GLOBAL__N_121kernelPointwiseApply2IZN12_GLOBAL__N_119poisson_cuda_kernelIfEEvRKNS_10TensorBaseES7_NS_15PhiloxCudaStateEEUlRfRKfE_ffjLi2ELi1ELi1ELi512ELi2EEEvNS0_6detail10TensorInfoIT0_T2_EENSE_IT1_SG_EESG_T_
    .private_segment_fixed_size: 0
    .sgpr_count:     100
    .sgpr_spill_count: 17
    .symbol:         _ZN2at4cuda12_GLOBAL__N_121kernelPointwiseApply2IZN12_GLOBAL__N_119poisson_cuda_kernelIfEEvRKNS_10TensorBaseES7_NS_15PhiloxCudaStateEEUlRfRKfE_ffjLi2ELi1ELi1ELi512ELi2EEEvNS0_6detail10TensorInfoIT0_T2_EENSE_IT1_SG_EESG_T_.kd
    .uniform_work_group_size: 1
    .uses_dynamic_stack: false
    .vgpr_count:     135
    .vgpr_spill_count: 0
    .wavefront_size: 64
  - .agpr_count:     0
    .args:
      - .offset:         0
        .size:           216
        .value_kind:     by_value
      - .offset:         216
        .size:           216
        .value_kind:     by_value
      - .offset:         432
        .size:           4
        .value_kind:     by_value
      - .offset:         440
        .size:           32
        .value_kind:     by_value
      - .offset:         472
        .size:           4
        .value_kind:     hidden_block_count_x
      - .offset:         476
        .size:           4
        .value_kind:     hidden_block_count_y
      - .offset:         480
        .size:           4
        .value_kind:     hidden_block_count_z
      - .offset:         484
        .size:           2
        .value_kind:     hidden_group_size_x
      - .offset:         486
        .size:           2
        .value_kind:     hidden_group_size_y
      - .offset:         488
        .size:           2
        .value_kind:     hidden_group_size_z
      - .offset:         490
        .size:           2
        .value_kind:     hidden_remainder_x
      - .offset:         492
        .size:           2
        .value_kind:     hidden_remainder_y
      - .offset:         494
        .size:           2
        .value_kind:     hidden_remainder_z
      - .offset:         512
        .size:           8
        .value_kind:     hidden_global_offset_x
      - .offset:         520
        .size:           8
        .value_kind:     hidden_global_offset_y
      - .offset:         528
        .size:           8
        .value_kind:     hidden_global_offset_z
      - .offset:         536
        .size:           2
        .value_kind:     hidden_grid_dims
    .group_segment_fixed_size: 0
    .kernarg_segment_align: 8
    .kernarg_segment_size: 728
    .language:       OpenCL C
    .language_version:
      - 2
      - 0
    .max_flat_workgroup_size: 512
    .name:           _ZN2at4cuda12_GLOBAL__N_121kernelPointwiseApply2IZN12_GLOBAL__N_119poisson_cuda_kernelIfEEvRKNS_10TensorBaseES7_NS_15PhiloxCudaStateEEUlRfRKfE_ffjLi2ELi2ELi1ELi512ELi2EEEvNS0_6detail10TensorInfoIT0_T2_EENSE_IT1_SG_EESG_T_
    .private_segment_fixed_size: 0
    .sgpr_count:     100
    .sgpr_spill_count: 19
    .symbol:         _ZN2at4cuda12_GLOBAL__N_121kernelPointwiseApply2IZN12_GLOBAL__N_119poisson_cuda_kernelIfEEvRKNS_10TensorBaseES7_NS_15PhiloxCudaStateEEUlRfRKfE_ffjLi2ELi2ELi1ELi512ELi2EEEvNS0_6detail10TensorInfoIT0_T2_EENSE_IT1_SG_EESG_T_.kd
    .uniform_work_group_size: 1
    .uses_dynamic_stack: false
    .vgpr_count:     137
    .vgpr_spill_count: 0
    .wavefront_size: 64
  - .agpr_count:     0
    .args:
      - .offset:         0
        .size:           216
        .value_kind:     by_value
      - .offset:         216
        .size:           216
        .value_kind:     by_value
      - .offset:         432
        .size:           4
        .value_kind:     by_value
      - .offset:         440
        .size:           32
        .value_kind:     by_value
      - .offset:         472
        .size:           4
        .value_kind:     hidden_block_count_x
      - .offset:         476
        .size:           4
        .value_kind:     hidden_block_count_y
      - .offset:         480
        .size:           4
        .value_kind:     hidden_block_count_z
      - .offset:         484
        .size:           2
        .value_kind:     hidden_group_size_x
      - .offset:         486
        .size:           2
        .value_kind:     hidden_group_size_y
      - .offset:         488
        .size:           2
        .value_kind:     hidden_group_size_z
      - .offset:         490
        .size:           2
        .value_kind:     hidden_remainder_x
      - .offset:         492
        .size:           2
        .value_kind:     hidden_remainder_y
      - .offset:         494
        .size:           2
        .value_kind:     hidden_remainder_z
      - .offset:         512
        .size:           8
        .value_kind:     hidden_global_offset_x
      - .offset:         520
        .size:           8
        .value_kind:     hidden_global_offset_y
      - .offset:         528
        .size:           8
        .value_kind:     hidden_global_offset_z
      - .offset:         536
        .size:           2
        .value_kind:     hidden_grid_dims
    .group_segment_fixed_size: 0
    .kernarg_segment_align: 8
    .kernarg_segment_size: 728
    .language:       OpenCL C
    .language_version:
      - 2
      - 0
    .max_flat_workgroup_size: 512
    .name:           _ZN2at4cuda12_GLOBAL__N_121kernelPointwiseApply2IZN12_GLOBAL__N_119poisson_cuda_kernelIfEEvRKNS_10TensorBaseES7_NS_15PhiloxCudaStateEEUlRfRKfE_ffjLi2ELin1ELi1ELi512ELi2EEEvNS0_6detail10TensorInfoIT0_T2_EENSE_IT1_SG_EESG_T_
    .private_segment_fixed_size: 0
    .sgpr_count:     100
    .sgpr_spill_count: 19
    .symbol:         _ZN2at4cuda12_GLOBAL__N_121kernelPointwiseApply2IZN12_GLOBAL__N_119poisson_cuda_kernelIfEEvRKNS_10TensorBaseES7_NS_15PhiloxCudaStateEEUlRfRKfE_ffjLi2ELin1ELi1ELi512ELi2EEEvNS0_6detail10TensorInfoIT0_T2_EENSE_IT1_SG_EESG_T_.kd
    .uniform_work_group_size: 1
    .uses_dynamic_stack: false
    .vgpr_count:     135
    .vgpr_spill_count: 0
    .wavefront_size: 64
  - .agpr_count:     0
    .args:
      - .offset:         0
        .size:           216
        .value_kind:     by_value
      - .offset:         216
        .size:           216
        .value_kind:     by_value
      - .offset:         432
        .size:           4
        .value_kind:     by_value
      - .offset:         440
        .size:           32
        .value_kind:     by_value
      - .offset:         472
        .size:           4
        .value_kind:     hidden_block_count_x
      - .offset:         476
        .size:           4
        .value_kind:     hidden_block_count_y
      - .offset:         480
        .size:           4
        .value_kind:     hidden_block_count_z
      - .offset:         484
        .size:           2
        .value_kind:     hidden_group_size_x
      - .offset:         486
        .size:           2
        .value_kind:     hidden_group_size_y
      - .offset:         488
        .size:           2
        .value_kind:     hidden_group_size_z
      - .offset:         490
        .size:           2
        .value_kind:     hidden_remainder_x
      - .offset:         492
        .size:           2
        .value_kind:     hidden_remainder_y
      - .offset:         494
        .size:           2
        .value_kind:     hidden_remainder_z
      - .offset:         512
        .size:           8
        .value_kind:     hidden_global_offset_x
      - .offset:         520
        .size:           8
        .value_kind:     hidden_global_offset_y
      - .offset:         528
        .size:           8
        .value_kind:     hidden_global_offset_z
      - .offset:         536
        .size:           2
        .value_kind:     hidden_grid_dims
    .group_segment_fixed_size: 0
    .kernarg_segment_align: 8
    .kernarg_segment_size: 728
    .language:       OpenCL C
    .language_version:
      - 2
      - 0
    .max_flat_workgroup_size: 512
    .name:           _ZN2at4cuda12_GLOBAL__N_121kernelPointwiseApply2IZN12_GLOBAL__N_119poisson_cuda_kernelIfEEvRKNS_10TensorBaseES7_NS_15PhiloxCudaStateEEUlRfRKfE_ffjLin1ELi1ELi1ELi512ELi2EEEvNS0_6detail10TensorInfoIT0_T2_EENSE_IT1_SG_EESG_T_
    .private_segment_fixed_size: 0
    .sgpr_count:     100
    .sgpr_spill_count: 17
    .symbol:         _ZN2at4cuda12_GLOBAL__N_121kernelPointwiseApply2IZN12_GLOBAL__N_119poisson_cuda_kernelIfEEvRKNS_10TensorBaseES7_NS_15PhiloxCudaStateEEUlRfRKfE_ffjLin1ELi1ELi1ELi512ELi2EEEvNS0_6detail10TensorInfoIT0_T2_EENSE_IT1_SG_EESG_T_.kd
    .uniform_work_group_size: 1
    .uses_dynamic_stack: false
    .vgpr_count:     135
    .vgpr_spill_count: 0
    .wavefront_size: 64
  - .agpr_count:     0
    .args:
      - .offset:         0
        .size:           216
        .value_kind:     by_value
      - .offset:         216
        .size:           216
        .value_kind:     by_value
      - .offset:         432
        .size:           4
        .value_kind:     by_value
      - .offset:         440
        .size:           32
        .value_kind:     by_value
      - .offset:         472
        .size:           4
        .value_kind:     hidden_block_count_x
      - .offset:         476
        .size:           4
        .value_kind:     hidden_block_count_y
      - .offset:         480
        .size:           4
        .value_kind:     hidden_block_count_z
      - .offset:         484
        .size:           2
        .value_kind:     hidden_group_size_x
      - .offset:         486
        .size:           2
        .value_kind:     hidden_group_size_y
      - .offset:         488
        .size:           2
        .value_kind:     hidden_group_size_z
      - .offset:         490
        .size:           2
        .value_kind:     hidden_remainder_x
      - .offset:         492
        .size:           2
        .value_kind:     hidden_remainder_y
      - .offset:         494
        .size:           2
        .value_kind:     hidden_remainder_z
      - .offset:         512
        .size:           8
        .value_kind:     hidden_global_offset_x
      - .offset:         520
        .size:           8
        .value_kind:     hidden_global_offset_y
      - .offset:         528
        .size:           8
        .value_kind:     hidden_global_offset_z
      - .offset:         536
        .size:           2
        .value_kind:     hidden_grid_dims
    .group_segment_fixed_size: 0
    .kernarg_segment_align: 8
    .kernarg_segment_size: 728
    .language:       OpenCL C
    .language_version:
      - 2
      - 0
    .max_flat_workgroup_size: 512
    .name:           _ZN2at4cuda12_GLOBAL__N_121kernelPointwiseApply2IZN12_GLOBAL__N_119poisson_cuda_kernelIfEEvRKNS_10TensorBaseES7_NS_15PhiloxCudaStateEEUlRfRKfE_ffjLin1ELi2ELi1ELi512ELi2EEEvNS0_6detail10TensorInfoIT0_T2_EENSE_IT1_SG_EESG_T_
    .private_segment_fixed_size: 0
    .sgpr_count:     100
    .sgpr_spill_count: 22
    .symbol:         _ZN2at4cuda12_GLOBAL__N_121kernelPointwiseApply2IZN12_GLOBAL__N_119poisson_cuda_kernelIfEEvRKNS_10TensorBaseES7_NS_15PhiloxCudaStateEEUlRfRKfE_ffjLin1ELi2ELi1ELi512ELi2EEEvNS0_6detail10TensorInfoIT0_T2_EENSE_IT1_SG_EESG_T_.kd
    .uniform_work_group_size: 1
    .uses_dynamic_stack: false
    .vgpr_count:     135
    .vgpr_spill_count: 0
    .wavefront_size: 64
  - .agpr_count:     0
    .args:
      - .offset:         0
        .size:           216
        .value_kind:     by_value
      - .offset:         216
        .size:           216
        .value_kind:     by_value
      - .offset:         432
        .size:           4
        .value_kind:     by_value
      - .offset:         440
        .size:           32
        .value_kind:     by_value
      - .offset:         472
        .size:           4
        .value_kind:     hidden_block_count_x
      - .offset:         476
        .size:           4
        .value_kind:     hidden_block_count_y
      - .offset:         480
        .size:           4
        .value_kind:     hidden_block_count_z
      - .offset:         484
        .size:           2
        .value_kind:     hidden_group_size_x
      - .offset:         486
        .size:           2
        .value_kind:     hidden_group_size_y
      - .offset:         488
        .size:           2
        .value_kind:     hidden_group_size_z
      - .offset:         490
        .size:           2
        .value_kind:     hidden_remainder_x
      - .offset:         492
        .size:           2
        .value_kind:     hidden_remainder_y
      - .offset:         494
        .size:           2
        .value_kind:     hidden_remainder_z
      - .offset:         512
        .size:           8
        .value_kind:     hidden_global_offset_x
      - .offset:         520
        .size:           8
        .value_kind:     hidden_global_offset_y
      - .offset:         528
        .size:           8
        .value_kind:     hidden_global_offset_z
      - .offset:         536
        .size:           2
        .value_kind:     hidden_grid_dims
    .group_segment_fixed_size: 0
    .kernarg_segment_align: 8
    .kernarg_segment_size: 728
    .language:       OpenCL C
    .language_version:
      - 2
      - 0
    .max_flat_workgroup_size: 512
    .name:           _ZN2at4cuda12_GLOBAL__N_121kernelPointwiseApply2IZN12_GLOBAL__N_119poisson_cuda_kernelIfEEvRKNS_10TensorBaseES7_NS_15PhiloxCudaStateEEUlRfRKfE_ffjLin1ELin1ELi1ELi512ELi2EEEvNS0_6detail10TensorInfoIT0_T2_EENSE_IT1_SG_EESG_T_
    .private_segment_fixed_size: 0
    .sgpr_count:     100
    .sgpr_spill_count: 25
    .symbol:         _ZN2at4cuda12_GLOBAL__N_121kernelPointwiseApply2IZN12_GLOBAL__N_119poisson_cuda_kernelIfEEvRKNS_10TensorBaseES7_NS_15PhiloxCudaStateEEUlRfRKfE_ffjLin1ELin1ELi1ELi512ELi2EEEvNS0_6detail10TensorInfoIT0_T2_EENSE_IT1_SG_EESG_T_.kd
    .uniform_work_group_size: 1
    .uses_dynamic_stack: false
    .vgpr_count:     135
    .vgpr_spill_count: 0
    .wavefront_size: 64
  - .agpr_count:     0
    .args:
      - .offset:         0
        .size:           416
        .value_kind:     by_value
      - .offset:         416
        .size:           416
        .value_kind:     by_value
      - .offset:         832
        .size:           8
        .value_kind:     by_value
      - .offset:         840
        .size:           32
        .value_kind:     by_value
      - .offset:         872
        .size:           4
        .value_kind:     hidden_block_count_x
      - .offset:         876
        .size:           4
        .value_kind:     hidden_block_count_y
      - .offset:         880
        .size:           4
        .value_kind:     hidden_block_count_z
      - .offset:         884
        .size:           2
        .value_kind:     hidden_group_size_x
      - .offset:         886
        .size:           2
        .value_kind:     hidden_group_size_y
      - .offset:         888
        .size:           2
        .value_kind:     hidden_group_size_z
      - .offset:         890
        .size:           2
        .value_kind:     hidden_remainder_x
      - .offset:         892
        .size:           2
        .value_kind:     hidden_remainder_y
      - .offset:         894
        .size:           2
        .value_kind:     hidden_remainder_z
      - .offset:         912
        .size:           8
        .value_kind:     hidden_global_offset_x
      - .offset:         920
        .size:           8
        .value_kind:     hidden_global_offset_y
      - .offset:         928
        .size:           8
        .value_kind:     hidden_global_offset_z
      - .offset:         936
        .size:           2
        .value_kind:     hidden_grid_dims
    .group_segment_fixed_size: 0
    .kernarg_segment_align: 8
    .kernarg_segment_size: 1128
    .language:       OpenCL C
    .language_version:
      - 2
      - 0
    .max_flat_workgroup_size: 512
    .name:           _ZN2at4cuda12_GLOBAL__N_121kernelPointwiseApply2IZN12_GLOBAL__N_119poisson_cuda_kernelIfEEvRKNS_10TensorBaseES7_NS_15PhiloxCudaStateEEUlRfRKfE_ffmLi1ELi1ELi1ELi512ELi2EEEvNS0_6detail10TensorInfoIT0_T2_EENSE_IT1_SG_EESG_T_
    .private_segment_fixed_size: 0
    .sgpr_count:     100
    .sgpr_spill_count: 23
    .symbol:         _ZN2at4cuda12_GLOBAL__N_121kernelPointwiseApply2IZN12_GLOBAL__N_119poisson_cuda_kernelIfEEvRKNS_10TensorBaseES7_NS_15PhiloxCudaStateEEUlRfRKfE_ffmLi1ELi1ELi1ELi512ELi2EEEvNS0_6detail10TensorInfoIT0_T2_EENSE_IT1_SG_EESG_T_.kd
    .uniform_work_group_size: 1
    .uses_dynamic_stack: false
    .vgpr_count:     133
    .vgpr_spill_count: 0
    .wavefront_size: 64
  - .agpr_count:     0
    .args:
      - .offset:         0
        .size:           416
        .value_kind:     by_value
      - .offset:         416
        .size:           416
        .value_kind:     by_value
      - .offset:         832
        .size:           8
        .value_kind:     by_value
      - .offset:         840
        .size:           32
        .value_kind:     by_value
      - .offset:         872
        .size:           4
        .value_kind:     hidden_block_count_x
      - .offset:         876
        .size:           4
        .value_kind:     hidden_block_count_y
      - .offset:         880
        .size:           4
        .value_kind:     hidden_block_count_z
      - .offset:         884
        .size:           2
        .value_kind:     hidden_group_size_x
      - .offset:         886
        .size:           2
        .value_kind:     hidden_group_size_y
      - .offset:         888
        .size:           2
        .value_kind:     hidden_group_size_z
      - .offset:         890
        .size:           2
        .value_kind:     hidden_remainder_x
      - .offset:         892
        .size:           2
        .value_kind:     hidden_remainder_y
      - .offset:         894
        .size:           2
        .value_kind:     hidden_remainder_z
      - .offset:         912
        .size:           8
        .value_kind:     hidden_global_offset_x
      - .offset:         920
        .size:           8
        .value_kind:     hidden_global_offset_y
      - .offset:         928
        .size:           8
        .value_kind:     hidden_global_offset_z
      - .offset:         936
        .size:           2
        .value_kind:     hidden_grid_dims
    .group_segment_fixed_size: 0
    .kernarg_segment_align: 8
    .kernarg_segment_size: 1128
    .language:       OpenCL C
    .language_version:
      - 2
      - 0
    .max_flat_workgroup_size: 512
    .name:           _ZN2at4cuda12_GLOBAL__N_121kernelPointwiseApply2IZN12_GLOBAL__N_119poisson_cuda_kernelIfEEvRKNS_10TensorBaseES7_NS_15PhiloxCudaStateEEUlRfRKfE_ffmLin1ELin1ELi1ELi512ELi2EEEvNS0_6detail10TensorInfoIT0_T2_EENSE_IT1_SG_EESG_T_
    .private_segment_fixed_size: 0
    .sgpr_count:     100
    .sgpr_spill_count: 29
    .symbol:         _ZN2at4cuda12_GLOBAL__N_121kernelPointwiseApply2IZN12_GLOBAL__N_119poisson_cuda_kernelIfEEvRKNS_10TensorBaseES7_NS_15PhiloxCudaStateEEUlRfRKfE_ffmLin1ELin1ELi1ELi512ELi2EEEvNS0_6detail10TensorInfoIT0_T2_EENSE_IT1_SG_EESG_T_.kd
    .uniform_work_group_size: 1
    .uses_dynamic_stack: false
    .vgpr_count:     135
    .vgpr_spill_count: 0
    .wavefront_size: 64
  - .agpr_count:     0
    .args:
      - .offset:         0
        .size:           216
        .value_kind:     by_value
      - .offset:         216
        .size:           216
        .value_kind:     by_value
      - .offset:         432
        .size:           4
        .value_kind:     by_value
      - .offset:         440
        .size:           32
        .value_kind:     by_value
      - .offset:         472
        .size:           4
        .value_kind:     hidden_block_count_x
      - .offset:         476
        .size:           4
        .value_kind:     hidden_block_count_y
      - .offset:         480
        .size:           4
        .value_kind:     hidden_block_count_z
      - .offset:         484
        .size:           2
        .value_kind:     hidden_group_size_x
      - .offset:         486
        .size:           2
        .value_kind:     hidden_group_size_y
      - .offset:         488
        .size:           2
        .value_kind:     hidden_group_size_z
      - .offset:         490
        .size:           2
        .value_kind:     hidden_remainder_x
      - .offset:         492
        .size:           2
        .value_kind:     hidden_remainder_y
      - .offset:         494
        .size:           2
        .value_kind:     hidden_remainder_z
      - .offset:         512
        .size:           8
        .value_kind:     hidden_global_offset_x
      - .offset:         520
        .size:           8
        .value_kind:     hidden_global_offset_y
      - .offset:         528
        .size:           8
        .value_kind:     hidden_global_offset_z
      - .offset:         536
        .size:           2
        .value_kind:     hidden_grid_dims
    .group_segment_fixed_size: 0
    .kernarg_segment_align: 8
    .kernarg_segment_size: 728
    .language:       OpenCL C
    .language_version:
      - 2
      - 0
    .max_flat_workgroup_size: 512
    .name:           _ZN2at4cuda12_GLOBAL__N_121kernelPointwiseApply2IZN12_GLOBAL__N_119poisson_cuda_kernelIN3c104HalfEEEvRKNS_10TensorBaseES9_NS_15PhiloxCudaStateEEUlRS6_RKS6_E_S6_S6_jLi1ELi1ELi1ELi512ELi2EEEvNS0_6detail10TensorInfoIT0_T2_EENSG_IT1_SI_EESI_T_
    .private_segment_fixed_size: 0
    .sgpr_count:     100
    .sgpr_spill_count: 17
    .symbol:         _ZN2at4cuda12_GLOBAL__N_121kernelPointwiseApply2IZN12_GLOBAL__N_119poisson_cuda_kernelIN3c104HalfEEEvRKNS_10TensorBaseES9_NS_15PhiloxCudaStateEEUlRS6_RKS6_E_S6_S6_jLi1ELi1ELi1ELi512ELi2EEEvNS0_6detail10TensorInfoIT0_T2_EENSG_IT1_SI_EESI_T_.kd
    .uniform_work_group_size: 1
    .uses_dynamic_stack: false
    .vgpr_count:     133
    .vgpr_spill_count: 0
    .wavefront_size: 64
  - .agpr_count:     0
    .args:
      - .offset:         0
        .size:           216
        .value_kind:     by_value
      - .offset:         216
        .size:           216
        .value_kind:     by_value
      - .offset:         432
        .size:           4
        .value_kind:     by_value
      - .offset:         440
        .size:           32
        .value_kind:     by_value
      - .offset:         472
        .size:           4
        .value_kind:     hidden_block_count_x
      - .offset:         476
        .size:           4
        .value_kind:     hidden_block_count_y
      - .offset:         480
        .size:           4
        .value_kind:     hidden_block_count_z
      - .offset:         484
        .size:           2
        .value_kind:     hidden_group_size_x
      - .offset:         486
        .size:           2
        .value_kind:     hidden_group_size_y
      - .offset:         488
        .size:           2
        .value_kind:     hidden_group_size_z
      - .offset:         490
        .size:           2
        .value_kind:     hidden_remainder_x
      - .offset:         492
        .size:           2
        .value_kind:     hidden_remainder_y
      - .offset:         494
        .size:           2
        .value_kind:     hidden_remainder_z
      - .offset:         512
        .size:           8
        .value_kind:     hidden_global_offset_x
      - .offset:         520
        .size:           8
        .value_kind:     hidden_global_offset_y
      - .offset:         528
        .size:           8
        .value_kind:     hidden_global_offset_z
      - .offset:         536
        .size:           2
        .value_kind:     hidden_grid_dims
    .group_segment_fixed_size: 0
    .kernarg_segment_align: 8
    .kernarg_segment_size: 728
    .language:       OpenCL C
    .language_version:
      - 2
      - 0
    .max_flat_workgroup_size: 512
    .name:           _ZN2at4cuda12_GLOBAL__N_121kernelPointwiseApply2IZN12_GLOBAL__N_119poisson_cuda_kernelIN3c104HalfEEEvRKNS_10TensorBaseES9_NS_15PhiloxCudaStateEEUlRS6_RKS6_E_S6_S6_jLi1ELi2ELi1ELi512ELi2EEEvNS0_6detail10TensorInfoIT0_T2_EENSG_IT1_SI_EESI_T_
    .private_segment_fixed_size: 0
    .sgpr_count:     100
    .sgpr_spill_count: 15
    .symbol:         _ZN2at4cuda12_GLOBAL__N_121kernelPointwiseApply2IZN12_GLOBAL__N_119poisson_cuda_kernelIN3c104HalfEEEvRKNS_10TensorBaseES9_NS_15PhiloxCudaStateEEUlRS6_RKS6_E_S6_S6_jLi1ELi2ELi1ELi512ELi2EEEvNS0_6detail10TensorInfoIT0_T2_EENSG_IT1_SI_EESI_T_.kd
    .uniform_work_group_size: 1
    .uses_dynamic_stack: false
    .vgpr_count:     135
    .vgpr_spill_count: 0
    .wavefront_size: 64
  - .agpr_count:     0
    .args:
      - .offset:         0
        .size:           216
        .value_kind:     by_value
      - .offset:         216
        .size:           216
        .value_kind:     by_value
      - .offset:         432
        .size:           4
        .value_kind:     by_value
      - .offset:         440
        .size:           32
        .value_kind:     by_value
      - .offset:         472
        .size:           4
        .value_kind:     hidden_block_count_x
      - .offset:         476
        .size:           4
        .value_kind:     hidden_block_count_y
      - .offset:         480
        .size:           4
        .value_kind:     hidden_block_count_z
      - .offset:         484
        .size:           2
        .value_kind:     hidden_group_size_x
      - .offset:         486
        .size:           2
        .value_kind:     hidden_group_size_y
      - .offset:         488
        .size:           2
        .value_kind:     hidden_group_size_z
      - .offset:         490
        .size:           2
        .value_kind:     hidden_remainder_x
      - .offset:         492
        .size:           2
        .value_kind:     hidden_remainder_y
      - .offset:         494
        .size:           2
        .value_kind:     hidden_remainder_z
      - .offset:         512
        .size:           8
        .value_kind:     hidden_global_offset_x
      - .offset:         520
        .size:           8
        .value_kind:     hidden_global_offset_y
      - .offset:         528
        .size:           8
        .value_kind:     hidden_global_offset_z
      - .offset:         536
        .size:           2
        .value_kind:     hidden_grid_dims
    .group_segment_fixed_size: 0
    .kernarg_segment_align: 8
    .kernarg_segment_size: 728
    .language:       OpenCL C
    .language_version:
      - 2
      - 0
    .max_flat_workgroup_size: 512
    .name:           _ZN2at4cuda12_GLOBAL__N_121kernelPointwiseApply2IZN12_GLOBAL__N_119poisson_cuda_kernelIN3c104HalfEEEvRKNS_10TensorBaseES9_NS_15PhiloxCudaStateEEUlRS6_RKS6_E_S6_S6_jLi1ELin1ELi1ELi512ELi2EEEvNS0_6detail10TensorInfoIT0_T2_EENSG_IT1_SI_EESI_T_
    .private_segment_fixed_size: 0
    .sgpr_count:     100
    .sgpr_spill_count: 19
    .symbol:         _ZN2at4cuda12_GLOBAL__N_121kernelPointwiseApply2IZN12_GLOBAL__N_119poisson_cuda_kernelIN3c104HalfEEEvRKNS_10TensorBaseES9_NS_15PhiloxCudaStateEEUlRS6_RKS6_E_S6_S6_jLi1ELin1ELi1ELi512ELi2EEEvNS0_6detail10TensorInfoIT0_T2_EENSG_IT1_SI_EESI_T_.kd
    .uniform_work_group_size: 1
    .uses_dynamic_stack: false
    .vgpr_count:     135
    .vgpr_spill_count: 0
    .wavefront_size: 64
  - .agpr_count:     0
    .args:
      - .offset:         0
        .size:           216
        .value_kind:     by_value
      - .offset:         216
        .size:           216
        .value_kind:     by_value
      - .offset:         432
        .size:           4
        .value_kind:     by_value
      - .offset:         440
        .size:           32
        .value_kind:     by_value
      - .offset:         472
        .size:           4
        .value_kind:     hidden_block_count_x
      - .offset:         476
        .size:           4
        .value_kind:     hidden_block_count_y
      - .offset:         480
        .size:           4
        .value_kind:     hidden_block_count_z
      - .offset:         484
        .size:           2
        .value_kind:     hidden_group_size_x
      - .offset:         486
        .size:           2
        .value_kind:     hidden_group_size_y
      - .offset:         488
        .size:           2
        .value_kind:     hidden_group_size_z
      - .offset:         490
        .size:           2
        .value_kind:     hidden_remainder_x
      - .offset:         492
        .size:           2
        .value_kind:     hidden_remainder_y
      - .offset:         494
        .size:           2
        .value_kind:     hidden_remainder_z
      - .offset:         512
        .size:           8
        .value_kind:     hidden_global_offset_x
      - .offset:         520
        .size:           8
        .value_kind:     hidden_global_offset_y
      - .offset:         528
        .size:           8
        .value_kind:     hidden_global_offset_z
      - .offset:         536
        .size:           2
        .value_kind:     hidden_grid_dims
    .group_segment_fixed_size: 0
    .kernarg_segment_align: 8
    .kernarg_segment_size: 728
    .language:       OpenCL C
    .language_version:
      - 2
      - 0
    .max_flat_workgroup_size: 512
    .name:           _ZN2at4cuda12_GLOBAL__N_121kernelPointwiseApply2IZN12_GLOBAL__N_119poisson_cuda_kernelIN3c104HalfEEEvRKNS_10TensorBaseES9_NS_15PhiloxCudaStateEEUlRS6_RKS6_E_S6_S6_jLi2ELi1ELi1ELi512ELi2EEEvNS0_6detail10TensorInfoIT0_T2_EENSG_IT1_SI_EESI_T_
    .private_segment_fixed_size: 0
    .sgpr_count:     100
    .sgpr_spill_count: 17
    .symbol:         _ZN2at4cuda12_GLOBAL__N_121kernelPointwiseApply2IZN12_GLOBAL__N_119poisson_cuda_kernelIN3c104HalfEEEvRKNS_10TensorBaseES9_NS_15PhiloxCudaStateEEUlRS6_RKS6_E_S6_S6_jLi2ELi1ELi1ELi512ELi2EEEvNS0_6detail10TensorInfoIT0_T2_EENSG_IT1_SI_EESI_T_.kd
    .uniform_work_group_size: 1
    .uses_dynamic_stack: false
    .vgpr_count:     135
    .vgpr_spill_count: 0
    .wavefront_size: 64
  - .agpr_count:     0
    .args:
      - .offset:         0
        .size:           216
        .value_kind:     by_value
      - .offset:         216
        .size:           216
        .value_kind:     by_value
      - .offset:         432
        .size:           4
        .value_kind:     by_value
      - .offset:         440
        .size:           32
        .value_kind:     by_value
      - .offset:         472
        .size:           4
        .value_kind:     hidden_block_count_x
      - .offset:         476
        .size:           4
        .value_kind:     hidden_block_count_y
      - .offset:         480
        .size:           4
        .value_kind:     hidden_block_count_z
      - .offset:         484
        .size:           2
        .value_kind:     hidden_group_size_x
      - .offset:         486
        .size:           2
        .value_kind:     hidden_group_size_y
      - .offset:         488
        .size:           2
        .value_kind:     hidden_group_size_z
      - .offset:         490
        .size:           2
        .value_kind:     hidden_remainder_x
      - .offset:         492
        .size:           2
        .value_kind:     hidden_remainder_y
      - .offset:         494
        .size:           2
        .value_kind:     hidden_remainder_z
      - .offset:         512
        .size:           8
        .value_kind:     hidden_global_offset_x
      - .offset:         520
        .size:           8
        .value_kind:     hidden_global_offset_y
      - .offset:         528
        .size:           8
        .value_kind:     hidden_global_offset_z
      - .offset:         536
        .size:           2
        .value_kind:     hidden_grid_dims
    .group_segment_fixed_size: 0
    .kernarg_segment_align: 8
    .kernarg_segment_size: 728
    .language:       OpenCL C
    .language_version:
      - 2
      - 0
    .max_flat_workgroup_size: 512
    .name:           _ZN2at4cuda12_GLOBAL__N_121kernelPointwiseApply2IZN12_GLOBAL__N_119poisson_cuda_kernelIN3c104HalfEEEvRKNS_10TensorBaseES9_NS_15PhiloxCudaStateEEUlRS6_RKS6_E_S6_S6_jLi2ELi2ELi1ELi512ELi2EEEvNS0_6detail10TensorInfoIT0_T2_EENSG_IT1_SI_EESI_T_
    .private_segment_fixed_size: 0
    .sgpr_count:     100
    .sgpr_spill_count: 19
    .symbol:         _ZN2at4cuda12_GLOBAL__N_121kernelPointwiseApply2IZN12_GLOBAL__N_119poisson_cuda_kernelIN3c104HalfEEEvRKNS_10TensorBaseES9_NS_15PhiloxCudaStateEEUlRS6_RKS6_E_S6_S6_jLi2ELi2ELi1ELi512ELi2EEEvNS0_6detail10TensorInfoIT0_T2_EENSG_IT1_SI_EESI_T_.kd
    .uniform_work_group_size: 1
    .uses_dynamic_stack: false
    .vgpr_count:     137
    .vgpr_spill_count: 0
    .wavefront_size: 64
  - .agpr_count:     0
    .args:
      - .offset:         0
        .size:           216
        .value_kind:     by_value
      - .offset:         216
        .size:           216
        .value_kind:     by_value
      - .offset:         432
        .size:           4
        .value_kind:     by_value
      - .offset:         440
        .size:           32
        .value_kind:     by_value
      - .offset:         472
        .size:           4
        .value_kind:     hidden_block_count_x
      - .offset:         476
        .size:           4
        .value_kind:     hidden_block_count_y
      - .offset:         480
        .size:           4
        .value_kind:     hidden_block_count_z
      - .offset:         484
        .size:           2
        .value_kind:     hidden_group_size_x
      - .offset:         486
        .size:           2
        .value_kind:     hidden_group_size_y
      - .offset:         488
        .size:           2
        .value_kind:     hidden_group_size_z
      - .offset:         490
        .size:           2
        .value_kind:     hidden_remainder_x
      - .offset:         492
        .size:           2
        .value_kind:     hidden_remainder_y
      - .offset:         494
        .size:           2
        .value_kind:     hidden_remainder_z
      - .offset:         512
        .size:           8
        .value_kind:     hidden_global_offset_x
      - .offset:         520
        .size:           8
        .value_kind:     hidden_global_offset_y
      - .offset:         528
        .size:           8
        .value_kind:     hidden_global_offset_z
      - .offset:         536
        .size:           2
        .value_kind:     hidden_grid_dims
    .group_segment_fixed_size: 0
    .kernarg_segment_align: 8
    .kernarg_segment_size: 728
    .language:       OpenCL C
    .language_version:
      - 2
      - 0
    .max_flat_workgroup_size: 512
    .name:           _ZN2at4cuda12_GLOBAL__N_121kernelPointwiseApply2IZN12_GLOBAL__N_119poisson_cuda_kernelIN3c104HalfEEEvRKNS_10TensorBaseES9_NS_15PhiloxCudaStateEEUlRS6_RKS6_E_S6_S6_jLi2ELin1ELi1ELi512ELi2EEEvNS0_6detail10TensorInfoIT0_T2_EENSG_IT1_SI_EESI_T_
    .private_segment_fixed_size: 0
    .sgpr_count:     100
    .sgpr_spill_count: 19
    .symbol:         _ZN2at4cuda12_GLOBAL__N_121kernelPointwiseApply2IZN12_GLOBAL__N_119poisson_cuda_kernelIN3c104HalfEEEvRKNS_10TensorBaseES9_NS_15PhiloxCudaStateEEUlRS6_RKS6_E_S6_S6_jLi2ELin1ELi1ELi512ELi2EEEvNS0_6detail10TensorInfoIT0_T2_EENSG_IT1_SI_EESI_T_.kd
    .uniform_work_group_size: 1
    .uses_dynamic_stack: false
    .vgpr_count:     135
    .vgpr_spill_count: 0
    .wavefront_size: 64
  - .agpr_count:     0
    .args:
      - .offset:         0
        .size:           216
        .value_kind:     by_value
      - .offset:         216
        .size:           216
        .value_kind:     by_value
      - .offset:         432
        .size:           4
        .value_kind:     by_value
      - .offset:         440
        .size:           32
        .value_kind:     by_value
      - .offset:         472
        .size:           4
        .value_kind:     hidden_block_count_x
      - .offset:         476
        .size:           4
        .value_kind:     hidden_block_count_y
      - .offset:         480
        .size:           4
        .value_kind:     hidden_block_count_z
      - .offset:         484
        .size:           2
        .value_kind:     hidden_group_size_x
      - .offset:         486
        .size:           2
        .value_kind:     hidden_group_size_y
      - .offset:         488
        .size:           2
        .value_kind:     hidden_group_size_z
      - .offset:         490
        .size:           2
        .value_kind:     hidden_remainder_x
      - .offset:         492
        .size:           2
        .value_kind:     hidden_remainder_y
      - .offset:         494
        .size:           2
        .value_kind:     hidden_remainder_z
      - .offset:         512
        .size:           8
        .value_kind:     hidden_global_offset_x
      - .offset:         520
        .size:           8
        .value_kind:     hidden_global_offset_y
      - .offset:         528
        .size:           8
        .value_kind:     hidden_global_offset_z
      - .offset:         536
        .size:           2
        .value_kind:     hidden_grid_dims
    .group_segment_fixed_size: 0
    .kernarg_segment_align: 8
    .kernarg_segment_size: 728
    .language:       OpenCL C
    .language_version:
      - 2
      - 0
    .max_flat_workgroup_size: 512
    .name:           _ZN2at4cuda12_GLOBAL__N_121kernelPointwiseApply2IZN12_GLOBAL__N_119poisson_cuda_kernelIN3c104HalfEEEvRKNS_10TensorBaseES9_NS_15PhiloxCudaStateEEUlRS6_RKS6_E_S6_S6_jLin1ELi1ELi1ELi512ELi2EEEvNS0_6detail10TensorInfoIT0_T2_EENSG_IT1_SI_EESI_T_
    .private_segment_fixed_size: 0
    .sgpr_count:     100
    .sgpr_spill_count: 17
    .symbol:         _ZN2at4cuda12_GLOBAL__N_121kernelPointwiseApply2IZN12_GLOBAL__N_119poisson_cuda_kernelIN3c104HalfEEEvRKNS_10TensorBaseES9_NS_15PhiloxCudaStateEEUlRS6_RKS6_E_S6_S6_jLin1ELi1ELi1ELi512ELi2EEEvNS0_6detail10TensorInfoIT0_T2_EENSG_IT1_SI_EESI_T_.kd
    .uniform_work_group_size: 1
    .uses_dynamic_stack: false
    .vgpr_count:     135
    .vgpr_spill_count: 0
    .wavefront_size: 64
  - .agpr_count:     0
    .args:
      - .offset:         0
        .size:           216
        .value_kind:     by_value
      - .offset:         216
        .size:           216
        .value_kind:     by_value
      - .offset:         432
        .size:           4
        .value_kind:     by_value
      - .offset:         440
        .size:           32
        .value_kind:     by_value
      - .offset:         472
        .size:           4
        .value_kind:     hidden_block_count_x
      - .offset:         476
        .size:           4
        .value_kind:     hidden_block_count_y
      - .offset:         480
        .size:           4
        .value_kind:     hidden_block_count_z
      - .offset:         484
        .size:           2
        .value_kind:     hidden_group_size_x
      - .offset:         486
        .size:           2
        .value_kind:     hidden_group_size_y
      - .offset:         488
        .size:           2
        .value_kind:     hidden_group_size_z
      - .offset:         490
        .size:           2
        .value_kind:     hidden_remainder_x
      - .offset:         492
        .size:           2
        .value_kind:     hidden_remainder_y
      - .offset:         494
        .size:           2
        .value_kind:     hidden_remainder_z
      - .offset:         512
        .size:           8
        .value_kind:     hidden_global_offset_x
      - .offset:         520
        .size:           8
        .value_kind:     hidden_global_offset_y
      - .offset:         528
        .size:           8
        .value_kind:     hidden_global_offset_z
      - .offset:         536
        .size:           2
        .value_kind:     hidden_grid_dims
    .group_segment_fixed_size: 0
    .kernarg_segment_align: 8
    .kernarg_segment_size: 728
    .language:       OpenCL C
    .language_version:
      - 2
      - 0
    .max_flat_workgroup_size: 512
    .name:           _ZN2at4cuda12_GLOBAL__N_121kernelPointwiseApply2IZN12_GLOBAL__N_119poisson_cuda_kernelIN3c104HalfEEEvRKNS_10TensorBaseES9_NS_15PhiloxCudaStateEEUlRS6_RKS6_E_S6_S6_jLin1ELi2ELi1ELi512ELi2EEEvNS0_6detail10TensorInfoIT0_T2_EENSG_IT1_SI_EESI_T_
    .private_segment_fixed_size: 0
    .sgpr_count:     100
    .sgpr_spill_count: 22
    .symbol:         _ZN2at4cuda12_GLOBAL__N_121kernelPointwiseApply2IZN12_GLOBAL__N_119poisson_cuda_kernelIN3c104HalfEEEvRKNS_10TensorBaseES9_NS_15PhiloxCudaStateEEUlRS6_RKS6_E_S6_S6_jLin1ELi2ELi1ELi512ELi2EEEvNS0_6detail10TensorInfoIT0_T2_EENSG_IT1_SI_EESI_T_.kd
    .uniform_work_group_size: 1
    .uses_dynamic_stack: false
    .vgpr_count:     135
    .vgpr_spill_count: 0
    .wavefront_size: 64
  - .agpr_count:     0
    .args:
      - .offset:         0
        .size:           216
        .value_kind:     by_value
      - .offset:         216
        .size:           216
        .value_kind:     by_value
      - .offset:         432
        .size:           4
        .value_kind:     by_value
      - .offset:         440
        .size:           32
        .value_kind:     by_value
      - .offset:         472
        .size:           4
        .value_kind:     hidden_block_count_x
      - .offset:         476
        .size:           4
        .value_kind:     hidden_block_count_y
      - .offset:         480
        .size:           4
        .value_kind:     hidden_block_count_z
      - .offset:         484
        .size:           2
        .value_kind:     hidden_group_size_x
      - .offset:         486
        .size:           2
        .value_kind:     hidden_group_size_y
      - .offset:         488
        .size:           2
        .value_kind:     hidden_group_size_z
      - .offset:         490
        .size:           2
        .value_kind:     hidden_remainder_x
      - .offset:         492
        .size:           2
        .value_kind:     hidden_remainder_y
      - .offset:         494
        .size:           2
        .value_kind:     hidden_remainder_z
      - .offset:         512
        .size:           8
        .value_kind:     hidden_global_offset_x
      - .offset:         520
        .size:           8
        .value_kind:     hidden_global_offset_y
      - .offset:         528
        .size:           8
        .value_kind:     hidden_global_offset_z
      - .offset:         536
        .size:           2
        .value_kind:     hidden_grid_dims
    .group_segment_fixed_size: 0
    .kernarg_segment_align: 8
    .kernarg_segment_size: 728
    .language:       OpenCL C
    .language_version:
      - 2
      - 0
    .max_flat_workgroup_size: 512
    .name:           _ZN2at4cuda12_GLOBAL__N_121kernelPointwiseApply2IZN12_GLOBAL__N_119poisson_cuda_kernelIN3c104HalfEEEvRKNS_10TensorBaseES9_NS_15PhiloxCudaStateEEUlRS6_RKS6_E_S6_S6_jLin1ELin1ELi1ELi512ELi2EEEvNS0_6detail10TensorInfoIT0_T2_EENSG_IT1_SI_EESI_T_
    .private_segment_fixed_size: 0
    .sgpr_count:     100
    .sgpr_spill_count: 25
    .symbol:         _ZN2at4cuda12_GLOBAL__N_121kernelPointwiseApply2IZN12_GLOBAL__N_119poisson_cuda_kernelIN3c104HalfEEEvRKNS_10TensorBaseES9_NS_15PhiloxCudaStateEEUlRS6_RKS6_E_S6_S6_jLin1ELin1ELi1ELi512ELi2EEEvNS0_6detail10TensorInfoIT0_T2_EENSG_IT1_SI_EESI_T_.kd
    .uniform_work_group_size: 1
    .uses_dynamic_stack: false
    .vgpr_count:     135
    .vgpr_spill_count: 0
    .wavefront_size: 64
  - .agpr_count:     0
    .args:
      - .offset:         0
        .size:           416
        .value_kind:     by_value
      - .offset:         416
        .size:           416
        .value_kind:     by_value
      - .offset:         832
        .size:           8
        .value_kind:     by_value
      - .offset:         840
        .size:           32
        .value_kind:     by_value
      - .offset:         872
        .size:           4
        .value_kind:     hidden_block_count_x
      - .offset:         876
        .size:           4
        .value_kind:     hidden_block_count_y
      - .offset:         880
        .size:           4
        .value_kind:     hidden_block_count_z
      - .offset:         884
        .size:           2
        .value_kind:     hidden_group_size_x
      - .offset:         886
        .size:           2
        .value_kind:     hidden_group_size_y
      - .offset:         888
        .size:           2
        .value_kind:     hidden_group_size_z
      - .offset:         890
        .size:           2
        .value_kind:     hidden_remainder_x
      - .offset:         892
        .size:           2
        .value_kind:     hidden_remainder_y
      - .offset:         894
        .size:           2
        .value_kind:     hidden_remainder_z
      - .offset:         912
        .size:           8
        .value_kind:     hidden_global_offset_x
      - .offset:         920
        .size:           8
        .value_kind:     hidden_global_offset_y
      - .offset:         928
        .size:           8
        .value_kind:     hidden_global_offset_z
      - .offset:         936
        .size:           2
        .value_kind:     hidden_grid_dims
    .group_segment_fixed_size: 0
    .kernarg_segment_align: 8
    .kernarg_segment_size: 1128
    .language:       OpenCL C
    .language_version:
      - 2
      - 0
    .max_flat_workgroup_size: 512
    .name:           _ZN2at4cuda12_GLOBAL__N_121kernelPointwiseApply2IZN12_GLOBAL__N_119poisson_cuda_kernelIN3c104HalfEEEvRKNS_10TensorBaseES9_NS_15PhiloxCudaStateEEUlRS6_RKS6_E_S6_S6_mLi1ELi1ELi1ELi512ELi2EEEvNS0_6detail10TensorInfoIT0_T2_EENSG_IT1_SI_EESI_T_
    .private_segment_fixed_size: 0
    .sgpr_count:     100
    .sgpr_spill_count: 23
    .symbol:         _ZN2at4cuda12_GLOBAL__N_121kernelPointwiseApply2IZN12_GLOBAL__N_119poisson_cuda_kernelIN3c104HalfEEEvRKNS_10TensorBaseES9_NS_15PhiloxCudaStateEEUlRS6_RKS6_E_S6_S6_mLi1ELi1ELi1ELi512ELi2EEEvNS0_6detail10TensorInfoIT0_T2_EENSG_IT1_SI_EESI_T_.kd
    .uniform_work_group_size: 1
    .uses_dynamic_stack: false
    .vgpr_count:     133
    .vgpr_spill_count: 0
    .wavefront_size: 64
  - .agpr_count:     0
    .args:
      - .offset:         0
        .size:           416
        .value_kind:     by_value
      - .offset:         416
        .size:           416
        .value_kind:     by_value
      - .offset:         832
        .size:           8
        .value_kind:     by_value
      - .offset:         840
        .size:           32
        .value_kind:     by_value
      - .offset:         872
        .size:           4
        .value_kind:     hidden_block_count_x
      - .offset:         876
        .size:           4
        .value_kind:     hidden_block_count_y
      - .offset:         880
        .size:           4
        .value_kind:     hidden_block_count_z
      - .offset:         884
        .size:           2
        .value_kind:     hidden_group_size_x
      - .offset:         886
        .size:           2
        .value_kind:     hidden_group_size_y
      - .offset:         888
        .size:           2
        .value_kind:     hidden_group_size_z
      - .offset:         890
        .size:           2
        .value_kind:     hidden_remainder_x
      - .offset:         892
        .size:           2
        .value_kind:     hidden_remainder_y
      - .offset:         894
        .size:           2
        .value_kind:     hidden_remainder_z
      - .offset:         912
        .size:           8
        .value_kind:     hidden_global_offset_x
      - .offset:         920
        .size:           8
        .value_kind:     hidden_global_offset_y
      - .offset:         928
        .size:           8
        .value_kind:     hidden_global_offset_z
      - .offset:         936
        .size:           2
        .value_kind:     hidden_grid_dims
    .group_segment_fixed_size: 0
    .kernarg_segment_align: 8
    .kernarg_segment_size: 1128
    .language:       OpenCL C
    .language_version:
      - 2
      - 0
    .max_flat_workgroup_size: 512
    .name:           _ZN2at4cuda12_GLOBAL__N_121kernelPointwiseApply2IZN12_GLOBAL__N_119poisson_cuda_kernelIN3c104HalfEEEvRKNS_10TensorBaseES9_NS_15PhiloxCudaStateEEUlRS6_RKS6_E_S6_S6_mLin1ELin1ELi1ELi512ELi2EEEvNS0_6detail10TensorInfoIT0_T2_EENSG_IT1_SI_EESI_T_
    .private_segment_fixed_size: 0
    .sgpr_count:     100
    .sgpr_spill_count: 29
    .symbol:         _ZN2at4cuda12_GLOBAL__N_121kernelPointwiseApply2IZN12_GLOBAL__N_119poisson_cuda_kernelIN3c104HalfEEEvRKNS_10TensorBaseES9_NS_15PhiloxCudaStateEEUlRS6_RKS6_E_S6_S6_mLin1ELin1ELi1ELi512ELi2EEEvNS0_6detail10TensorInfoIT0_T2_EENSG_IT1_SI_EESI_T_.kd
    .uniform_work_group_size: 1
    .uses_dynamic_stack: false
    .vgpr_count:     135
    .vgpr_spill_count: 0
    .wavefront_size: 64
  - .agpr_count:     0
    .args:
      - .offset:         0
        .size:           216
        .value_kind:     by_value
      - .offset:         216
        .size:           216
        .value_kind:     by_value
      - .offset:         432
        .size:           4
        .value_kind:     by_value
      - .offset:         440
        .size:           32
        .value_kind:     by_value
      - .offset:         472
        .size:           4
        .value_kind:     hidden_block_count_x
      - .offset:         476
        .size:           4
        .value_kind:     hidden_block_count_y
      - .offset:         480
        .size:           4
        .value_kind:     hidden_block_count_z
      - .offset:         484
        .size:           2
        .value_kind:     hidden_group_size_x
      - .offset:         486
        .size:           2
        .value_kind:     hidden_group_size_y
      - .offset:         488
        .size:           2
        .value_kind:     hidden_group_size_z
      - .offset:         490
        .size:           2
        .value_kind:     hidden_remainder_x
      - .offset:         492
        .size:           2
        .value_kind:     hidden_remainder_y
      - .offset:         494
        .size:           2
        .value_kind:     hidden_remainder_z
      - .offset:         512
        .size:           8
        .value_kind:     hidden_global_offset_x
      - .offset:         520
        .size:           8
        .value_kind:     hidden_global_offset_y
      - .offset:         528
        .size:           8
        .value_kind:     hidden_global_offset_z
      - .offset:         536
        .size:           2
        .value_kind:     hidden_grid_dims
    .group_segment_fixed_size: 0
    .kernarg_segment_align: 8
    .kernarg_segment_size: 728
    .language:       OpenCL C
    .language_version:
      - 2
      - 0
    .max_flat_workgroup_size: 512
    .name:           _ZN2at4cuda12_GLOBAL__N_121kernelPointwiseApply2IZN12_GLOBAL__N_119poisson_cuda_kernelIN3c108BFloat16EEEvRKNS_10TensorBaseES9_NS_15PhiloxCudaStateEEUlRS6_RKS6_E_S6_S6_jLi1ELi1ELi1ELi512ELi2EEEvNS0_6detail10TensorInfoIT0_T2_EENSG_IT1_SI_EESI_T_
    .private_segment_fixed_size: 0
    .sgpr_count:     100
    .sgpr_spill_count: 17
    .symbol:         _ZN2at4cuda12_GLOBAL__N_121kernelPointwiseApply2IZN12_GLOBAL__N_119poisson_cuda_kernelIN3c108BFloat16EEEvRKNS_10TensorBaseES9_NS_15PhiloxCudaStateEEUlRS6_RKS6_E_S6_S6_jLi1ELi1ELi1ELi512ELi2EEEvNS0_6detail10TensorInfoIT0_T2_EENSG_IT1_SI_EESI_T_.kd
    .uniform_work_group_size: 1
    .uses_dynamic_stack: false
    .vgpr_count:     133
    .vgpr_spill_count: 0
    .wavefront_size: 64
  - .agpr_count:     0
    .args:
      - .offset:         0
        .size:           216
        .value_kind:     by_value
      - .offset:         216
        .size:           216
        .value_kind:     by_value
      - .offset:         432
        .size:           4
        .value_kind:     by_value
      - .offset:         440
        .size:           32
        .value_kind:     by_value
      - .offset:         472
        .size:           4
        .value_kind:     hidden_block_count_x
      - .offset:         476
        .size:           4
        .value_kind:     hidden_block_count_y
      - .offset:         480
        .size:           4
        .value_kind:     hidden_block_count_z
      - .offset:         484
        .size:           2
        .value_kind:     hidden_group_size_x
      - .offset:         486
        .size:           2
        .value_kind:     hidden_group_size_y
      - .offset:         488
        .size:           2
        .value_kind:     hidden_group_size_z
      - .offset:         490
        .size:           2
        .value_kind:     hidden_remainder_x
      - .offset:         492
        .size:           2
        .value_kind:     hidden_remainder_y
      - .offset:         494
        .size:           2
        .value_kind:     hidden_remainder_z
      - .offset:         512
        .size:           8
        .value_kind:     hidden_global_offset_x
      - .offset:         520
        .size:           8
        .value_kind:     hidden_global_offset_y
      - .offset:         528
        .size:           8
        .value_kind:     hidden_global_offset_z
      - .offset:         536
        .size:           2
        .value_kind:     hidden_grid_dims
    .group_segment_fixed_size: 0
    .kernarg_segment_align: 8
    .kernarg_segment_size: 728
    .language:       OpenCL C
    .language_version:
      - 2
      - 0
    .max_flat_workgroup_size: 512
    .name:           _ZN2at4cuda12_GLOBAL__N_121kernelPointwiseApply2IZN12_GLOBAL__N_119poisson_cuda_kernelIN3c108BFloat16EEEvRKNS_10TensorBaseES9_NS_15PhiloxCudaStateEEUlRS6_RKS6_E_S6_S6_jLi1ELi2ELi1ELi512ELi2EEEvNS0_6detail10TensorInfoIT0_T2_EENSG_IT1_SI_EESI_T_
    .private_segment_fixed_size: 0
    .sgpr_count:     100
    .sgpr_spill_count: 15
    .symbol:         _ZN2at4cuda12_GLOBAL__N_121kernelPointwiseApply2IZN12_GLOBAL__N_119poisson_cuda_kernelIN3c108BFloat16EEEvRKNS_10TensorBaseES9_NS_15PhiloxCudaStateEEUlRS6_RKS6_E_S6_S6_jLi1ELi2ELi1ELi512ELi2EEEvNS0_6detail10TensorInfoIT0_T2_EENSG_IT1_SI_EESI_T_.kd
    .uniform_work_group_size: 1
    .uses_dynamic_stack: false
    .vgpr_count:     135
    .vgpr_spill_count: 0
    .wavefront_size: 64
  - .agpr_count:     0
    .args:
      - .offset:         0
        .size:           216
        .value_kind:     by_value
      - .offset:         216
        .size:           216
        .value_kind:     by_value
      - .offset:         432
        .size:           4
        .value_kind:     by_value
      - .offset:         440
        .size:           32
        .value_kind:     by_value
      - .offset:         472
        .size:           4
        .value_kind:     hidden_block_count_x
      - .offset:         476
        .size:           4
        .value_kind:     hidden_block_count_y
      - .offset:         480
        .size:           4
        .value_kind:     hidden_block_count_z
      - .offset:         484
        .size:           2
        .value_kind:     hidden_group_size_x
      - .offset:         486
        .size:           2
        .value_kind:     hidden_group_size_y
      - .offset:         488
        .size:           2
        .value_kind:     hidden_group_size_z
      - .offset:         490
        .size:           2
        .value_kind:     hidden_remainder_x
      - .offset:         492
        .size:           2
        .value_kind:     hidden_remainder_y
      - .offset:         494
        .size:           2
        .value_kind:     hidden_remainder_z
      - .offset:         512
        .size:           8
        .value_kind:     hidden_global_offset_x
      - .offset:         520
        .size:           8
        .value_kind:     hidden_global_offset_y
      - .offset:         528
        .size:           8
        .value_kind:     hidden_global_offset_z
      - .offset:         536
        .size:           2
        .value_kind:     hidden_grid_dims
    .group_segment_fixed_size: 0
    .kernarg_segment_align: 8
    .kernarg_segment_size: 728
    .language:       OpenCL C
    .language_version:
      - 2
      - 0
    .max_flat_workgroup_size: 512
    .name:           _ZN2at4cuda12_GLOBAL__N_121kernelPointwiseApply2IZN12_GLOBAL__N_119poisson_cuda_kernelIN3c108BFloat16EEEvRKNS_10TensorBaseES9_NS_15PhiloxCudaStateEEUlRS6_RKS6_E_S6_S6_jLi1ELin1ELi1ELi512ELi2EEEvNS0_6detail10TensorInfoIT0_T2_EENSG_IT1_SI_EESI_T_
    .private_segment_fixed_size: 0
    .sgpr_count:     100
    .sgpr_spill_count: 19
    .symbol:         _ZN2at4cuda12_GLOBAL__N_121kernelPointwiseApply2IZN12_GLOBAL__N_119poisson_cuda_kernelIN3c108BFloat16EEEvRKNS_10TensorBaseES9_NS_15PhiloxCudaStateEEUlRS6_RKS6_E_S6_S6_jLi1ELin1ELi1ELi512ELi2EEEvNS0_6detail10TensorInfoIT0_T2_EENSG_IT1_SI_EESI_T_.kd
    .uniform_work_group_size: 1
    .uses_dynamic_stack: false
    .vgpr_count:     135
    .vgpr_spill_count: 0
    .wavefront_size: 64
  - .agpr_count:     0
    .args:
      - .offset:         0
        .size:           216
        .value_kind:     by_value
      - .offset:         216
        .size:           216
        .value_kind:     by_value
      - .offset:         432
        .size:           4
        .value_kind:     by_value
      - .offset:         440
        .size:           32
        .value_kind:     by_value
      - .offset:         472
        .size:           4
        .value_kind:     hidden_block_count_x
      - .offset:         476
        .size:           4
        .value_kind:     hidden_block_count_y
      - .offset:         480
        .size:           4
        .value_kind:     hidden_block_count_z
      - .offset:         484
        .size:           2
        .value_kind:     hidden_group_size_x
      - .offset:         486
        .size:           2
        .value_kind:     hidden_group_size_y
      - .offset:         488
        .size:           2
        .value_kind:     hidden_group_size_z
      - .offset:         490
        .size:           2
        .value_kind:     hidden_remainder_x
      - .offset:         492
        .size:           2
        .value_kind:     hidden_remainder_y
      - .offset:         494
        .size:           2
        .value_kind:     hidden_remainder_z
      - .offset:         512
        .size:           8
        .value_kind:     hidden_global_offset_x
      - .offset:         520
        .size:           8
        .value_kind:     hidden_global_offset_y
      - .offset:         528
        .size:           8
        .value_kind:     hidden_global_offset_z
      - .offset:         536
        .size:           2
        .value_kind:     hidden_grid_dims
    .group_segment_fixed_size: 0
    .kernarg_segment_align: 8
    .kernarg_segment_size: 728
    .language:       OpenCL C
    .language_version:
      - 2
      - 0
    .max_flat_workgroup_size: 512
    .name:           _ZN2at4cuda12_GLOBAL__N_121kernelPointwiseApply2IZN12_GLOBAL__N_119poisson_cuda_kernelIN3c108BFloat16EEEvRKNS_10TensorBaseES9_NS_15PhiloxCudaStateEEUlRS6_RKS6_E_S6_S6_jLi2ELi1ELi1ELi512ELi2EEEvNS0_6detail10TensorInfoIT0_T2_EENSG_IT1_SI_EESI_T_
    .private_segment_fixed_size: 0
    .sgpr_count:     100
    .sgpr_spill_count: 17
    .symbol:         _ZN2at4cuda12_GLOBAL__N_121kernelPointwiseApply2IZN12_GLOBAL__N_119poisson_cuda_kernelIN3c108BFloat16EEEvRKNS_10TensorBaseES9_NS_15PhiloxCudaStateEEUlRS6_RKS6_E_S6_S6_jLi2ELi1ELi1ELi512ELi2EEEvNS0_6detail10TensorInfoIT0_T2_EENSG_IT1_SI_EESI_T_.kd
    .uniform_work_group_size: 1
    .uses_dynamic_stack: false
    .vgpr_count:     135
    .vgpr_spill_count: 0
    .wavefront_size: 64
  - .agpr_count:     0
    .args:
      - .offset:         0
        .size:           216
        .value_kind:     by_value
      - .offset:         216
        .size:           216
        .value_kind:     by_value
      - .offset:         432
        .size:           4
        .value_kind:     by_value
      - .offset:         440
        .size:           32
        .value_kind:     by_value
      - .offset:         472
        .size:           4
        .value_kind:     hidden_block_count_x
      - .offset:         476
        .size:           4
        .value_kind:     hidden_block_count_y
      - .offset:         480
        .size:           4
        .value_kind:     hidden_block_count_z
      - .offset:         484
        .size:           2
        .value_kind:     hidden_group_size_x
      - .offset:         486
        .size:           2
        .value_kind:     hidden_group_size_y
      - .offset:         488
        .size:           2
        .value_kind:     hidden_group_size_z
      - .offset:         490
        .size:           2
        .value_kind:     hidden_remainder_x
      - .offset:         492
        .size:           2
        .value_kind:     hidden_remainder_y
      - .offset:         494
        .size:           2
        .value_kind:     hidden_remainder_z
      - .offset:         512
        .size:           8
        .value_kind:     hidden_global_offset_x
      - .offset:         520
        .size:           8
        .value_kind:     hidden_global_offset_y
      - .offset:         528
        .size:           8
        .value_kind:     hidden_global_offset_z
      - .offset:         536
        .size:           2
        .value_kind:     hidden_grid_dims
    .group_segment_fixed_size: 0
    .kernarg_segment_align: 8
    .kernarg_segment_size: 728
    .language:       OpenCL C
    .language_version:
      - 2
      - 0
    .max_flat_workgroup_size: 512
    .name:           _ZN2at4cuda12_GLOBAL__N_121kernelPointwiseApply2IZN12_GLOBAL__N_119poisson_cuda_kernelIN3c108BFloat16EEEvRKNS_10TensorBaseES9_NS_15PhiloxCudaStateEEUlRS6_RKS6_E_S6_S6_jLi2ELi2ELi1ELi512ELi2EEEvNS0_6detail10TensorInfoIT0_T2_EENSG_IT1_SI_EESI_T_
    .private_segment_fixed_size: 0
    .sgpr_count:     100
    .sgpr_spill_count: 19
    .symbol:         _ZN2at4cuda12_GLOBAL__N_121kernelPointwiseApply2IZN12_GLOBAL__N_119poisson_cuda_kernelIN3c108BFloat16EEEvRKNS_10TensorBaseES9_NS_15PhiloxCudaStateEEUlRS6_RKS6_E_S6_S6_jLi2ELi2ELi1ELi512ELi2EEEvNS0_6detail10TensorInfoIT0_T2_EENSG_IT1_SI_EESI_T_.kd
    .uniform_work_group_size: 1
    .uses_dynamic_stack: false
    .vgpr_count:     137
    .vgpr_spill_count: 0
    .wavefront_size: 64
  - .agpr_count:     0
    .args:
      - .offset:         0
        .size:           216
        .value_kind:     by_value
      - .offset:         216
        .size:           216
        .value_kind:     by_value
      - .offset:         432
        .size:           4
        .value_kind:     by_value
      - .offset:         440
        .size:           32
        .value_kind:     by_value
      - .offset:         472
        .size:           4
        .value_kind:     hidden_block_count_x
      - .offset:         476
        .size:           4
        .value_kind:     hidden_block_count_y
      - .offset:         480
        .size:           4
        .value_kind:     hidden_block_count_z
      - .offset:         484
        .size:           2
        .value_kind:     hidden_group_size_x
      - .offset:         486
        .size:           2
        .value_kind:     hidden_group_size_y
      - .offset:         488
        .size:           2
        .value_kind:     hidden_group_size_z
      - .offset:         490
        .size:           2
        .value_kind:     hidden_remainder_x
      - .offset:         492
        .size:           2
        .value_kind:     hidden_remainder_y
      - .offset:         494
        .size:           2
        .value_kind:     hidden_remainder_z
      - .offset:         512
        .size:           8
        .value_kind:     hidden_global_offset_x
      - .offset:         520
        .size:           8
        .value_kind:     hidden_global_offset_y
      - .offset:         528
        .size:           8
        .value_kind:     hidden_global_offset_z
      - .offset:         536
        .size:           2
        .value_kind:     hidden_grid_dims
    .group_segment_fixed_size: 0
    .kernarg_segment_align: 8
    .kernarg_segment_size: 728
    .language:       OpenCL C
    .language_version:
      - 2
      - 0
    .max_flat_workgroup_size: 512
    .name:           _ZN2at4cuda12_GLOBAL__N_121kernelPointwiseApply2IZN12_GLOBAL__N_119poisson_cuda_kernelIN3c108BFloat16EEEvRKNS_10TensorBaseES9_NS_15PhiloxCudaStateEEUlRS6_RKS6_E_S6_S6_jLi2ELin1ELi1ELi512ELi2EEEvNS0_6detail10TensorInfoIT0_T2_EENSG_IT1_SI_EESI_T_
    .private_segment_fixed_size: 0
    .sgpr_count:     100
    .sgpr_spill_count: 19
    .symbol:         _ZN2at4cuda12_GLOBAL__N_121kernelPointwiseApply2IZN12_GLOBAL__N_119poisson_cuda_kernelIN3c108BFloat16EEEvRKNS_10TensorBaseES9_NS_15PhiloxCudaStateEEUlRS6_RKS6_E_S6_S6_jLi2ELin1ELi1ELi512ELi2EEEvNS0_6detail10TensorInfoIT0_T2_EENSG_IT1_SI_EESI_T_.kd
    .uniform_work_group_size: 1
    .uses_dynamic_stack: false
    .vgpr_count:     135
    .vgpr_spill_count: 0
    .wavefront_size: 64
  - .agpr_count:     0
    .args:
      - .offset:         0
        .size:           216
        .value_kind:     by_value
      - .offset:         216
        .size:           216
        .value_kind:     by_value
      - .offset:         432
        .size:           4
        .value_kind:     by_value
      - .offset:         440
        .size:           32
        .value_kind:     by_value
      - .offset:         472
        .size:           4
        .value_kind:     hidden_block_count_x
      - .offset:         476
        .size:           4
        .value_kind:     hidden_block_count_y
      - .offset:         480
        .size:           4
        .value_kind:     hidden_block_count_z
      - .offset:         484
        .size:           2
        .value_kind:     hidden_group_size_x
      - .offset:         486
        .size:           2
        .value_kind:     hidden_group_size_y
      - .offset:         488
        .size:           2
        .value_kind:     hidden_group_size_z
      - .offset:         490
        .size:           2
        .value_kind:     hidden_remainder_x
      - .offset:         492
        .size:           2
        .value_kind:     hidden_remainder_y
      - .offset:         494
        .size:           2
        .value_kind:     hidden_remainder_z
      - .offset:         512
        .size:           8
        .value_kind:     hidden_global_offset_x
      - .offset:         520
        .size:           8
        .value_kind:     hidden_global_offset_y
      - .offset:         528
        .size:           8
        .value_kind:     hidden_global_offset_z
      - .offset:         536
        .size:           2
        .value_kind:     hidden_grid_dims
    .group_segment_fixed_size: 0
    .kernarg_segment_align: 8
    .kernarg_segment_size: 728
    .language:       OpenCL C
    .language_version:
      - 2
      - 0
    .max_flat_workgroup_size: 512
    .name:           _ZN2at4cuda12_GLOBAL__N_121kernelPointwiseApply2IZN12_GLOBAL__N_119poisson_cuda_kernelIN3c108BFloat16EEEvRKNS_10TensorBaseES9_NS_15PhiloxCudaStateEEUlRS6_RKS6_E_S6_S6_jLin1ELi1ELi1ELi512ELi2EEEvNS0_6detail10TensorInfoIT0_T2_EENSG_IT1_SI_EESI_T_
    .private_segment_fixed_size: 0
    .sgpr_count:     100
    .sgpr_spill_count: 18
    .symbol:         _ZN2at4cuda12_GLOBAL__N_121kernelPointwiseApply2IZN12_GLOBAL__N_119poisson_cuda_kernelIN3c108BFloat16EEEvRKNS_10TensorBaseES9_NS_15PhiloxCudaStateEEUlRS6_RKS6_E_S6_S6_jLin1ELi1ELi1ELi512ELi2EEEvNS0_6detail10TensorInfoIT0_T2_EENSG_IT1_SI_EESI_T_.kd
    .uniform_work_group_size: 1
    .uses_dynamic_stack: false
    .vgpr_count:     135
    .vgpr_spill_count: 0
    .wavefront_size: 64
  - .agpr_count:     0
    .args:
      - .offset:         0
        .size:           216
        .value_kind:     by_value
      - .offset:         216
        .size:           216
        .value_kind:     by_value
      - .offset:         432
        .size:           4
        .value_kind:     by_value
      - .offset:         440
        .size:           32
        .value_kind:     by_value
      - .offset:         472
        .size:           4
        .value_kind:     hidden_block_count_x
      - .offset:         476
        .size:           4
        .value_kind:     hidden_block_count_y
      - .offset:         480
        .size:           4
        .value_kind:     hidden_block_count_z
      - .offset:         484
        .size:           2
        .value_kind:     hidden_group_size_x
      - .offset:         486
        .size:           2
        .value_kind:     hidden_group_size_y
      - .offset:         488
        .size:           2
        .value_kind:     hidden_group_size_z
      - .offset:         490
        .size:           2
        .value_kind:     hidden_remainder_x
      - .offset:         492
        .size:           2
        .value_kind:     hidden_remainder_y
      - .offset:         494
        .size:           2
        .value_kind:     hidden_remainder_z
      - .offset:         512
        .size:           8
        .value_kind:     hidden_global_offset_x
      - .offset:         520
        .size:           8
        .value_kind:     hidden_global_offset_y
      - .offset:         528
        .size:           8
        .value_kind:     hidden_global_offset_z
      - .offset:         536
        .size:           2
        .value_kind:     hidden_grid_dims
    .group_segment_fixed_size: 0
    .kernarg_segment_align: 8
    .kernarg_segment_size: 728
    .language:       OpenCL C
    .language_version:
      - 2
      - 0
    .max_flat_workgroup_size: 512
    .name:           _ZN2at4cuda12_GLOBAL__N_121kernelPointwiseApply2IZN12_GLOBAL__N_119poisson_cuda_kernelIN3c108BFloat16EEEvRKNS_10TensorBaseES9_NS_15PhiloxCudaStateEEUlRS6_RKS6_E_S6_S6_jLin1ELi2ELi1ELi512ELi2EEEvNS0_6detail10TensorInfoIT0_T2_EENSG_IT1_SI_EESI_T_
    .private_segment_fixed_size: 0
    .sgpr_count:     100
    .sgpr_spill_count: 22
    .symbol:         _ZN2at4cuda12_GLOBAL__N_121kernelPointwiseApply2IZN12_GLOBAL__N_119poisson_cuda_kernelIN3c108BFloat16EEEvRKNS_10TensorBaseES9_NS_15PhiloxCudaStateEEUlRS6_RKS6_E_S6_S6_jLin1ELi2ELi1ELi512ELi2EEEvNS0_6detail10TensorInfoIT0_T2_EENSG_IT1_SI_EESI_T_.kd
    .uniform_work_group_size: 1
    .uses_dynamic_stack: false
    .vgpr_count:     135
    .vgpr_spill_count: 0
    .wavefront_size: 64
  - .agpr_count:     0
    .args:
      - .offset:         0
        .size:           216
        .value_kind:     by_value
      - .offset:         216
        .size:           216
        .value_kind:     by_value
      - .offset:         432
        .size:           4
        .value_kind:     by_value
      - .offset:         440
        .size:           32
        .value_kind:     by_value
      - .offset:         472
        .size:           4
        .value_kind:     hidden_block_count_x
      - .offset:         476
        .size:           4
        .value_kind:     hidden_block_count_y
      - .offset:         480
        .size:           4
        .value_kind:     hidden_block_count_z
      - .offset:         484
        .size:           2
        .value_kind:     hidden_group_size_x
      - .offset:         486
        .size:           2
        .value_kind:     hidden_group_size_y
      - .offset:         488
        .size:           2
        .value_kind:     hidden_group_size_z
      - .offset:         490
        .size:           2
        .value_kind:     hidden_remainder_x
      - .offset:         492
        .size:           2
        .value_kind:     hidden_remainder_y
      - .offset:         494
        .size:           2
        .value_kind:     hidden_remainder_z
      - .offset:         512
        .size:           8
        .value_kind:     hidden_global_offset_x
      - .offset:         520
        .size:           8
        .value_kind:     hidden_global_offset_y
      - .offset:         528
        .size:           8
        .value_kind:     hidden_global_offset_z
      - .offset:         536
        .size:           2
        .value_kind:     hidden_grid_dims
    .group_segment_fixed_size: 0
    .kernarg_segment_align: 8
    .kernarg_segment_size: 728
    .language:       OpenCL C
    .language_version:
      - 2
      - 0
    .max_flat_workgroup_size: 512
    .name:           _ZN2at4cuda12_GLOBAL__N_121kernelPointwiseApply2IZN12_GLOBAL__N_119poisson_cuda_kernelIN3c108BFloat16EEEvRKNS_10TensorBaseES9_NS_15PhiloxCudaStateEEUlRS6_RKS6_E_S6_S6_jLin1ELin1ELi1ELi512ELi2EEEvNS0_6detail10TensorInfoIT0_T2_EENSG_IT1_SI_EESI_T_
    .private_segment_fixed_size: 0
    .sgpr_count:     100
    .sgpr_spill_count: 26
    .symbol:         _ZN2at4cuda12_GLOBAL__N_121kernelPointwiseApply2IZN12_GLOBAL__N_119poisson_cuda_kernelIN3c108BFloat16EEEvRKNS_10TensorBaseES9_NS_15PhiloxCudaStateEEUlRS6_RKS6_E_S6_S6_jLin1ELin1ELi1ELi512ELi2EEEvNS0_6detail10TensorInfoIT0_T2_EENSG_IT1_SI_EESI_T_.kd
    .uniform_work_group_size: 1
    .uses_dynamic_stack: false
    .vgpr_count:     135
    .vgpr_spill_count: 0
    .wavefront_size: 64
  - .agpr_count:     0
    .args:
      - .offset:         0
        .size:           416
        .value_kind:     by_value
      - .offset:         416
        .size:           416
        .value_kind:     by_value
      - .offset:         832
        .size:           8
        .value_kind:     by_value
      - .offset:         840
        .size:           32
        .value_kind:     by_value
      - .offset:         872
        .size:           4
        .value_kind:     hidden_block_count_x
      - .offset:         876
        .size:           4
        .value_kind:     hidden_block_count_y
      - .offset:         880
        .size:           4
        .value_kind:     hidden_block_count_z
      - .offset:         884
        .size:           2
        .value_kind:     hidden_group_size_x
      - .offset:         886
        .size:           2
        .value_kind:     hidden_group_size_y
      - .offset:         888
        .size:           2
        .value_kind:     hidden_group_size_z
      - .offset:         890
        .size:           2
        .value_kind:     hidden_remainder_x
      - .offset:         892
        .size:           2
        .value_kind:     hidden_remainder_y
      - .offset:         894
        .size:           2
        .value_kind:     hidden_remainder_z
      - .offset:         912
        .size:           8
        .value_kind:     hidden_global_offset_x
      - .offset:         920
        .size:           8
        .value_kind:     hidden_global_offset_y
      - .offset:         928
        .size:           8
        .value_kind:     hidden_global_offset_z
      - .offset:         936
        .size:           2
        .value_kind:     hidden_grid_dims
    .group_segment_fixed_size: 0
    .kernarg_segment_align: 8
    .kernarg_segment_size: 1128
    .language:       OpenCL C
    .language_version:
      - 2
      - 0
    .max_flat_workgroup_size: 512
    .name:           _ZN2at4cuda12_GLOBAL__N_121kernelPointwiseApply2IZN12_GLOBAL__N_119poisson_cuda_kernelIN3c108BFloat16EEEvRKNS_10TensorBaseES9_NS_15PhiloxCudaStateEEUlRS6_RKS6_E_S6_S6_mLi1ELi1ELi1ELi512ELi2EEEvNS0_6detail10TensorInfoIT0_T2_EENSG_IT1_SI_EESI_T_
    .private_segment_fixed_size: 0
    .sgpr_count:     100
    .sgpr_spill_count: 23
    .symbol:         _ZN2at4cuda12_GLOBAL__N_121kernelPointwiseApply2IZN12_GLOBAL__N_119poisson_cuda_kernelIN3c108BFloat16EEEvRKNS_10TensorBaseES9_NS_15PhiloxCudaStateEEUlRS6_RKS6_E_S6_S6_mLi1ELi1ELi1ELi512ELi2EEEvNS0_6detail10TensorInfoIT0_T2_EENSG_IT1_SI_EESI_T_.kd
    .uniform_work_group_size: 1
    .uses_dynamic_stack: false
    .vgpr_count:     133
    .vgpr_spill_count: 0
    .wavefront_size: 64
  - .agpr_count:     0
    .args:
      - .offset:         0
        .size:           416
        .value_kind:     by_value
      - .offset:         416
        .size:           416
        .value_kind:     by_value
      - .offset:         832
        .size:           8
        .value_kind:     by_value
      - .offset:         840
        .size:           32
        .value_kind:     by_value
      - .offset:         872
        .size:           4
        .value_kind:     hidden_block_count_x
      - .offset:         876
        .size:           4
        .value_kind:     hidden_block_count_y
      - .offset:         880
        .size:           4
        .value_kind:     hidden_block_count_z
      - .offset:         884
        .size:           2
        .value_kind:     hidden_group_size_x
      - .offset:         886
        .size:           2
        .value_kind:     hidden_group_size_y
      - .offset:         888
        .size:           2
        .value_kind:     hidden_group_size_z
      - .offset:         890
        .size:           2
        .value_kind:     hidden_remainder_x
      - .offset:         892
        .size:           2
        .value_kind:     hidden_remainder_y
      - .offset:         894
        .size:           2
        .value_kind:     hidden_remainder_z
      - .offset:         912
        .size:           8
        .value_kind:     hidden_global_offset_x
      - .offset:         920
        .size:           8
        .value_kind:     hidden_global_offset_y
      - .offset:         928
        .size:           8
        .value_kind:     hidden_global_offset_z
      - .offset:         936
        .size:           2
        .value_kind:     hidden_grid_dims
    .group_segment_fixed_size: 0
    .kernarg_segment_align: 8
    .kernarg_segment_size: 1128
    .language:       OpenCL C
    .language_version:
      - 2
      - 0
    .max_flat_workgroup_size: 512
    .name:           _ZN2at4cuda12_GLOBAL__N_121kernelPointwiseApply2IZN12_GLOBAL__N_119poisson_cuda_kernelIN3c108BFloat16EEEvRKNS_10TensorBaseES9_NS_15PhiloxCudaStateEEUlRS6_RKS6_E_S6_S6_mLin1ELin1ELi1ELi512ELi2EEEvNS0_6detail10TensorInfoIT0_T2_EENSG_IT1_SI_EESI_T_
    .private_segment_fixed_size: 0
    .sgpr_count:     100
    .sgpr_spill_count: 29
    .symbol:         _ZN2at4cuda12_GLOBAL__N_121kernelPointwiseApply2IZN12_GLOBAL__N_119poisson_cuda_kernelIN3c108BFloat16EEEvRKNS_10TensorBaseES9_NS_15PhiloxCudaStateEEUlRS6_RKS6_E_S6_S6_mLin1ELin1ELi1ELi512ELi2EEEvNS0_6detail10TensorInfoIT0_T2_EENSG_IT1_SI_EESI_T_.kd
    .uniform_work_group_size: 1
    .uses_dynamic_stack: false
    .vgpr_count:     135
    .vgpr_spill_count: 0
    .wavefront_size: 64
  - .agpr_count:     0
    .args:
      - .offset:         0
        .size:           4
        .value_kind:     by_value
      - .offset:         4
        .size:           1
        .value_kind:     by_value
      - .offset:         8
        .size:           32
        .value_kind:     by_value
      - .address_space:  global
        .offset:         40
        .size:           8
        .value_kind:     global_buffer
      - .address_space:  global
        .offset:         48
        .size:           8
        .value_kind:     global_buffer
      - .address_space:  global
        .offset:         56
        .size:           8
        .value_kind:     global_buffer
      - .offset:         64
        .size:           1
        .value_kind:     by_value
      - .offset:         65
        .size:           1
        .value_kind:     by_value
      - .offset:         72
        .size:           4
        .value_kind:     hidden_block_count_x
      - .offset:         76
        .size:           4
        .value_kind:     hidden_block_count_y
      - .offset:         80
        .size:           4
        .value_kind:     hidden_block_count_z
      - .offset:         84
        .size:           2
        .value_kind:     hidden_group_size_x
      - .offset:         86
        .size:           2
        .value_kind:     hidden_group_size_y
      - .offset:         88
        .size:           2
        .value_kind:     hidden_group_size_z
      - .offset:         90
        .size:           2
        .value_kind:     hidden_remainder_x
      - .offset:         92
        .size:           2
        .value_kind:     hidden_remainder_y
      - .offset:         94
        .size:           2
        .value_kind:     hidden_remainder_z
      - .offset:         112
        .size:           8
        .value_kind:     hidden_global_offset_x
      - .offset:         120
        .size:           8
        .value_kind:     hidden_global_offset_y
      - .offset:         128
        .size:           8
        .value_kind:     hidden_global_offset_z
      - .offset:         136
        .size:           2
        .value_kind:     hidden_grid_dims
    .group_segment_fixed_size: 0
    .kernarg_segment_align: 8
    .kernarg_segment_size: 328
    .language:       OpenCL C
    .language_version:
      - 2
      - 0
    .max_flat_workgroup_size: 1024
    .name:           _ZN2at6native12_GLOBAL__N_138distribution_binary_elementwise_kernelIZN12_GLOBAL__N_120binomial_cuda_kernelIdEEvRNS_18TensorIteratorBaseENS_15PhiloxCudaStateEEUlR25hiprandStatePhilox4_32_10ddE_23TrivialOffsetCalculatorILi2EjESB_ILi1EjEEEviT_S7_PN15function_traitsISE_E11result_typeEPKNSG_3argILi1EE4typeEPKNSJ_ILi2EE4typeET0_T1_
    .private_segment_fixed_size: 96
    .sgpr_count:     96
    .sgpr_spill_count: 0
    .symbol:         _ZN2at6native12_GLOBAL__N_138distribution_binary_elementwise_kernelIZN12_GLOBAL__N_120binomial_cuda_kernelIdEEvRNS_18TensorIteratorBaseENS_15PhiloxCudaStateEEUlR25hiprandStatePhilox4_32_10ddE_23TrivialOffsetCalculatorILi2EjESB_ILi1EjEEEviT_S7_PN15function_traitsISE_E11result_typeEPKNSG_3argILi1EE4typeEPKNSJ_ILi2EE4typeET0_T1_.kd
    .uniform_work_group_size: 1
    .uses_dynamic_stack: false
    .vgpr_count:     128
    .vgpr_spill_count: 31
    .wavefront_size: 64
  - .agpr_count:     0
    .args:
      - .offset:         0
        .size:           4
        .value_kind:     by_value
      - .offset:         4
        .size:           1
        .value_kind:     by_value
      - .offset:         8
        .size:           32
        .value_kind:     by_value
      - .address_space:  global
        .offset:         40
        .size:           8
        .value_kind:     global_buffer
      - .address_space:  global
        .offset:         48
        .size:           8
        .value_kind:     global_buffer
      - .address_space:  global
        .offset:         56
        .size:           8
        .value_kind:     global_buffer
      - .offset:         64
        .size:           324
        .value_kind:     by_value
      - .offset:         388
        .size:           260
        .value_kind:     by_value
      - .offset:         648
        .size:           4
        .value_kind:     hidden_block_count_x
      - .offset:         652
        .size:           4
        .value_kind:     hidden_block_count_y
      - .offset:         656
        .size:           4
        .value_kind:     hidden_block_count_z
      - .offset:         660
        .size:           2
        .value_kind:     hidden_group_size_x
      - .offset:         662
        .size:           2
        .value_kind:     hidden_group_size_y
      - .offset:         664
        .size:           2
        .value_kind:     hidden_group_size_z
      - .offset:         666
        .size:           2
        .value_kind:     hidden_remainder_x
      - .offset:         668
        .size:           2
        .value_kind:     hidden_remainder_y
      - .offset:         670
        .size:           2
        .value_kind:     hidden_remainder_z
      - .offset:         688
        .size:           8
        .value_kind:     hidden_global_offset_x
      - .offset:         696
        .size:           8
        .value_kind:     hidden_global_offset_y
      - .offset:         704
        .size:           8
        .value_kind:     hidden_global_offset_z
      - .offset:         712
        .size:           2
        .value_kind:     hidden_grid_dims
    .group_segment_fixed_size: 0
    .kernarg_segment_align: 8
    .kernarg_segment_size: 904
    .language:       OpenCL C
    .language_version:
      - 2
      - 0
    .max_flat_workgroup_size: 1024
    .name:           _ZN2at6native12_GLOBAL__N_138distribution_binary_elementwise_kernelIZN12_GLOBAL__N_120binomial_cuda_kernelIdEEvRNS_18TensorIteratorBaseENS_15PhiloxCudaStateEEUlR25hiprandStatePhilox4_32_10ddE_16OffsetCalculatorILi2EjLb0EESB_ILi1EjLb0EEEEviT_S7_PN15function_traitsISE_E11result_typeEPKNSG_3argILi1EE4typeEPKNSJ_ILi2EE4typeET0_T1_
    .private_segment_fixed_size: 100
    .sgpr_count:     104
    .sgpr_spill_count: 0
    .symbol:         _ZN2at6native12_GLOBAL__N_138distribution_binary_elementwise_kernelIZN12_GLOBAL__N_120binomial_cuda_kernelIdEEvRNS_18TensorIteratorBaseENS_15PhiloxCudaStateEEUlR25hiprandStatePhilox4_32_10ddE_16OffsetCalculatorILi2EjLb0EESB_ILi1EjLb0EEEEviT_S7_PN15function_traitsISE_E11result_typeEPKNSG_3argILi1EE4typeEPKNSJ_ILi2EE4typeET0_T1_.kd
    .uniform_work_group_size: 1
    .uses_dynamic_stack: false
    .vgpr_count:     128
    .vgpr_spill_count: 32
    .wavefront_size: 64
  - .agpr_count:     0
    .args:
      - .offset:         0
        .size:           4
        .value_kind:     by_value
      - .offset:         4
        .size:           1
        .value_kind:     by_value
      - .offset:         8
        .size:           32
        .value_kind:     by_value
      - .address_space:  global
        .offset:         40
        .size:           8
        .value_kind:     global_buffer
      - .address_space:  global
        .offset:         48
        .size:           8
        .value_kind:     global_buffer
      - .address_space:  global
        .offset:         56
        .size:           8
        .value_kind:     global_buffer
      - .offset:         64
        .size:           1
        .value_kind:     by_value
      - .offset:         65
        .size:           1
        .value_kind:     by_value
      - .offset:         72
        .size:           4
        .value_kind:     hidden_block_count_x
      - .offset:         76
        .size:           4
        .value_kind:     hidden_block_count_y
      - .offset:         80
        .size:           4
        .value_kind:     hidden_block_count_z
      - .offset:         84
        .size:           2
        .value_kind:     hidden_group_size_x
      - .offset:         86
        .size:           2
        .value_kind:     hidden_group_size_y
      - .offset:         88
        .size:           2
        .value_kind:     hidden_group_size_z
      - .offset:         90
        .size:           2
        .value_kind:     hidden_remainder_x
      - .offset:         92
        .size:           2
        .value_kind:     hidden_remainder_y
      - .offset:         94
        .size:           2
        .value_kind:     hidden_remainder_z
      - .offset:         112
        .size:           8
        .value_kind:     hidden_global_offset_x
      - .offset:         120
        .size:           8
        .value_kind:     hidden_global_offset_y
      - .offset:         128
        .size:           8
        .value_kind:     hidden_global_offset_z
      - .offset:         136
        .size:           2
        .value_kind:     hidden_grid_dims
    .group_segment_fixed_size: 0
    .kernarg_segment_align: 8
    .kernarg_segment_size: 328
    .language:       OpenCL C
    .language_version:
      - 2
      - 0
    .max_flat_workgroup_size: 1024
    .name:           _ZN2at6native12_GLOBAL__N_138distribution_binary_elementwise_kernelIZN12_GLOBAL__N_120binomial_cuda_kernelIfEEvRNS_18TensorIteratorBaseENS_15PhiloxCudaStateEEUlR25hiprandStatePhilox4_32_10ffE_23TrivialOffsetCalculatorILi2EjESB_ILi1EjEEEviT_S7_PN15function_traitsISE_E11result_typeEPKNSG_3argILi1EE4typeEPKNSJ_ILi2EE4typeET0_T1_
    .private_segment_fixed_size: 0
    .sgpr_count:     70
    .sgpr_spill_count: 0
    .symbol:         _ZN2at6native12_GLOBAL__N_138distribution_binary_elementwise_kernelIZN12_GLOBAL__N_120binomial_cuda_kernelIfEEvRNS_18TensorIteratorBaseENS_15PhiloxCudaStateEEUlR25hiprandStatePhilox4_32_10ffE_23TrivialOffsetCalculatorILi2EjESB_ILi1EjEEEviT_S7_PN15function_traitsISE_E11result_typeEPKNSG_3argILi1EE4typeEPKNSJ_ILi2EE4typeET0_T1_.kd
    .uniform_work_group_size: 1
    .uses_dynamic_stack: false
    .vgpr_count:     110
    .vgpr_spill_count: 0
    .wavefront_size: 64
  - .agpr_count:     0
    .args:
      - .offset:         0
        .size:           4
        .value_kind:     by_value
      - .offset:         4
        .size:           1
        .value_kind:     by_value
      - .offset:         8
        .size:           32
        .value_kind:     by_value
      - .address_space:  global
        .offset:         40
        .size:           8
        .value_kind:     global_buffer
      - .address_space:  global
        .offset:         48
        .size:           8
        .value_kind:     global_buffer
      - .address_space:  global
        .offset:         56
        .size:           8
        .value_kind:     global_buffer
      - .offset:         64
        .size:           324
        .value_kind:     by_value
      - .offset:         388
        .size:           260
        .value_kind:     by_value
      - .offset:         648
        .size:           4
        .value_kind:     hidden_block_count_x
      - .offset:         652
        .size:           4
        .value_kind:     hidden_block_count_y
      - .offset:         656
        .size:           4
        .value_kind:     hidden_block_count_z
      - .offset:         660
        .size:           2
        .value_kind:     hidden_group_size_x
      - .offset:         662
        .size:           2
        .value_kind:     hidden_group_size_y
      - .offset:         664
        .size:           2
        .value_kind:     hidden_group_size_z
      - .offset:         666
        .size:           2
        .value_kind:     hidden_remainder_x
      - .offset:         668
        .size:           2
        .value_kind:     hidden_remainder_y
      - .offset:         670
        .size:           2
        .value_kind:     hidden_remainder_z
      - .offset:         688
        .size:           8
        .value_kind:     hidden_global_offset_x
      - .offset:         696
        .size:           8
        .value_kind:     hidden_global_offset_y
      - .offset:         704
        .size:           8
        .value_kind:     hidden_global_offset_z
      - .offset:         712
        .size:           2
        .value_kind:     hidden_grid_dims
    .group_segment_fixed_size: 0
    .kernarg_segment_align: 8
    .kernarg_segment_size: 904
    .language:       OpenCL C
    .language_version:
      - 2
      - 0
    .max_flat_workgroup_size: 1024
    .name:           _ZN2at6native12_GLOBAL__N_138distribution_binary_elementwise_kernelIZN12_GLOBAL__N_120binomial_cuda_kernelIfEEvRNS_18TensorIteratorBaseENS_15PhiloxCudaStateEEUlR25hiprandStatePhilox4_32_10ffE_16OffsetCalculatorILi2EjLb0EESB_ILi1EjLb0EEEEviT_S7_PN15function_traitsISE_E11result_typeEPKNSG_3argILi1EE4typeEPKNSJ_ILi2EE4typeET0_T1_
    .private_segment_fixed_size: 0
    .sgpr_count:     94
    .sgpr_spill_count: 0
    .symbol:         _ZN2at6native12_GLOBAL__N_138distribution_binary_elementwise_kernelIZN12_GLOBAL__N_120binomial_cuda_kernelIfEEvRNS_18TensorIteratorBaseENS_15PhiloxCudaStateEEUlR25hiprandStatePhilox4_32_10ffE_16OffsetCalculatorILi2EjLb0EESB_ILi1EjLb0EEEEviT_S7_PN15function_traitsISE_E11result_typeEPKNSG_3argILi1EE4typeEPKNSJ_ILi2EE4typeET0_T1_.kd
    .uniform_work_group_size: 1
    .uses_dynamic_stack: false
    .vgpr_count:     110
    .vgpr_spill_count: 0
    .wavefront_size: 64
  - .agpr_count:     0
    .args:
      - .offset:         0
        .size:           4
        .value_kind:     by_value
      - .offset:         4
        .size:           1
        .value_kind:     by_value
      - .offset:         8
        .size:           32
        .value_kind:     by_value
      - .address_space:  global
        .offset:         40
        .size:           8
        .value_kind:     global_buffer
      - .address_space:  global
        .offset:         48
        .size:           8
        .value_kind:     global_buffer
      - .address_space:  global
        .offset:         56
        .size:           8
        .value_kind:     global_buffer
      - .offset:         64
        .size:           1
        .value_kind:     by_value
      - .offset:         65
        .size:           1
        .value_kind:     by_value
      - .offset:         72
        .size:           4
        .value_kind:     hidden_block_count_x
      - .offset:         76
        .size:           4
        .value_kind:     hidden_block_count_y
      - .offset:         80
        .size:           4
        .value_kind:     hidden_block_count_z
      - .offset:         84
        .size:           2
        .value_kind:     hidden_group_size_x
      - .offset:         86
        .size:           2
        .value_kind:     hidden_group_size_y
      - .offset:         88
        .size:           2
        .value_kind:     hidden_group_size_z
      - .offset:         90
        .size:           2
        .value_kind:     hidden_remainder_x
      - .offset:         92
        .size:           2
        .value_kind:     hidden_remainder_y
      - .offset:         94
        .size:           2
        .value_kind:     hidden_remainder_z
      - .offset:         112
        .size:           8
        .value_kind:     hidden_global_offset_x
      - .offset:         120
        .size:           8
        .value_kind:     hidden_global_offset_y
      - .offset:         128
        .size:           8
        .value_kind:     hidden_global_offset_z
      - .offset:         136
        .size:           2
        .value_kind:     hidden_grid_dims
    .group_segment_fixed_size: 16384
    .kernarg_segment_align: 8
    .kernarg_segment_size: 328
    .language:       OpenCL C
    .language_version:
      - 2
      - 0
    .max_flat_workgroup_size: 1024
    .name:           _ZN2at6native12_GLOBAL__N_138distribution_binary_elementwise_kernelIZN12_GLOBAL__N_120binomial_cuda_kernelIN3c104HalfEEEvRNS_18TensorIteratorBaseENS_15PhiloxCudaStateEEUlR25hiprandStatePhilox4_32_10S6_S6_E_23TrivialOffsetCalculatorILi2EjESD_ILi1EjEEEviT_S9_PN15function_traitsISG_E11result_typeEPKNSI_3argILi1EE4typeEPKNSL_ILi2EE4typeET0_T1_
    .private_segment_fixed_size: 0
    .sgpr_count:     76
    .sgpr_spill_count: 0
    .symbol:         _ZN2at6native12_GLOBAL__N_138distribution_binary_elementwise_kernelIZN12_GLOBAL__N_120binomial_cuda_kernelIN3c104HalfEEEvRNS_18TensorIteratorBaseENS_15PhiloxCudaStateEEUlR25hiprandStatePhilox4_32_10S6_S6_E_23TrivialOffsetCalculatorILi2EjESD_ILi1EjEEEviT_S9_PN15function_traitsISG_E11result_typeEPKNSI_3argILi1EE4typeEPKNSL_ILi2EE4typeET0_T1_.kd
    .uniform_work_group_size: 1
    .uses_dynamic_stack: false
    .vgpr_count:     104
    .vgpr_spill_count: 0
    .wavefront_size: 64
  - .agpr_count:     0
    .args:
      - .offset:         0
        .size:           4
        .value_kind:     by_value
      - .offset:         4
        .size:           1
        .value_kind:     by_value
      - .offset:         8
        .size:           32
        .value_kind:     by_value
      - .address_space:  global
        .offset:         40
        .size:           8
        .value_kind:     global_buffer
      - .address_space:  global
        .offset:         48
        .size:           8
        .value_kind:     global_buffer
      - .address_space:  global
        .offset:         56
        .size:           8
        .value_kind:     global_buffer
      - .offset:         64
        .size:           324
        .value_kind:     by_value
      - .offset:         388
        .size:           260
        .value_kind:     by_value
      - .offset:         648
        .size:           4
        .value_kind:     hidden_block_count_x
      - .offset:         652
        .size:           4
        .value_kind:     hidden_block_count_y
      - .offset:         656
        .size:           4
        .value_kind:     hidden_block_count_z
      - .offset:         660
        .size:           2
        .value_kind:     hidden_group_size_x
      - .offset:         662
        .size:           2
        .value_kind:     hidden_group_size_y
      - .offset:         664
        .size:           2
        .value_kind:     hidden_group_size_z
      - .offset:         666
        .size:           2
        .value_kind:     hidden_remainder_x
      - .offset:         668
        .size:           2
        .value_kind:     hidden_remainder_y
      - .offset:         670
        .size:           2
        .value_kind:     hidden_remainder_z
      - .offset:         688
        .size:           8
        .value_kind:     hidden_global_offset_x
      - .offset:         696
        .size:           8
        .value_kind:     hidden_global_offset_y
      - .offset:         704
        .size:           8
        .value_kind:     hidden_global_offset_z
      - .offset:         712
        .size:           2
        .value_kind:     hidden_grid_dims
    .group_segment_fixed_size: 16384
    .kernarg_segment_align: 8
    .kernarg_segment_size: 904
    .language:       OpenCL C
    .language_version:
      - 2
      - 0
    .max_flat_workgroup_size: 1024
    .name:           _ZN2at6native12_GLOBAL__N_138distribution_binary_elementwise_kernelIZN12_GLOBAL__N_120binomial_cuda_kernelIN3c104HalfEEEvRNS_18TensorIteratorBaseENS_15PhiloxCudaStateEEUlR25hiprandStatePhilox4_32_10S6_S6_E_16OffsetCalculatorILi2EjLb0EESD_ILi1EjLb0EEEEviT_S9_PN15function_traitsISG_E11result_typeEPKNSI_3argILi1EE4typeEPKNSL_ILi2EE4typeET0_T1_
    .private_segment_fixed_size: 0
    .sgpr_count:     100
    .sgpr_spill_count: 0
    .symbol:         _ZN2at6native12_GLOBAL__N_138distribution_binary_elementwise_kernelIZN12_GLOBAL__N_120binomial_cuda_kernelIN3c104HalfEEEvRNS_18TensorIteratorBaseENS_15PhiloxCudaStateEEUlR25hiprandStatePhilox4_32_10S6_S6_E_16OffsetCalculatorILi2EjLb0EESD_ILi1EjLb0EEEEviT_S9_PN15function_traitsISG_E11result_typeEPKNSI_3argILi1EE4typeEPKNSL_ILi2EE4typeET0_T1_.kd
    .uniform_work_group_size: 1
    .uses_dynamic_stack: false
    .vgpr_count:     108
    .vgpr_spill_count: 0
    .wavefront_size: 64
  - .agpr_count:     0
    .args:
      - .offset:         0
        .size:           4
        .value_kind:     by_value
      - .offset:         4
        .size:           1
        .value_kind:     by_value
      - .offset:         8
        .size:           32
        .value_kind:     by_value
      - .address_space:  global
        .offset:         40
        .size:           8
        .value_kind:     global_buffer
      - .address_space:  global
        .offset:         48
        .size:           8
        .value_kind:     global_buffer
      - .address_space:  global
        .offset:         56
        .size:           8
        .value_kind:     global_buffer
      - .offset:         64
        .size:           1
        .value_kind:     by_value
      - .offset:         65
        .size:           1
        .value_kind:     by_value
      - .offset:         72
        .size:           4
        .value_kind:     hidden_block_count_x
      - .offset:         76
        .size:           4
        .value_kind:     hidden_block_count_y
      - .offset:         80
        .size:           4
        .value_kind:     hidden_block_count_z
      - .offset:         84
        .size:           2
        .value_kind:     hidden_group_size_x
      - .offset:         86
        .size:           2
        .value_kind:     hidden_group_size_y
      - .offset:         88
        .size:           2
        .value_kind:     hidden_group_size_z
      - .offset:         90
        .size:           2
        .value_kind:     hidden_remainder_x
      - .offset:         92
        .size:           2
        .value_kind:     hidden_remainder_y
      - .offset:         94
        .size:           2
        .value_kind:     hidden_remainder_z
      - .offset:         112
        .size:           8
        .value_kind:     hidden_global_offset_x
      - .offset:         120
        .size:           8
        .value_kind:     hidden_global_offset_y
      - .offset:         128
        .size:           8
        .value_kind:     hidden_global_offset_z
      - .offset:         136
        .size:           2
        .value_kind:     hidden_grid_dims
    .group_segment_fixed_size: 16384
    .kernarg_segment_align: 8
    .kernarg_segment_size: 328
    .language:       OpenCL C
    .language_version:
      - 2
      - 0
    .max_flat_workgroup_size: 1024
    .name:           _ZN2at6native12_GLOBAL__N_138distribution_binary_elementwise_kernelIZN12_GLOBAL__N_120binomial_cuda_kernelIN3c108BFloat16EEEvRNS_18TensorIteratorBaseENS_15PhiloxCudaStateEEUlR25hiprandStatePhilox4_32_10S6_S6_E_23TrivialOffsetCalculatorILi2EjESD_ILi1EjEEEviT_S9_PN15function_traitsISG_E11result_typeEPKNSI_3argILi1EE4typeEPKNSL_ILi2EE4typeET0_T1_
    .private_segment_fixed_size: 0
    .sgpr_count:     76
    .sgpr_spill_count: 0
    .symbol:         _ZN2at6native12_GLOBAL__N_138distribution_binary_elementwise_kernelIZN12_GLOBAL__N_120binomial_cuda_kernelIN3c108BFloat16EEEvRNS_18TensorIteratorBaseENS_15PhiloxCudaStateEEUlR25hiprandStatePhilox4_32_10S6_S6_E_23TrivialOffsetCalculatorILi2EjESD_ILi1EjEEEviT_S9_PN15function_traitsISG_E11result_typeEPKNSI_3argILi1EE4typeEPKNSL_ILi2EE4typeET0_T1_.kd
    .uniform_work_group_size: 1
    .uses_dynamic_stack: false
    .vgpr_count:     106
    .vgpr_spill_count: 0
    .wavefront_size: 64
  - .agpr_count:     0
    .args:
      - .offset:         0
        .size:           4
        .value_kind:     by_value
      - .offset:         4
        .size:           1
        .value_kind:     by_value
      - .offset:         8
        .size:           32
        .value_kind:     by_value
      - .address_space:  global
        .offset:         40
        .size:           8
        .value_kind:     global_buffer
      - .address_space:  global
        .offset:         48
        .size:           8
        .value_kind:     global_buffer
      - .address_space:  global
        .offset:         56
        .size:           8
        .value_kind:     global_buffer
      - .offset:         64
        .size:           324
        .value_kind:     by_value
      - .offset:         388
        .size:           260
        .value_kind:     by_value
      - .offset:         648
        .size:           4
        .value_kind:     hidden_block_count_x
      - .offset:         652
        .size:           4
        .value_kind:     hidden_block_count_y
      - .offset:         656
        .size:           4
        .value_kind:     hidden_block_count_z
      - .offset:         660
        .size:           2
        .value_kind:     hidden_group_size_x
      - .offset:         662
        .size:           2
        .value_kind:     hidden_group_size_y
      - .offset:         664
        .size:           2
        .value_kind:     hidden_group_size_z
      - .offset:         666
        .size:           2
        .value_kind:     hidden_remainder_x
      - .offset:         668
        .size:           2
        .value_kind:     hidden_remainder_y
      - .offset:         670
        .size:           2
        .value_kind:     hidden_remainder_z
      - .offset:         688
        .size:           8
        .value_kind:     hidden_global_offset_x
      - .offset:         696
        .size:           8
        .value_kind:     hidden_global_offset_y
      - .offset:         704
        .size:           8
        .value_kind:     hidden_global_offset_z
      - .offset:         712
        .size:           2
        .value_kind:     hidden_grid_dims
    .group_segment_fixed_size: 16384
    .kernarg_segment_align: 8
    .kernarg_segment_size: 904
    .language:       OpenCL C
    .language_version:
      - 2
      - 0
    .max_flat_workgroup_size: 1024
    .name:           _ZN2at6native12_GLOBAL__N_138distribution_binary_elementwise_kernelIZN12_GLOBAL__N_120binomial_cuda_kernelIN3c108BFloat16EEEvRNS_18TensorIteratorBaseENS_15PhiloxCudaStateEEUlR25hiprandStatePhilox4_32_10S6_S6_E_16OffsetCalculatorILi2EjLb0EESD_ILi1EjLb0EEEEviT_S9_PN15function_traitsISG_E11result_typeEPKNSI_3argILi1EE4typeEPKNSL_ILi2EE4typeET0_T1_
    .private_segment_fixed_size: 0
    .sgpr_count:     100
    .sgpr_spill_count: 0
    .symbol:         _ZN2at6native12_GLOBAL__N_138distribution_binary_elementwise_kernelIZN12_GLOBAL__N_120binomial_cuda_kernelIN3c108BFloat16EEEvRNS_18TensorIteratorBaseENS_15PhiloxCudaStateEEUlR25hiprandStatePhilox4_32_10S6_S6_E_16OffsetCalculatorILi2EjLb0EESD_ILi1EjLb0EEEEviT_S9_PN15function_traitsISG_E11result_typeEPKNSI_3argILi1EE4typeEPKNSL_ILi2EE4typeET0_T1_.kd
    .uniform_work_group_size: 1
    .uses_dynamic_stack: false
    .vgpr_count:     108
    .vgpr_spill_count: 0
    .wavefront_size: 64
  - .agpr_count:     0
    .args:
      - .offset:         0
        .size:           216
        .value_kind:     by_value
      - .offset:         216
        .size:           216
        .value_kind:     by_value
      - .offset:         432
        .size:           4
        .value_kind:     by_value
      - .offset:         440
        .size:           32
        .value_kind:     by_value
      - .offset:         472
        .size:           4
        .value_kind:     hidden_block_count_x
      - .offset:         476
        .size:           4
        .value_kind:     hidden_block_count_y
      - .offset:         480
        .size:           4
        .value_kind:     hidden_block_count_z
      - .offset:         484
        .size:           2
        .value_kind:     hidden_group_size_x
      - .offset:         486
        .size:           2
        .value_kind:     hidden_group_size_y
      - .offset:         488
        .size:           2
        .value_kind:     hidden_group_size_z
      - .offset:         490
        .size:           2
        .value_kind:     hidden_remainder_x
      - .offset:         492
        .size:           2
        .value_kind:     hidden_remainder_y
      - .offset:         494
        .size:           2
        .value_kind:     hidden_remainder_z
      - .offset:         512
        .size:           8
        .value_kind:     hidden_global_offset_x
      - .offset:         520
        .size:           8
        .value_kind:     hidden_global_offset_y
      - .offset:         528
        .size:           8
        .value_kind:     hidden_global_offset_z
      - .offset:         536
        .size:           2
        .value_kind:     hidden_grid_dims
    .group_segment_fixed_size: 0
    .kernarg_segment_align: 8
    .kernarg_segment_size: 728
    .language:       OpenCL C
    .language_version:
      - 2
      - 0
    .max_flat_workgroup_size: 256
    .name:           _ZN2at4cuda12_GLOBAL__N_121kernelPointwiseApply2IZN12_GLOBAL__N_117gamma_cuda_kernelIdEEvRKNS_10TensorBaseES7_NS_15PhiloxCudaStateEEUlRdRKdE_ddjLi1ELi1ELi1ELi256ELi2EEEvNS0_6detail10TensorInfoIT0_T2_EENSE_IT1_SG_EESG_T_
    .private_segment_fixed_size: 0
    .sgpr_count:     100
    .sgpr_spill_count: 0
    .symbol:         _ZN2at4cuda12_GLOBAL__N_121kernelPointwiseApply2IZN12_GLOBAL__N_117gamma_cuda_kernelIdEEvRKNS_10TensorBaseES7_NS_15PhiloxCudaStateEEUlRdRKdE_ddjLi1ELi1ELi1ELi256ELi2EEEvNS0_6detail10TensorInfoIT0_T2_EENSE_IT1_SG_EESG_T_.kd
    .uniform_work_group_size: 1
    .uses_dynamic_stack: false
    .vgpr_count:     110
    .vgpr_spill_count: 0
    .wavefront_size: 64
  - .agpr_count:     0
    .args:
      - .offset:         0
        .size:           216
        .value_kind:     by_value
      - .offset:         216
        .size:           216
        .value_kind:     by_value
      - .offset:         432
        .size:           4
        .value_kind:     by_value
      - .offset:         440
        .size:           32
        .value_kind:     by_value
      - .offset:         472
        .size:           4
        .value_kind:     hidden_block_count_x
      - .offset:         476
        .size:           4
        .value_kind:     hidden_block_count_y
      - .offset:         480
        .size:           4
        .value_kind:     hidden_block_count_z
      - .offset:         484
        .size:           2
        .value_kind:     hidden_group_size_x
      - .offset:         486
        .size:           2
        .value_kind:     hidden_group_size_y
      - .offset:         488
        .size:           2
        .value_kind:     hidden_group_size_z
      - .offset:         490
        .size:           2
        .value_kind:     hidden_remainder_x
      - .offset:         492
        .size:           2
        .value_kind:     hidden_remainder_y
      - .offset:         494
        .size:           2
        .value_kind:     hidden_remainder_z
      - .offset:         512
        .size:           8
        .value_kind:     hidden_global_offset_x
      - .offset:         520
        .size:           8
        .value_kind:     hidden_global_offset_y
      - .offset:         528
        .size:           8
        .value_kind:     hidden_global_offset_z
      - .offset:         536
        .size:           2
        .value_kind:     hidden_grid_dims
    .group_segment_fixed_size: 0
    .kernarg_segment_align: 8
    .kernarg_segment_size: 728
    .language:       OpenCL C
    .language_version:
      - 2
      - 0
    .max_flat_workgroup_size: 256
    .name:           _ZN2at4cuda12_GLOBAL__N_121kernelPointwiseApply2IZN12_GLOBAL__N_117gamma_cuda_kernelIdEEvRKNS_10TensorBaseES7_NS_15PhiloxCudaStateEEUlRdRKdE_ddjLi1ELi2ELi1ELi256ELi2EEEvNS0_6detail10TensorInfoIT0_T2_EENSE_IT1_SG_EESG_T_
    .private_segment_fixed_size: 0
    .sgpr_count:     100
    .sgpr_spill_count: 0
    .symbol:         _ZN2at4cuda12_GLOBAL__N_121kernelPointwiseApply2IZN12_GLOBAL__N_117gamma_cuda_kernelIdEEvRKNS_10TensorBaseES7_NS_15PhiloxCudaStateEEUlRdRKdE_ddjLi1ELi2ELi1ELi256ELi2EEEvNS0_6detail10TensorInfoIT0_T2_EENSE_IT1_SG_EESG_T_.kd
    .uniform_work_group_size: 1
    .uses_dynamic_stack: false
    .vgpr_count:     116
    .vgpr_spill_count: 0
    .wavefront_size: 64
  - .agpr_count:     0
    .args:
      - .offset:         0
        .size:           216
        .value_kind:     by_value
      - .offset:         216
        .size:           216
        .value_kind:     by_value
      - .offset:         432
        .size:           4
        .value_kind:     by_value
      - .offset:         440
        .size:           32
        .value_kind:     by_value
      - .offset:         472
        .size:           4
        .value_kind:     hidden_block_count_x
      - .offset:         476
        .size:           4
        .value_kind:     hidden_block_count_y
      - .offset:         480
        .size:           4
        .value_kind:     hidden_block_count_z
      - .offset:         484
        .size:           2
        .value_kind:     hidden_group_size_x
      - .offset:         486
        .size:           2
        .value_kind:     hidden_group_size_y
      - .offset:         488
        .size:           2
        .value_kind:     hidden_group_size_z
      - .offset:         490
        .size:           2
        .value_kind:     hidden_remainder_x
      - .offset:         492
        .size:           2
        .value_kind:     hidden_remainder_y
      - .offset:         494
        .size:           2
        .value_kind:     hidden_remainder_z
      - .offset:         512
        .size:           8
        .value_kind:     hidden_global_offset_x
      - .offset:         520
        .size:           8
        .value_kind:     hidden_global_offset_y
      - .offset:         528
        .size:           8
        .value_kind:     hidden_global_offset_z
      - .offset:         536
        .size:           2
        .value_kind:     hidden_grid_dims
    .group_segment_fixed_size: 0
    .kernarg_segment_align: 8
    .kernarg_segment_size: 728
    .language:       OpenCL C
    .language_version:
      - 2
      - 0
    .max_flat_workgroup_size: 256
    .name:           _ZN2at4cuda12_GLOBAL__N_121kernelPointwiseApply2IZN12_GLOBAL__N_117gamma_cuda_kernelIdEEvRKNS_10TensorBaseES7_NS_15PhiloxCudaStateEEUlRdRKdE_ddjLi1ELin1ELi1ELi256ELi2EEEvNS0_6detail10TensorInfoIT0_T2_EENSE_IT1_SG_EESG_T_
    .private_segment_fixed_size: 0
    .sgpr_count:     100
    .sgpr_spill_count: 2
    .symbol:         _ZN2at4cuda12_GLOBAL__N_121kernelPointwiseApply2IZN12_GLOBAL__N_117gamma_cuda_kernelIdEEvRKNS_10TensorBaseES7_NS_15PhiloxCudaStateEEUlRdRKdE_ddjLi1ELin1ELi1ELi256ELi2EEEvNS0_6detail10TensorInfoIT0_T2_EENSE_IT1_SG_EESG_T_.kd
    .uniform_work_group_size: 1
    .uses_dynamic_stack: false
    .vgpr_count:     117
    .vgpr_spill_count: 0
    .wavefront_size: 64
  - .agpr_count:     0
    .args:
      - .offset:         0
        .size:           216
        .value_kind:     by_value
      - .offset:         216
        .size:           216
        .value_kind:     by_value
      - .offset:         432
        .size:           4
        .value_kind:     by_value
      - .offset:         440
        .size:           32
        .value_kind:     by_value
      - .offset:         472
        .size:           4
        .value_kind:     hidden_block_count_x
      - .offset:         476
        .size:           4
        .value_kind:     hidden_block_count_y
      - .offset:         480
        .size:           4
        .value_kind:     hidden_block_count_z
      - .offset:         484
        .size:           2
        .value_kind:     hidden_group_size_x
      - .offset:         486
        .size:           2
        .value_kind:     hidden_group_size_y
      - .offset:         488
        .size:           2
        .value_kind:     hidden_group_size_z
      - .offset:         490
        .size:           2
        .value_kind:     hidden_remainder_x
      - .offset:         492
        .size:           2
        .value_kind:     hidden_remainder_y
      - .offset:         494
        .size:           2
        .value_kind:     hidden_remainder_z
      - .offset:         512
        .size:           8
        .value_kind:     hidden_global_offset_x
      - .offset:         520
        .size:           8
        .value_kind:     hidden_global_offset_y
      - .offset:         528
        .size:           8
        .value_kind:     hidden_global_offset_z
      - .offset:         536
        .size:           2
        .value_kind:     hidden_grid_dims
    .group_segment_fixed_size: 0
    .kernarg_segment_align: 8
    .kernarg_segment_size: 728
    .language:       OpenCL C
    .language_version:
      - 2
      - 0
    .max_flat_workgroup_size: 256
    .name:           _ZN2at4cuda12_GLOBAL__N_121kernelPointwiseApply2IZN12_GLOBAL__N_117gamma_cuda_kernelIdEEvRKNS_10TensorBaseES7_NS_15PhiloxCudaStateEEUlRdRKdE_ddjLi2ELi1ELi1ELi256ELi2EEEvNS0_6detail10TensorInfoIT0_T2_EENSE_IT1_SG_EESG_T_
    .private_segment_fixed_size: 0
    .sgpr_count:     100
    .sgpr_spill_count: 0
    .symbol:         _ZN2at4cuda12_GLOBAL__N_121kernelPointwiseApply2IZN12_GLOBAL__N_117gamma_cuda_kernelIdEEvRKNS_10TensorBaseES7_NS_15PhiloxCudaStateEEUlRdRKdE_ddjLi2ELi1ELi1ELi256ELi2EEEvNS0_6detail10TensorInfoIT0_T2_EENSE_IT1_SG_EESG_T_.kd
    .uniform_work_group_size: 1
    .uses_dynamic_stack: false
    .vgpr_count:     116
    .vgpr_spill_count: 0
    .wavefront_size: 64
  - .agpr_count:     0
    .args:
      - .offset:         0
        .size:           216
        .value_kind:     by_value
      - .offset:         216
        .size:           216
        .value_kind:     by_value
      - .offset:         432
        .size:           4
        .value_kind:     by_value
      - .offset:         440
        .size:           32
        .value_kind:     by_value
      - .offset:         472
        .size:           4
        .value_kind:     hidden_block_count_x
      - .offset:         476
        .size:           4
        .value_kind:     hidden_block_count_y
      - .offset:         480
        .size:           4
        .value_kind:     hidden_block_count_z
      - .offset:         484
        .size:           2
        .value_kind:     hidden_group_size_x
      - .offset:         486
        .size:           2
        .value_kind:     hidden_group_size_y
      - .offset:         488
        .size:           2
        .value_kind:     hidden_group_size_z
      - .offset:         490
        .size:           2
        .value_kind:     hidden_remainder_x
      - .offset:         492
        .size:           2
        .value_kind:     hidden_remainder_y
      - .offset:         494
        .size:           2
        .value_kind:     hidden_remainder_z
      - .offset:         512
        .size:           8
        .value_kind:     hidden_global_offset_x
      - .offset:         520
        .size:           8
        .value_kind:     hidden_global_offset_y
      - .offset:         528
        .size:           8
        .value_kind:     hidden_global_offset_z
      - .offset:         536
        .size:           2
        .value_kind:     hidden_grid_dims
    .group_segment_fixed_size: 0
    .kernarg_segment_align: 8
    .kernarg_segment_size: 728
    .language:       OpenCL C
    .language_version:
      - 2
      - 0
    .max_flat_workgroup_size: 256
    .name:           _ZN2at4cuda12_GLOBAL__N_121kernelPointwiseApply2IZN12_GLOBAL__N_117gamma_cuda_kernelIdEEvRKNS_10TensorBaseES7_NS_15PhiloxCudaStateEEUlRdRKdE_ddjLi2ELi2ELi1ELi256ELi2EEEvNS0_6detail10TensorInfoIT0_T2_EENSE_IT1_SG_EESG_T_
    .private_segment_fixed_size: 0
    .sgpr_count:     100
    .sgpr_spill_count: 0
    .symbol:         _ZN2at4cuda12_GLOBAL__N_121kernelPointwiseApply2IZN12_GLOBAL__N_117gamma_cuda_kernelIdEEvRKNS_10TensorBaseES7_NS_15PhiloxCudaStateEEUlRdRKdE_ddjLi2ELi2ELi1ELi256ELi2EEEvNS0_6detail10TensorInfoIT0_T2_EENSE_IT1_SG_EESG_T_.kd
    .uniform_work_group_size: 1
    .uses_dynamic_stack: false
    .vgpr_count:     118
    .vgpr_spill_count: 0
    .wavefront_size: 64
  - .agpr_count:     0
    .args:
      - .offset:         0
        .size:           216
        .value_kind:     by_value
      - .offset:         216
        .size:           216
        .value_kind:     by_value
      - .offset:         432
        .size:           4
        .value_kind:     by_value
      - .offset:         440
        .size:           32
        .value_kind:     by_value
      - .offset:         472
        .size:           4
        .value_kind:     hidden_block_count_x
      - .offset:         476
        .size:           4
        .value_kind:     hidden_block_count_y
      - .offset:         480
        .size:           4
        .value_kind:     hidden_block_count_z
      - .offset:         484
        .size:           2
        .value_kind:     hidden_group_size_x
      - .offset:         486
        .size:           2
        .value_kind:     hidden_group_size_y
      - .offset:         488
        .size:           2
        .value_kind:     hidden_group_size_z
      - .offset:         490
        .size:           2
        .value_kind:     hidden_remainder_x
      - .offset:         492
        .size:           2
        .value_kind:     hidden_remainder_y
      - .offset:         494
        .size:           2
        .value_kind:     hidden_remainder_z
      - .offset:         512
        .size:           8
        .value_kind:     hidden_global_offset_x
      - .offset:         520
        .size:           8
        .value_kind:     hidden_global_offset_y
      - .offset:         528
        .size:           8
        .value_kind:     hidden_global_offset_z
      - .offset:         536
        .size:           2
        .value_kind:     hidden_grid_dims
    .group_segment_fixed_size: 0
    .kernarg_segment_align: 8
    .kernarg_segment_size: 728
    .language:       OpenCL C
    .language_version:
      - 2
      - 0
    .max_flat_workgroup_size: 256
    .name:           _ZN2at4cuda12_GLOBAL__N_121kernelPointwiseApply2IZN12_GLOBAL__N_117gamma_cuda_kernelIdEEvRKNS_10TensorBaseES7_NS_15PhiloxCudaStateEEUlRdRKdE_ddjLi2ELin1ELi1ELi256ELi2EEEvNS0_6detail10TensorInfoIT0_T2_EENSE_IT1_SG_EESG_T_
    .private_segment_fixed_size: 0
    .sgpr_count:     100
    .sgpr_spill_count: 1
    .symbol:         _ZN2at4cuda12_GLOBAL__N_121kernelPointwiseApply2IZN12_GLOBAL__N_117gamma_cuda_kernelIdEEvRKNS_10TensorBaseES7_NS_15PhiloxCudaStateEEUlRdRKdE_ddjLi2ELin1ELi1ELi256ELi2EEEvNS0_6detail10TensorInfoIT0_T2_EENSE_IT1_SG_EESG_T_.kd
    .uniform_work_group_size: 1
    .uses_dynamic_stack: false
    .vgpr_count:     117
    .vgpr_spill_count: 0
    .wavefront_size: 64
  - .agpr_count:     0
    .args:
      - .offset:         0
        .size:           216
        .value_kind:     by_value
      - .offset:         216
        .size:           216
        .value_kind:     by_value
      - .offset:         432
        .size:           4
        .value_kind:     by_value
      - .offset:         440
        .size:           32
        .value_kind:     by_value
      - .offset:         472
        .size:           4
        .value_kind:     hidden_block_count_x
      - .offset:         476
        .size:           4
        .value_kind:     hidden_block_count_y
      - .offset:         480
        .size:           4
        .value_kind:     hidden_block_count_z
      - .offset:         484
        .size:           2
        .value_kind:     hidden_group_size_x
      - .offset:         486
        .size:           2
        .value_kind:     hidden_group_size_y
      - .offset:         488
        .size:           2
        .value_kind:     hidden_group_size_z
      - .offset:         490
        .size:           2
        .value_kind:     hidden_remainder_x
      - .offset:         492
        .size:           2
        .value_kind:     hidden_remainder_y
      - .offset:         494
        .size:           2
        .value_kind:     hidden_remainder_z
      - .offset:         512
        .size:           8
        .value_kind:     hidden_global_offset_x
      - .offset:         520
        .size:           8
        .value_kind:     hidden_global_offset_y
      - .offset:         528
        .size:           8
        .value_kind:     hidden_global_offset_z
      - .offset:         536
        .size:           2
        .value_kind:     hidden_grid_dims
    .group_segment_fixed_size: 0
    .kernarg_segment_align: 8
    .kernarg_segment_size: 728
    .language:       OpenCL C
    .language_version:
      - 2
      - 0
    .max_flat_workgroup_size: 256
    .name:           _ZN2at4cuda12_GLOBAL__N_121kernelPointwiseApply2IZN12_GLOBAL__N_117gamma_cuda_kernelIdEEvRKNS_10TensorBaseES7_NS_15PhiloxCudaStateEEUlRdRKdE_ddjLin1ELi1ELi1ELi256ELi2EEEvNS0_6detail10TensorInfoIT0_T2_EENSE_IT1_SG_EESG_T_
    .private_segment_fixed_size: 0
    .sgpr_count:     100
    .sgpr_spill_count: 1
    .symbol:         _ZN2at4cuda12_GLOBAL__N_121kernelPointwiseApply2IZN12_GLOBAL__N_117gamma_cuda_kernelIdEEvRKNS_10TensorBaseES7_NS_15PhiloxCudaStateEEUlRdRKdE_ddjLin1ELi1ELi1ELi256ELi2EEEvNS0_6detail10TensorInfoIT0_T2_EENSE_IT1_SG_EESG_T_.kd
    .uniform_work_group_size: 1
    .uses_dynamic_stack: false
    .vgpr_count:     117
    .vgpr_spill_count: 0
    .wavefront_size: 64
  - .agpr_count:     0
    .args:
      - .offset:         0
        .size:           216
        .value_kind:     by_value
      - .offset:         216
        .size:           216
        .value_kind:     by_value
      - .offset:         432
        .size:           4
        .value_kind:     by_value
      - .offset:         440
        .size:           32
        .value_kind:     by_value
      - .offset:         472
        .size:           4
        .value_kind:     hidden_block_count_x
      - .offset:         476
        .size:           4
        .value_kind:     hidden_block_count_y
      - .offset:         480
        .size:           4
        .value_kind:     hidden_block_count_z
      - .offset:         484
        .size:           2
        .value_kind:     hidden_group_size_x
      - .offset:         486
        .size:           2
        .value_kind:     hidden_group_size_y
      - .offset:         488
        .size:           2
        .value_kind:     hidden_group_size_z
      - .offset:         490
        .size:           2
        .value_kind:     hidden_remainder_x
      - .offset:         492
        .size:           2
        .value_kind:     hidden_remainder_y
      - .offset:         494
        .size:           2
        .value_kind:     hidden_remainder_z
      - .offset:         512
        .size:           8
        .value_kind:     hidden_global_offset_x
      - .offset:         520
        .size:           8
        .value_kind:     hidden_global_offset_y
      - .offset:         528
        .size:           8
        .value_kind:     hidden_global_offset_z
      - .offset:         536
        .size:           2
        .value_kind:     hidden_grid_dims
    .group_segment_fixed_size: 0
    .kernarg_segment_align: 8
    .kernarg_segment_size: 728
    .language:       OpenCL C
    .language_version:
      - 2
      - 0
    .max_flat_workgroup_size: 256
    .name:           _ZN2at4cuda12_GLOBAL__N_121kernelPointwiseApply2IZN12_GLOBAL__N_117gamma_cuda_kernelIdEEvRKNS_10TensorBaseES7_NS_15PhiloxCudaStateEEUlRdRKdE_ddjLin1ELi2ELi1ELi256ELi2EEEvNS0_6detail10TensorInfoIT0_T2_EENSE_IT1_SG_EESG_T_
    .private_segment_fixed_size: 0
    .sgpr_count:     100
    .sgpr_spill_count: 1
    .symbol:         _ZN2at4cuda12_GLOBAL__N_121kernelPointwiseApply2IZN12_GLOBAL__N_117gamma_cuda_kernelIdEEvRKNS_10TensorBaseES7_NS_15PhiloxCudaStateEEUlRdRKdE_ddjLin1ELi2ELi1ELi256ELi2EEEvNS0_6detail10TensorInfoIT0_T2_EENSE_IT1_SG_EESG_T_.kd
    .uniform_work_group_size: 1
    .uses_dynamic_stack: false
    .vgpr_count:     117
    .vgpr_spill_count: 0
    .wavefront_size: 64
  - .agpr_count:     0
    .args:
      - .offset:         0
        .size:           216
        .value_kind:     by_value
      - .offset:         216
        .size:           216
        .value_kind:     by_value
      - .offset:         432
        .size:           4
        .value_kind:     by_value
      - .offset:         440
        .size:           32
        .value_kind:     by_value
      - .offset:         472
        .size:           4
        .value_kind:     hidden_block_count_x
      - .offset:         476
        .size:           4
        .value_kind:     hidden_block_count_y
      - .offset:         480
        .size:           4
        .value_kind:     hidden_block_count_z
      - .offset:         484
        .size:           2
        .value_kind:     hidden_group_size_x
      - .offset:         486
        .size:           2
        .value_kind:     hidden_group_size_y
      - .offset:         488
        .size:           2
        .value_kind:     hidden_group_size_z
      - .offset:         490
        .size:           2
        .value_kind:     hidden_remainder_x
      - .offset:         492
        .size:           2
        .value_kind:     hidden_remainder_y
      - .offset:         494
        .size:           2
        .value_kind:     hidden_remainder_z
      - .offset:         512
        .size:           8
        .value_kind:     hidden_global_offset_x
      - .offset:         520
        .size:           8
        .value_kind:     hidden_global_offset_y
      - .offset:         528
        .size:           8
        .value_kind:     hidden_global_offset_z
      - .offset:         536
        .size:           2
        .value_kind:     hidden_grid_dims
    .group_segment_fixed_size: 0
    .kernarg_segment_align: 8
    .kernarg_segment_size: 728
    .language:       OpenCL C
    .language_version:
      - 2
      - 0
    .max_flat_workgroup_size: 256
    .name:           _ZN2at4cuda12_GLOBAL__N_121kernelPointwiseApply2IZN12_GLOBAL__N_117gamma_cuda_kernelIdEEvRKNS_10TensorBaseES7_NS_15PhiloxCudaStateEEUlRdRKdE_ddjLin1ELin1ELi1ELi256ELi2EEEvNS0_6detail10TensorInfoIT0_T2_EENSE_IT1_SG_EESG_T_
    .private_segment_fixed_size: 0
    .sgpr_count:     100
    .sgpr_spill_count: 4
    .symbol:         _ZN2at4cuda12_GLOBAL__N_121kernelPointwiseApply2IZN12_GLOBAL__N_117gamma_cuda_kernelIdEEvRKNS_10TensorBaseES7_NS_15PhiloxCudaStateEEUlRdRKdE_ddjLin1ELin1ELi1ELi256ELi2EEEvNS0_6detail10TensorInfoIT0_T2_EENSE_IT1_SG_EESG_T_.kd
    .uniform_work_group_size: 1
    .uses_dynamic_stack: false
    .vgpr_count:     117
    .vgpr_spill_count: 0
    .wavefront_size: 64
  - .agpr_count:     0
    .args:
      - .offset:         0
        .size:           416
        .value_kind:     by_value
      - .offset:         416
        .size:           416
        .value_kind:     by_value
      - .offset:         832
        .size:           8
        .value_kind:     by_value
      - .offset:         840
        .size:           32
        .value_kind:     by_value
      - .offset:         872
        .size:           4
        .value_kind:     hidden_block_count_x
      - .offset:         876
        .size:           4
        .value_kind:     hidden_block_count_y
      - .offset:         880
        .size:           4
        .value_kind:     hidden_block_count_z
      - .offset:         884
        .size:           2
        .value_kind:     hidden_group_size_x
      - .offset:         886
        .size:           2
        .value_kind:     hidden_group_size_y
      - .offset:         888
        .size:           2
        .value_kind:     hidden_group_size_z
      - .offset:         890
        .size:           2
        .value_kind:     hidden_remainder_x
      - .offset:         892
        .size:           2
        .value_kind:     hidden_remainder_y
      - .offset:         894
        .size:           2
        .value_kind:     hidden_remainder_z
      - .offset:         912
        .size:           8
        .value_kind:     hidden_global_offset_x
      - .offset:         920
        .size:           8
        .value_kind:     hidden_global_offset_y
      - .offset:         928
        .size:           8
        .value_kind:     hidden_global_offset_z
      - .offset:         936
        .size:           2
        .value_kind:     hidden_grid_dims
    .group_segment_fixed_size: 0
    .kernarg_segment_align: 8
    .kernarg_segment_size: 1128
    .language:       OpenCL C
    .language_version:
      - 2
      - 0
    .max_flat_workgroup_size: 256
    .name:           _ZN2at4cuda12_GLOBAL__N_121kernelPointwiseApply2IZN12_GLOBAL__N_117gamma_cuda_kernelIdEEvRKNS_10TensorBaseES7_NS_15PhiloxCudaStateEEUlRdRKdE_ddmLi1ELi1ELi1ELi256ELi2EEEvNS0_6detail10TensorInfoIT0_T2_EENSE_IT1_SG_EESG_T_
    .private_segment_fixed_size: 0
    .sgpr_count:     100
    .sgpr_spill_count: 0
    .symbol:         _ZN2at4cuda12_GLOBAL__N_121kernelPointwiseApply2IZN12_GLOBAL__N_117gamma_cuda_kernelIdEEvRKNS_10TensorBaseES7_NS_15PhiloxCudaStateEEUlRdRKdE_ddmLi1ELi1ELi1ELi256ELi2EEEvNS0_6detail10TensorInfoIT0_T2_EENSE_IT1_SG_EESG_T_.kd
    .uniform_work_group_size: 1
    .uses_dynamic_stack: false
    .vgpr_count:     114
    .vgpr_spill_count: 0
    .wavefront_size: 64
  - .agpr_count:     0
    .args:
      - .offset:         0
        .size:           416
        .value_kind:     by_value
      - .offset:         416
        .size:           416
        .value_kind:     by_value
      - .offset:         832
        .size:           8
        .value_kind:     by_value
      - .offset:         840
        .size:           32
        .value_kind:     by_value
      - .offset:         872
        .size:           4
        .value_kind:     hidden_block_count_x
      - .offset:         876
        .size:           4
        .value_kind:     hidden_block_count_y
      - .offset:         880
        .size:           4
        .value_kind:     hidden_block_count_z
      - .offset:         884
        .size:           2
        .value_kind:     hidden_group_size_x
      - .offset:         886
        .size:           2
        .value_kind:     hidden_group_size_y
      - .offset:         888
        .size:           2
        .value_kind:     hidden_group_size_z
      - .offset:         890
        .size:           2
        .value_kind:     hidden_remainder_x
      - .offset:         892
        .size:           2
        .value_kind:     hidden_remainder_y
      - .offset:         894
        .size:           2
        .value_kind:     hidden_remainder_z
      - .offset:         912
        .size:           8
        .value_kind:     hidden_global_offset_x
      - .offset:         920
        .size:           8
        .value_kind:     hidden_global_offset_y
      - .offset:         928
        .size:           8
        .value_kind:     hidden_global_offset_z
      - .offset:         936
        .size:           2
        .value_kind:     hidden_grid_dims
    .group_segment_fixed_size: 0
    .kernarg_segment_align: 8
    .kernarg_segment_size: 1128
    .language:       OpenCL C
    .language_version:
      - 2
      - 0
    .max_flat_workgroup_size: 256
    .name:           _ZN2at4cuda12_GLOBAL__N_121kernelPointwiseApply2IZN12_GLOBAL__N_117gamma_cuda_kernelIdEEvRKNS_10TensorBaseES7_NS_15PhiloxCudaStateEEUlRdRKdE_ddmLin1ELin1ELi1ELi256ELi2EEEvNS0_6detail10TensorInfoIT0_T2_EENSE_IT1_SG_EESG_T_
    .private_segment_fixed_size: 0
    .sgpr_count:     100
    .sgpr_spill_count: 5
    .symbol:         _ZN2at4cuda12_GLOBAL__N_121kernelPointwiseApply2IZN12_GLOBAL__N_117gamma_cuda_kernelIdEEvRKNS_10TensorBaseES7_NS_15PhiloxCudaStateEEUlRdRKdE_ddmLin1ELin1ELi1ELi256ELi2EEEvNS0_6detail10TensorInfoIT0_T2_EENSE_IT1_SG_EESG_T_.kd
    .uniform_work_group_size: 1
    .uses_dynamic_stack: false
    .vgpr_count:     117
    .vgpr_spill_count: 0
    .wavefront_size: 64
  - .agpr_count:     0
    .args:
      - .offset:         0
        .size:           216
        .value_kind:     by_value
      - .offset:         216
        .size:           216
        .value_kind:     by_value
      - .offset:         432
        .size:           4
        .value_kind:     by_value
      - .offset:         440
        .size:           32
        .value_kind:     by_value
      - .offset:         472
        .size:           4
        .value_kind:     hidden_block_count_x
      - .offset:         476
        .size:           4
        .value_kind:     hidden_block_count_y
      - .offset:         480
        .size:           4
        .value_kind:     hidden_block_count_z
      - .offset:         484
        .size:           2
        .value_kind:     hidden_group_size_x
      - .offset:         486
        .size:           2
        .value_kind:     hidden_group_size_y
      - .offset:         488
        .size:           2
        .value_kind:     hidden_group_size_z
      - .offset:         490
        .size:           2
        .value_kind:     hidden_remainder_x
      - .offset:         492
        .size:           2
        .value_kind:     hidden_remainder_y
      - .offset:         494
        .size:           2
        .value_kind:     hidden_remainder_z
      - .offset:         512
        .size:           8
        .value_kind:     hidden_global_offset_x
      - .offset:         520
        .size:           8
        .value_kind:     hidden_global_offset_y
      - .offset:         528
        .size:           8
        .value_kind:     hidden_global_offset_z
      - .offset:         536
        .size:           2
        .value_kind:     hidden_grid_dims
    .group_segment_fixed_size: 0
    .kernarg_segment_align: 8
    .kernarg_segment_size: 728
    .language:       OpenCL C
    .language_version:
      - 2
      - 0
    .max_flat_workgroup_size: 256
    .name:           _ZN2at4cuda12_GLOBAL__N_121kernelPointwiseApply2IZN12_GLOBAL__N_117gamma_cuda_kernelIfEEvRKNS_10TensorBaseES7_NS_15PhiloxCudaStateEEUlRfRKfE_ffjLi1ELi1ELi1ELi256ELi2EEEvNS0_6detail10TensorInfoIT0_T2_EENSE_IT1_SG_EESG_T_
    .private_segment_fixed_size: 0
    .sgpr_count:     65
    .sgpr_spill_count: 0
    .symbol:         _ZN2at4cuda12_GLOBAL__N_121kernelPointwiseApply2IZN12_GLOBAL__N_117gamma_cuda_kernelIfEEvRKNS_10TensorBaseES7_NS_15PhiloxCudaStateEEUlRfRKfE_ffjLi1ELi1ELi1ELi256ELi2EEEvNS0_6detail10TensorInfoIT0_T2_EENSE_IT1_SG_EESG_T_.kd
    .uniform_work_group_size: 1
    .uses_dynamic_stack: false
    .vgpr_count:     62
    .vgpr_spill_count: 0
    .wavefront_size: 64
  - .agpr_count:     0
    .args:
      - .offset:         0
        .size:           216
        .value_kind:     by_value
      - .offset:         216
        .size:           216
        .value_kind:     by_value
      - .offset:         432
        .size:           4
        .value_kind:     by_value
      - .offset:         440
        .size:           32
        .value_kind:     by_value
      - .offset:         472
        .size:           4
        .value_kind:     hidden_block_count_x
      - .offset:         476
        .size:           4
        .value_kind:     hidden_block_count_y
      - .offset:         480
        .size:           4
        .value_kind:     hidden_block_count_z
      - .offset:         484
        .size:           2
        .value_kind:     hidden_group_size_x
      - .offset:         486
        .size:           2
        .value_kind:     hidden_group_size_y
      - .offset:         488
        .size:           2
        .value_kind:     hidden_group_size_z
      - .offset:         490
        .size:           2
        .value_kind:     hidden_remainder_x
      - .offset:         492
        .size:           2
        .value_kind:     hidden_remainder_y
      - .offset:         494
        .size:           2
        .value_kind:     hidden_remainder_z
      - .offset:         512
        .size:           8
        .value_kind:     hidden_global_offset_x
      - .offset:         520
        .size:           8
        .value_kind:     hidden_global_offset_y
      - .offset:         528
        .size:           8
        .value_kind:     hidden_global_offset_z
      - .offset:         536
        .size:           2
        .value_kind:     hidden_grid_dims
    .group_segment_fixed_size: 0
    .kernarg_segment_align: 8
    .kernarg_segment_size: 728
    .language:       OpenCL C
    .language_version:
      - 2
      - 0
    .max_flat_workgroup_size: 256
    .name:           _ZN2at4cuda12_GLOBAL__N_121kernelPointwiseApply2IZN12_GLOBAL__N_117gamma_cuda_kernelIfEEvRKNS_10TensorBaseES7_NS_15PhiloxCudaStateEEUlRfRKfE_ffjLi1ELi2ELi1ELi256ELi2EEEvNS0_6detail10TensorInfoIT0_T2_EENSE_IT1_SG_EESG_T_
    .private_segment_fixed_size: 0
    .sgpr_count:     65
    .sgpr_spill_count: 0
    .symbol:         _ZN2at4cuda12_GLOBAL__N_121kernelPointwiseApply2IZN12_GLOBAL__N_117gamma_cuda_kernelIfEEvRKNS_10TensorBaseES7_NS_15PhiloxCudaStateEEUlRfRKfE_ffjLi1ELi2ELi1ELi256ELi2EEEvNS0_6detail10TensorInfoIT0_T2_EENSE_IT1_SG_EESG_T_.kd
    .uniform_work_group_size: 1
    .uses_dynamic_stack: false
    .vgpr_count:     66
    .vgpr_spill_count: 0
    .wavefront_size: 64
  - .agpr_count:     0
    .args:
      - .offset:         0
        .size:           216
        .value_kind:     by_value
      - .offset:         216
        .size:           216
        .value_kind:     by_value
      - .offset:         432
        .size:           4
        .value_kind:     by_value
      - .offset:         440
        .size:           32
        .value_kind:     by_value
      - .offset:         472
        .size:           4
        .value_kind:     hidden_block_count_x
      - .offset:         476
        .size:           4
        .value_kind:     hidden_block_count_y
      - .offset:         480
        .size:           4
        .value_kind:     hidden_block_count_z
      - .offset:         484
        .size:           2
        .value_kind:     hidden_group_size_x
      - .offset:         486
        .size:           2
        .value_kind:     hidden_group_size_y
      - .offset:         488
        .size:           2
        .value_kind:     hidden_group_size_z
      - .offset:         490
        .size:           2
        .value_kind:     hidden_remainder_x
      - .offset:         492
        .size:           2
        .value_kind:     hidden_remainder_y
      - .offset:         494
        .size:           2
        .value_kind:     hidden_remainder_z
      - .offset:         512
        .size:           8
        .value_kind:     hidden_global_offset_x
      - .offset:         520
        .size:           8
        .value_kind:     hidden_global_offset_y
      - .offset:         528
        .size:           8
        .value_kind:     hidden_global_offset_z
      - .offset:         536
        .size:           2
        .value_kind:     hidden_grid_dims
    .group_segment_fixed_size: 0
    .kernarg_segment_align: 8
    .kernarg_segment_size: 728
    .language:       OpenCL C
    .language_version:
      - 2
      - 0
    .max_flat_workgroup_size: 256
    .name:           _ZN2at4cuda12_GLOBAL__N_121kernelPointwiseApply2IZN12_GLOBAL__N_117gamma_cuda_kernelIfEEvRKNS_10TensorBaseES7_NS_15PhiloxCudaStateEEUlRfRKfE_ffjLi1ELin1ELi1ELi256ELi2EEEvNS0_6detail10TensorInfoIT0_T2_EENSE_IT1_SG_EESG_T_
    .private_segment_fixed_size: 0
    .sgpr_count:     67
    .sgpr_spill_count: 0
    .symbol:         _ZN2at4cuda12_GLOBAL__N_121kernelPointwiseApply2IZN12_GLOBAL__N_117gamma_cuda_kernelIfEEvRKNS_10TensorBaseES7_NS_15PhiloxCudaStateEEUlRfRKfE_ffjLi1ELin1ELi1ELi256ELi2EEEvNS0_6detail10TensorInfoIT0_T2_EENSE_IT1_SG_EESG_T_.kd
    .uniform_work_group_size: 1
    .uses_dynamic_stack: false
    .vgpr_count:     64
    .vgpr_spill_count: 0
    .wavefront_size: 64
  - .agpr_count:     0
    .args:
      - .offset:         0
        .size:           216
        .value_kind:     by_value
      - .offset:         216
        .size:           216
        .value_kind:     by_value
      - .offset:         432
        .size:           4
        .value_kind:     by_value
      - .offset:         440
        .size:           32
        .value_kind:     by_value
      - .offset:         472
        .size:           4
        .value_kind:     hidden_block_count_x
      - .offset:         476
        .size:           4
        .value_kind:     hidden_block_count_y
      - .offset:         480
        .size:           4
        .value_kind:     hidden_block_count_z
      - .offset:         484
        .size:           2
        .value_kind:     hidden_group_size_x
      - .offset:         486
        .size:           2
        .value_kind:     hidden_group_size_y
      - .offset:         488
        .size:           2
        .value_kind:     hidden_group_size_z
      - .offset:         490
        .size:           2
        .value_kind:     hidden_remainder_x
      - .offset:         492
        .size:           2
        .value_kind:     hidden_remainder_y
      - .offset:         494
        .size:           2
        .value_kind:     hidden_remainder_z
      - .offset:         512
        .size:           8
        .value_kind:     hidden_global_offset_x
      - .offset:         520
        .size:           8
        .value_kind:     hidden_global_offset_y
      - .offset:         528
        .size:           8
        .value_kind:     hidden_global_offset_z
      - .offset:         536
        .size:           2
        .value_kind:     hidden_grid_dims
    .group_segment_fixed_size: 0
    .kernarg_segment_align: 8
    .kernarg_segment_size: 728
    .language:       OpenCL C
    .language_version:
      - 2
      - 0
    .max_flat_workgroup_size: 256
    .name:           _ZN2at4cuda12_GLOBAL__N_121kernelPointwiseApply2IZN12_GLOBAL__N_117gamma_cuda_kernelIfEEvRKNS_10TensorBaseES7_NS_15PhiloxCudaStateEEUlRfRKfE_ffjLi2ELi1ELi1ELi256ELi2EEEvNS0_6detail10TensorInfoIT0_T2_EENSE_IT1_SG_EESG_T_
    .private_segment_fixed_size: 0
    .sgpr_count:     65
    .sgpr_spill_count: 0
    .symbol:         _ZN2at4cuda12_GLOBAL__N_121kernelPointwiseApply2IZN12_GLOBAL__N_117gamma_cuda_kernelIfEEvRKNS_10TensorBaseES7_NS_15PhiloxCudaStateEEUlRfRKfE_ffjLi2ELi1ELi1ELi256ELi2EEEvNS0_6detail10TensorInfoIT0_T2_EENSE_IT1_SG_EESG_T_.kd
    .uniform_work_group_size: 1
    .uses_dynamic_stack: false
    .vgpr_count:     66
    .vgpr_spill_count: 0
    .wavefront_size: 64
  - .agpr_count:     0
    .args:
      - .offset:         0
        .size:           216
        .value_kind:     by_value
      - .offset:         216
        .size:           216
        .value_kind:     by_value
      - .offset:         432
        .size:           4
        .value_kind:     by_value
      - .offset:         440
        .size:           32
        .value_kind:     by_value
      - .offset:         472
        .size:           4
        .value_kind:     hidden_block_count_x
      - .offset:         476
        .size:           4
        .value_kind:     hidden_block_count_y
      - .offset:         480
        .size:           4
        .value_kind:     hidden_block_count_z
      - .offset:         484
        .size:           2
        .value_kind:     hidden_group_size_x
      - .offset:         486
        .size:           2
        .value_kind:     hidden_group_size_y
      - .offset:         488
        .size:           2
        .value_kind:     hidden_group_size_z
      - .offset:         490
        .size:           2
        .value_kind:     hidden_remainder_x
      - .offset:         492
        .size:           2
        .value_kind:     hidden_remainder_y
      - .offset:         494
        .size:           2
        .value_kind:     hidden_remainder_z
      - .offset:         512
        .size:           8
        .value_kind:     hidden_global_offset_x
      - .offset:         520
        .size:           8
        .value_kind:     hidden_global_offset_y
      - .offset:         528
        .size:           8
        .value_kind:     hidden_global_offset_z
      - .offset:         536
        .size:           2
        .value_kind:     hidden_grid_dims
    .group_segment_fixed_size: 0
    .kernarg_segment_align: 8
    .kernarg_segment_size: 728
    .language:       OpenCL C
    .language_version:
      - 2
      - 0
    .max_flat_workgroup_size: 256
    .name:           _ZN2at4cuda12_GLOBAL__N_121kernelPointwiseApply2IZN12_GLOBAL__N_117gamma_cuda_kernelIfEEvRKNS_10TensorBaseES7_NS_15PhiloxCudaStateEEUlRfRKfE_ffjLi2ELi2ELi1ELi256ELi2EEEvNS0_6detail10TensorInfoIT0_T2_EENSE_IT1_SG_EESG_T_
    .private_segment_fixed_size: 0
    .sgpr_count:     67
    .sgpr_spill_count: 0
    .symbol:         _ZN2at4cuda12_GLOBAL__N_121kernelPointwiseApply2IZN12_GLOBAL__N_117gamma_cuda_kernelIfEEvRKNS_10TensorBaseES7_NS_15PhiloxCudaStateEEUlRfRKfE_ffjLi2ELi2ELi1ELi256ELi2EEEvNS0_6detail10TensorInfoIT0_T2_EENSE_IT1_SG_EESG_T_.kd
    .uniform_work_group_size: 1
    .uses_dynamic_stack: false
    .vgpr_count:     66
    .vgpr_spill_count: 0
    .wavefront_size: 64
  - .agpr_count:     0
    .args:
      - .offset:         0
        .size:           216
        .value_kind:     by_value
      - .offset:         216
        .size:           216
        .value_kind:     by_value
      - .offset:         432
        .size:           4
        .value_kind:     by_value
      - .offset:         440
        .size:           32
        .value_kind:     by_value
      - .offset:         472
        .size:           4
        .value_kind:     hidden_block_count_x
      - .offset:         476
        .size:           4
        .value_kind:     hidden_block_count_y
      - .offset:         480
        .size:           4
        .value_kind:     hidden_block_count_z
      - .offset:         484
        .size:           2
        .value_kind:     hidden_group_size_x
      - .offset:         486
        .size:           2
        .value_kind:     hidden_group_size_y
      - .offset:         488
        .size:           2
        .value_kind:     hidden_group_size_z
      - .offset:         490
        .size:           2
        .value_kind:     hidden_remainder_x
      - .offset:         492
        .size:           2
        .value_kind:     hidden_remainder_y
      - .offset:         494
        .size:           2
        .value_kind:     hidden_remainder_z
      - .offset:         512
        .size:           8
        .value_kind:     hidden_global_offset_x
      - .offset:         520
        .size:           8
        .value_kind:     hidden_global_offset_y
      - .offset:         528
        .size:           8
        .value_kind:     hidden_global_offset_z
      - .offset:         536
        .size:           2
        .value_kind:     hidden_grid_dims
    .group_segment_fixed_size: 0
    .kernarg_segment_align: 8
    .kernarg_segment_size: 728
    .language:       OpenCL C
    .language_version:
      - 2
      - 0
    .max_flat_workgroup_size: 256
    .name:           _ZN2at4cuda12_GLOBAL__N_121kernelPointwiseApply2IZN12_GLOBAL__N_117gamma_cuda_kernelIfEEvRKNS_10TensorBaseES7_NS_15PhiloxCudaStateEEUlRfRKfE_ffjLi2ELin1ELi1ELi256ELi2EEEvNS0_6detail10TensorInfoIT0_T2_EENSE_IT1_SG_EESG_T_
    .private_segment_fixed_size: 0
    .sgpr_count:     69
    .sgpr_spill_count: 0
    .symbol:         _ZN2at4cuda12_GLOBAL__N_121kernelPointwiseApply2IZN12_GLOBAL__N_117gamma_cuda_kernelIfEEvRKNS_10TensorBaseES7_NS_15PhiloxCudaStateEEUlRfRKfE_ffjLi2ELin1ELi1ELi256ELi2EEEvNS0_6detail10TensorInfoIT0_T2_EENSE_IT1_SG_EESG_T_.kd
    .uniform_work_group_size: 1
    .uses_dynamic_stack: false
    .vgpr_count:     66
    .vgpr_spill_count: 0
    .wavefront_size: 64
  - .agpr_count:     0
    .args:
      - .offset:         0
        .size:           216
        .value_kind:     by_value
      - .offset:         216
        .size:           216
        .value_kind:     by_value
      - .offset:         432
        .size:           4
        .value_kind:     by_value
      - .offset:         440
        .size:           32
        .value_kind:     by_value
      - .offset:         472
        .size:           4
        .value_kind:     hidden_block_count_x
      - .offset:         476
        .size:           4
        .value_kind:     hidden_block_count_y
      - .offset:         480
        .size:           4
        .value_kind:     hidden_block_count_z
      - .offset:         484
        .size:           2
        .value_kind:     hidden_group_size_x
      - .offset:         486
        .size:           2
        .value_kind:     hidden_group_size_y
      - .offset:         488
        .size:           2
        .value_kind:     hidden_group_size_z
      - .offset:         490
        .size:           2
        .value_kind:     hidden_remainder_x
      - .offset:         492
        .size:           2
        .value_kind:     hidden_remainder_y
      - .offset:         494
        .size:           2
        .value_kind:     hidden_remainder_z
      - .offset:         512
        .size:           8
        .value_kind:     hidden_global_offset_x
      - .offset:         520
        .size:           8
        .value_kind:     hidden_global_offset_y
      - .offset:         528
        .size:           8
        .value_kind:     hidden_global_offset_z
      - .offset:         536
        .size:           2
        .value_kind:     hidden_grid_dims
    .group_segment_fixed_size: 0
    .kernarg_segment_align: 8
    .kernarg_segment_size: 728
    .language:       OpenCL C
    .language_version:
      - 2
      - 0
    .max_flat_workgroup_size: 256
    .name:           _ZN2at4cuda12_GLOBAL__N_121kernelPointwiseApply2IZN12_GLOBAL__N_117gamma_cuda_kernelIfEEvRKNS_10TensorBaseES7_NS_15PhiloxCudaStateEEUlRfRKfE_ffjLin1ELi1ELi1ELi256ELi2EEEvNS0_6detail10TensorInfoIT0_T2_EENSE_IT1_SG_EESG_T_
    .private_segment_fixed_size: 0
    .sgpr_count:     67
    .sgpr_spill_count: 0
    .symbol:         _ZN2at4cuda12_GLOBAL__N_121kernelPointwiseApply2IZN12_GLOBAL__N_117gamma_cuda_kernelIfEEvRKNS_10TensorBaseES7_NS_15PhiloxCudaStateEEUlRfRKfE_ffjLin1ELi1ELi1ELi256ELi2EEEvNS0_6detail10TensorInfoIT0_T2_EENSE_IT1_SG_EESG_T_.kd
    .uniform_work_group_size: 1
    .uses_dynamic_stack: false
    .vgpr_count:     64
    .vgpr_spill_count: 0
    .wavefront_size: 64
  - .agpr_count:     0
    .args:
      - .offset:         0
        .size:           216
        .value_kind:     by_value
      - .offset:         216
        .size:           216
        .value_kind:     by_value
      - .offset:         432
        .size:           4
        .value_kind:     by_value
      - .offset:         440
        .size:           32
        .value_kind:     by_value
      - .offset:         472
        .size:           4
        .value_kind:     hidden_block_count_x
      - .offset:         476
        .size:           4
        .value_kind:     hidden_block_count_y
      - .offset:         480
        .size:           4
        .value_kind:     hidden_block_count_z
      - .offset:         484
        .size:           2
        .value_kind:     hidden_group_size_x
      - .offset:         486
        .size:           2
        .value_kind:     hidden_group_size_y
      - .offset:         488
        .size:           2
        .value_kind:     hidden_group_size_z
      - .offset:         490
        .size:           2
        .value_kind:     hidden_remainder_x
      - .offset:         492
        .size:           2
        .value_kind:     hidden_remainder_y
      - .offset:         494
        .size:           2
        .value_kind:     hidden_remainder_z
      - .offset:         512
        .size:           8
        .value_kind:     hidden_global_offset_x
      - .offset:         520
        .size:           8
        .value_kind:     hidden_global_offset_y
      - .offset:         528
        .size:           8
        .value_kind:     hidden_global_offset_z
      - .offset:         536
        .size:           2
        .value_kind:     hidden_grid_dims
    .group_segment_fixed_size: 0
    .kernarg_segment_align: 8
    .kernarg_segment_size: 728
    .language:       OpenCL C
    .language_version:
      - 2
      - 0
    .max_flat_workgroup_size: 256
    .name:           _ZN2at4cuda12_GLOBAL__N_121kernelPointwiseApply2IZN12_GLOBAL__N_117gamma_cuda_kernelIfEEvRKNS_10TensorBaseES7_NS_15PhiloxCudaStateEEUlRfRKfE_ffjLin1ELi2ELi1ELi256ELi2EEEvNS0_6detail10TensorInfoIT0_T2_EENSE_IT1_SG_EESG_T_
    .private_segment_fixed_size: 0
    .sgpr_count:     69
    .sgpr_spill_count: 0
    .symbol:         _ZN2at4cuda12_GLOBAL__N_121kernelPointwiseApply2IZN12_GLOBAL__N_117gamma_cuda_kernelIfEEvRKNS_10TensorBaseES7_NS_15PhiloxCudaStateEEUlRfRKfE_ffjLin1ELi2ELi1ELi256ELi2EEEvNS0_6detail10TensorInfoIT0_T2_EENSE_IT1_SG_EESG_T_.kd
    .uniform_work_group_size: 1
    .uses_dynamic_stack: false
    .vgpr_count:     66
    .vgpr_spill_count: 0
    .wavefront_size: 64
  - .agpr_count:     0
    .args:
      - .offset:         0
        .size:           216
        .value_kind:     by_value
      - .offset:         216
        .size:           216
        .value_kind:     by_value
      - .offset:         432
        .size:           4
        .value_kind:     by_value
      - .offset:         440
        .size:           32
        .value_kind:     by_value
      - .offset:         472
        .size:           4
        .value_kind:     hidden_block_count_x
      - .offset:         476
        .size:           4
        .value_kind:     hidden_block_count_y
      - .offset:         480
        .size:           4
        .value_kind:     hidden_block_count_z
      - .offset:         484
        .size:           2
        .value_kind:     hidden_group_size_x
      - .offset:         486
        .size:           2
        .value_kind:     hidden_group_size_y
      - .offset:         488
        .size:           2
        .value_kind:     hidden_group_size_z
      - .offset:         490
        .size:           2
        .value_kind:     hidden_remainder_x
      - .offset:         492
        .size:           2
        .value_kind:     hidden_remainder_y
      - .offset:         494
        .size:           2
        .value_kind:     hidden_remainder_z
      - .offset:         512
        .size:           8
        .value_kind:     hidden_global_offset_x
      - .offset:         520
        .size:           8
        .value_kind:     hidden_global_offset_y
      - .offset:         528
        .size:           8
        .value_kind:     hidden_global_offset_z
      - .offset:         536
        .size:           2
        .value_kind:     hidden_grid_dims
    .group_segment_fixed_size: 0
    .kernarg_segment_align: 8
    .kernarg_segment_size: 728
    .language:       OpenCL C
    .language_version:
      - 2
      - 0
    .max_flat_workgroup_size: 256
    .name:           _ZN2at4cuda12_GLOBAL__N_121kernelPointwiseApply2IZN12_GLOBAL__N_117gamma_cuda_kernelIfEEvRKNS_10TensorBaseES7_NS_15PhiloxCudaStateEEUlRfRKfE_ffjLin1ELin1ELi1ELi256ELi2EEEvNS0_6detail10TensorInfoIT0_T2_EENSE_IT1_SG_EESG_T_
    .private_segment_fixed_size: 0
    .sgpr_count:     72
    .sgpr_spill_count: 0
    .symbol:         _ZN2at4cuda12_GLOBAL__N_121kernelPointwiseApply2IZN12_GLOBAL__N_117gamma_cuda_kernelIfEEvRKNS_10TensorBaseES7_NS_15PhiloxCudaStateEEUlRfRKfE_ffjLin1ELin1ELi1ELi256ELi2EEEvNS0_6detail10TensorInfoIT0_T2_EENSE_IT1_SG_EESG_T_.kd
    .uniform_work_group_size: 1
    .uses_dynamic_stack: false
    .vgpr_count:     64
    .vgpr_spill_count: 0
    .wavefront_size: 64
  - .agpr_count:     0
    .args:
      - .offset:         0
        .size:           416
        .value_kind:     by_value
      - .offset:         416
        .size:           416
        .value_kind:     by_value
      - .offset:         832
        .size:           8
        .value_kind:     by_value
      - .offset:         840
        .size:           32
        .value_kind:     by_value
      - .offset:         872
        .size:           4
        .value_kind:     hidden_block_count_x
      - .offset:         876
        .size:           4
        .value_kind:     hidden_block_count_y
      - .offset:         880
        .size:           4
        .value_kind:     hidden_block_count_z
      - .offset:         884
        .size:           2
        .value_kind:     hidden_group_size_x
      - .offset:         886
        .size:           2
        .value_kind:     hidden_group_size_y
      - .offset:         888
        .size:           2
        .value_kind:     hidden_group_size_z
      - .offset:         890
        .size:           2
        .value_kind:     hidden_remainder_x
      - .offset:         892
        .size:           2
        .value_kind:     hidden_remainder_y
      - .offset:         894
        .size:           2
        .value_kind:     hidden_remainder_z
      - .offset:         912
        .size:           8
        .value_kind:     hidden_global_offset_x
      - .offset:         920
        .size:           8
        .value_kind:     hidden_global_offset_y
      - .offset:         928
        .size:           8
        .value_kind:     hidden_global_offset_z
      - .offset:         936
        .size:           2
        .value_kind:     hidden_grid_dims
    .group_segment_fixed_size: 0
    .kernarg_segment_align: 8
    .kernarg_segment_size: 1128
    .language:       OpenCL C
    .language_version:
      - 2
      - 0
    .max_flat_workgroup_size: 256
    .name:           _ZN2at4cuda12_GLOBAL__N_121kernelPointwiseApply2IZN12_GLOBAL__N_117gamma_cuda_kernelIfEEvRKNS_10TensorBaseES7_NS_15PhiloxCudaStateEEUlRfRKfE_ffmLi1ELi1ELi1ELi256ELi2EEEvNS0_6detail10TensorInfoIT0_T2_EENSE_IT1_SG_EESG_T_
    .private_segment_fixed_size: 0
    .sgpr_count:     69
    .sgpr_spill_count: 0
    .symbol:         _ZN2at4cuda12_GLOBAL__N_121kernelPointwiseApply2IZN12_GLOBAL__N_117gamma_cuda_kernelIfEEvRKNS_10TensorBaseES7_NS_15PhiloxCudaStateEEUlRfRKfE_ffmLi1ELi1ELi1ELi256ELi2EEEvNS0_6detail10TensorInfoIT0_T2_EENSE_IT1_SG_EESG_T_.kd
    .uniform_work_group_size: 1
    .uses_dynamic_stack: false
    .vgpr_count:     64
    .vgpr_spill_count: 0
    .wavefront_size: 64
  - .agpr_count:     0
    .args:
      - .offset:         0
        .size:           416
        .value_kind:     by_value
      - .offset:         416
        .size:           416
        .value_kind:     by_value
      - .offset:         832
        .size:           8
        .value_kind:     by_value
      - .offset:         840
        .size:           32
        .value_kind:     by_value
      - .offset:         872
        .size:           4
        .value_kind:     hidden_block_count_x
      - .offset:         876
        .size:           4
        .value_kind:     hidden_block_count_y
      - .offset:         880
        .size:           4
        .value_kind:     hidden_block_count_z
      - .offset:         884
        .size:           2
        .value_kind:     hidden_group_size_x
      - .offset:         886
        .size:           2
        .value_kind:     hidden_group_size_y
      - .offset:         888
        .size:           2
        .value_kind:     hidden_group_size_z
      - .offset:         890
        .size:           2
        .value_kind:     hidden_remainder_x
      - .offset:         892
        .size:           2
        .value_kind:     hidden_remainder_y
      - .offset:         894
        .size:           2
        .value_kind:     hidden_remainder_z
      - .offset:         912
        .size:           8
        .value_kind:     hidden_global_offset_x
      - .offset:         920
        .size:           8
        .value_kind:     hidden_global_offset_y
      - .offset:         928
        .size:           8
        .value_kind:     hidden_global_offset_z
      - .offset:         936
        .size:           2
        .value_kind:     hidden_grid_dims
    .group_segment_fixed_size: 0
    .kernarg_segment_align: 8
    .kernarg_segment_size: 1128
    .language:       OpenCL C
    .language_version:
      - 2
      - 0
    .max_flat_workgroup_size: 256
    .name:           _ZN2at4cuda12_GLOBAL__N_121kernelPointwiseApply2IZN12_GLOBAL__N_117gamma_cuda_kernelIfEEvRKNS_10TensorBaseES7_NS_15PhiloxCudaStateEEUlRfRKfE_ffmLin1ELin1ELi1ELi256ELi2EEEvNS0_6detail10TensorInfoIT0_T2_EENSE_IT1_SG_EESG_T_
    .private_segment_fixed_size: 0
    .sgpr_count:     78
    .sgpr_spill_count: 0
    .symbol:         _ZN2at4cuda12_GLOBAL__N_121kernelPointwiseApply2IZN12_GLOBAL__N_117gamma_cuda_kernelIfEEvRKNS_10TensorBaseES7_NS_15PhiloxCudaStateEEUlRfRKfE_ffmLin1ELin1ELi1ELi256ELi2EEEvNS0_6detail10TensorInfoIT0_T2_EENSE_IT1_SG_EESG_T_.kd
    .uniform_work_group_size: 1
    .uses_dynamic_stack: false
    .vgpr_count:     64
    .vgpr_spill_count: 0
    .wavefront_size: 64
  - .agpr_count:     0
    .args:
      - .offset:         0
        .size:           216
        .value_kind:     by_value
      - .offset:         216
        .size:           216
        .value_kind:     by_value
      - .offset:         432
        .size:           4
        .value_kind:     by_value
      - .offset:         440
        .size:           32
        .value_kind:     by_value
      - .offset:         472
        .size:           4
        .value_kind:     hidden_block_count_x
      - .offset:         476
        .size:           4
        .value_kind:     hidden_block_count_y
      - .offset:         480
        .size:           4
        .value_kind:     hidden_block_count_z
      - .offset:         484
        .size:           2
        .value_kind:     hidden_group_size_x
      - .offset:         486
        .size:           2
        .value_kind:     hidden_group_size_y
      - .offset:         488
        .size:           2
        .value_kind:     hidden_group_size_z
      - .offset:         490
        .size:           2
        .value_kind:     hidden_remainder_x
      - .offset:         492
        .size:           2
        .value_kind:     hidden_remainder_y
      - .offset:         494
        .size:           2
        .value_kind:     hidden_remainder_z
      - .offset:         512
        .size:           8
        .value_kind:     hidden_global_offset_x
      - .offset:         520
        .size:           8
        .value_kind:     hidden_global_offset_y
      - .offset:         528
        .size:           8
        .value_kind:     hidden_global_offset_z
      - .offset:         536
        .size:           2
        .value_kind:     hidden_grid_dims
    .group_segment_fixed_size: 0
    .kernarg_segment_align: 8
    .kernarg_segment_size: 728
    .language:       OpenCL C
    .language_version:
      - 2
      - 0
    .max_flat_workgroup_size: 256
    .name:           _ZN2at4cuda12_GLOBAL__N_121kernelPointwiseApply2IZN12_GLOBAL__N_117gamma_cuda_kernelIN3c104HalfEEEvRKNS_10TensorBaseES9_NS_15PhiloxCudaStateEEUlRS6_RKS6_E_S6_S6_jLi1ELi1ELi1ELi256ELi2EEEvNS0_6detail10TensorInfoIT0_T2_EENSG_IT1_SI_EESI_T_
    .private_segment_fixed_size: 0
    .sgpr_count:     70
    .sgpr_spill_count: 0
    .symbol:         _ZN2at4cuda12_GLOBAL__N_121kernelPointwiseApply2IZN12_GLOBAL__N_117gamma_cuda_kernelIN3c104HalfEEEvRKNS_10TensorBaseES9_NS_15PhiloxCudaStateEEUlRS6_RKS6_E_S6_S6_jLi1ELi1ELi1ELi256ELi2EEEvNS0_6detail10TensorInfoIT0_T2_EENSG_IT1_SI_EESI_T_.kd
    .uniform_work_group_size: 1
    .uses_dynamic_stack: false
    .vgpr_count:     62
    .vgpr_spill_count: 0
    .wavefront_size: 64
  - .agpr_count:     0
    .args:
      - .offset:         0
        .size:           216
        .value_kind:     by_value
      - .offset:         216
        .size:           216
        .value_kind:     by_value
      - .offset:         432
        .size:           4
        .value_kind:     by_value
      - .offset:         440
        .size:           32
        .value_kind:     by_value
      - .offset:         472
        .size:           4
        .value_kind:     hidden_block_count_x
      - .offset:         476
        .size:           4
        .value_kind:     hidden_block_count_y
      - .offset:         480
        .size:           4
        .value_kind:     hidden_block_count_z
      - .offset:         484
        .size:           2
        .value_kind:     hidden_group_size_x
      - .offset:         486
        .size:           2
        .value_kind:     hidden_group_size_y
      - .offset:         488
        .size:           2
        .value_kind:     hidden_group_size_z
      - .offset:         490
        .size:           2
        .value_kind:     hidden_remainder_x
      - .offset:         492
        .size:           2
        .value_kind:     hidden_remainder_y
      - .offset:         494
        .size:           2
        .value_kind:     hidden_remainder_z
      - .offset:         512
        .size:           8
        .value_kind:     hidden_global_offset_x
      - .offset:         520
        .size:           8
        .value_kind:     hidden_global_offset_y
      - .offset:         528
        .size:           8
        .value_kind:     hidden_global_offset_z
      - .offset:         536
        .size:           2
        .value_kind:     hidden_grid_dims
    .group_segment_fixed_size: 0
    .kernarg_segment_align: 8
    .kernarg_segment_size: 728
    .language:       OpenCL C
    .language_version:
      - 2
      - 0
    .max_flat_workgroup_size: 256
    .name:           _ZN2at4cuda12_GLOBAL__N_121kernelPointwiseApply2IZN12_GLOBAL__N_117gamma_cuda_kernelIN3c104HalfEEEvRKNS_10TensorBaseES9_NS_15PhiloxCudaStateEEUlRS6_RKS6_E_S6_S6_jLi1ELi2ELi1ELi256ELi2EEEvNS0_6detail10TensorInfoIT0_T2_EENSG_IT1_SI_EESI_T_
    .private_segment_fixed_size: 0
    .sgpr_count:     70
    .sgpr_spill_count: 0
    .symbol:         _ZN2at4cuda12_GLOBAL__N_121kernelPointwiseApply2IZN12_GLOBAL__N_117gamma_cuda_kernelIN3c104HalfEEEvRKNS_10TensorBaseES9_NS_15PhiloxCudaStateEEUlRS6_RKS6_E_S6_S6_jLi1ELi2ELi1ELi256ELi2EEEvNS0_6detail10TensorInfoIT0_T2_EENSG_IT1_SI_EESI_T_.kd
    .uniform_work_group_size: 1
    .uses_dynamic_stack: false
    .vgpr_count:     66
    .vgpr_spill_count: 0
    .wavefront_size: 64
  - .agpr_count:     0
    .args:
      - .offset:         0
        .size:           216
        .value_kind:     by_value
      - .offset:         216
        .size:           216
        .value_kind:     by_value
      - .offset:         432
        .size:           4
        .value_kind:     by_value
      - .offset:         440
        .size:           32
        .value_kind:     by_value
      - .offset:         472
        .size:           4
        .value_kind:     hidden_block_count_x
      - .offset:         476
        .size:           4
        .value_kind:     hidden_block_count_y
      - .offset:         480
        .size:           4
        .value_kind:     hidden_block_count_z
      - .offset:         484
        .size:           2
        .value_kind:     hidden_group_size_x
      - .offset:         486
        .size:           2
        .value_kind:     hidden_group_size_y
      - .offset:         488
        .size:           2
        .value_kind:     hidden_group_size_z
      - .offset:         490
        .size:           2
        .value_kind:     hidden_remainder_x
      - .offset:         492
        .size:           2
        .value_kind:     hidden_remainder_y
      - .offset:         494
        .size:           2
        .value_kind:     hidden_remainder_z
      - .offset:         512
        .size:           8
        .value_kind:     hidden_global_offset_x
      - .offset:         520
        .size:           8
        .value_kind:     hidden_global_offset_y
      - .offset:         528
        .size:           8
        .value_kind:     hidden_global_offset_z
      - .offset:         536
        .size:           2
        .value_kind:     hidden_grid_dims
    .group_segment_fixed_size: 0
    .kernarg_segment_align: 8
    .kernarg_segment_size: 728
    .language:       OpenCL C
    .language_version:
      - 2
      - 0
    .max_flat_workgroup_size: 256
    .name:           _ZN2at4cuda12_GLOBAL__N_121kernelPointwiseApply2IZN12_GLOBAL__N_117gamma_cuda_kernelIN3c104HalfEEEvRKNS_10TensorBaseES9_NS_15PhiloxCudaStateEEUlRS6_RKS6_E_S6_S6_jLi1ELin1ELi1ELi256ELi2EEEvNS0_6detail10TensorInfoIT0_T2_EENSG_IT1_SI_EESI_T_
    .private_segment_fixed_size: 0
    .sgpr_count:     72
    .sgpr_spill_count: 0
    .symbol:         _ZN2at4cuda12_GLOBAL__N_121kernelPointwiseApply2IZN12_GLOBAL__N_117gamma_cuda_kernelIN3c104HalfEEEvRKNS_10TensorBaseES9_NS_15PhiloxCudaStateEEUlRS6_RKS6_E_S6_S6_jLi1ELin1ELi1ELi256ELi2EEEvNS0_6detail10TensorInfoIT0_T2_EENSG_IT1_SI_EESI_T_.kd
    .uniform_work_group_size: 1
    .uses_dynamic_stack: false
    .vgpr_count:     64
    .vgpr_spill_count: 0
    .wavefront_size: 64
  - .agpr_count:     0
    .args:
      - .offset:         0
        .size:           216
        .value_kind:     by_value
      - .offset:         216
        .size:           216
        .value_kind:     by_value
      - .offset:         432
        .size:           4
        .value_kind:     by_value
      - .offset:         440
        .size:           32
        .value_kind:     by_value
      - .offset:         472
        .size:           4
        .value_kind:     hidden_block_count_x
      - .offset:         476
        .size:           4
        .value_kind:     hidden_block_count_y
      - .offset:         480
        .size:           4
        .value_kind:     hidden_block_count_z
      - .offset:         484
        .size:           2
        .value_kind:     hidden_group_size_x
      - .offset:         486
        .size:           2
        .value_kind:     hidden_group_size_y
      - .offset:         488
        .size:           2
        .value_kind:     hidden_group_size_z
      - .offset:         490
        .size:           2
        .value_kind:     hidden_remainder_x
      - .offset:         492
        .size:           2
        .value_kind:     hidden_remainder_y
      - .offset:         494
        .size:           2
        .value_kind:     hidden_remainder_z
      - .offset:         512
        .size:           8
        .value_kind:     hidden_global_offset_x
      - .offset:         520
        .size:           8
        .value_kind:     hidden_global_offset_y
      - .offset:         528
        .size:           8
        .value_kind:     hidden_global_offset_z
      - .offset:         536
        .size:           2
        .value_kind:     hidden_grid_dims
    .group_segment_fixed_size: 0
    .kernarg_segment_align: 8
    .kernarg_segment_size: 728
    .language:       OpenCL C
    .language_version:
      - 2
      - 0
    .max_flat_workgroup_size: 256
    .name:           _ZN2at4cuda12_GLOBAL__N_121kernelPointwiseApply2IZN12_GLOBAL__N_117gamma_cuda_kernelIN3c104HalfEEEvRKNS_10TensorBaseES9_NS_15PhiloxCudaStateEEUlRS6_RKS6_E_S6_S6_jLi2ELi1ELi1ELi256ELi2EEEvNS0_6detail10TensorInfoIT0_T2_EENSG_IT1_SI_EESI_T_
    .private_segment_fixed_size: 0
    .sgpr_count:     70
    .sgpr_spill_count: 0
    .symbol:         _ZN2at4cuda12_GLOBAL__N_121kernelPointwiseApply2IZN12_GLOBAL__N_117gamma_cuda_kernelIN3c104HalfEEEvRKNS_10TensorBaseES9_NS_15PhiloxCudaStateEEUlRS6_RKS6_E_S6_S6_jLi2ELi1ELi1ELi256ELi2EEEvNS0_6detail10TensorInfoIT0_T2_EENSG_IT1_SI_EESI_T_.kd
    .uniform_work_group_size: 1
    .uses_dynamic_stack: false
    .vgpr_count:     66
    .vgpr_spill_count: 0
    .wavefront_size: 64
  - .agpr_count:     0
    .args:
      - .offset:         0
        .size:           216
        .value_kind:     by_value
      - .offset:         216
        .size:           216
        .value_kind:     by_value
      - .offset:         432
        .size:           4
        .value_kind:     by_value
      - .offset:         440
        .size:           32
        .value_kind:     by_value
      - .offset:         472
        .size:           4
        .value_kind:     hidden_block_count_x
      - .offset:         476
        .size:           4
        .value_kind:     hidden_block_count_y
      - .offset:         480
        .size:           4
        .value_kind:     hidden_block_count_z
      - .offset:         484
        .size:           2
        .value_kind:     hidden_group_size_x
      - .offset:         486
        .size:           2
        .value_kind:     hidden_group_size_y
      - .offset:         488
        .size:           2
        .value_kind:     hidden_group_size_z
      - .offset:         490
        .size:           2
        .value_kind:     hidden_remainder_x
      - .offset:         492
        .size:           2
        .value_kind:     hidden_remainder_y
      - .offset:         494
        .size:           2
        .value_kind:     hidden_remainder_z
      - .offset:         512
        .size:           8
        .value_kind:     hidden_global_offset_x
      - .offset:         520
        .size:           8
        .value_kind:     hidden_global_offset_y
      - .offset:         528
        .size:           8
        .value_kind:     hidden_global_offset_z
      - .offset:         536
        .size:           2
        .value_kind:     hidden_grid_dims
    .group_segment_fixed_size: 0
    .kernarg_segment_align: 8
    .kernarg_segment_size: 728
    .language:       OpenCL C
    .language_version:
      - 2
      - 0
    .max_flat_workgroup_size: 256
    .name:           _ZN2at4cuda12_GLOBAL__N_121kernelPointwiseApply2IZN12_GLOBAL__N_117gamma_cuda_kernelIN3c104HalfEEEvRKNS_10TensorBaseES9_NS_15PhiloxCudaStateEEUlRS6_RKS6_E_S6_S6_jLi2ELi2ELi1ELi256ELi2EEEvNS0_6detail10TensorInfoIT0_T2_EENSG_IT1_SI_EESI_T_
    .private_segment_fixed_size: 0
    .sgpr_count:     72
    .sgpr_spill_count: 0
    .symbol:         _ZN2at4cuda12_GLOBAL__N_121kernelPointwiseApply2IZN12_GLOBAL__N_117gamma_cuda_kernelIN3c104HalfEEEvRKNS_10TensorBaseES9_NS_15PhiloxCudaStateEEUlRS6_RKS6_E_S6_S6_jLi2ELi2ELi1ELi256ELi2EEEvNS0_6detail10TensorInfoIT0_T2_EENSG_IT1_SI_EESI_T_.kd
    .uniform_work_group_size: 1
    .uses_dynamic_stack: false
    .vgpr_count:     66
    .vgpr_spill_count: 0
    .wavefront_size: 64
  - .agpr_count:     0
    .args:
      - .offset:         0
        .size:           216
        .value_kind:     by_value
      - .offset:         216
        .size:           216
        .value_kind:     by_value
      - .offset:         432
        .size:           4
        .value_kind:     by_value
      - .offset:         440
        .size:           32
        .value_kind:     by_value
      - .offset:         472
        .size:           4
        .value_kind:     hidden_block_count_x
      - .offset:         476
        .size:           4
        .value_kind:     hidden_block_count_y
      - .offset:         480
        .size:           4
        .value_kind:     hidden_block_count_z
      - .offset:         484
        .size:           2
        .value_kind:     hidden_group_size_x
      - .offset:         486
        .size:           2
        .value_kind:     hidden_group_size_y
      - .offset:         488
        .size:           2
        .value_kind:     hidden_group_size_z
      - .offset:         490
        .size:           2
        .value_kind:     hidden_remainder_x
      - .offset:         492
        .size:           2
        .value_kind:     hidden_remainder_y
      - .offset:         494
        .size:           2
        .value_kind:     hidden_remainder_z
      - .offset:         512
        .size:           8
        .value_kind:     hidden_global_offset_x
      - .offset:         520
        .size:           8
        .value_kind:     hidden_global_offset_y
      - .offset:         528
        .size:           8
        .value_kind:     hidden_global_offset_z
      - .offset:         536
        .size:           2
        .value_kind:     hidden_grid_dims
    .group_segment_fixed_size: 0
    .kernarg_segment_align: 8
    .kernarg_segment_size: 728
    .language:       OpenCL C
    .language_version:
      - 2
      - 0
    .max_flat_workgroup_size: 256
    .name:           _ZN2at4cuda12_GLOBAL__N_121kernelPointwiseApply2IZN12_GLOBAL__N_117gamma_cuda_kernelIN3c104HalfEEEvRKNS_10TensorBaseES9_NS_15PhiloxCudaStateEEUlRS6_RKS6_E_S6_S6_jLi2ELin1ELi1ELi256ELi2EEEvNS0_6detail10TensorInfoIT0_T2_EENSG_IT1_SI_EESI_T_
    .private_segment_fixed_size: 0
    .sgpr_count:     74
    .sgpr_spill_count: 0
    .symbol:         _ZN2at4cuda12_GLOBAL__N_121kernelPointwiseApply2IZN12_GLOBAL__N_117gamma_cuda_kernelIN3c104HalfEEEvRKNS_10TensorBaseES9_NS_15PhiloxCudaStateEEUlRS6_RKS6_E_S6_S6_jLi2ELin1ELi1ELi256ELi2EEEvNS0_6detail10TensorInfoIT0_T2_EENSG_IT1_SI_EESI_T_.kd
    .uniform_work_group_size: 1
    .uses_dynamic_stack: false
    .vgpr_count:     66
    .vgpr_spill_count: 0
    .wavefront_size: 64
  - .agpr_count:     0
    .args:
      - .offset:         0
        .size:           216
        .value_kind:     by_value
      - .offset:         216
        .size:           216
        .value_kind:     by_value
      - .offset:         432
        .size:           4
        .value_kind:     by_value
      - .offset:         440
        .size:           32
        .value_kind:     by_value
      - .offset:         472
        .size:           4
        .value_kind:     hidden_block_count_x
      - .offset:         476
        .size:           4
        .value_kind:     hidden_block_count_y
      - .offset:         480
        .size:           4
        .value_kind:     hidden_block_count_z
      - .offset:         484
        .size:           2
        .value_kind:     hidden_group_size_x
      - .offset:         486
        .size:           2
        .value_kind:     hidden_group_size_y
      - .offset:         488
        .size:           2
        .value_kind:     hidden_group_size_z
      - .offset:         490
        .size:           2
        .value_kind:     hidden_remainder_x
      - .offset:         492
        .size:           2
        .value_kind:     hidden_remainder_y
      - .offset:         494
        .size:           2
        .value_kind:     hidden_remainder_z
      - .offset:         512
        .size:           8
        .value_kind:     hidden_global_offset_x
      - .offset:         520
        .size:           8
        .value_kind:     hidden_global_offset_y
      - .offset:         528
        .size:           8
        .value_kind:     hidden_global_offset_z
      - .offset:         536
        .size:           2
        .value_kind:     hidden_grid_dims
    .group_segment_fixed_size: 0
    .kernarg_segment_align: 8
    .kernarg_segment_size: 728
    .language:       OpenCL C
    .language_version:
      - 2
      - 0
    .max_flat_workgroup_size: 256
    .name:           _ZN2at4cuda12_GLOBAL__N_121kernelPointwiseApply2IZN12_GLOBAL__N_117gamma_cuda_kernelIN3c104HalfEEEvRKNS_10TensorBaseES9_NS_15PhiloxCudaStateEEUlRS6_RKS6_E_S6_S6_jLin1ELi1ELi1ELi256ELi2EEEvNS0_6detail10TensorInfoIT0_T2_EENSG_IT1_SI_EESI_T_
    .private_segment_fixed_size: 0
    .sgpr_count:     72
    .sgpr_spill_count: 0
    .symbol:         _ZN2at4cuda12_GLOBAL__N_121kernelPointwiseApply2IZN12_GLOBAL__N_117gamma_cuda_kernelIN3c104HalfEEEvRKNS_10TensorBaseES9_NS_15PhiloxCudaStateEEUlRS6_RKS6_E_S6_S6_jLin1ELi1ELi1ELi256ELi2EEEvNS0_6detail10TensorInfoIT0_T2_EENSG_IT1_SI_EESI_T_.kd
    .uniform_work_group_size: 1
    .uses_dynamic_stack: false
    .vgpr_count:     64
    .vgpr_spill_count: 0
    .wavefront_size: 64
  - .agpr_count:     0
    .args:
      - .offset:         0
        .size:           216
        .value_kind:     by_value
      - .offset:         216
        .size:           216
        .value_kind:     by_value
      - .offset:         432
        .size:           4
        .value_kind:     by_value
      - .offset:         440
        .size:           32
        .value_kind:     by_value
      - .offset:         472
        .size:           4
        .value_kind:     hidden_block_count_x
      - .offset:         476
        .size:           4
        .value_kind:     hidden_block_count_y
      - .offset:         480
        .size:           4
        .value_kind:     hidden_block_count_z
      - .offset:         484
        .size:           2
        .value_kind:     hidden_group_size_x
      - .offset:         486
        .size:           2
        .value_kind:     hidden_group_size_y
      - .offset:         488
        .size:           2
        .value_kind:     hidden_group_size_z
      - .offset:         490
        .size:           2
        .value_kind:     hidden_remainder_x
      - .offset:         492
        .size:           2
        .value_kind:     hidden_remainder_y
      - .offset:         494
        .size:           2
        .value_kind:     hidden_remainder_z
      - .offset:         512
        .size:           8
        .value_kind:     hidden_global_offset_x
      - .offset:         520
        .size:           8
        .value_kind:     hidden_global_offset_y
      - .offset:         528
        .size:           8
        .value_kind:     hidden_global_offset_z
      - .offset:         536
        .size:           2
        .value_kind:     hidden_grid_dims
    .group_segment_fixed_size: 0
    .kernarg_segment_align: 8
    .kernarg_segment_size: 728
    .language:       OpenCL C
    .language_version:
      - 2
      - 0
    .max_flat_workgroup_size: 256
    .name:           _ZN2at4cuda12_GLOBAL__N_121kernelPointwiseApply2IZN12_GLOBAL__N_117gamma_cuda_kernelIN3c104HalfEEEvRKNS_10TensorBaseES9_NS_15PhiloxCudaStateEEUlRS6_RKS6_E_S6_S6_jLin1ELi2ELi1ELi256ELi2EEEvNS0_6detail10TensorInfoIT0_T2_EENSG_IT1_SI_EESI_T_
    .private_segment_fixed_size: 0
    .sgpr_count:     74
    .sgpr_spill_count: 0
    .symbol:         _ZN2at4cuda12_GLOBAL__N_121kernelPointwiseApply2IZN12_GLOBAL__N_117gamma_cuda_kernelIN3c104HalfEEEvRKNS_10TensorBaseES9_NS_15PhiloxCudaStateEEUlRS6_RKS6_E_S6_S6_jLin1ELi2ELi1ELi256ELi2EEEvNS0_6detail10TensorInfoIT0_T2_EENSG_IT1_SI_EESI_T_.kd
    .uniform_work_group_size: 1
    .uses_dynamic_stack: false
    .vgpr_count:     66
    .vgpr_spill_count: 0
    .wavefront_size: 64
  - .agpr_count:     0
    .args:
      - .offset:         0
        .size:           216
        .value_kind:     by_value
      - .offset:         216
        .size:           216
        .value_kind:     by_value
      - .offset:         432
        .size:           4
        .value_kind:     by_value
      - .offset:         440
        .size:           32
        .value_kind:     by_value
      - .offset:         472
        .size:           4
        .value_kind:     hidden_block_count_x
      - .offset:         476
        .size:           4
        .value_kind:     hidden_block_count_y
      - .offset:         480
        .size:           4
        .value_kind:     hidden_block_count_z
      - .offset:         484
        .size:           2
        .value_kind:     hidden_group_size_x
      - .offset:         486
        .size:           2
        .value_kind:     hidden_group_size_y
      - .offset:         488
        .size:           2
        .value_kind:     hidden_group_size_z
      - .offset:         490
        .size:           2
        .value_kind:     hidden_remainder_x
      - .offset:         492
        .size:           2
        .value_kind:     hidden_remainder_y
      - .offset:         494
        .size:           2
        .value_kind:     hidden_remainder_z
      - .offset:         512
        .size:           8
        .value_kind:     hidden_global_offset_x
      - .offset:         520
        .size:           8
        .value_kind:     hidden_global_offset_y
      - .offset:         528
        .size:           8
        .value_kind:     hidden_global_offset_z
      - .offset:         536
        .size:           2
        .value_kind:     hidden_grid_dims
    .group_segment_fixed_size: 0
    .kernarg_segment_align: 8
    .kernarg_segment_size: 728
    .language:       OpenCL C
    .language_version:
      - 2
      - 0
    .max_flat_workgroup_size: 256
    .name:           _ZN2at4cuda12_GLOBAL__N_121kernelPointwiseApply2IZN12_GLOBAL__N_117gamma_cuda_kernelIN3c104HalfEEEvRKNS_10TensorBaseES9_NS_15PhiloxCudaStateEEUlRS6_RKS6_E_S6_S6_jLin1ELin1ELi1ELi256ELi2EEEvNS0_6detail10TensorInfoIT0_T2_EENSG_IT1_SI_EESI_T_
    .private_segment_fixed_size: 0
    .sgpr_count:     78
    .sgpr_spill_count: 0
    .symbol:         _ZN2at4cuda12_GLOBAL__N_121kernelPointwiseApply2IZN12_GLOBAL__N_117gamma_cuda_kernelIN3c104HalfEEEvRKNS_10TensorBaseES9_NS_15PhiloxCudaStateEEUlRS6_RKS6_E_S6_S6_jLin1ELin1ELi1ELi256ELi2EEEvNS0_6detail10TensorInfoIT0_T2_EENSG_IT1_SI_EESI_T_.kd
    .uniform_work_group_size: 1
    .uses_dynamic_stack: false
    .vgpr_count:     64
    .vgpr_spill_count: 0
    .wavefront_size: 64
  - .agpr_count:     0
    .args:
      - .offset:         0
        .size:           416
        .value_kind:     by_value
      - .offset:         416
        .size:           416
        .value_kind:     by_value
      - .offset:         832
        .size:           8
        .value_kind:     by_value
      - .offset:         840
        .size:           32
        .value_kind:     by_value
      - .offset:         872
        .size:           4
        .value_kind:     hidden_block_count_x
      - .offset:         876
        .size:           4
        .value_kind:     hidden_block_count_y
      - .offset:         880
        .size:           4
        .value_kind:     hidden_block_count_z
      - .offset:         884
        .size:           2
        .value_kind:     hidden_group_size_x
      - .offset:         886
        .size:           2
        .value_kind:     hidden_group_size_y
      - .offset:         888
        .size:           2
        .value_kind:     hidden_group_size_z
      - .offset:         890
        .size:           2
        .value_kind:     hidden_remainder_x
      - .offset:         892
        .size:           2
        .value_kind:     hidden_remainder_y
      - .offset:         894
        .size:           2
        .value_kind:     hidden_remainder_z
      - .offset:         912
        .size:           8
        .value_kind:     hidden_global_offset_x
      - .offset:         920
        .size:           8
        .value_kind:     hidden_global_offset_y
      - .offset:         928
        .size:           8
        .value_kind:     hidden_global_offset_z
      - .offset:         936
        .size:           2
        .value_kind:     hidden_grid_dims
    .group_segment_fixed_size: 0
    .kernarg_segment_align: 8
    .kernarg_segment_size: 1128
    .language:       OpenCL C
    .language_version:
      - 2
      - 0
    .max_flat_workgroup_size: 256
    .name:           _ZN2at4cuda12_GLOBAL__N_121kernelPointwiseApply2IZN12_GLOBAL__N_117gamma_cuda_kernelIN3c104HalfEEEvRKNS_10TensorBaseES9_NS_15PhiloxCudaStateEEUlRS6_RKS6_E_S6_S6_mLi1ELi1ELi1ELi256ELi2EEEvNS0_6detail10TensorInfoIT0_T2_EENSG_IT1_SI_EESI_T_
    .private_segment_fixed_size: 0
    .sgpr_count:     74
    .sgpr_spill_count: 0
    .symbol:         _ZN2at4cuda12_GLOBAL__N_121kernelPointwiseApply2IZN12_GLOBAL__N_117gamma_cuda_kernelIN3c104HalfEEEvRKNS_10TensorBaseES9_NS_15PhiloxCudaStateEEUlRS6_RKS6_E_S6_S6_mLi1ELi1ELi1ELi256ELi2EEEvNS0_6detail10TensorInfoIT0_T2_EENSG_IT1_SI_EESI_T_.kd
    .uniform_work_group_size: 1
    .uses_dynamic_stack: false
    .vgpr_count:     64
    .vgpr_spill_count: 0
    .wavefront_size: 64
  - .agpr_count:     0
    .args:
      - .offset:         0
        .size:           416
        .value_kind:     by_value
      - .offset:         416
        .size:           416
        .value_kind:     by_value
      - .offset:         832
        .size:           8
        .value_kind:     by_value
      - .offset:         840
        .size:           32
        .value_kind:     by_value
      - .offset:         872
        .size:           4
        .value_kind:     hidden_block_count_x
      - .offset:         876
        .size:           4
        .value_kind:     hidden_block_count_y
      - .offset:         880
        .size:           4
        .value_kind:     hidden_block_count_z
      - .offset:         884
        .size:           2
        .value_kind:     hidden_group_size_x
      - .offset:         886
        .size:           2
        .value_kind:     hidden_group_size_y
      - .offset:         888
        .size:           2
        .value_kind:     hidden_group_size_z
      - .offset:         890
        .size:           2
        .value_kind:     hidden_remainder_x
      - .offset:         892
        .size:           2
        .value_kind:     hidden_remainder_y
      - .offset:         894
        .size:           2
        .value_kind:     hidden_remainder_z
      - .offset:         912
        .size:           8
        .value_kind:     hidden_global_offset_x
      - .offset:         920
        .size:           8
        .value_kind:     hidden_global_offset_y
      - .offset:         928
        .size:           8
        .value_kind:     hidden_global_offset_z
      - .offset:         936
        .size:           2
        .value_kind:     hidden_grid_dims
    .group_segment_fixed_size: 0
    .kernarg_segment_align: 8
    .kernarg_segment_size: 1128
    .language:       OpenCL C
    .language_version:
      - 2
      - 0
    .max_flat_workgroup_size: 256
    .name:           _ZN2at4cuda12_GLOBAL__N_121kernelPointwiseApply2IZN12_GLOBAL__N_117gamma_cuda_kernelIN3c104HalfEEEvRKNS_10TensorBaseES9_NS_15PhiloxCudaStateEEUlRS6_RKS6_E_S6_S6_mLin1ELin1ELi1ELi256ELi2EEEvNS0_6detail10TensorInfoIT0_T2_EENSG_IT1_SI_EESI_T_
    .private_segment_fixed_size: 0
    .sgpr_count:     82
    .sgpr_spill_count: 0
    .symbol:         _ZN2at4cuda12_GLOBAL__N_121kernelPointwiseApply2IZN12_GLOBAL__N_117gamma_cuda_kernelIN3c104HalfEEEvRKNS_10TensorBaseES9_NS_15PhiloxCudaStateEEUlRS6_RKS6_E_S6_S6_mLin1ELin1ELi1ELi256ELi2EEEvNS0_6detail10TensorInfoIT0_T2_EENSG_IT1_SI_EESI_T_.kd
    .uniform_work_group_size: 1
    .uses_dynamic_stack: false
    .vgpr_count:     64
    .vgpr_spill_count: 0
    .wavefront_size: 64
  - .agpr_count:     0
    .args:
      - .offset:         0
        .size:           216
        .value_kind:     by_value
      - .offset:         216
        .size:           216
        .value_kind:     by_value
      - .offset:         432
        .size:           4
        .value_kind:     by_value
      - .offset:         440
        .size:           32
        .value_kind:     by_value
      - .offset:         472
        .size:           4
        .value_kind:     hidden_block_count_x
      - .offset:         476
        .size:           4
        .value_kind:     hidden_block_count_y
      - .offset:         480
        .size:           4
        .value_kind:     hidden_block_count_z
      - .offset:         484
        .size:           2
        .value_kind:     hidden_group_size_x
      - .offset:         486
        .size:           2
        .value_kind:     hidden_group_size_y
      - .offset:         488
        .size:           2
        .value_kind:     hidden_group_size_z
      - .offset:         490
        .size:           2
        .value_kind:     hidden_remainder_x
      - .offset:         492
        .size:           2
        .value_kind:     hidden_remainder_y
      - .offset:         494
        .size:           2
        .value_kind:     hidden_remainder_z
      - .offset:         512
        .size:           8
        .value_kind:     hidden_global_offset_x
      - .offset:         520
        .size:           8
        .value_kind:     hidden_global_offset_y
      - .offset:         528
        .size:           8
        .value_kind:     hidden_global_offset_z
      - .offset:         536
        .size:           2
        .value_kind:     hidden_grid_dims
    .group_segment_fixed_size: 0
    .kernarg_segment_align: 8
    .kernarg_segment_size: 728
    .language:       OpenCL C
    .language_version:
      - 2
      - 0
    .max_flat_workgroup_size: 256
    .name:           _ZN2at4cuda12_GLOBAL__N_121kernelPointwiseApply2IZN12_GLOBAL__N_117gamma_cuda_kernelIN3c108BFloat16EEEvRKNS_10TensorBaseES9_NS_15PhiloxCudaStateEEUlRS6_RKS6_E_S6_S6_jLi1ELi1ELi1ELi256ELi2EEEvNS0_6detail10TensorInfoIT0_T2_EENSG_IT1_SI_EESI_T_
    .private_segment_fixed_size: 0
    .sgpr_count:     70
    .sgpr_spill_count: 0
    .symbol:         _ZN2at4cuda12_GLOBAL__N_121kernelPointwiseApply2IZN12_GLOBAL__N_117gamma_cuda_kernelIN3c108BFloat16EEEvRKNS_10TensorBaseES9_NS_15PhiloxCudaStateEEUlRS6_RKS6_E_S6_S6_jLi1ELi1ELi1ELi256ELi2EEEvNS0_6detail10TensorInfoIT0_T2_EENSG_IT1_SI_EESI_T_.kd
    .uniform_work_group_size: 1
    .uses_dynamic_stack: false
    .vgpr_count:     64
    .vgpr_spill_count: 0
    .wavefront_size: 64
  - .agpr_count:     0
    .args:
      - .offset:         0
        .size:           216
        .value_kind:     by_value
      - .offset:         216
        .size:           216
        .value_kind:     by_value
      - .offset:         432
        .size:           4
        .value_kind:     by_value
      - .offset:         440
        .size:           32
        .value_kind:     by_value
      - .offset:         472
        .size:           4
        .value_kind:     hidden_block_count_x
      - .offset:         476
        .size:           4
        .value_kind:     hidden_block_count_y
      - .offset:         480
        .size:           4
        .value_kind:     hidden_block_count_z
      - .offset:         484
        .size:           2
        .value_kind:     hidden_group_size_x
      - .offset:         486
        .size:           2
        .value_kind:     hidden_group_size_y
      - .offset:         488
        .size:           2
        .value_kind:     hidden_group_size_z
      - .offset:         490
        .size:           2
        .value_kind:     hidden_remainder_x
      - .offset:         492
        .size:           2
        .value_kind:     hidden_remainder_y
      - .offset:         494
        .size:           2
        .value_kind:     hidden_remainder_z
      - .offset:         512
        .size:           8
        .value_kind:     hidden_global_offset_x
      - .offset:         520
        .size:           8
        .value_kind:     hidden_global_offset_y
      - .offset:         528
        .size:           8
        .value_kind:     hidden_global_offset_z
      - .offset:         536
        .size:           2
        .value_kind:     hidden_grid_dims
    .group_segment_fixed_size: 0
    .kernarg_segment_align: 8
    .kernarg_segment_size: 728
    .language:       OpenCL C
    .language_version:
      - 2
      - 0
    .max_flat_workgroup_size: 256
    .name:           _ZN2at4cuda12_GLOBAL__N_121kernelPointwiseApply2IZN12_GLOBAL__N_117gamma_cuda_kernelIN3c108BFloat16EEEvRKNS_10TensorBaseES9_NS_15PhiloxCudaStateEEUlRS6_RKS6_E_S6_S6_jLi1ELi2ELi1ELi256ELi2EEEvNS0_6detail10TensorInfoIT0_T2_EENSG_IT1_SI_EESI_T_
    .private_segment_fixed_size: 0
    .sgpr_count:     70
    .sgpr_spill_count: 0
    .symbol:         _ZN2at4cuda12_GLOBAL__N_121kernelPointwiseApply2IZN12_GLOBAL__N_117gamma_cuda_kernelIN3c108BFloat16EEEvRKNS_10TensorBaseES9_NS_15PhiloxCudaStateEEUlRS6_RKS6_E_S6_S6_jLi1ELi2ELi1ELi256ELi2EEEvNS0_6detail10TensorInfoIT0_T2_EENSG_IT1_SI_EESI_T_.kd
    .uniform_work_group_size: 1
    .uses_dynamic_stack: false
    .vgpr_count:     66
    .vgpr_spill_count: 0
    .wavefront_size: 64
  - .agpr_count:     0
    .args:
      - .offset:         0
        .size:           216
        .value_kind:     by_value
      - .offset:         216
        .size:           216
        .value_kind:     by_value
      - .offset:         432
        .size:           4
        .value_kind:     by_value
      - .offset:         440
        .size:           32
        .value_kind:     by_value
      - .offset:         472
        .size:           4
        .value_kind:     hidden_block_count_x
      - .offset:         476
        .size:           4
        .value_kind:     hidden_block_count_y
      - .offset:         480
        .size:           4
        .value_kind:     hidden_block_count_z
      - .offset:         484
        .size:           2
        .value_kind:     hidden_group_size_x
      - .offset:         486
        .size:           2
        .value_kind:     hidden_group_size_y
      - .offset:         488
        .size:           2
        .value_kind:     hidden_group_size_z
      - .offset:         490
        .size:           2
        .value_kind:     hidden_remainder_x
      - .offset:         492
        .size:           2
        .value_kind:     hidden_remainder_y
      - .offset:         494
        .size:           2
        .value_kind:     hidden_remainder_z
      - .offset:         512
        .size:           8
        .value_kind:     hidden_global_offset_x
      - .offset:         520
        .size:           8
        .value_kind:     hidden_global_offset_y
      - .offset:         528
        .size:           8
        .value_kind:     hidden_global_offset_z
      - .offset:         536
        .size:           2
        .value_kind:     hidden_grid_dims
    .group_segment_fixed_size: 0
    .kernarg_segment_align: 8
    .kernarg_segment_size: 728
    .language:       OpenCL C
    .language_version:
      - 2
      - 0
    .max_flat_workgroup_size: 256
    .name:           _ZN2at4cuda12_GLOBAL__N_121kernelPointwiseApply2IZN12_GLOBAL__N_117gamma_cuda_kernelIN3c108BFloat16EEEvRKNS_10TensorBaseES9_NS_15PhiloxCudaStateEEUlRS6_RKS6_E_S6_S6_jLi1ELin1ELi1ELi256ELi2EEEvNS0_6detail10TensorInfoIT0_T2_EENSG_IT1_SI_EESI_T_
    .private_segment_fixed_size: 0
    .sgpr_count:     72
    .sgpr_spill_count: 0
    .symbol:         _ZN2at4cuda12_GLOBAL__N_121kernelPointwiseApply2IZN12_GLOBAL__N_117gamma_cuda_kernelIN3c108BFloat16EEEvRKNS_10TensorBaseES9_NS_15PhiloxCudaStateEEUlRS6_RKS6_E_S6_S6_jLi1ELin1ELi1ELi256ELi2EEEvNS0_6detail10TensorInfoIT0_T2_EENSG_IT1_SI_EESI_T_.kd
    .uniform_work_group_size: 1
    .uses_dynamic_stack: false
    .vgpr_count:     66
    .vgpr_spill_count: 0
    .wavefront_size: 64
  - .agpr_count:     0
    .args:
      - .offset:         0
        .size:           216
        .value_kind:     by_value
      - .offset:         216
        .size:           216
        .value_kind:     by_value
      - .offset:         432
        .size:           4
        .value_kind:     by_value
      - .offset:         440
        .size:           32
        .value_kind:     by_value
      - .offset:         472
        .size:           4
        .value_kind:     hidden_block_count_x
      - .offset:         476
        .size:           4
        .value_kind:     hidden_block_count_y
      - .offset:         480
        .size:           4
        .value_kind:     hidden_block_count_z
      - .offset:         484
        .size:           2
        .value_kind:     hidden_group_size_x
      - .offset:         486
        .size:           2
        .value_kind:     hidden_group_size_y
      - .offset:         488
        .size:           2
        .value_kind:     hidden_group_size_z
      - .offset:         490
        .size:           2
        .value_kind:     hidden_remainder_x
      - .offset:         492
        .size:           2
        .value_kind:     hidden_remainder_y
      - .offset:         494
        .size:           2
        .value_kind:     hidden_remainder_z
      - .offset:         512
        .size:           8
        .value_kind:     hidden_global_offset_x
      - .offset:         520
        .size:           8
        .value_kind:     hidden_global_offset_y
      - .offset:         528
        .size:           8
        .value_kind:     hidden_global_offset_z
      - .offset:         536
        .size:           2
        .value_kind:     hidden_grid_dims
    .group_segment_fixed_size: 0
    .kernarg_segment_align: 8
    .kernarg_segment_size: 728
    .language:       OpenCL C
    .language_version:
      - 2
      - 0
    .max_flat_workgroup_size: 256
    .name:           _ZN2at4cuda12_GLOBAL__N_121kernelPointwiseApply2IZN12_GLOBAL__N_117gamma_cuda_kernelIN3c108BFloat16EEEvRKNS_10TensorBaseES9_NS_15PhiloxCudaStateEEUlRS6_RKS6_E_S6_S6_jLi2ELi1ELi1ELi256ELi2EEEvNS0_6detail10TensorInfoIT0_T2_EENSG_IT1_SI_EESI_T_
    .private_segment_fixed_size: 0
    .sgpr_count:     70
    .sgpr_spill_count: 0
    .symbol:         _ZN2at4cuda12_GLOBAL__N_121kernelPointwiseApply2IZN12_GLOBAL__N_117gamma_cuda_kernelIN3c108BFloat16EEEvRKNS_10TensorBaseES9_NS_15PhiloxCudaStateEEUlRS6_RKS6_E_S6_S6_jLi2ELi1ELi1ELi256ELi2EEEvNS0_6detail10TensorInfoIT0_T2_EENSG_IT1_SI_EESI_T_.kd
    .uniform_work_group_size: 1
    .uses_dynamic_stack: false
    .vgpr_count:     66
    .vgpr_spill_count: 0
    .wavefront_size: 64
  - .agpr_count:     0
    .args:
      - .offset:         0
        .size:           216
        .value_kind:     by_value
      - .offset:         216
        .size:           216
        .value_kind:     by_value
      - .offset:         432
        .size:           4
        .value_kind:     by_value
      - .offset:         440
        .size:           32
        .value_kind:     by_value
      - .offset:         472
        .size:           4
        .value_kind:     hidden_block_count_x
      - .offset:         476
        .size:           4
        .value_kind:     hidden_block_count_y
      - .offset:         480
        .size:           4
        .value_kind:     hidden_block_count_z
      - .offset:         484
        .size:           2
        .value_kind:     hidden_group_size_x
      - .offset:         486
        .size:           2
        .value_kind:     hidden_group_size_y
      - .offset:         488
        .size:           2
        .value_kind:     hidden_group_size_z
      - .offset:         490
        .size:           2
        .value_kind:     hidden_remainder_x
      - .offset:         492
        .size:           2
        .value_kind:     hidden_remainder_y
      - .offset:         494
        .size:           2
        .value_kind:     hidden_remainder_z
      - .offset:         512
        .size:           8
        .value_kind:     hidden_global_offset_x
      - .offset:         520
        .size:           8
        .value_kind:     hidden_global_offset_y
      - .offset:         528
        .size:           8
        .value_kind:     hidden_global_offset_z
      - .offset:         536
        .size:           2
        .value_kind:     hidden_grid_dims
    .group_segment_fixed_size: 0
    .kernarg_segment_align: 8
    .kernarg_segment_size: 728
    .language:       OpenCL C
    .language_version:
      - 2
      - 0
    .max_flat_workgroup_size: 256
    .name:           _ZN2at4cuda12_GLOBAL__N_121kernelPointwiseApply2IZN12_GLOBAL__N_117gamma_cuda_kernelIN3c108BFloat16EEEvRKNS_10TensorBaseES9_NS_15PhiloxCudaStateEEUlRS6_RKS6_E_S6_S6_jLi2ELi2ELi1ELi256ELi2EEEvNS0_6detail10TensorInfoIT0_T2_EENSG_IT1_SI_EESI_T_
    .private_segment_fixed_size: 0
    .sgpr_count:     72
    .sgpr_spill_count: 0
    .symbol:         _ZN2at4cuda12_GLOBAL__N_121kernelPointwiseApply2IZN12_GLOBAL__N_117gamma_cuda_kernelIN3c108BFloat16EEEvRKNS_10TensorBaseES9_NS_15PhiloxCudaStateEEUlRS6_RKS6_E_S6_S6_jLi2ELi2ELi1ELi256ELi2EEEvNS0_6detail10TensorInfoIT0_T2_EENSG_IT1_SI_EESI_T_.kd
    .uniform_work_group_size: 1
    .uses_dynamic_stack: false
    .vgpr_count:     68
    .vgpr_spill_count: 0
    .wavefront_size: 64
  - .agpr_count:     0
    .args:
      - .offset:         0
        .size:           216
        .value_kind:     by_value
      - .offset:         216
        .size:           216
        .value_kind:     by_value
      - .offset:         432
        .size:           4
        .value_kind:     by_value
      - .offset:         440
        .size:           32
        .value_kind:     by_value
      - .offset:         472
        .size:           4
        .value_kind:     hidden_block_count_x
      - .offset:         476
        .size:           4
        .value_kind:     hidden_block_count_y
      - .offset:         480
        .size:           4
        .value_kind:     hidden_block_count_z
      - .offset:         484
        .size:           2
        .value_kind:     hidden_group_size_x
      - .offset:         486
        .size:           2
        .value_kind:     hidden_group_size_y
      - .offset:         488
        .size:           2
        .value_kind:     hidden_group_size_z
      - .offset:         490
        .size:           2
        .value_kind:     hidden_remainder_x
      - .offset:         492
        .size:           2
        .value_kind:     hidden_remainder_y
      - .offset:         494
        .size:           2
        .value_kind:     hidden_remainder_z
      - .offset:         512
        .size:           8
        .value_kind:     hidden_global_offset_x
      - .offset:         520
        .size:           8
        .value_kind:     hidden_global_offset_y
      - .offset:         528
        .size:           8
        .value_kind:     hidden_global_offset_z
      - .offset:         536
        .size:           2
        .value_kind:     hidden_grid_dims
    .group_segment_fixed_size: 0
    .kernarg_segment_align: 8
    .kernarg_segment_size: 728
    .language:       OpenCL C
    .language_version:
      - 2
      - 0
    .max_flat_workgroup_size: 256
    .name:           _ZN2at4cuda12_GLOBAL__N_121kernelPointwiseApply2IZN12_GLOBAL__N_117gamma_cuda_kernelIN3c108BFloat16EEEvRKNS_10TensorBaseES9_NS_15PhiloxCudaStateEEUlRS6_RKS6_E_S6_S6_jLi2ELin1ELi1ELi256ELi2EEEvNS0_6detail10TensorInfoIT0_T2_EENSG_IT1_SI_EESI_T_
    .private_segment_fixed_size: 0
    .sgpr_count:     74
    .sgpr_spill_count: 0
    .symbol:         _ZN2at4cuda12_GLOBAL__N_121kernelPointwiseApply2IZN12_GLOBAL__N_117gamma_cuda_kernelIN3c108BFloat16EEEvRKNS_10TensorBaseES9_NS_15PhiloxCudaStateEEUlRS6_RKS6_E_S6_S6_jLi2ELin1ELi1ELi256ELi2EEEvNS0_6detail10TensorInfoIT0_T2_EENSG_IT1_SI_EESI_T_.kd
    .uniform_work_group_size: 1
    .uses_dynamic_stack: false
    .vgpr_count:     66
    .vgpr_spill_count: 0
    .wavefront_size: 64
  - .agpr_count:     0
    .args:
      - .offset:         0
        .size:           216
        .value_kind:     by_value
      - .offset:         216
        .size:           216
        .value_kind:     by_value
      - .offset:         432
        .size:           4
        .value_kind:     by_value
      - .offset:         440
        .size:           32
        .value_kind:     by_value
      - .offset:         472
        .size:           4
        .value_kind:     hidden_block_count_x
      - .offset:         476
        .size:           4
        .value_kind:     hidden_block_count_y
      - .offset:         480
        .size:           4
        .value_kind:     hidden_block_count_z
      - .offset:         484
        .size:           2
        .value_kind:     hidden_group_size_x
      - .offset:         486
        .size:           2
        .value_kind:     hidden_group_size_y
      - .offset:         488
        .size:           2
        .value_kind:     hidden_group_size_z
      - .offset:         490
        .size:           2
        .value_kind:     hidden_remainder_x
      - .offset:         492
        .size:           2
        .value_kind:     hidden_remainder_y
      - .offset:         494
        .size:           2
        .value_kind:     hidden_remainder_z
      - .offset:         512
        .size:           8
        .value_kind:     hidden_global_offset_x
      - .offset:         520
        .size:           8
        .value_kind:     hidden_global_offset_y
      - .offset:         528
        .size:           8
        .value_kind:     hidden_global_offset_z
      - .offset:         536
        .size:           2
        .value_kind:     hidden_grid_dims
    .group_segment_fixed_size: 0
    .kernarg_segment_align: 8
    .kernarg_segment_size: 728
    .language:       OpenCL C
    .language_version:
      - 2
      - 0
    .max_flat_workgroup_size: 256
    .name:           _ZN2at4cuda12_GLOBAL__N_121kernelPointwiseApply2IZN12_GLOBAL__N_117gamma_cuda_kernelIN3c108BFloat16EEEvRKNS_10TensorBaseES9_NS_15PhiloxCudaStateEEUlRS6_RKS6_E_S6_S6_jLin1ELi1ELi1ELi256ELi2EEEvNS0_6detail10TensorInfoIT0_T2_EENSG_IT1_SI_EESI_T_
    .private_segment_fixed_size: 0
    .sgpr_count:     72
    .sgpr_spill_count: 0
    .symbol:         _ZN2at4cuda12_GLOBAL__N_121kernelPointwiseApply2IZN12_GLOBAL__N_117gamma_cuda_kernelIN3c108BFloat16EEEvRKNS_10TensorBaseES9_NS_15PhiloxCudaStateEEUlRS6_RKS6_E_S6_S6_jLin1ELi1ELi1ELi256ELi2EEEvNS0_6detail10TensorInfoIT0_T2_EENSG_IT1_SI_EESI_T_.kd
    .uniform_work_group_size: 1
    .uses_dynamic_stack: false
    .vgpr_count:     66
    .vgpr_spill_count: 0
    .wavefront_size: 64
  - .agpr_count:     0
    .args:
      - .offset:         0
        .size:           216
        .value_kind:     by_value
      - .offset:         216
        .size:           216
        .value_kind:     by_value
      - .offset:         432
        .size:           4
        .value_kind:     by_value
      - .offset:         440
        .size:           32
        .value_kind:     by_value
      - .offset:         472
        .size:           4
        .value_kind:     hidden_block_count_x
      - .offset:         476
        .size:           4
        .value_kind:     hidden_block_count_y
      - .offset:         480
        .size:           4
        .value_kind:     hidden_block_count_z
      - .offset:         484
        .size:           2
        .value_kind:     hidden_group_size_x
      - .offset:         486
        .size:           2
        .value_kind:     hidden_group_size_y
      - .offset:         488
        .size:           2
        .value_kind:     hidden_group_size_z
      - .offset:         490
        .size:           2
        .value_kind:     hidden_remainder_x
      - .offset:         492
        .size:           2
        .value_kind:     hidden_remainder_y
      - .offset:         494
        .size:           2
        .value_kind:     hidden_remainder_z
      - .offset:         512
        .size:           8
        .value_kind:     hidden_global_offset_x
      - .offset:         520
        .size:           8
        .value_kind:     hidden_global_offset_y
      - .offset:         528
        .size:           8
        .value_kind:     hidden_global_offset_z
      - .offset:         536
        .size:           2
        .value_kind:     hidden_grid_dims
    .group_segment_fixed_size: 0
    .kernarg_segment_align: 8
    .kernarg_segment_size: 728
    .language:       OpenCL C
    .language_version:
      - 2
      - 0
    .max_flat_workgroup_size: 256
    .name:           _ZN2at4cuda12_GLOBAL__N_121kernelPointwiseApply2IZN12_GLOBAL__N_117gamma_cuda_kernelIN3c108BFloat16EEEvRKNS_10TensorBaseES9_NS_15PhiloxCudaStateEEUlRS6_RKS6_E_S6_S6_jLin1ELi2ELi1ELi256ELi2EEEvNS0_6detail10TensorInfoIT0_T2_EENSG_IT1_SI_EESI_T_
    .private_segment_fixed_size: 0
    .sgpr_count:     74
    .sgpr_spill_count: 0
    .symbol:         _ZN2at4cuda12_GLOBAL__N_121kernelPointwiseApply2IZN12_GLOBAL__N_117gamma_cuda_kernelIN3c108BFloat16EEEvRKNS_10TensorBaseES9_NS_15PhiloxCudaStateEEUlRS6_RKS6_E_S6_S6_jLin1ELi2ELi1ELi256ELi2EEEvNS0_6detail10TensorInfoIT0_T2_EENSG_IT1_SI_EESI_T_.kd
    .uniform_work_group_size: 1
    .uses_dynamic_stack: false
    .vgpr_count:     66
    .vgpr_spill_count: 0
    .wavefront_size: 64
  - .agpr_count:     0
    .args:
      - .offset:         0
        .size:           216
        .value_kind:     by_value
      - .offset:         216
        .size:           216
        .value_kind:     by_value
      - .offset:         432
        .size:           4
        .value_kind:     by_value
      - .offset:         440
        .size:           32
        .value_kind:     by_value
      - .offset:         472
        .size:           4
        .value_kind:     hidden_block_count_x
      - .offset:         476
        .size:           4
        .value_kind:     hidden_block_count_y
      - .offset:         480
        .size:           4
        .value_kind:     hidden_block_count_z
      - .offset:         484
        .size:           2
        .value_kind:     hidden_group_size_x
      - .offset:         486
        .size:           2
        .value_kind:     hidden_group_size_y
      - .offset:         488
        .size:           2
        .value_kind:     hidden_group_size_z
      - .offset:         490
        .size:           2
        .value_kind:     hidden_remainder_x
      - .offset:         492
        .size:           2
        .value_kind:     hidden_remainder_y
      - .offset:         494
        .size:           2
        .value_kind:     hidden_remainder_z
      - .offset:         512
        .size:           8
        .value_kind:     hidden_global_offset_x
      - .offset:         520
        .size:           8
        .value_kind:     hidden_global_offset_y
      - .offset:         528
        .size:           8
        .value_kind:     hidden_global_offset_z
      - .offset:         536
        .size:           2
        .value_kind:     hidden_grid_dims
    .group_segment_fixed_size: 0
    .kernarg_segment_align: 8
    .kernarg_segment_size: 728
    .language:       OpenCL C
    .language_version:
      - 2
      - 0
    .max_flat_workgroup_size: 256
    .name:           _ZN2at4cuda12_GLOBAL__N_121kernelPointwiseApply2IZN12_GLOBAL__N_117gamma_cuda_kernelIN3c108BFloat16EEEvRKNS_10TensorBaseES9_NS_15PhiloxCudaStateEEUlRS6_RKS6_E_S6_S6_jLin1ELin1ELi1ELi256ELi2EEEvNS0_6detail10TensorInfoIT0_T2_EENSG_IT1_SI_EESI_T_
    .private_segment_fixed_size: 0
    .sgpr_count:     78
    .sgpr_spill_count: 0
    .symbol:         _ZN2at4cuda12_GLOBAL__N_121kernelPointwiseApply2IZN12_GLOBAL__N_117gamma_cuda_kernelIN3c108BFloat16EEEvRKNS_10TensorBaseES9_NS_15PhiloxCudaStateEEUlRS6_RKS6_E_S6_S6_jLin1ELin1ELi1ELi256ELi2EEEvNS0_6detail10TensorInfoIT0_T2_EENSG_IT1_SI_EESI_T_.kd
    .uniform_work_group_size: 1
    .uses_dynamic_stack: false
    .vgpr_count:     64
    .vgpr_spill_count: 0
    .wavefront_size: 64
  - .agpr_count:     0
    .args:
      - .offset:         0
        .size:           416
        .value_kind:     by_value
      - .offset:         416
        .size:           416
        .value_kind:     by_value
      - .offset:         832
        .size:           8
        .value_kind:     by_value
      - .offset:         840
        .size:           32
        .value_kind:     by_value
      - .offset:         872
        .size:           4
        .value_kind:     hidden_block_count_x
      - .offset:         876
        .size:           4
        .value_kind:     hidden_block_count_y
      - .offset:         880
        .size:           4
        .value_kind:     hidden_block_count_z
      - .offset:         884
        .size:           2
        .value_kind:     hidden_group_size_x
      - .offset:         886
        .size:           2
        .value_kind:     hidden_group_size_y
      - .offset:         888
        .size:           2
        .value_kind:     hidden_group_size_z
      - .offset:         890
        .size:           2
        .value_kind:     hidden_remainder_x
      - .offset:         892
        .size:           2
        .value_kind:     hidden_remainder_y
      - .offset:         894
        .size:           2
        .value_kind:     hidden_remainder_z
      - .offset:         912
        .size:           8
        .value_kind:     hidden_global_offset_x
      - .offset:         920
        .size:           8
        .value_kind:     hidden_global_offset_y
      - .offset:         928
        .size:           8
        .value_kind:     hidden_global_offset_z
      - .offset:         936
        .size:           2
        .value_kind:     hidden_grid_dims
    .group_segment_fixed_size: 0
    .kernarg_segment_align: 8
    .kernarg_segment_size: 1128
    .language:       OpenCL C
    .language_version:
      - 2
      - 0
    .max_flat_workgroup_size: 256
    .name:           _ZN2at4cuda12_GLOBAL__N_121kernelPointwiseApply2IZN12_GLOBAL__N_117gamma_cuda_kernelIN3c108BFloat16EEEvRKNS_10TensorBaseES9_NS_15PhiloxCudaStateEEUlRS6_RKS6_E_S6_S6_mLi1ELi1ELi1ELi256ELi2EEEvNS0_6detail10TensorInfoIT0_T2_EENSG_IT1_SI_EESI_T_
    .private_segment_fixed_size: 0
    .sgpr_count:     74
    .sgpr_spill_count: 0
    .symbol:         _ZN2at4cuda12_GLOBAL__N_121kernelPointwiseApply2IZN12_GLOBAL__N_117gamma_cuda_kernelIN3c108BFloat16EEEvRKNS_10TensorBaseES9_NS_15PhiloxCudaStateEEUlRS6_RKS6_E_S6_S6_mLi1ELi1ELi1ELi256ELi2EEEvNS0_6detail10TensorInfoIT0_T2_EENSG_IT1_SI_EESI_T_.kd
    .uniform_work_group_size: 1
    .uses_dynamic_stack: false
    .vgpr_count:     64
    .vgpr_spill_count: 0
    .wavefront_size: 64
  - .agpr_count:     0
    .args:
      - .offset:         0
        .size:           416
        .value_kind:     by_value
      - .offset:         416
        .size:           416
        .value_kind:     by_value
      - .offset:         832
        .size:           8
        .value_kind:     by_value
      - .offset:         840
        .size:           32
        .value_kind:     by_value
      - .offset:         872
        .size:           4
        .value_kind:     hidden_block_count_x
      - .offset:         876
        .size:           4
        .value_kind:     hidden_block_count_y
      - .offset:         880
        .size:           4
        .value_kind:     hidden_block_count_z
      - .offset:         884
        .size:           2
        .value_kind:     hidden_group_size_x
      - .offset:         886
        .size:           2
        .value_kind:     hidden_group_size_y
      - .offset:         888
        .size:           2
        .value_kind:     hidden_group_size_z
      - .offset:         890
        .size:           2
        .value_kind:     hidden_remainder_x
      - .offset:         892
        .size:           2
        .value_kind:     hidden_remainder_y
      - .offset:         894
        .size:           2
        .value_kind:     hidden_remainder_z
      - .offset:         912
        .size:           8
        .value_kind:     hidden_global_offset_x
      - .offset:         920
        .size:           8
        .value_kind:     hidden_global_offset_y
      - .offset:         928
        .size:           8
        .value_kind:     hidden_global_offset_z
      - .offset:         936
        .size:           2
        .value_kind:     hidden_grid_dims
    .group_segment_fixed_size: 0
    .kernarg_segment_align: 8
    .kernarg_segment_size: 1128
    .language:       OpenCL C
    .language_version:
      - 2
      - 0
    .max_flat_workgroup_size: 256
    .name:           _ZN2at4cuda12_GLOBAL__N_121kernelPointwiseApply2IZN12_GLOBAL__N_117gamma_cuda_kernelIN3c108BFloat16EEEvRKNS_10TensorBaseES9_NS_15PhiloxCudaStateEEUlRS6_RKS6_E_S6_S6_mLin1ELin1ELi1ELi256ELi2EEEvNS0_6detail10TensorInfoIT0_T2_EENSG_IT1_SI_EESI_T_
    .private_segment_fixed_size: 0
    .sgpr_count:     82
    .sgpr_spill_count: 0
    .symbol:         _ZN2at4cuda12_GLOBAL__N_121kernelPointwiseApply2IZN12_GLOBAL__N_117gamma_cuda_kernelIN3c108BFloat16EEEvRKNS_10TensorBaseES9_NS_15PhiloxCudaStateEEUlRS6_RKS6_E_S6_S6_mLin1ELin1ELi1ELi256ELi2EEEvNS0_6detail10TensorInfoIT0_T2_EENSG_IT1_SI_EESI_T_.kd
    .uniform_work_group_size: 1
    .uses_dynamic_stack: false
    .vgpr_count:     66
    .vgpr_spill_count: 0
    .wavefront_size: 64
  - .agpr_count:     0
    .args:
      - .offset:         0
        .size:           4
        .value_kind:     by_value
      - .offset:         4
        .size:           1
        .value_kind:     by_value
      - .offset:         8
        .size:           24
        .value_kind:     by_value
    .group_segment_fixed_size: 0
    .kernarg_segment_align: 8
    .kernarg_segment_size: 32
    .language:       OpenCL C
    .language_version:
      - 2
      - 0
    .max_flat_workgroup_size: 256
    .name:           _ZN2at6native29vectorized_elementwise_kernelILi16EZZZNS0_33launch_standard_gamma_grad_kernelERNS_18TensorIteratorBaseEENKUlvE_clEvENKUlvE_clEvEUlddE_St5arrayIPcLm3EEEEviT0_T1_
    .private_segment_fixed_size: 8
    .sgpr_count:     92
    .sgpr_spill_count: 0
    .symbol:         _ZN2at6native29vectorized_elementwise_kernelILi16EZZZNS0_33launch_standard_gamma_grad_kernelERNS_18TensorIteratorBaseEENKUlvE_clEvENKUlvE_clEvEUlddE_St5arrayIPcLm3EEEEviT0_T1_.kd
    .uniform_work_group_size: 1
    .uses_dynamic_stack: false
    .vgpr_count:     73
    .vgpr_spill_count: 0
    .wavefront_size: 64
  - .agpr_count:     0
    .args:
      - .offset:         0
        .size:           4
        .value_kind:     by_value
      - .offset:         4
        .size:           1
        .value_kind:     by_value
      - .offset:         8
        .size:           24
        .value_kind:     by_value
    .group_segment_fixed_size: 0
    .kernarg_segment_align: 8
    .kernarg_segment_size: 32
    .language:       OpenCL C
    .language_version:
      - 2
      - 0
    .max_flat_workgroup_size: 256
    .name:           _ZN2at6native29vectorized_elementwise_kernelILi8EZZZNS0_33launch_standard_gamma_grad_kernelERNS_18TensorIteratorBaseEENKUlvE_clEvENKUlvE_clEvEUlddE_St5arrayIPcLm3EEEEviT0_T1_
    .private_segment_fixed_size: 8
    .sgpr_count:     92
    .sgpr_spill_count: 0
    .symbol:         _ZN2at6native29vectorized_elementwise_kernelILi8EZZZNS0_33launch_standard_gamma_grad_kernelERNS_18TensorIteratorBaseEENKUlvE_clEvENKUlvE_clEvEUlddE_St5arrayIPcLm3EEEEviT0_T1_.kd
    .uniform_work_group_size: 1
    .uses_dynamic_stack: false
    .vgpr_count:     73
    .vgpr_spill_count: 0
    .wavefront_size: 64
  - .agpr_count:     0
    .args:
      - .offset:         0
        .size:           4
        .value_kind:     by_value
      - .offset:         4
        .size:           1
        .value_kind:     by_value
      - .offset:         8
        .size:           24
        .value_kind:     by_value
    .group_segment_fixed_size: 0
    .kernarg_segment_align: 8
    .kernarg_segment_size: 32
    .language:       OpenCL C
    .language_version:
      - 2
      - 0
    .max_flat_workgroup_size: 256
    .name:           _ZN2at6native29vectorized_elementwise_kernelILi4EZZZNS0_33launch_standard_gamma_grad_kernelERNS_18TensorIteratorBaseEENKUlvE_clEvENKUlvE_clEvEUlddE_St5arrayIPcLm3EEEEviT0_T1_
    .private_segment_fixed_size: 8
    .sgpr_count:     92
    .sgpr_spill_count: 0
    .symbol:         _ZN2at6native29vectorized_elementwise_kernelILi4EZZZNS0_33launch_standard_gamma_grad_kernelERNS_18TensorIteratorBaseEENKUlvE_clEvENKUlvE_clEvEUlddE_St5arrayIPcLm3EEEEviT0_T1_.kd
    .uniform_work_group_size: 1
    .uses_dynamic_stack: false
    .vgpr_count:     73
    .vgpr_spill_count: 0
    .wavefront_size: 64
  - .agpr_count:     0
    .args:
      - .offset:         0
        .size:           4
        .value_kind:     by_value
      - .offset:         4
        .size:           1
        .value_kind:     by_value
      - .offset:         8
        .size:           24
        .value_kind:     by_value
    .group_segment_fixed_size: 0
    .kernarg_segment_align: 8
    .kernarg_segment_size: 32
    .language:       OpenCL C
    .language_version:
      - 2
      - 0
    .max_flat_workgroup_size: 256
    .name:           _ZN2at6native29vectorized_elementwise_kernelILi2EZZZNS0_33launch_standard_gamma_grad_kernelERNS_18TensorIteratorBaseEENKUlvE_clEvENKUlvE_clEvEUlddE_St5arrayIPcLm3EEEEviT0_T1_
    .private_segment_fixed_size: 8
    .sgpr_count:     92
    .sgpr_spill_count: 0
    .symbol:         _ZN2at6native29vectorized_elementwise_kernelILi2EZZZNS0_33launch_standard_gamma_grad_kernelERNS_18TensorIteratorBaseEENKUlvE_clEvENKUlvE_clEvEUlddE_St5arrayIPcLm3EEEEviT0_T1_.kd
    .uniform_work_group_size: 1
    .uses_dynamic_stack: false
    .vgpr_count:     73
    .vgpr_spill_count: 0
    .wavefront_size: 64
  - .agpr_count:     0
    .args:
      - .offset:         0
        .size:           4
        .value_kind:     by_value
      - .offset:         4
        .size:           1
        .value_kind:     by_value
      - .offset:         8
        .size:           24
        .value_kind:     by_value
      - .offset:         32
        .size:           1
        .value_kind:     by_value
      - .offset:         33
        .size:           1
        .value_kind:     by_value
      - .offset:         34
        .size:           1
        .value_kind:     by_value
      - .offset:         35
        .size:           1
        .value_kind:     by_value
    .group_segment_fixed_size: 0
    .kernarg_segment_align: 8
    .kernarg_segment_size: 36
    .language:       OpenCL C
    .language_version:
      - 2
      - 0
    .max_flat_workgroup_size: 256
    .name:           _ZN2at6native27unrolled_elementwise_kernelIZZZNS0_33launch_standard_gamma_grad_kernelERNS_18TensorIteratorBaseEENKUlvE_clEvENKUlvE_clEvEUlddE_St5arrayIPcLm3EELi4E23TrivialOffsetCalculatorILi2EjESA_ILi1EjENS0_6memory15LoadWithoutCastENSD_16StoreWithoutCastEEEviT_T0_T2_T3_T4_T5_
    .private_segment_fixed_size: 8
    .sgpr_count:     87
    .sgpr_spill_count: 0
    .symbol:         _ZN2at6native27unrolled_elementwise_kernelIZZZNS0_33launch_standard_gamma_grad_kernelERNS_18TensorIteratorBaseEENKUlvE_clEvENKUlvE_clEvEUlddE_St5arrayIPcLm3EELi4E23TrivialOffsetCalculatorILi2EjESA_ILi1EjENS0_6memory15LoadWithoutCastENSD_16StoreWithoutCastEEEviT_T0_T2_T3_T4_T5_.kd
    .uniform_work_group_size: 1
    .uses_dynamic_stack: false
    .vgpr_count:     73
    .vgpr_spill_count: 0
    .wavefront_size: 64
  - .agpr_count:     0
    .args:
      - .offset:         0
        .size:           4
        .value_kind:     by_value
      - .offset:         8
        .size:           424
        .value_kind:     by_value
    .group_segment_fixed_size: 0
    .kernarg_segment_align: 8
    .kernarg_segment_size: 432
    .language:       OpenCL C
    .language_version:
      - 2
      - 0
    .max_flat_workgroup_size: 128
    .name:           _ZN2at6native32elementwise_kernel_manual_unrollILi128ELi4EZNS0_22gpu_kernel_impl_nocastIZZZNS0_33launch_standard_gamma_grad_kernelERNS_18TensorIteratorBaseEENKUlvE_clEvENKUlvE_clEvEUlddE_EEvS4_RKT_EUlibE_EEviT1_
    .private_segment_fixed_size: 8
    .sgpr_count:     105
    .sgpr_spill_count: 2
    .symbol:         _ZN2at6native32elementwise_kernel_manual_unrollILi128ELi4EZNS0_22gpu_kernel_impl_nocastIZZZNS0_33launch_standard_gamma_grad_kernelERNS_18TensorIteratorBaseEENKUlvE_clEvENKUlvE_clEvEUlddE_EEvS4_RKT_EUlibE_EEviT1_.kd
    .uniform_work_group_size: 1
    .uses_dynamic_stack: false
    .vgpr_count:     73
    .vgpr_spill_count: 0
    .wavefront_size: 64
  - .agpr_count:     0
    .args:
      - .offset:         0
        .size:           4
        .value_kind:     by_value
      - .offset:         8
        .size:           40
        .value_kind:     by_value
    .group_segment_fixed_size: 0
    .kernarg_segment_align: 8
    .kernarg_segment_size: 48
    .language:       OpenCL C
    .language_version:
      - 2
      - 0
    .max_flat_workgroup_size: 128
    .name:           _ZN2at6native32elementwise_kernel_manual_unrollILi128ELi4EZNS0_15gpu_kernel_implIZZZNS0_33launch_standard_gamma_grad_kernelERNS_18TensorIteratorBaseEENKUlvE_clEvENKUlvE_clEvEUlddE_EEvS4_RKT_EUlibE_EEviT1_
    .private_segment_fixed_size: 8
    .sgpr_count:     106
    .sgpr_spill_count: 58
    .symbol:         _ZN2at6native32elementwise_kernel_manual_unrollILi128ELi4EZNS0_15gpu_kernel_implIZZZNS0_33launch_standard_gamma_grad_kernelERNS_18TensorIteratorBaseEENKUlvE_clEvENKUlvE_clEvEUlddE_EEvS4_RKT_EUlibE_EEviT1_.kd
    .uniform_work_group_size: 1
    .uses_dynamic_stack: false
    .vgpr_count:     65
    .vgpr_spill_count: 0
    .wavefront_size: 64
  - .agpr_count:     0
    .args:
      - .offset:         0
        .size:           4
        .value_kind:     by_value
      - .offset:         8
        .size:           424
        .value_kind:     by_value
    .group_segment_fixed_size: 0
    .kernarg_segment_align: 8
    .kernarg_segment_size: 432
    .language:       OpenCL C
    .language_version:
      - 2
      - 0
    .max_flat_workgroup_size: 128
    .name:           _ZN2at6native32elementwise_kernel_manual_unrollILi128ELi4EZNS0_15gpu_kernel_implIZZZNS0_33launch_standard_gamma_grad_kernelERNS_18TensorIteratorBaseEENKUlvE_clEvENKUlvE_clEvEUlddE_EEvS4_RKT_EUlibE0_EEviT1_
    .private_segment_fixed_size: 8
    .sgpr_count:     106
    .sgpr_spill_count: 154
    .symbol:         _ZN2at6native32elementwise_kernel_manual_unrollILi128ELi4EZNS0_15gpu_kernel_implIZZZNS0_33launch_standard_gamma_grad_kernelERNS_18TensorIteratorBaseEENKUlvE_clEvENKUlvE_clEvEUlddE_EEvS4_RKT_EUlibE0_EEviT1_.kd
    .uniform_work_group_size: 1
    .uses_dynamic_stack: false
    .vgpr_count:     71
    .vgpr_spill_count: 0
    .wavefront_size: 64
  - .agpr_count:     0
    .args:
      - .offset:         0
        .size:           4
        .value_kind:     by_value
      - .offset:         4
        .size:           1
        .value_kind:     by_value
      - .offset:         8
        .size:           24
        .value_kind:     by_value
    .group_segment_fixed_size: 0
    .kernarg_segment_align: 8
    .kernarg_segment_size: 32
    .language:       OpenCL C
    .language_version:
      - 2
      - 0
    .max_flat_workgroup_size: 256
    .name:           _ZN2at6native29vectorized_elementwise_kernelILi16EZZZNS0_33launch_standard_gamma_grad_kernelERNS_18TensorIteratorBaseEENKUlvE_clEvENKUlvE0_clEvEUlffE_St5arrayIPcLm3EEEEviT0_T1_
    .private_segment_fixed_size: 0
    .sgpr_count:     44
    .sgpr_spill_count: 0
    .symbol:         _ZN2at6native29vectorized_elementwise_kernelILi16EZZZNS0_33launch_standard_gamma_grad_kernelERNS_18TensorIteratorBaseEENKUlvE_clEvENKUlvE0_clEvEUlffE_St5arrayIPcLm3EEEEviT0_T1_.kd
    .uniform_work_group_size: 1
    .uses_dynamic_stack: false
    .vgpr_count:     44
    .vgpr_spill_count: 0
    .wavefront_size: 64
  - .agpr_count:     0
    .args:
      - .offset:         0
        .size:           4
        .value_kind:     by_value
      - .offset:         4
        .size:           1
        .value_kind:     by_value
      - .offset:         8
        .size:           24
        .value_kind:     by_value
    .group_segment_fixed_size: 0
    .kernarg_segment_align: 8
    .kernarg_segment_size: 32
    .language:       OpenCL C
    .language_version:
      - 2
      - 0
    .max_flat_workgroup_size: 256
    .name:           _ZN2at6native29vectorized_elementwise_kernelILi8EZZZNS0_33launch_standard_gamma_grad_kernelERNS_18TensorIteratorBaseEENKUlvE_clEvENKUlvE0_clEvEUlffE_St5arrayIPcLm3EEEEviT0_T1_
    .private_segment_fixed_size: 0
    .sgpr_count:     44
    .sgpr_spill_count: 0
    .symbol:         _ZN2at6native29vectorized_elementwise_kernelILi8EZZZNS0_33launch_standard_gamma_grad_kernelERNS_18TensorIteratorBaseEENKUlvE_clEvENKUlvE0_clEvEUlffE_St5arrayIPcLm3EEEEviT0_T1_.kd
    .uniform_work_group_size: 1
    .uses_dynamic_stack: false
    .vgpr_count:     44
    .vgpr_spill_count: 0
    .wavefront_size: 64
  - .agpr_count:     0
    .args:
      - .offset:         0
        .size:           4
        .value_kind:     by_value
      - .offset:         4
        .size:           1
        .value_kind:     by_value
      - .offset:         8
        .size:           24
        .value_kind:     by_value
    .group_segment_fixed_size: 0
    .kernarg_segment_align: 8
    .kernarg_segment_size: 32
    .language:       OpenCL C
    .language_version:
      - 2
      - 0
    .max_flat_workgroup_size: 256
    .name:           _ZN2at6native29vectorized_elementwise_kernelILi4EZZZNS0_33launch_standard_gamma_grad_kernelERNS_18TensorIteratorBaseEENKUlvE_clEvENKUlvE0_clEvEUlffE_St5arrayIPcLm3EEEEviT0_T1_
    .private_segment_fixed_size: 0
    .sgpr_count:     44
    .sgpr_spill_count: 0
    .symbol:         _ZN2at6native29vectorized_elementwise_kernelILi4EZZZNS0_33launch_standard_gamma_grad_kernelERNS_18TensorIteratorBaseEENKUlvE_clEvENKUlvE0_clEvEUlffE_St5arrayIPcLm3EEEEviT0_T1_.kd
    .uniform_work_group_size: 1
    .uses_dynamic_stack: false
    .vgpr_count:     44
    .vgpr_spill_count: 0
    .wavefront_size: 64
  - .agpr_count:     0
    .args:
      - .offset:         0
        .size:           4
        .value_kind:     by_value
      - .offset:         4
        .size:           1
        .value_kind:     by_value
      - .offset:         8
        .size:           24
        .value_kind:     by_value
    .group_segment_fixed_size: 0
    .kernarg_segment_align: 8
    .kernarg_segment_size: 32
    .language:       OpenCL C
    .language_version:
      - 2
      - 0
    .max_flat_workgroup_size: 256
    .name:           _ZN2at6native29vectorized_elementwise_kernelILi2EZZZNS0_33launch_standard_gamma_grad_kernelERNS_18TensorIteratorBaseEENKUlvE_clEvENKUlvE0_clEvEUlffE_St5arrayIPcLm3EEEEviT0_T1_
    .private_segment_fixed_size: 0
    .sgpr_count:     44
    .sgpr_spill_count: 0
    .symbol:         _ZN2at6native29vectorized_elementwise_kernelILi2EZZZNS0_33launch_standard_gamma_grad_kernelERNS_18TensorIteratorBaseEENKUlvE_clEvENKUlvE0_clEvEUlffE_St5arrayIPcLm3EEEEviT0_T1_.kd
    .uniform_work_group_size: 1
    .uses_dynamic_stack: false
    .vgpr_count:     44
    .vgpr_spill_count: 0
    .wavefront_size: 64
  - .agpr_count:     0
    .args:
      - .offset:         0
        .size:           4
        .value_kind:     by_value
      - .offset:         4
        .size:           1
        .value_kind:     by_value
      - .offset:         8
        .size:           24
        .value_kind:     by_value
      - .offset:         32
        .size:           1
        .value_kind:     by_value
      - .offset:         33
        .size:           1
        .value_kind:     by_value
      - .offset:         34
        .size:           1
        .value_kind:     by_value
      - .offset:         35
        .size:           1
        .value_kind:     by_value
    .group_segment_fixed_size: 0
    .kernarg_segment_align: 8
    .kernarg_segment_size: 36
    .language:       OpenCL C
    .language_version:
      - 2
      - 0
    .max_flat_workgroup_size: 256
    .name:           _ZN2at6native27unrolled_elementwise_kernelIZZZNS0_33launch_standard_gamma_grad_kernelERNS_18TensorIteratorBaseEENKUlvE_clEvENKUlvE0_clEvEUlffE_St5arrayIPcLm3EELi4E23TrivialOffsetCalculatorILi2EjESA_ILi1EjENS0_6memory15LoadWithoutCastENSD_16StoreWithoutCastEEEviT_T0_T2_T3_T4_T5_
    .private_segment_fixed_size: 0
    .sgpr_count:     39
    .sgpr_spill_count: 0
    .symbol:         _ZN2at6native27unrolled_elementwise_kernelIZZZNS0_33launch_standard_gamma_grad_kernelERNS_18TensorIteratorBaseEENKUlvE_clEvENKUlvE0_clEvEUlffE_St5arrayIPcLm3EELi4E23TrivialOffsetCalculatorILi2EjESA_ILi1EjENS0_6memory15LoadWithoutCastENSD_16StoreWithoutCastEEEviT_T0_T2_T3_T4_T5_.kd
    .uniform_work_group_size: 1
    .uses_dynamic_stack: false
    .vgpr_count:     44
    .vgpr_spill_count: 0
    .wavefront_size: 64
  - .agpr_count:     0
    .args:
      - .offset:         0
        .size:           4
        .value_kind:     by_value
      - .offset:         8
        .size:           424
        .value_kind:     by_value
    .group_segment_fixed_size: 0
    .kernarg_segment_align: 8
    .kernarg_segment_size: 432
    .language:       OpenCL C
    .language_version:
      - 2
      - 0
    .max_flat_workgroup_size: 128
    .name:           _ZN2at6native32elementwise_kernel_manual_unrollILi128ELi4EZNS0_22gpu_kernel_impl_nocastIZZZNS0_33launch_standard_gamma_grad_kernelERNS_18TensorIteratorBaseEENKUlvE_clEvENKUlvE0_clEvEUlffE_EEvS4_RKT_EUlibE_EEviT1_
    .private_segment_fixed_size: 0
    .sgpr_count:     65
    .sgpr_spill_count: 0
    .symbol:         _ZN2at6native32elementwise_kernel_manual_unrollILi128ELi4EZNS0_22gpu_kernel_impl_nocastIZZZNS0_33launch_standard_gamma_grad_kernelERNS_18TensorIteratorBaseEENKUlvE_clEvENKUlvE0_clEvEUlffE_EEvS4_RKT_EUlibE_EEviT1_.kd
    .uniform_work_group_size: 1
    .uses_dynamic_stack: false
    .vgpr_count:     52
    .vgpr_spill_count: 0
    .wavefront_size: 64
  - .agpr_count:     18
    .args:
      - .offset:         0
        .size:           4
        .value_kind:     by_value
      - .offset:         4
        .size:           1
        .value_kind:     by_value
      - .offset:         8
        .size:           24
        .value_kind:     by_value
      - .offset:         32
        .size:           1
        .value_kind:     by_value
      - .offset:         33
        .size:           1
        .value_kind:     by_value
      - .offset:         36
        .size:           12
        .value_kind:     by_value
      - .offset:         48
        .size:           8
        .value_kind:     by_value
      - .offset:         56
        .size:           4
        .value_kind:     hidden_block_count_x
      - .offset:         60
        .size:           4
        .value_kind:     hidden_block_count_y
      - .offset:         64
        .size:           4
        .value_kind:     hidden_block_count_z
      - .offset:         68
        .size:           2
        .value_kind:     hidden_group_size_x
      - .offset:         70
        .size:           2
        .value_kind:     hidden_group_size_y
      - .offset:         72
        .size:           2
        .value_kind:     hidden_group_size_z
      - .offset:         74
        .size:           2
        .value_kind:     hidden_remainder_x
      - .offset:         76
        .size:           2
        .value_kind:     hidden_remainder_y
      - .offset:         78
        .size:           2
        .value_kind:     hidden_remainder_z
      - .offset:         96
        .size:           8
        .value_kind:     hidden_global_offset_x
      - .offset:         104
        .size:           8
        .value_kind:     hidden_global_offset_y
      - .offset:         112
        .size:           8
        .value_kind:     hidden_global_offset_z
      - .offset:         120
        .size:           2
        .value_kind:     hidden_grid_dims
    .group_segment_fixed_size: 0
    .kernarg_segment_align: 8
    .kernarg_segment_size: 312
    .language:       OpenCL C
    .language_version:
      - 2
      - 0
    .max_flat_workgroup_size: 512
    .name:           _ZN2at6native39vectorized_templated_elementwise_kernelILi8EZZZNS0_33launch_standard_gamma_grad_kernelERNS_18TensorIteratorBaseEENKUlvE_clEvENKUlvE0_clEvEUlffE_St5arrayIPcLm3EE23TrivialOffsetCalculatorILi2EjESA_ILi1EjENS0_6memory12LoadWithCastILi2EEENSD_13StoreWithCastILi1EEEfJfN3c108BFloat16EEEEviT0_T1_T2_T3_T4_T5_
    .private_segment_fixed_size: 288
    .sgpr_count:     104
    .sgpr_spill_count: 0
    .symbol:         _ZN2at6native39vectorized_templated_elementwise_kernelILi8EZZZNS0_33launch_standard_gamma_grad_kernelERNS_18TensorIteratorBaseEENKUlvE_clEvENKUlvE0_clEvEUlffE_St5arrayIPcLm3EE23TrivialOffsetCalculatorILi2EjESA_ILi1EjENS0_6memory12LoadWithCastILi2EEENSD_13StoreWithCastILi1EEEfJfN3c108BFloat16EEEEviT0_T1_T2_T3_T4_T5_.kd
    .uniform_work_group_size: 1
    .uses_dynamic_stack: false
    .vgpr_count:     138
    .vgpr_spill_count: 0
    .wavefront_size: 64
  - .agpr_count:     18
    .args:
      - .offset:         0
        .size:           4
        .value_kind:     by_value
      - .offset:         4
        .size:           1
        .value_kind:     by_value
      - .offset:         8
        .size:           24
        .value_kind:     by_value
      - .offset:         32
        .size:           1
        .value_kind:     by_value
      - .offset:         33
        .size:           1
        .value_kind:     by_value
      - .offset:         36
        .size:           12
        .value_kind:     by_value
      - .offset:         48
        .size:           8
        .value_kind:     by_value
      - .offset:         56
        .size:           4
        .value_kind:     hidden_block_count_x
      - .offset:         60
        .size:           4
        .value_kind:     hidden_block_count_y
      - .offset:         64
        .size:           4
        .value_kind:     hidden_block_count_z
      - .offset:         68
        .size:           2
        .value_kind:     hidden_group_size_x
      - .offset:         70
        .size:           2
        .value_kind:     hidden_group_size_y
      - .offset:         72
        .size:           2
        .value_kind:     hidden_group_size_z
      - .offset:         74
        .size:           2
        .value_kind:     hidden_remainder_x
      - .offset:         76
        .size:           2
        .value_kind:     hidden_remainder_y
      - .offset:         78
        .size:           2
        .value_kind:     hidden_remainder_z
      - .offset:         96
        .size:           8
        .value_kind:     hidden_global_offset_x
      - .offset:         104
        .size:           8
        .value_kind:     hidden_global_offset_y
      - .offset:         112
        .size:           8
        .value_kind:     hidden_global_offset_z
      - .offset:         120
        .size:           2
        .value_kind:     hidden_grid_dims
    .group_segment_fixed_size: 0
    .kernarg_segment_align: 8
    .kernarg_segment_size: 312
    .language:       OpenCL C
    .language_version:
      - 2
      - 0
    .max_flat_workgroup_size: 512
    .name:           _ZN2at6native39vectorized_templated_elementwise_kernelILi4EZZZNS0_33launch_standard_gamma_grad_kernelERNS_18TensorIteratorBaseEENKUlvE_clEvENKUlvE0_clEvEUlffE_St5arrayIPcLm3EE23TrivialOffsetCalculatorILi2EjESA_ILi1EjENS0_6memory12LoadWithCastILi2EEENSD_13StoreWithCastILi1EEEfJfN3c108BFloat16EEEEviT0_T1_T2_T3_T4_T5_
    .private_segment_fixed_size: 288
    .sgpr_count:     104
    .sgpr_spill_count: 0
    .symbol:         _ZN2at6native39vectorized_templated_elementwise_kernelILi4EZZZNS0_33launch_standard_gamma_grad_kernelERNS_18TensorIteratorBaseEENKUlvE_clEvENKUlvE0_clEvEUlffE_St5arrayIPcLm3EE23TrivialOffsetCalculatorILi2EjESA_ILi1EjENS0_6memory12LoadWithCastILi2EEENSD_13StoreWithCastILi1EEEfJfN3c108BFloat16EEEEviT0_T1_T2_T3_T4_T5_.kd
    .uniform_work_group_size: 1
    .uses_dynamic_stack: false
    .vgpr_count:     138
    .vgpr_spill_count: 0
    .wavefront_size: 64
  - .agpr_count:     18
    .args:
      - .offset:         0
        .size:           4
        .value_kind:     by_value
      - .offset:         4
        .size:           1
        .value_kind:     by_value
      - .offset:         8
        .size:           24
        .value_kind:     by_value
      - .offset:         32
        .size:           1
        .value_kind:     by_value
      - .offset:         33
        .size:           1
        .value_kind:     by_value
      - .offset:         36
        .size:           12
        .value_kind:     by_value
      - .offset:         48
        .size:           8
        .value_kind:     by_value
      - .offset:         56
        .size:           4
        .value_kind:     hidden_block_count_x
      - .offset:         60
        .size:           4
        .value_kind:     hidden_block_count_y
      - .offset:         64
        .size:           4
        .value_kind:     hidden_block_count_z
      - .offset:         68
        .size:           2
        .value_kind:     hidden_group_size_x
      - .offset:         70
        .size:           2
        .value_kind:     hidden_group_size_y
      - .offset:         72
        .size:           2
        .value_kind:     hidden_group_size_z
      - .offset:         74
        .size:           2
        .value_kind:     hidden_remainder_x
      - .offset:         76
        .size:           2
        .value_kind:     hidden_remainder_y
      - .offset:         78
        .size:           2
        .value_kind:     hidden_remainder_z
      - .offset:         96
        .size:           8
        .value_kind:     hidden_global_offset_x
      - .offset:         104
        .size:           8
        .value_kind:     hidden_global_offset_y
      - .offset:         112
        .size:           8
        .value_kind:     hidden_global_offset_z
      - .offset:         120
        .size:           2
        .value_kind:     hidden_grid_dims
    .group_segment_fixed_size: 0
    .kernarg_segment_align: 8
    .kernarg_segment_size: 312
    .language:       OpenCL C
    .language_version:
      - 2
      - 0
    .max_flat_workgroup_size: 512
    .name:           _ZN2at6native39vectorized_templated_elementwise_kernelILi2EZZZNS0_33launch_standard_gamma_grad_kernelERNS_18TensorIteratorBaseEENKUlvE_clEvENKUlvE0_clEvEUlffE_St5arrayIPcLm3EE23TrivialOffsetCalculatorILi2EjESA_ILi1EjENS0_6memory12LoadWithCastILi2EEENSD_13StoreWithCastILi1EEEfJfN3c108BFloat16EEEEviT0_T1_T2_T3_T4_T5_
    .private_segment_fixed_size: 288
    .sgpr_count:     104
    .sgpr_spill_count: 0
    .symbol:         _ZN2at6native39vectorized_templated_elementwise_kernelILi2EZZZNS0_33launch_standard_gamma_grad_kernelERNS_18TensorIteratorBaseEENKUlvE_clEvENKUlvE0_clEvEUlffE_St5arrayIPcLm3EE23TrivialOffsetCalculatorILi2EjESA_ILi1EjENS0_6memory12LoadWithCastILi2EEENSD_13StoreWithCastILi1EEEfJfN3c108BFloat16EEEEviT0_T1_T2_T3_T4_T5_.kd
    .uniform_work_group_size: 1
    .uses_dynamic_stack: false
    .vgpr_count:     138
    .vgpr_spill_count: 0
    .wavefront_size: 64
  - .agpr_count:     18
    .args:
      - .offset:         0
        .size:           4
        .value_kind:     by_value
      - .offset:         4
        .size:           1
        .value_kind:     by_value
      - .offset:         8
        .size:           24
        .value_kind:     by_value
      - .offset:         32
        .size:           1
        .value_kind:     by_value
      - .offset:         33
        .size:           1
        .value_kind:     by_value
      - .offset:         36
        .size:           12
        .value_kind:     by_value
      - .offset:         48
        .size:           8
        .value_kind:     by_value
      - .offset:         56
        .size:           4
        .value_kind:     hidden_block_count_x
      - .offset:         60
        .size:           4
        .value_kind:     hidden_block_count_y
      - .offset:         64
        .size:           4
        .value_kind:     hidden_block_count_z
      - .offset:         68
        .size:           2
        .value_kind:     hidden_group_size_x
      - .offset:         70
        .size:           2
        .value_kind:     hidden_group_size_y
      - .offset:         72
        .size:           2
        .value_kind:     hidden_group_size_z
      - .offset:         74
        .size:           2
        .value_kind:     hidden_remainder_x
      - .offset:         76
        .size:           2
        .value_kind:     hidden_remainder_y
      - .offset:         78
        .size:           2
        .value_kind:     hidden_remainder_z
      - .offset:         96
        .size:           8
        .value_kind:     hidden_global_offset_x
      - .offset:         104
        .size:           8
        .value_kind:     hidden_global_offset_y
      - .offset:         112
        .size:           8
        .value_kind:     hidden_global_offset_z
      - .offset:         120
        .size:           2
        .value_kind:     hidden_grid_dims
    .group_segment_fixed_size: 0
    .kernarg_segment_align: 8
    .kernarg_segment_size: 312
    .language:       OpenCL C
    .language_version:
      - 2
      - 0
    .max_flat_workgroup_size: 512
    .name:           _ZN2at6native39vectorized_templated_elementwise_kernelILi8EZZZNS0_33launch_standard_gamma_grad_kernelERNS_18TensorIteratorBaseEENKUlvE_clEvENKUlvE0_clEvEUlffE_St5arrayIPcLm3EE23TrivialOffsetCalculatorILi2EjESA_ILi1EjENS0_6memory12LoadWithCastILi2EEENSD_13StoreWithCastILi1EEEfJN3c108BFloat16EfEEEviT0_T1_T2_T3_T4_T5_
    .private_segment_fixed_size: 288
    .sgpr_count:     104
    .sgpr_spill_count: 0
    .symbol:         _ZN2at6native39vectorized_templated_elementwise_kernelILi8EZZZNS0_33launch_standard_gamma_grad_kernelERNS_18TensorIteratorBaseEENKUlvE_clEvENKUlvE0_clEvEUlffE_St5arrayIPcLm3EE23TrivialOffsetCalculatorILi2EjESA_ILi1EjENS0_6memory12LoadWithCastILi2EEENSD_13StoreWithCastILi1EEEfJN3c108BFloat16EfEEEviT0_T1_T2_T3_T4_T5_.kd
    .uniform_work_group_size: 1
    .uses_dynamic_stack: false
    .vgpr_count:     138
    .vgpr_spill_count: 0
    .wavefront_size: 64
  - .agpr_count:     18
    .args:
      - .offset:         0
        .size:           4
        .value_kind:     by_value
      - .offset:         4
        .size:           1
        .value_kind:     by_value
      - .offset:         8
        .size:           24
        .value_kind:     by_value
      - .offset:         32
        .size:           1
        .value_kind:     by_value
      - .offset:         33
        .size:           1
        .value_kind:     by_value
      - .offset:         36
        .size:           12
        .value_kind:     by_value
      - .offset:         48
        .size:           8
        .value_kind:     by_value
      - .offset:         56
        .size:           4
        .value_kind:     hidden_block_count_x
      - .offset:         60
        .size:           4
        .value_kind:     hidden_block_count_y
      - .offset:         64
        .size:           4
        .value_kind:     hidden_block_count_z
      - .offset:         68
        .size:           2
        .value_kind:     hidden_group_size_x
      - .offset:         70
        .size:           2
        .value_kind:     hidden_group_size_y
      - .offset:         72
        .size:           2
        .value_kind:     hidden_group_size_z
      - .offset:         74
        .size:           2
        .value_kind:     hidden_remainder_x
      - .offset:         76
        .size:           2
        .value_kind:     hidden_remainder_y
      - .offset:         78
        .size:           2
        .value_kind:     hidden_remainder_z
      - .offset:         96
        .size:           8
        .value_kind:     hidden_global_offset_x
      - .offset:         104
        .size:           8
        .value_kind:     hidden_global_offset_y
      - .offset:         112
        .size:           8
        .value_kind:     hidden_global_offset_z
      - .offset:         120
        .size:           2
        .value_kind:     hidden_grid_dims
    .group_segment_fixed_size: 0
    .kernarg_segment_align: 8
    .kernarg_segment_size: 312
    .language:       OpenCL C
    .language_version:
      - 2
      - 0
    .max_flat_workgroup_size: 512
    .name:           _ZN2at6native39vectorized_templated_elementwise_kernelILi4EZZZNS0_33launch_standard_gamma_grad_kernelERNS_18TensorIteratorBaseEENKUlvE_clEvENKUlvE0_clEvEUlffE_St5arrayIPcLm3EE23TrivialOffsetCalculatorILi2EjESA_ILi1EjENS0_6memory12LoadWithCastILi2EEENSD_13StoreWithCastILi1EEEfJN3c108BFloat16EfEEEviT0_T1_T2_T3_T4_T5_
    .private_segment_fixed_size: 288
    .sgpr_count:     104
    .sgpr_spill_count: 0
    .symbol:         _ZN2at6native39vectorized_templated_elementwise_kernelILi4EZZZNS0_33launch_standard_gamma_grad_kernelERNS_18TensorIteratorBaseEENKUlvE_clEvENKUlvE0_clEvEUlffE_St5arrayIPcLm3EE23TrivialOffsetCalculatorILi2EjESA_ILi1EjENS0_6memory12LoadWithCastILi2EEENSD_13StoreWithCastILi1EEEfJN3c108BFloat16EfEEEviT0_T1_T2_T3_T4_T5_.kd
    .uniform_work_group_size: 1
    .uses_dynamic_stack: false
    .vgpr_count:     138
    .vgpr_spill_count: 0
    .wavefront_size: 64
  - .agpr_count:     18
    .args:
      - .offset:         0
        .size:           4
        .value_kind:     by_value
      - .offset:         4
        .size:           1
        .value_kind:     by_value
      - .offset:         8
        .size:           24
        .value_kind:     by_value
      - .offset:         32
        .size:           1
        .value_kind:     by_value
      - .offset:         33
        .size:           1
        .value_kind:     by_value
      - .offset:         36
        .size:           12
        .value_kind:     by_value
      - .offset:         48
        .size:           8
        .value_kind:     by_value
      - .offset:         56
        .size:           4
        .value_kind:     hidden_block_count_x
      - .offset:         60
        .size:           4
        .value_kind:     hidden_block_count_y
      - .offset:         64
        .size:           4
        .value_kind:     hidden_block_count_z
      - .offset:         68
        .size:           2
        .value_kind:     hidden_group_size_x
      - .offset:         70
        .size:           2
        .value_kind:     hidden_group_size_y
      - .offset:         72
        .size:           2
        .value_kind:     hidden_group_size_z
      - .offset:         74
        .size:           2
        .value_kind:     hidden_remainder_x
      - .offset:         76
        .size:           2
        .value_kind:     hidden_remainder_y
      - .offset:         78
        .size:           2
        .value_kind:     hidden_remainder_z
      - .offset:         96
        .size:           8
        .value_kind:     hidden_global_offset_x
      - .offset:         104
        .size:           8
        .value_kind:     hidden_global_offset_y
      - .offset:         112
        .size:           8
        .value_kind:     hidden_global_offset_z
      - .offset:         120
        .size:           2
        .value_kind:     hidden_grid_dims
    .group_segment_fixed_size: 0
    .kernarg_segment_align: 8
    .kernarg_segment_size: 312
    .language:       OpenCL C
    .language_version:
      - 2
      - 0
    .max_flat_workgroup_size: 512
    .name:           _ZN2at6native39vectorized_templated_elementwise_kernelILi2EZZZNS0_33launch_standard_gamma_grad_kernelERNS_18TensorIteratorBaseEENKUlvE_clEvENKUlvE0_clEvEUlffE_St5arrayIPcLm3EE23TrivialOffsetCalculatorILi2EjESA_ILi1EjENS0_6memory12LoadWithCastILi2EEENSD_13StoreWithCastILi1EEEfJN3c108BFloat16EfEEEviT0_T1_T2_T3_T4_T5_
    .private_segment_fixed_size: 288
    .sgpr_count:     104
    .sgpr_spill_count: 0
    .symbol:         _ZN2at6native39vectorized_templated_elementwise_kernelILi2EZZZNS0_33launch_standard_gamma_grad_kernelERNS_18TensorIteratorBaseEENKUlvE_clEvENKUlvE0_clEvEUlffE_St5arrayIPcLm3EE23TrivialOffsetCalculatorILi2EjESA_ILi1EjENS0_6memory12LoadWithCastILi2EEENSD_13StoreWithCastILi1EEEfJN3c108BFloat16EfEEEviT0_T1_T2_T3_T4_T5_.kd
    .uniform_work_group_size: 1
    .uses_dynamic_stack: false
    .vgpr_count:     138
    .vgpr_spill_count: 0
    .wavefront_size: 64
  - .agpr_count:     18
    .args:
      - .offset:         0
        .size:           4
        .value_kind:     by_value
      - .offset:         4
        .size:           1
        .value_kind:     by_value
      - .offset:         8
        .size:           24
        .value_kind:     by_value
      - .offset:         32
        .size:           1
        .value_kind:     by_value
      - .offset:         33
        .size:           1
        .value_kind:     by_value
      - .offset:         36
        .size:           12
        .value_kind:     by_value
      - .offset:         48
        .size:           8
        .value_kind:     by_value
      - .offset:         56
        .size:           4
        .value_kind:     hidden_block_count_x
      - .offset:         60
        .size:           4
        .value_kind:     hidden_block_count_y
      - .offset:         64
        .size:           4
        .value_kind:     hidden_block_count_z
      - .offset:         68
        .size:           2
        .value_kind:     hidden_group_size_x
      - .offset:         70
        .size:           2
        .value_kind:     hidden_group_size_y
      - .offset:         72
        .size:           2
        .value_kind:     hidden_group_size_z
      - .offset:         74
        .size:           2
        .value_kind:     hidden_remainder_x
      - .offset:         76
        .size:           2
        .value_kind:     hidden_remainder_y
      - .offset:         78
        .size:           2
        .value_kind:     hidden_remainder_z
      - .offset:         96
        .size:           8
        .value_kind:     hidden_global_offset_x
      - .offset:         104
        .size:           8
        .value_kind:     hidden_global_offset_y
      - .offset:         112
        .size:           8
        .value_kind:     hidden_global_offset_z
      - .offset:         120
        .size:           2
        .value_kind:     hidden_grid_dims
    .group_segment_fixed_size: 0
    .kernarg_segment_align: 8
    .kernarg_segment_size: 312
    .language:       OpenCL C
    .language_version:
      - 2
      - 0
    .max_flat_workgroup_size: 512
    .name:           _ZN2at6native39vectorized_templated_elementwise_kernelILi8EZZZNS0_33launch_standard_gamma_grad_kernelERNS_18TensorIteratorBaseEENKUlvE_clEvENKUlvE0_clEvEUlffE_St5arrayIPcLm3EE23TrivialOffsetCalculatorILi2EjESA_ILi1EjENS0_6memory12LoadWithCastILi2EEENSD_13StoreWithCastILi1EEEN3c108BFloat16EJSJ_fEEEviT0_T1_T2_T3_T4_T5_
    .private_segment_fixed_size: 288
    .sgpr_count:     104
    .sgpr_spill_count: 0
    .symbol:         _ZN2at6native39vectorized_templated_elementwise_kernelILi8EZZZNS0_33launch_standard_gamma_grad_kernelERNS_18TensorIteratorBaseEENKUlvE_clEvENKUlvE0_clEvEUlffE_St5arrayIPcLm3EE23TrivialOffsetCalculatorILi2EjESA_ILi1EjENS0_6memory12LoadWithCastILi2EEENSD_13StoreWithCastILi1EEEN3c108BFloat16EJSJ_fEEEviT0_T1_T2_T3_T4_T5_.kd
    .uniform_work_group_size: 1
    .uses_dynamic_stack: false
    .vgpr_count:     138
    .vgpr_spill_count: 0
    .wavefront_size: 64
  - .agpr_count:     18
    .args:
      - .offset:         0
        .size:           4
        .value_kind:     by_value
      - .offset:         4
        .size:           1
        .value_kind:     by_value
      - .offset:         8
        .size:           24
        .value_kind:     by_value
      - .offset:         32
        .size:           1
        .value_kind:     by_value
      - .offset:         33
        .size:           1
        .value_kind:     by_value
      - .offset:         36
        .size:           12
        .value_kind:     by_value
      - .offset:         48
        .size:           8
        .value_kind:     by_value
      - .offset:         56
        .size:           4
        .value_kind:     hidden_block_count_x
      - .offset:         60
        .size:           4
        .value_kind:     hidden_block_count_y
      - .offset:         64
        .size:           4
        .value_kind:     hidden_block_count_z
      - .offset:         68
        .size:           2
        .value_kind:     hidden_group_size_x
      - .offset:         70
        .size:           2
        .value_kind:     hidden_group_size_y
      - .offset:         72
        .size:           2
        .value_kind:     hidden_group_size_z
      - .offset:         74
        .size:           2
        .value_kind:     hidden_remainder_x
      - .offset:         76
        .size:           2
        .value_kind:     hidden_remainder_y
      - .offset:         78
        .size:           2
        .value_kind:     hidden_remainder_z
      - .offset:         96
        .size:           8
        .value_kind:     hidden_global_offset_x
      - .offset:         104
        .size:           8
        .value_kind:     hidden_global_offset_y
      - .offset:         112
        .size:           8
        .value_kind:     hidden_global_offset_z
      - .offset:         120
        .size:           2
        .value_kind:     hidden_grid_dims
    .group_segment_fixed_size: 0
    .kernarg_segment_align: 8
    .kernarg_segment_size: 312
    .language:       OpenCL C
    .language_version:
      - 2
      - 0
    .max_flat_workgroup_size: 512
    .name:           _ZN2at6native39vectorized_templated_elementwise_kernelILi4EZZZNS0_33launch_standard_gamma_grad_kernelERNS_18TensorIteratorBaseEENKUlvE_clEvENKUlvE0_clEvEUlffE_St5arrayIPcLm3EE23TrivialOffsetCalculatorILi2EjESA_ILi1EjENS0_6memory12LoadWithCastILi2EEENSD_13StoreWithCastILi1EEEN3c108BFloat16EJSJ_fEEEviT0_T1_T2_T3_T4_T5_
    .private_segment_fixed_size: 288
    .sgpr_count:     104
    .sgpr_spill_count: 0
    .symbol:         _ZN2at6native39vectorized_templated_elementwise_kernelILi4EZZZNS0_33launch_standard_gamma_grad_kernelERNS_18TensorIteratorBaseEENKUlvE_clEvENKUlvE0_clEvEUlffE_St5arrayIPcLm3EE23TrivialOffsetCalculatorILi2EjESA_ILi1EjENS0_6memory12LoadWithCastILi2EEENSD_13StoreWithCastILi1EEEN3c108BFloat16EJSJ_fEEEviT0_T1_T2_T3_T4_T5_.kd
    .uniform_work_group_size: 1
    .uses_dynamic_stack: false
    .vgpr_count:     138
    .vgpr_spill_count: 0
    .wavefront_size: 64
  - .agpr_count:     18
    .args:
      - .offset:         0
        .size:           4
        .value_kind:     by_value
      - .offset:         4
        .size:           1
        .value_kind:     by_value
      - .offset:         8
        .size:           24
        .value_kind:     by_value
      - .offset:         32
        .size:           1
        .value_kind:     by_value
      - .offset:         33
        .size:           1
        .value_kind:     by_value
      - .offset:         36
        .size:           12
        .value_kind:     by_value
      - .offset:         48
        .size:           8
        .value_kind:     by_value
      - .offset:         56
        .size:           4
        .value_kind:     hidden_block_count_x
      - .offset:         60
        .size:           4
        .value_kind:     hidden_block_count_y
      - .offset:         64
        .size:           4
        .value_kind:     hidden_block_count_z
      - .offset:         68
        .size:           2
        .value_kind:     hidden_group_size_x
      - .offset:         70
        .size:           2
        .value_kind:     hidden_group_size_y
      - .offset:         72
        .size:           2
        .value_kind:     hidden_group_size_z
      - .offset:         74
        .size:           2
        .value_kind:     hidden_remainder_x
      - .offset:         76
        .size:           2
        .value_kind:     hidden_remainder_y
      - .offset:         78
        .size:           2
        .value_kind:     hidden_remainder_z
      - .offset:         96
        .size:           8
        .value_kind:     hidden_global_offset_x
      - .offset:         104
        .size:           8
        .value_kind:     hidden_global_offset_y
      - .offset:         112
        .size:           8
        .value_kind:     hidden_global_offset_z
      - .offset:         120
        .size:           2
        .value_kind:     hidden_grid_dims
    .group_segment_fixed_size: 0
    .kernarg_segment_align: 8
    .kernarg_segment_size: 312
    .language:       OpenCL C
    .language_version:
      - 2
      - 0
    .max_flat_workgroup_size: 512
    .name:           _ZN2at6native39vectorized_templated_elementwise_kernelILi2EZZZNS0_33launch_standard_gamma_grad_kernelERNS_18TensorIteratorBaseEENKUlvE_clEvENKUlvE0_clEvEUlffE_St5arrayIPcLm3EE23TrivialOffsetCalculatorILi2EjESA_ILi1EjENS0_6memory12LoadWithCastILi2EEENSD_13StoreWithCastILi1EEEN3c108BFloat16EJSJ_fEEEviT0_T1_T2_T3_T4_T5_
    .private_segment_fixed_size: 288
    .sgpr_count:     104
    .sgpr_spill_count: 0
    .symbol:         _ZN2at6native39vectorized_templated_elementwise_kernelILi2EZZZNS0_33launch_standard_gamma_grad_kernelERNS_18TensorIteratorBaseEENKUlvE_clEvENKUlvE0_clEvEUlffE_St5arrayIPcLm3EE23TrivialOffsetCalculatorILi2EjESA_ILi1EjENS0_6memory12LoadWithCastILi2EEENSD_13StoreWithCastILi1EEEN3c108BFloat16EJSJ_fEEEviT0_T1_T2_T3_T4_T5_.kd
    .uniform_work_group_size: 1
    .uses_dynamic_stack: false
    .vgpr_count:     138
    .vgpr_spill_count: 0
    .wavefront_size: 64
  - .agpr_count:     18
    .args:
      - .offset:         0
        .size:           4
        .value_kind:     by_value
      - .offset:         4
        .size:           1
        .value_kind:     by_value
      - .offset:         8
        .size:           24
        .value_kind:     by_value
      - .offset:         32
        .size:           1
        .value_kind:     by_value
      - .offset:         33
        .size:           1
        .value_kind:     by_value
      - .offset:         36
        .size:           12
        .value_kind:     by_value
      - .offset:         48
        .size:           8
        .value_kind:     by_value
      - .offset:         56
        .size:           4
        .value_kind:     hidden_block_count_x
      - .offset:         60
        .size:           4
        .value_kind:     hidden_block_count_y
      - .offset:         64
        .size:           4
        .value_kind:     hidden_block_count_z
      - .offset:         68
        .size:           2
        .value_kind:     hidden_group_size_x
      - .offset:         70
        .size:           2
        .value_kind:     hidden_group_size_y
      - .offset:         72
        .size:           2
        .value_kind:     hidden_group_size_z
      - .offset:         74
        .size:           2
        .value_kind:     hidden_remainder_x
      - .offset:         76
        .size:           2
        .value_kind:     hidden_remainder_y
      - .offset:         78
        .size:           2
        .value_kind:     hidden_remainder_z
      - .offset:         96
        .size:           8
        .value_kind:     hidden_global_offset_x
      - .offset:         104
        .size:           8
        .value_kind:     hidden_global_offset_y
      - .offset:         112
        .size:           8
        .value_kind:     hidden_global_offset_z
      - .offset:         120
        .size:           2
        .value_kind:     hidden_grid_dims
    .group_segment_fixed_size: 0
    .kernarg_segment_align: 8
    .kernarg_segment_size: 312
    .language:       OpenCL C
    .language_version:
      - 2
      - 0
    .max_flat_workgroup_size: 512
    .name:           _ZN2at6native39vectorized_templated_elementwise_kernelILi8EZZZNS0_33launch_standard_gamma_grad_kernelERNS_18TensorIteratorBaseEENKUlvE_clEvENKUlvE0_clEvEUlffE_St5arrayIPcLm3EE23TrivialOffsetCalculatorILi2EjESA_ILi1EjENS0_6memory12LoadWithCastILi2EEENSD_13StoreWithCastILi1EEEfJfN3c104HalfEEEEviT0_T1_T2_T3_T4_T5_
    .private_segment_fixed_size: 288
    .sgpr_count:     104
    .sgpr_spill_count: 0
    .symbol:         _ZN2at6native39vectorized_templated_elementwise_kernelILi8EZZZNS0_33launch_standard_gamma_grad_kernelERNS_18TensorIteratorBaseEENKUlvE_clEvENKUlvE0_clEvEUlffE_St5arrayIPcLm3EE23TrivialOffsetCalculatorILi2EjESA_ILi1EjENS0_6memory12LoadWithCastILi2EEENSD_13StoreWithCastILi1EEEfJfN3c104HalfEEEEviT0_T1_T2_T3_T4_T5_.kd
    .uniform_work_group_size: 1
    .uses_dynamic_stack: false
    .vgpr_count:     138
    .vgpr_spill_count: 0
    .wavefront_size: 64
  - .agpr_count:     18
    .args:
      - .offset:         0
        .size:           4
        .value_kind:     by_value
      - .offset:         4
        .size:           1
        .value_kind:     by_value
      - .offset:         8
        .size:           24
        .value_kind:     by_value
      - .offset:         32
        .size:           1
        .value_kind:     by_value
      - .offset:         33
        .size:           1
        .value_kind:     by_value
      - .offset:         36
        .size:           12
        .value_kind:     by_value
      - .offset:         48
        .size:           8
        .value_kind:     by_value
      - .offset:         56
        .size:           4
        .value_kind:     hidden_block_count_x
      - .offset:         60
        .size:           4
        .value_kind:     hidden_block_count_y
      - .offset:         64
        .size:           4
        .value_kind:     hidden_block_count_z
      - .offset:         68
        .size:           2
        .value_kind:     hidden_group_size_x
      - .offset:         70
        .size:           2
        .value_kind:     hidden_group_size_y
      - .offset:         72
        .size:           2
        .value_kind:     hidden_group_size_z
      - .offset:         74
        .size:           2
        .value_kind:     hidden_remainder_x
      - .offset:         76
        .size:           2
        .value_kind:     hidden_remainder_y
      - .offset:         78
        .size:           2
        .value_kind:     hidden_remainder_z
      - .offset:         96
        .size:           8
        .value_kind:     hidden_global_offset_x
      - .offset:         104
        .size:           8
        .value_kind:     hidden_global_offset_y
      - .offset:         112
        .size:           8
        .value_kind:     hidden_global_offset_z
      - .offset:         120
        .size:           2
        .value_kind:     hidden_grid_dims
    .group_segment_fixed_size: 0
    .kernarg_segment_align: 8
    .kernarg_segment_size: 312
    .language:       OpenCL C
    .language_version:
      - 2
      - 0
    .max_flat_workgroup_size: 512
    .name:           _ZN2at6native39vectorized_templated_elementwise_kernelILi4EZZZNS0_33launch_standard_gamma_grad_kernelERNS_18TensorIteratorBaseEENKUlvE_clEvENKUlvE0_clEvEUlffE_St5arrayIPcLm3EE23TrivialOffsetCalculatorILi2EjESA_ILi1EjENS0_6memory12LoadWithCastILi2EEENSD_13StoreWithCastILi1EEEfJfN3c104HalfEEEEviT0_T1_T2_T3_T4_T5_
    .private_segment_fixed_size: 288
    .sgpr_count:     104
    .sgpr_spill_count: 0
    .symbol:         _ZN2at6native39vectorized_templated_elementwise_kernelILi4EZZZNS0_33launch_standard_gamma_grad_kernelERNS_18TensorIteratorBaseEENKUlvE_clEvENKUlvE0_clEvEUlffE_St5arrayIPcLm3EE23TrivialOffsetCalculatorILi2EjESA_ILi1EjENS0_6memory12LoadWithCastILi2EEENSD_13StoreWithCastILi1EEEfJfN3c104HalfEEEEviT0_T1_T2_T3_T4_T5_.kd
    .uniform_work_group_size: 1
    .uses_dynamic_stack: false
    .vgpr_count:     138
    .vgpr_spill_count: 0
    .wavefront_size: 64
  - .agpr_count:     18
    .args:
      - .offset:         0
        .size:           4
        .value_kind:     by_value
      - .offset:         4
        .size:           1
        .value_kind:     by_value
      - .offset:         8
        .size:           24
        .value_kind:     by_value
      - .offset:         32
        .size:           1
        .value_kind:     by_value
      - .offset:         33
        .size:           1
        .value_kind:     by_value
      - .offset:         36
        .size:           12
        .value_kind:     by_value
      - .offset:         48
        .size:           8
        .value_kind:     by_value
      - .offset:         56
        .size:           4
        .value_kind:     hidden_block_count_x
      - .offset:         60
        .size:           4
        .value_kind:     hidden_block_count_y
      - .offset:         64
        .size:           4
        .value_kind:     hidden_block_count_z
      - .offset:         68
        .size:           2
        .value_kind:     hidden_group_size_x
      - .offset:         70
        .size:           2
        .value_kind:     hidden_group_size_y
      - .offset:         72
        .size:           2
        .value_kind:     hidden_group_size_z
      - .offset:         74
        .size:           2
        .value_kind:     hidden_remainder_x
      - .offset:         76
        .size:           2
        .value_kind:     hidden_remainder_y
      - .offset:         78
        .size:           2
        .value_kind:     hidden_remainder_z
      - .offset:         96
        .size:           8
        .value_kind:     hidden_global_offset_x
      - .offset:         104
        .size:           8
        .value_kind:     hidden_global_offset_y
      - .offset:         112
        .size:           8
        .value_kind:     hidden_global_offset_z
      - .offset:         120
        .size:           2
        .value_kind:     hidden_grid_dims
    .group_segment_fixed_size: 0
    .kernarg_segment_align: 8
    .kernarg_segment_size: 312
    .language:       OpenCL C
    .language_version:
      - 2
      - 0
    .max_flat_workgroup_size: 512
    .name:           _ZN2at6native39vectorized_templated_elementwise_kernelILi2EZZZNS0_33launch_standard_gamma_grad_kernelERNS_18TensorIteratorBaseEENKUlvE_clEvENKUlvE0_clEvEUlffE_St5arrayIPcLm3EE23TrivialOffsetCalculatorILi2EjESA_ILi1EjENS0_6memory12LoadWithCastILi2EEENSD_13StoreWithCastILi1EEEfJfN3c104HalfEEEEviT0_T1_T2_T3_T4_T5_
    .private_segment_fixed_size: 288
    .sgpr_count:     104
    .sgpr_spill_count: 0
    .symbol:         _ZN2at6native39vectorized_templated_elementwise_kernelILi2EZZZNS0_33launch_standard_gamma_grad_kernelERNS_18TensorIteratorBaseEENKUlvE_clEvENKUlvE0_clEvEUlffE_St5arrayIPcLm3EE23TrivialOffsetCalculatorILi2EjESA_ILi1EjENS0_6memory12LoadWithCastILi2EEENSD_13StoreWithCastILi1EEEfJfN3c104HalfEEEEviT0_T1_T2_T3_T4_T5_.kd
    .uniform_work_group_size: 1
    .uses_dynamic_stack: false
    .vgpr_count:     138
    .vgpr_spill_count: 0
    .wavefront_size: 64
  - .agpr_count:     18
    .args:
      - .offset:         0
        .size:           4
        .value_kind:     by_value
      - .offset:         4
        .size:           1
        .value_kind:     by_value
      - .offset:         8
        .size:           24
        .value_kind:     by_value
      - .offset:         32
        .size:           1
        .value_kind:     by_value
      - .offset:         33
        .size:           1
        .value_kind:     by_value
      - .offset:         36
        .size:           12
        .value_kind:     by_value
      - .offset:         48
        .size:           8
        .value_kind:     by_value
      - .offset:         56
        .size:           4
        .value_kind:     hidden_block_count_x
      - .offset:         60
        .size:           4
        .value_kind:     hidden_block_count_y
      - .offset:         64
        .size:           4
        .value_kind:     hidden_block_count_z
      - .offset:         68
        .size:           2
        .value_kind:     hidden_group_size_x
      - .offset:         70
        .size:           2
        .value_kind:     hidden_group_size_y
      - .offset:         72
        .size:           2
        .value_kind:     hidden_group_size_z
      - .offset:         74
        .size:           2
        .value_kind:     hidden_remainder_x
      - .offset:         76
        .size:           2
        .value_kind:     hidden_remainder_y
      - .offset:         78
        .size:           2
        .value_kind:     hidden_remainder_z
      - .offset:         96
        .size:           8
        .value_kind:     hidden_global_offset_x
      - .offset:         104
        .size:           8
        .value_kind:     hidden_global_offset_y
      - .offset:         112
        .size:           8
        .value_kind:     hidden_global_offset_z
      - .offset:         120
        .size:           2
        .value_kind:     hidden_grid_dims
    .group_segment_fixed_size: 0
    .kernarg_segment_align: 8
    .kernarg_segment_size: 312
    .language:       OpenCL C
    .language_version:
      - 2
      - 0
    .max_flat_workgroup_size: 512
    .name:           _ZN2at6native39vectorized_templated_elementwise_kernelILi8EZZZNS0_33launch_standard_gamma_grad_kernelERNS_18TensorIteratorBaseEENKUlvE_clEvENKUlvE0_clEvEUlffE_St5arrayIPcLm3EE23TrivialOffsetCalculatorILi2EjESA_ILi1EjENS0_6memory12LoadWithCastILi2EEENSD_13StoreWithCastILi1EEEfJN3c104HalfEfEEEviT0_T1_T2_T3_T4_T5_
    .private_segment_fixed_size: 288
    .sgpr_count:     104
    .sgpr_spill_count: 0
    .symbol:         _ZN2at6native39vectorized_templated_elementwise_kernelILi8EZZZNS0_33launch_standard_gamma_grad_kernelERNS_18TensorIteratorBaseEENKUlvE_clEvENKUlvE0_clEvEUlffE_St5arrayIPcLm3EE23TrivialOffsetCalculatorILi2EjESA_ILi1EjENS0_6memory12LoadWithCastILi2EEENSD_13StoreWithCastILi1EEEfJN3c104HalfEfEEEviT0_T1_T2_T3_T4_T5_.kd
    .uniform_work_group_size: 1
    .uses_dynamic_stack: false
    .vgpr_count:     138
    .vgpr_spill_count: 0
    .wavefront_size: 64
  - .agpr_count:     18
    .args:
      - .offset:         0
        .size:           4
        .value_kind:     by_value
      - .offset:         4
        .size:           1
        .value_kind:     by_value
      - .offset:         8
        .size:           24
        .value_kind:     by_value
      - .offset:         32
        .size:           1
        .value_kind:     by_value
      - .offset:         33
        .size:           1
        .value_kind:     by_value
      - .offset:         36
        .size:           12
        .value_kind:     by_value
      - .offset:         48
        .size:           8
        .value_kind:     by_value
      - .offset:         56
        .size:           4
        .value_kind:     hidden_block_count_x
      - .offset:         60
        .size:           4
        .value_kind:     hidden_block_count_y
      - .offset:         64
        .size:           4
        .value_kind:     hidden_block_count_z
      - .offset:         68
        .size:           2
        .value_kind:     hidden_group_size_x
      - .offset:         70
        .size:           2
        .value_kind:     hidden_group_size_y
      - .offset:         72
        .size:           2
        .value_kind:     hidden_group_size_z
      - .offset:         74
        .size:           2
        .value_kind:     hidden_remainder_x
      - .offset:         76
        .size:           2
        .value_kind:     hidden_remainder_y
      - .offset:         78
        .size:           2
        .value_kind:     hidden_remainder_z
      - .offset:         96
        .size:           8
        .value_kind:     hidden_global_offset_x
      - .offset:         104
        .size:           8
        .value_kind:     hidden_global_offset_y
      - .offset:         112
        .size:           8
        .value_kind:     hidden_global_offset_z
      - .offset:         120
        .size:           2
        .value_kind:     hidden_grid_dims
    .group_segment_fixed_size: 0
    .kernarg_segment_align: 8
    .kernarg_segment_size: 312
    .language:       OpenCL C
    .language_version:
      - 2
      - 0
    .max_flat_workgroup_size: 512
    .name:           _ZN2at6native39vectorized_templated_elementwise_kernelILi4EZZZNS0_33launch_standard_gamma_grad_kernelERNS_18TensorIteratorBaseEENKUlvE_clEvENKUlvE0_clEvEUlffE_St5arrayIPcLm3EE23TrivialOffsetCalculatorILi2EjESA_ILi1EjENS0_6memory12LoadWithCastILi2EEENSD_13StoreWithCastILi1EEEfJN3c104HalfEfEEEviT0_T1_T2_T3_T4_T5_
    .private_segment_fixed_size: 288
    .sgpr_count:     104
    .sgpr_spill_count: 0
    .symbol:         _ZN2at6native39vectorized_templated_elementwise_kernelILi4EZZZNS0_33launch_standard_gamma_grad_kernelERNS_18TensorIteratorBaseEENKUlvE_clEvENKUlvE0_clEvEUlffE_St5arrayIPcLm3EE23TrivialOffsetCalculatorILi2EjESA_ILi1EjENS0_6memory12LoadWithCastILi2EEENSD_13StoreWithCastILi1EEEfJN3c104HalfEfEEEviT0_T1_T2_T3_T4_T5_.kd
    .uniform_work_group_size: 1
    .uses_dynamic_stack: false
    .vgpr_count:     138
    .vgpr_spill_count: 0
    .wavefront_size: 64
  - .agpr_count:     18
    .args:
      - .offset:         0
        .size:           4
        .value_kind:     by_value
      - .offset:         4
        .size:           1
        .value_kind:     by_value
      - .offset:         8
        .size:           24
        .value_kind:     by_value
      - .offset:         32
        .size:           1
        .value_kind:     by_value
      - .offset:         33
        .size:           1
        .value_kind:     by_value
      - .offset:         36
        .size:           12
        .value_kind:     by_value
      - .offset:         48
        .size:           8
        .value_kind:     by_value
      - .offset:         56
        .size:           4
        .value_kind:     hidden_block_count_x
      - .offset:         60
        .size:           4
        .value_kind:     hidden_block_count_y
      - .offset:         64
        .size:           4
        .value_kind:     hidden_block_count_z
      - .offset:         68
        .size:           2
        .value_kind:     hidden_group_size_x
      - .offset:         70
        .size:           2
        .value_kind:     hidden_group_size_y
      - .offset:         72
        .size:           2
        .value_kind:     hidden_group_size_z
      - .offset:         74
        .size:           2
        .value_kind:     hidden_remainder_x
      - .offset:         76
        .size:           2
        .value_kind:     hidden_remainder_y
      - .offset:         78
        .size:           2
        .value_kind:     hidden_remainder_z
      - .offset:         96
        .size:           8
        .value_kind:     hidden_global_offset_x
      - .offset:         104
        .size:           8
        .value_kind:     hidden_global_offset_y
      - .offset:         112
        .size:           8
        .value_kind:     hidden_global_offset_z
      - .offset:         120
        .size:           2
        .value_kind:     hidden_grid_dims
    .group_segment_fixed_size: 0
    .kernarg_segment_align: 8
    .kernarg_segment_size: 312
    .language:       OpenCL C
    .language_version:
      - 2
      - 0
    .max_flat_workgroup_size: 512
    .name:           _ZN2at6native39vectorized_templated_elementwise_kernelILi2EZZZNS0_33launch_standard_gamma_grad_kernelERNS_18TensorIteratorBaseEENKUlvE_clEvENKUlvE0_clEvEUlffE_St5arrayIPcLm3EE23TrivialOffsetCalculatorILi2EjESA_ILi1EjENS0_6memory12LoadWithCastILi2EEENSD_13StoreWithCastILi1EEEfJN3c104HalfEfEEEviT0_T1_T2_T3_T4_T5_
    .private_segment_fixed_size: 288
    .sgpr_count:     104
    .sgpr_spill_count: 0
    .symbol:         _ZN2at6native39vectorized_templated_elementwise_kernelILi2EZZZNS0_33launch_standard_gamma_grad_kernelERNS_18TensorIteratorBaseEENKUlvE_clEvENKUlvE0_clEvEUlffE_St5arrayIPcLm3EE23TrivialOffsetCalculatorILi2EjESA_ILi1EjENS0_6memory12LoadWithCastILi2EEENSD_13StoreWithCastILi1EEEfJN3c104HalfEfEEEviT0_T1_T2_T3_T4_T5_.kd
    .uniform_work_group_size: 1
    .uses_dynamic_stack: false
    .vgpr_count:     138
    .vgpr_spill_count: 0
    .wavefront_size: 64
  - .agpr_count:     18
    .args:
      - .offset:         0
        .size:           4
        .value_kind:     by_value
      - .offset:         4
        .size:           1
        .value_kind:     by_value
      - .offset:         8
        .size:           24
        .value_kind:     by_value
      - .offset:         32
        .size:           1
        .value_kind:     by_value
      - .offset:         33
        .size:           1
        .value_kind:     by_value
      - .offset:         36
        .size:           12
        .value_kind:     by_value
      - .offset:         48
        .size:           8
        .value_kind:     by_value
      - .offset:         56
        .size:           4
        .value_kind:     hidden_block_count_x
      - .offset:         60
        .size:           4
        .value_kind:     hidden_block_count_y
      - .offset:         64
        .size:           4
        .value_kind:     hidden_block_count_z
      - .offset:         68
        .size:           2
        .value_kind:     hidden_group_size_x
      - .offset:         70
        .size:           2
        .value_kind:     hidden_group_size_y
      - .offset:         72
        .size:           2
        .value_kind:     hidden_group_size_z
      - .offset:         74
        .size:           2
        .value_kind:     hidden_remainder_x
      - .offset:         76
        .size:           2
        .value_kind:     hidden_remainder_y
      - .offset:         78
        .size:           2
        .value_kind:     hidden_remainder_z
      - .offset:         96
        .size:           8
        .value_kind:     hidden_global_offset_x
      - .offset:         104
        .size:           8
        .value_kind:     hidden_global_offset_y
      - .offset:         112
        .size:           8
        .value_kind:     hidden_global_offset_z
      - .offset:         120
        .size:           2
        .value_kind:     hidden_grid_dims
    .group_segment_fixed_size: 0
    .kernarg_segment_align: 8
    .kernarg_segment_size: 312
    .language:       OpenCL C
    .language_version:
      - 2
      - 0
    .max_flat_workgroup_size: 512
    .name:           _ZN2at6native39vectorized_templated_elementwise_kernelILi8EZZZNS0_33launch_standard_gamma_grad_kernelERNS_18TensorIteratorBaseEENKUlvE_clEvENKUlvE0_clEvEUlffE_St5arrayIPcLm3EE23TrivialOffsetCalculatorILi2EjESA_ILi1EjENS0_6memory12LoadWithCastILi2EEENSD_13StoreWithCastILi1EEEN3c104HalfEJSJ_fEEEviT0_T1_T2_T3_T4_T5_
    .private_segment_fixed_size: 288
    .sgpr_count:     104
    .sgpr_spill_count: 0
    .symbol:         _ZN2at6native39vectorized_templated_elementwise_kernelILi8EZZZNS0_33launch_standard_gamma_grad_kernelERNS_18TensorIteratorBaseEENKUlvE_clEvENKUlvE0_clEvEUlffE_St5arrayIPcLm3EE23TrivialOffsetCalculatorILi2EjESA_ILi1EjENS0_6memory12LoadWithCastILi2EEENSD_13StoreWithCastILi1EEEN3c104HalfEJSJ_fEEEviT0_T1_T2_T3_T4_T5_.kd
    .uniform_work_group_size: 1
    .uses_dynamic_stack: false
    .vgpr_count:     138
    .vgpr_spill_count: 0
    .wavefront_size: 64
  - .agpr_count:     18
    .args:
      - .offset:         0
        .size:           4
        .value_kind:     by_value
      - .offset:         4
        .size:           1
        .value_kind:     by_value
      - .offset:         8
        .size:           24
        .value_kind:     by_value
      - .offset:         32
        .size:           1
        .value_kind:     by_value
      - .offset:         33
        .size:           1
        .value_kind:     by_value
      - .offset:         36
        .size:           12
        .value_kind:     by_value
      - .offset:         48
        .size:           8
        .value_kind:     by_value
      - .offset:         56
        .size:           4
        .value_kind:     hidden_block_count_x
      - .offset:         60
        .size:           4
        .value_kind:     hidden_block_count_y
      - .offset:         64
        .size:           4
        .value_kind:     hidden_block_count_z
      - .offset:         68
        .size:           2
        .value_kind:     hidden_group_size_x
      - .offset:         70
        .size:           2
        .value_kind:     hidden_group_size_y
      - .offset:         72
        .size:           2
        .value_kind:     hidden_group_size_z
      - .offset:         74
        .size:           2
        .value_kind:     hidden_remainder_x
      - .offset:         76
        .size:           2
        .value_kind:     hidden_remainder_y
      - .offset:         78
        .size:           2
        .value_kind:     hidden_remainder_z
      - .offset:         96
        .size:           8
        .value_kind:     hidden_global_offset_x
      - .offset:         104
        .size:           8
        .value_kind:     hidden_global_offset_y
      - .offset:         112
        .size:           8
        .value_kind:     hidden_global_offset_z
      - .offset:         120
        .size:           2
        .value_kind:     hidden_grid_dims
    .group_segment_fixed_size: 0
    .kernarg_segment_align: 8
    .kernarg_segment_size: 312
    .language:       OpenCL C
    .language_version:
      - 2
      - 0
    .max_flat_workgroup_size: 512
    .name:           _ZN2at6native39vectorized_templated_elementwise_kernelILi4EZZZNS0_33launch_standard_gamma_grad_kernelERNS_18TensorIteratorBaseEENKUlvE_clEvENKUlvE0_clEvEUlffE_St5arrayIPcLm3EE23TrivialOffsetCalculatorILi2EjESA_ILi1EjENS0_6memory12LoadWithCastILi2EEENSD_13StoreWithCastILi1EEEN3c104HalfEJSJ_fEEEviT0_T1_T2_T3_T4_T5_
    .private_segment_fixed_size: 288
    .sgpr_count:     104
    .sgpr_spill_count: 0
    .symbol:         _ZN2at6native39vectorized_templated_elementwise_kernelILi4EZZZNS0_33launch_standard_gamma_grad_kernelERNS_18TensorIteratorBaseEENKUlvE_clEvENKUlvE0_clEvEUlffE_St5arrayIPcLm3EE23TrivialOffsetCalculatorILi2EjESA_ILi1EjENS0_6memory12LoadWithCastILi2EEENSD_13StoreWithCastILi1EEEN3c104HalfEJSJ_fEEEviT0_T1_T2_T3_T4_T5_.kd
    .uniform_work_group_size: 1
    .uses_dynamic_stack: false
    .vgpr_count:     138
    .vgpr_spill_count: 0
    .wavefront_size: 64
  - .agpr_count:     18
    .args:
      - .offset:         0
        .size:           4
        .value_kind:     by_value
      - .offset:         4
        .size:           1
        .value_kind:     by_value
      - .offset:         8
        .size:           24
        .value_kind:     by_value
      - .offset:         32
        .size:           1
        .value_kind:     by_value
      - .offset:         33
        .size:           1
        .value_kind:     by_value
      - .offset:         36
        .size:           12
        .value_kind:     by_value
      - .offset:         48
        .size:           8
        .value_kind:     by_value
      - .offset:         56
        .size:           4
        .value_kind:     hidden_block_count_x
      - .offset:         60
        .size:           4
        .value_kind:     hidden_block_count_y
      - .offset:         64
        .size:           4
        .value_kind:     hidden_block_count_z
      - .offset:         68
        .size:           2
        .value_kind:     hidden_group_size_x
      - .offset:         70
        .size:           2
        .value_kind:     hidden_group_size_y
      - .offset:         72
        .size:           2
        .value_kind:     hidden_group_size_z
      - .offset:         74
        .size:           2
        .value_kind:     hidden_remainder_x
      - .offset:         76
        .size:           2
        .value_kind:     hidden_remainder_y
      - .offset:         78
        .size:           2
        .value_kind:     hidden_remainder_z
      - .offset:         96
        .size:           8
        .value_kind:     hidden_global_offset_x
      - .offset:         104
        .size:           8
        .value_kind:     hidden_global_offset_y
      - .offset:         112
        .size:           8
        .value_kind:     hidden_global_offset_z
      - .offset:         120
        .size:           2
        .value_kind:     hidden_grid_dims
    .group_segment_fixed_size: 0
    .kernarg_segment_align: 8
    .kernarg_segment_size: 312
    .language:       OpenCL C
    .language_version:
      - 2
      - 0
    .max_flat_workgroup_size: 512
    .name:           _ZN2at6native39vectorized_templated_elementwise_kernelILi2EZZZNS0_33launch_standard_gamma_grad_kernelERNS_18TensorIteratorBaseEENKUlvE_clEvENKUlvE0_clEvEUlffE_St5arrayIPcLm3EE23TrivialOffsetCalculatorILi2EjESA_ILi1EjENS0_6memory12LoadWithCastILi2EEENSD_13StoreWithCastILi1EEEN3c104HalfEJSJ_fEEEviT0_T1_T2_T3_T4_T5_
    .private_segment_fixed_size: 288
    .sgpr_count:     104
    .sgpr_spill_count: 0
    .symbol:         _ZN2at6native39vectorized_templated_elementwise_kernelILi2EZZZNS0_33launch_standard_gamma_grad_kernelERNS_18TensorIteratorBaseEENKUlvE_clEvENKUlvE0_clEvEUlffE_St5arrayIPcLm3EE23TrivialOffsetCalculatorILi2EjESA_ILi1EjENS0_6memory12LoadWithCastILi2EEENSD_13StoreWithCastILi1EEEN3c104HalfEJSJ_fEEEviT0_T1_T2_T3_T4_T5_.kd
    .uniform_work_group_size: 1
    .uses_dynamic_stack: false
    .vgpr_count:     138
    .vgpr_spill_count: 0
    .wavefront_size: 64
  - .agpr_count:     0
    .args:
      - .offset:         0
        .size:           4
        .value_kind:     by_value
      - .offset:         8
        .size:           40
        .value_kind:     by_value
    .group_segment_fixed_size: 0
    .kernarg_segment_align: 8
    .kernarg_segment_size: 48
    .language:       OpenCL C
    .language_version:
      - 2
      - 0
    .max_flat_workgroup_size: 128
    .name:           _ZN2at6native32elementwise_kernel_manual_unrollILi128ELi4EZNS0_15gpu_kernel_implIZZZNS0_33launch_standard_gamma_grad_kernelERNS_18TensorIteratorBaseEENKUlvE_clEvENKUlvE0_clEvEUlffE_EEvS4_RKT_EUlibE_EEviT1_
    .private_segment_fixed_size: 0
    .sgpr_count:     68
    .sgpr_spill_count: 0
    .symbol:         _ZN2at6native32elementwise_kernel_manual_unrollILi128ELi4EZNS0_15gpu_kernel_implIZZZNS0_33launch_standard_gamma_grad_kernelERNS_18TensorIteratorBaseEENKUlvE_clEvENKUlvE0_clEvEUlffE_EEvS4_RKT_EUlibE_EEviT1_.kd
    .uniform_work_group_size: 1
    .uses_dynamic_stack: false
    .vgpr_count:     39
    .vgpr_spill_count: 0
    .wavefront_size: 64
  - .agpr_count:     0
    .args:
      - .offset:         0
        .size:           4
        .value_kind:     by_value
      - .offset:         8
        .size:           424
        .value_kind:     by_value
    .group_segment_fixed_size: 0
    .kernarg_segment_align: 8
    .kernarg_segment_size: 432
    .language:       OpenCL C
    .language_version:
      - 2
      - 0
    .max_flat_workgroup_size: 128
    .name:           _ZN2at6native32elementwise_kernel_manual_unrollILi128ELi4EZNS0_12_GLOBAL__N_142type_specialized_broadcast_kernel_launcherILi0EE5applyIZZZNS0_33launch_standard_gamma_grad_kernelERNS_18TensorIteratorBaseEENKUlvE_clEvENKUlvE0_clEvEUlffE_St5arrayIPcLm3EESB_IN3c1010ScalarTypeELm3EE16OffsetCalculatorILi3EjLb0EEEEvlT_T0_T1_T2_EUlibE_EEviSL_
    .private_segment_fixed_size: 0
    .sgpr_count:     65
    .sgpr_spill_count: 0
    .symbol:         _ZN2at6native32elementwise_kernel_manual_unrollILi128ELi4EZNS0_12_GLOBAL__N_142type_specialized_broadcast_kernel_launcherILi0EE5applyIZZZNS0_33launch_standard_gamma_grad_kernelERNS_18TensorIteratorBaseEENKUlvE_clEvENKUlvE0_clEvEUlffE_St5arrayIPcLm3EESB_IN3c1010ScalarTypeELm3EE16OffsetCalculatorILi3EjLb0EEEEvlT_T0_T1_T2_EUlibE_EEviSL_.kd
    .uniform_work_group_size: 1
    .uses_dynamic_stack: false
    .vgpr_count:     52
    .vgpr_spill_count: 0
    .wavefront_size: 64
  - .agpr_count:     0
    .args:
      - .offset:         0
        .size:           4
        .value_kind:     by_value
      - .offset:         8
        .size:           424
        .value_kind:     by_value
    .group_segment_fixed_size: 0
    .kernarg_segment_align: 8
    .kernarg_segment_size: 432
    .language:       OpenCL C
    .language_version:
      - 2
      - 0
    .max_flat_workgroup_size: 128
    .name:           _ZN2at6native32elementwise_kernel_manual_unrollILi128ELi4EZNS0_12_GLOBAL__N_142type_specialized_broadcast_kernel_launcherILi1EE5applyIZZZNS0_33launch_standard_gamma_grad_kernelERNS_18TensorIteratorBaseEENKUlvE_clEvENKUlvE0_clEvEUlffE_St5arrayIPcLm3EESB_IN3c1010ScalarTypeELm3EE16OffsetCalculatorILi3EjLb0EEEEvlT_T0_T1_T2_EUlibE_EEviSL_
    .private_segment_fixed_size: 0
    .sgpr_count:     65
    .sgpr_spill_count: 0
    .symbol:         _ZN2at6native32elementwise_kernel_manual_unrollILi128ELi4EZNS0_12_GLOBAL__N_142type_specialized_broadcast_kernel_launcherILi1EE5applyIZZZNS0_33launch_standard_gamma_grad_kernelERNS_18TensorIteratorBaseEENKUlvE_clEvENKUlvE0_clEvEUlffE_St5arrayIPcLm3EESB_IN3c1010ScalarTypeELm3EE16OffsetCalculatorILi3EjLb0EEEEvlT_T0_T1_T2_EUlibE_EEviSL_.kd
    .uniform_work_group_size: 1
    .uses_dynamic_stack: false
    .vgpr_count:     52
    .vgpr_spill_count: 0
    .wavefront_size: 64
  - .agpr_count:     0
    .args:
      - .offset:         0
        .size:           4
        .value_kind:     by_value
      - .offset:         8
        .size:           424
        .value_kind:     by_value
    .group_segment_fixed_size: 0
    .kernarg_segment_align: 8
    .kernarg_segment_size: 432
    .language:       OpenCL C
    .language_version:
      - 2
      - 0
    .max_flat_workgroup_size: 128
    .name:           _ZN2at6native32elementwise_kernel_manual_unrollILi128ELi4EZNS0_12_GLOBAL__N_142type_specialized_broadcast_kernel_launcherILi2EE5applyIZZZNS0_33launch_standard_gamma_grad_kernelERNS_18TensorIteratorBaseEENKUlvE_clEvENKUlvE0_clEvEUlffE_St5arrayIPcLm3EESB_IN3c1010ScalarTypeELm3EE16OffsetCalculatorILi3EjLb0EEEEvlT_T0_T1_T2_EUlibE_EEviSL_
    .private_segment_fixed_size: 0
    .sgpr_count:     65
    .sgpr_spill_count: 0
    .symbol:         _ZN2at6native32elementwise_kernel_manual_unrollILi128ELi4EZNS0_12_GLOBAL__N_142type_specialized_broadcast_kernel_launcherILi2EE5applyIZZZNS0_33launch_standard_gamma_grad_kernelERNS_18TensorIteratorBaseEENKUlvE_clEvENKUlvE0_clEvEUlffE_St5arrayIPcLm3EESB_IN3c1010ScalarTypeELm3EE16OffsetCalculatorILi3EjLb0EEEEvlT_T0_T1_T2_EUlibE_EEviSL_.kd
    .uniform_work_group_size: 1
    .uses_dynamic_stack: false
    .vgpr_count:     52
    .vgpr_spill_count: 0
    .wavefront_size: 64
  - .agpr_count:     0
    .args:
      - .offset:         0
        .size:           4
        .value_kind:     by_value
      - .offset:         8
        .size:           424
        .value_kind:     by_value
    .group_segment_fixed_size: 0
    .kernarg_segment_align: 8
    .kernarg_segment_size: 432
    .language:       OpenCL C
    .language_version:
      - 2
      - 0
    .max_flat_workgroup_size: 128
    .name:           _ZN2at6native32elementwise_kernel_manual_unrollILi128ELi4EZNS0_12_GLOBAL__N_142type_specialized_broadcast_kernel_launcherILi3EE5applyIZZZNS0_33launch_standard_gamma_grad_kernelERNS_18TensorIteratorBaseEENKUlvE_clEvENKUlvE0_clEvEUlffE_St5arrayIPcLm3EESB_IN3c1010ScalarTypeELm3EE16OffsetCalculatorILi3EjLb0EEEEvlT_T0_T1_T2_EUlibE_EEviSL_
    .private_segment_fixed_size: 0
    .sgpr_count:     65
    .sgpr_spill_count: 0
    .symbol:         _ZN2at6native32elementwise_kernel_manual_unrollILi128ELi4EZNS0_12_GLOBAL__N_142type_specialized_broadcast_kernel_launcherILi3EE5applyIZZZNS0_33launch_standard_gamma_grad_kernelERNS_18TensorIteratorBaseEENKUlvE_clEvENKUlvE0_clEvEUlffE_St5arrayIPcLm3EESB_IN3c1010ScalarTypeELm3EE16OffsetCalculatorILi3EjLb0EEEEvlT_T0_T1_T2_EUlibE_EEviSL_.kd
    .uniform_work_group_size: 1
    .uses_dynamic_stack: false
    .vgpr_count:     52
    .vgpr_spill_count: 0
    .wavefront_size: 64
  - .agpr_count:     0
    .args:
      - .offset:         0
        .size:           4
        .value_kind:     by_value
      - .offset:         8
        .size:           424
        .value_kind:     by_value
    .group_segment_fixed_size: 0
    .kernarg_segment_align: 8
    .kernarg_segment_size: 432
    .language:       OpenCL C
    .language_version:
      - 2
      - 0
    .max_flat_workgroup_size: 128
    .name:           _ZN2at6native32elementwise_kernel_manual_unrollILi128ELi4EZNS0_12_GLOBAL__N_142type_specialized_broadcast_kernel_launcherILi4EE5applyIZZZNS0_33launch_standard_gamma_grad_kernelERNS_18TensorIteratorBaseEENKUlvE_clEvENKUlvE0_clEvEUlffE_St5arrayIPcLm3EESB_IN3c1010ScalarTypeELm3EE16OffsetCalculatorILi3EjLb0EEEEvlT_T0_T1_T2_EUlibE_EEviSL_
    .private_segment_fixed_size: 0
    .sgpr_count:     65
    .sgpr_spill_count: 0
    .symbol:         _ZN2at6native32elementwise_kernel_manual_unrollILi128ELi4EZNS0_12_GLOBAL__N_142type_specialized_broadcast_kernel_launcherILi4EE5applyIZZZNS0_33launch_standard_gamma_grad_kernelERNS_18TensorIteratorBaseEENKUlvE_clEvENKUlvE0_clEvEUlffE_St5arrayIPcLm3EESB_IN3c1010ScalarTypeELm3EE16OffsetCalculatorILi3EjLb0EEEEvlT_T0_T1_T2_EUlibE_EEviSL_.kd
    .uniform_work_group_size: 1
    .uses_dynamic_stack: false
    .vgpr_count:     52
    .vgpr_spill_count: 0
    .wavefront_size: 64
  - .agpr_count:     0
    .args:
      - .offset:         0
        .size:           4
        .value_kind:     by_value
      - .offset:         8
        .size:           424
        .value_kind:     by_value
    .group_segment_fixed_size: 0
    .kernarg_segment_align: 8
    .kernarg_segment_size: 432
    .language:       OpenCL C
    .language_version:
      - 2
      - 0
    .max_flat_workgroup_size: 128
    .name:           _ZN2at6native32elementwise_kernel_manual_unrollILi128ELi4EZNS0_12_GLOBAL__N_142type_specialized_broadcast_kernel_launcherILi5EE5applyIZZZNS0_33launch_standard_gamma_grad_kernelERNS_18TensorIteratorBaseEENKUlvE_clEvENKUlvE0_clEvEUlffE_St5arrayIPcLm3EESB_IN3c1010ScalarTypeELm3EE16OffsetCalculatorILi3EjLb0EEEEvlT_T0_T1_T2_EUlibE_EEviSL_
    .private_segment_fixed_size: 0
    .sgpr_count:     65
    .sgpr_spill_count: 0
    .symbol:         _ZN2at6native32elementwise_kernel_manual_unrollILi128ELi4EZNS0_12_GLOBAL__N_142type_specialized_broadcast_kernel_launcherILi5EE5applyIZZZNS0_33launch_standard_gamma_grad_kernelERNS_18TensorIteratorBaseEENKUlvE_clEvENKUlvE0_clEvEUlffE_St5arrayIPcLm3EESB_IN3c1010ScalarTypeELm3EE16OffsetCalculatorILi3EjLb0EEEEvlT_T0_T1_T2_EUlibE_EEviSL_.kd
    .uniform_work_group_size: 1
    .uses_dynamic_stack: false
    .vgpr_count:     52
    .vgpr_spill_count: 0
    .wavefront_size: 64
  - .agpr_count:     0
    .args:
      - .offset:         0
        .size:           4
        .value_kind:     by_value
      - .offset:         8
        .size:           424
        .value_kind:     by_value
    .group_segment_fixed_size: 0
    .kernarg_segment_align: 8
    .kernarg_segment_size: 432
    .language:       OpenCL C
    .language_version:
      - 2
      - 0
    .max_flat_workgroup_size: 128
    .name:           _ZN2at6native32elementwise_kernel_manual_unrollILi128ELi4EZNS0_15gpu_kernel_implIZZZNS0_33launch_standard_gamma_grad_kernelERNS_18TensorIteratorBaseEENKUlvE_clEvENKUlvE0_clEvEUlffE_EEvS4_RKT_EUlibE0_EEviT1_
    .private_segment_fixed_size: 0
    .sgpr_count:     89
    .sgpr_spill_count: 0
    .symbol:         _ZN2at6native32elementwise_kernel_manual_unrollILi128ELi4EZNS0_15gpu_kernel_implIZZZNS0_33launch_standard_gamma_grad_kernelERNS_18TensorIteratorBaseEENKUlvE_clEvENKUlvE0_clEvEUlffE_EEvS4_RKT_EUlibE0_EEviT1_.kd
    .uniform_work_group_size: 1
    .uses_dynamic_stack: false
    .vgpr_count:     44
    .vgpr_spill_count: 0
    .wavefront_size: 64
  - .agpr_count:     0
    .args:
      - .offset:         0
        .size:           4
        .value_kind:     by_value
      - .offset:         4
        .size:           1
        .value_kind:     by_value
      - .offset:         8
        .size:           24
        .value_kind:     by_value
    .group_segment_fixed_size: 0
    .kernarg_segment_align: 8
    .kernarg_segment_size: 32
    .language:       OpenCL C
    .language_version:
      - 2
      - 0
    .max_flat_workgroup_size: 256
    .name:           _ZN2at6native29vectorized_elementwise_kernelILi16EZZZNS0_33launch_standard_gamma_grad_kernelERNS_18TensorIteratorBaseEENKUlvE_clEvENKUlvE1_clEvEUlN3c104HalfES7_E_St5arrayIPcLm3EEEEviT0_T1_
    .private_segment_fixed_size: 0
    .sgpr_count:     44
    .sgpr_spill_count: 0
    .symbol:         _ZN2at6native29vectorized_elementwise_kernelILi16EZZZNS0_33launch_standard_gamma_grad_kernelERNS_18TensorIteratorBaseEENKUlvE_clEvENKUlvE1_clEvEUlN3c104HalfES7_E_St5arrayIPcLm3EEEEviT0_T1_.kd
    .uniform_work_group_size: 1
    .uses_dynamic_stack: false
    .vgpr_count:     51
    .vgpr_spill_count: 0
    .wavefront_size: 64
  - .agpr_count:     0
    .args:
      - .offset:         0
        .size:           4
        .value_kind:     by_value
      - .offset:         4
        .size:           1
        .value_kind:     by_value
      - .offset:         8
        .size:           24
        .value_kind:     by_value
    .group_segment_fixed_size: 0
    .kernarg_segment_align: 8
    .kernarg_segment_size: 32
    .language:       OpenCL C
    .language_version:
      - 2
      - 0
    .max_flat_workgroup_size: 256
    .name:           _ZN2at6native29vectorized_elementwise_kernelILi8EZZZNS0_33launch_standard_gamma_grad_kernelERNS_18TensorIteratorBaseEENKUlvE_clEvENKUlvE1_clEvEUlN3c104HalfES7_E_St5arrayIPcLm3EEEEviT0_T1_
    .private_segment_fixed_size: 0
    .sgpr_count:     44
    .sgpr_spill_count: 0
    .symbol:         _ZN2at6native29vectorized_elementwise_kernelILi8EZZZNS0_33launch_standard_gamma_grad_kernelERNS_18TensorIteratorBaseEENKUlvE_clEvENKUlvE1_clEvEUlN3c104HalfES7_E_St5arrayIPcLm3EEEEviT0_T1_.kd
    .uniform_work_group_size: 1
    .uses_dynamic_stack: false
    .vgpr_count:     51
    .vgpr_spill_count: 0
    .wavefront_size: 64
  - .agpr_count:     0
    .args:
      - .offset:         0
        .size:           4
        .value_kind:     by_value
      - .offset:         4
        .size:           1
        .value_kind:     by_value
      - .offset:         8
        .size:           24
        .value_kind:     by_value
    .group_segment_fixed_size: 0
    .kernarg_segment_align: 8
    .kernarg_segment_size: 32
    .language:       OpenCL C
    .language_version:
      - 2
      - 0
    .max_flat_workgroup_size: 256
    .name:           _ZN2at6native29vectorized_elementwise_kernelILi4EZZZNS0_33launch_standard_gamma_grad_kernelERNS_18TensorIteratorBaseEENKUlvE_clEvENKUlvE1_clEvEUlN3c104HalfES7_E_St5arrayIPcLm3EEEEviT0_T1_
    .private_segment_fixed_size: 0
    .sgpr_count:     44
    .sgpr_spill_count: 0
    .symbol:         _ZN2at6native29vectorized_elementwise_kernelILi4EZZZNS0_33launch_standard_gamma_grad_kernelERNS_18TensorIteratorBaseEENKUlvE_clEvENKUlvE1_clEvEUlN3c104HalfES7_E_St5arrayIPcLm3EEEEviT0_T1_.kd
    .uniform_work_group_size: 1
    .uses_dynamic_stack: false
    .vgpr_count:     51
    .vgpr_spill_count: 0
    .wavefront_size: 64
  - .agpr_count:     0
    .args:
      - .offset:         0
        .size:           4
        .value_kind:     by_value
      - .offset:         4
        .size:           1
        .value_kind:     by_value
      - .offset:         8
        .size:           24
        .value_kind:     by_value
    .group_segment_fixed_size: 0
    .kernarg_segment_align: 8
    .kernarg_segment_size: 32
    .language:       OpenCL C
    .language_version:
      - 2
      - 0
    .max_flat_workgroup_size: 256
    .name:           _ZN2at6native29vectorized_elementwise_kernelILi2EZZZNS0_33launch_standard_gamma_grad_kernelERNS_18TensorIteratorBaseEENKUlvE_clEvENKUlvE1_clEvEUlN3c104HalfES7_E_St5arrayIPcLm3EEEEviT0_T1_
    .private_segment_fixed_size: 0
    .sgpr_count:     44
    .sgpr_spill_count: 0
    .symbol:         _ZN2at6native29vectorized_elementwise_kernelILi2EZZZNS0_33launch_standard_gamma_grad_kernelERNS_18TensorIteratorBaseEENKUlvE_clEvENKUlvE1_clEvEUlN3c104HalfES7_E_St5arrayIPcLm3EEEEviT0_T1_.kd
    .uniform_work_group_size: 1
    .uses_dynamic_stack: false
    .vgpr_count:     51
    .vgpr_spill_count: 0
    .wavefront_size: 64
  - .agpr_count:     0
    .args:
      - .offset:         0
        .size:           4
        .value_kind:     by_value
      - .offset:         4
        .size:           1
        .value_kind:     by_value
      - .offset:         8
        .size:           24
        .value_kind:     by_value
      - .offset:         32
        .size:           1
        .value_kind:     by_value
      - .offset:         33
        .size:           1
        .value_kind:     by_value
      - .offset:         34
        .size:           1
        .value_kind:     by_value
      - .offset:         35
        .size:           1
        .value_kind:     by_value
    .group_segment_fixed_size: 0
    .kernarg_segment_align: 8
    .kernarg_segment_size: 36
    .language:       OpenCL C
    .language_version:
      - 2
      - 0
    .max_flat_workgroup_size: 256
    .name:           _ZN2at6native27unrolled_elementwise_kernelIZZZNS0_33launch_standard_gamma_grad_kernelERNS_18TensorIteratorBaseEENKUlvE_clEvENKUlvE1_clEvEUlN3c104HalfES7_E_St5arrayIPcLm3EELi4E23TrivialOffsetCalculatorILi2EjESC_ILi1EjENS0_6memory15LoadWithoutCastENSF_16StoreWithoutCastEEEviT_T0_T2_T3_T4_T5_
    .private_segment_fixed_size: 0
    .sgpr_count:     39
    .sgpr_spill_count: 0
    .symbol:         _ZN2at6native27unrolled_elementwise_kernelIZZZNS0_33launch_standard_gamma_grad_kernelERNS_18TensorIteratorBaseEENKUlvE_clEvENKUlvE1_clEvEUlN3c104HalfES7_E_St5arrayIPcLm3EELi4E23TrivialOffsetCalculatorILi2EjESC_ILi1EjENS0_6memory15LoadWithoutCastENSF_16StoreWithoutCastEEEviT_T0_T2_T3_T4_T5_.kd
    .uniform_work_group_size: 1
    .uses_dynamic_stack: false
    .vgpr_count:     42
    .vgpr_spill_count: 0
    .wavefront_size: 64
  - .agpr_count:     0
    .args:
      - .offset:         0
        .size:           4
        .value_kind:     by_value
      - .offset:         8
        .size:           424
        .value_kind:     by_value
    .group_segment_fixed_size: 0
    .kernarg_segment_align: 8
    .kernarg_segment_size: 432
    .language:       OpenCL C
    .language_version:
      - 2
      - 0
    .max_flat_workgroup_size: 128
    .name:           _ZN2at6native32elementwise_kernel_manual_unrollILi128ELi8EZNS0_22gpu_kernel_impl_nocastIZZZNS0_33launch_standard_gamma_grad_kernelERNS_18TensorIteratorBaseEENKUlvE_clEvENKUlvE1_clEvEUlN3c104HalfES8_E_EEvS4_RKT_EUlibE_EEviT1_
    .private_segment_fixed_size: 0
    .sgpr_count:     65
    .sgpr_spill_count: 0
    .symbol:         _ZN2at6native32elementwise_kernel_manual_unrollILi128ELi8EZNS0_22gpu_kernel_impl_nocastIZZZNS0_33launch_standard_gamma_grad_kernelERNS_18TensorIteratorBaseEENKUlvE_clEvENKUlvE1_clEvEUlN3c104HalfES8_E_EEvS4_RKT_EUlibE_EEviT1_.kd
    .uniform_work_group_size: 1
    .uses_dynamic_stack: false
    .vgpr_count:     76
    .vgpr_spill_count: 0
    .wavefront_size: 64
  - .agpr_count:     0
    .args:
      - .offset:         0
        .size:           4
        .value_kind:     by_value
      - .offset:         8
        .size:           40
        .value_kind:     by_value
    .group_segment_fixed_size: 0
    .kernarg_segment_align: 8
    .kernarg_segment_size: 48
    .language:       OpenCL C
    .language_version:
      - 2
      - 0
    .max_flat_workgroup_size: 128
    .name:           _ZN2at6native32elementwise_kernel_manual_unrollILi128ELi4EZNS0_15gpu_kernel_implIZZZNS0_33launch_standard_gamma_grad_kernelERNS_18TensorIteratorBaseEENKUlvE_clEvENKUlvE1_clEvEUlN3c104HalfES8_E_EEvS4_RKT_EUlibE_EEviT1_
    .private_segment_fixed_size: 0
    .sgpr_count:     68
    .sgpr_spill_count: 0
    .symbol:         _ZN2at6native32elementwise_kernel_manual_unrollILi128ELi4EZNS0_15gpu_kernel_implIZZZNS0_33launch_standard_gamma_grad_kernelERNS_18TensorIteratorBaseEENKUlvE_clEvENKUlvE1_clEvEUlN3c104HalfES8_E_EEvS4_RKT_EUlibE_EEviT1_.kd
    .uniform_work_group_size: 1
    .uses_dynamic_stack: false
    .vgpr_count:     39
    .vgpr_spill_count: 0
    .wavefront_size: 64
  - .agpr_count:     0
    .args:
      - .offset:         0
        .size:           4
        .value_kind:     by_value
      - .offset:         8
        .size:           424
        .value_kind:     by_value
    .group_segment_fixed_size: 0
    .kernarg_segment_align: 8
    .kernarg_segment_size: 432
    .language:       OpenCL C
    .language_version:
      - 2
      - 0
    .max_flat_workgroup_size: 128
    .name:           _ZN2at6native32elementwise_kernel_manual_unrollILi128ELi4EZNS0_15gpu_kernel_implIZZZNS0_33launch_standard_gamma_grad_kernelERNS_18TensorIteratorBaseEENKUlvE_clEvENKUlvE1_clEvEUlN3c104HalfES8_E_EEvS4_RKT_EUlibE0_EEviT1_
    .private_segment_fixed_size: 0
    .sgpr_count:     89
    .sgpr_spill_count: 0
    .symbol:         _ZN2at6native32elementwise_kernel_manual_unrollILi128ELi4EZNS0_15gpu_kernel_implIZZZNS0_33launch_standard_gamma_grad_kernelERNS_18TensorIteratorBaseEENKUlvE_clEvENKUlvE1_clEvEUlN3c104HalfES8_E_EEvS4_RKT_EUlibE0_EEviT1_.kd
    .uniform_work_group_size: 1
    .uses_dynamic_stack: false
    .vgpr_count:     44
    .vgpr_spill_count: 0
    .wavefront_size: 64
  - .agpr_count:     0
    .args:
      - .offset:         0
        .size:           4
        .value_kind:     by_value
      - .offset:         4
        .size:           1
        .value_kind:     by_value
      - .offset:         8
        .size:           24
        .value_kind:     by_value
    .group_segment_fixed_size: 0
    .kernarg_segment_align: 8
    .kernarg_segment_size: 32
    .language:       OpenCL C
    .language_version:
      - 2
      - 0
    .max_flat_workgroup_size: 256
    .name:           _ZN2at6native29vectorized_elementwise_kernelILi16EZZZNS0_33launch_standard_gamma_grad_kernelERNS_18TensorIteratorBaseEENKUlvE_clEvENKUlvE2_clEvEUlN3c108BFloat16ES7_E_St5arrayIPcLm3EEEEviT0_T1_
    .private_segment_fixed_size: 0
    .sgpr_count:     44
    .sgpr_spill_count: 0
    .symbol:         _ZN2at6native29vectorized_elementwise_kernelILi16EZZZNS0_33launch_standard_gamma_grad_kernelERNS_18TensorIteratorBaseEENKUlvE_clEvENKUlvE2_clEvEUlN3c108BFloat16ES7_E_St5arrayIPcLm3EEEEviT0_T1_.kd
    .uniform_work_group_size: 1
    .uses_dynamic_stack: false
    .vgpr_count:     51
    .vgpr_spill_count: 0
    .wavefront_size: 64
  - .agpr_count:     0
    .args:
      - .offset:         0
        .size:           4
        .value_kind:     by_value
      - .offset:         4
        .size:           1
        .value_kind:     by_value
      - .offset:         8
        .size:           24
        .value_kind:     by_value
    .group_segment_fixed_size: 0
    .kernarg_segment_align: 8
    .kernarg_segment_size: 32
    .language:       OpenCL C
    .language_version:
      - 2
      - 0
    .max_flat_workgroup_size: 256
    .name:           _ZN2at6native29vectorized_elementwise_kernelILi8EZZZNS0_33launch_standard_gamma_grad_kernelERNS_18TensorIteratorBaseEENKUlvE_clEvENKUlvE2_clEvEUlN3c108BFloat16ES7_E_St5arrayIPcLm3EEEEviT0_T1_
    .private_segment_fixed_size: 0
    .sgpr_count:     44
    .sgpr_spill_count: 0
    .symbol:         _ZN2at6native29vectorized_elementwise_kernelILi8EZZZNS0_33launch_standard_gamma_grad_kernelERNS_18TensorIteratorBaseEENKUlvE_clEvENKUlvE2_clEvEUlN3c108BFloat16ES7_E_St5arrayIPcLm3EEEEviT0_T1_.kd
    .uniform_work_group_size: 1
    .uses_dynamic_stack: false
    .vgpr_count:     51
    .vgpr_spill_count: 0
    .wavefront_size: 64
  - .agpr_count:     0
    .args:
      - .offset:         0
        .size:           4
        .value_kind:     by_value
      - .offset:         4
        .size:           1
        .value_kind:     by_value
      - .offset:         8
        .size:           24
        .value_kind:     by_value
    .group_segment_fixed_size: 0
    .kernarg_segment_align: 8
    .kernarg_segment_size: 32
    .language:       OpenCL C
    .language_version:
      - 2
      - 0
    .max_flat_workgroup_size: 256
    .name:           _ZN2at6native29vectorized_elementwise_kernelILi4EZZZNS0_33launch_standard_gamma_grad_kernelERNS_18TensorIteratorBaseEENKUlvE_clEvENKUlvE2_clEvEUlN3c108BFloat16ES7_E_St5arrayIPcLm3EEEEviT0_T1_
    .private_segment_fixed_size: 0
    .sgpr_count:     44
    .sgpr_spill_count: 0
    .symbol:         _ZN2at6native29vectorized_elementwise_kernelILi4EZZZNS0_33launch_standard_gamma_grad_kernelERNS_18TensorIteratorBaseEENKUlvE_clEvENKUlvE2_clEvEUlN3c108BFloat16ES7_E_St5arrayIPcLm3EEEEviT0_T1_.kd
    .uniform_work_group_size: 1
    .uses_dynamic_stack: false
    .vgpr_count:     51
    .vgpr_spill_count: 0
    .wavefront_size: 64
  - .agpr_count:     0
    .args:
      - .offset:         0
        .size:           4
        .value_kind:     by_value
      - .offset:         4
        .size:           1
        .value_kind:     by_value
      - .offset:         8
        .size:           24
        .value_kind:     by_value
    .group_segment_fixed_size: 0
    .kernarg_segment_align: 8
    .kernarg_segment_size: 32
    .language:       OpenCL C
    .language_version:
      - 2
      - 0
    .max_flat_workgroup_size: 256
    .name:           _ZN2at6native29vectorized_elementwise_kernelILi2EZZZNS0_33launch_standard_gamma_grad_kernelERNS_18TensorIteratorBaseEENKUlvE_clEvENKUlvE2_clEvEUlN3c108BFloat16ES7_E_St5arrayIPcLm3EEEEviT0_T1_
    .private_segment_fixed_size: 0
    .sgpr_count:     44
    .sgpr_spill_count: 0
    .symbol:         _ZN2at6native29vectorized_elementwise_kernelILi2EZZZNS0_33launch_standard_gamma_grad_kernelERNS_18TensorIteratorBaseEENKUlvE_clEvENKUlvE2_clEvEUlN3c108BFloat16ES7_E_St5arrayIPcLm3EEEEviT0_T1_.kd
    .uniform_work_group_size: 1
    .uses_dynamic_stack: false
    .vgpr_count:     51
    .vgpr_spill_count: 0
    .wavefront_size: 64
  - .agpr_count:     0
    .args:
      - .offset:         0
        .size:           4
        .value_kind:     by_value
      - .offset:         4
        .size:           1
        .value_kind:     by_value
      - .offset:         8
        .size:           24
        .value_kind:     by_value
      - .offset:         32
        .size:           1
        .value_kind:     by_value
      - .offset:         33
        .size:           1
        .value_kind:     by_value
      - .offset:         34
        .size:           1
        .value_kind:     by_value
      - .offset:         35
        .size:           1
        .value_kind:     by_value
    .group_segment_fixed_size: 0
    .kernarg_segment_align: 8
    .kernarg_segment_size: 36
    .language:       OpenCL C
    .language_version:
      - 2
      - 0
    .max_flat_workgroup_size: 256
    .name:           _ZN2at6native27unrolled_elementwise_kernelIZZZNS0_33launch_standard_gamma_grad_kernelERNS_18TensorIteratorBaseEENKUlvE_clEvENKUlvE2_clEvEUlN3c108BFloat16ES7_E_St5arrayIPcLm3EELi4E23TrivialOffsetCalculatorILi2EjESC_ILi1EjENS0_6memory15LoadWithoutCastENSF_16StoreWithoutCastEEEviT_T0_T2_T3_T4_T5_
    .private_segment_fixed_size: 0
    .sgpr_count:     39
    .sgpr_spill_count: 0
    .symbol:         _ZN2at6native27unrolled_elementwise_kernelIZZZNS0_33launch_standard_gamma_grad_kernelERNS_18TensorIteratorBaseEENKUlvE_clEvENKUlvE2_clEvEUlN3c108BFloat16ES7_E_St5arrayIPcLm3EELi4E23TrivialOffsetCalculatorILi2EjESC_ILi1EjENS0_6memory15LoadWithoutCastENSF_16StoreWithoutCastEEEviT_T0_T2_T3_T4_T5_.kd
    .uniform_work_group_size: 1
    .uses_dynamic_stack: false
    .vgpr_count:     42
    .vgpr_spill_count: 0
    .wavefront_size: 64
  - .agpr_count:     0
    .args:
      - .offset:         0
        .size:           4
        .value_kind:     by_value
      - .offset:         8
        .size:           424
        .value_kind:     by_value
    .group_segment_fixed_size: 0
    .kernarg_segment_align: 8
    .kernarg_segment_size: 432
    .language:       OpenCL C
    .language_version:
      - 2
      - 0
    .max_flat_workgroup_size: 128
    .name:           _ZN2at6native32elementwise_kernel_manual_unrollILi128ELi8EZNS0_22gpu_kernel_impl_nocastIZZZNS0_33launch_standard_gamma_grad_kernelERNS_18TensorIteratorBaseEENKUlvE_clEvENKUlvE2_clEvEUlN3c108BFloat16ES8_E_EEvS4_RKT_EUlibE_EEviT1_
    .private_segment_fixed_size: 0
    .sgpr_count:     65
    .sgpr_spill_count: 0
    .symbol:         _ZN2at6native32elementwise_kernel_manual_unrollILi128ELi8EZNS0_22gpu_kernel_impl_nocastIZZZNS0_33launch_standard_gamma_grad_kernelERNS_18TensorIteratorBaseEENKUlvE_clEvENKUlvE2_clEvEUlN3c108BFloat16ES8_E_EEvS4_RKT_EUlibE_EEviT1_.kd
    .uniform_work_group_size: 1
    .uses_dynamic_stack: false
    .vgpr_count:     76
    .vgpr_spill_count: 0
    .wavefront_size: 64
  - .agpr_count:     0
    .args:
      - .offset:         0
        .size:           4
        .value_kind:     by_value
      - .offset:         8
        .size:           40
        .value_kind:     by_value
    .group_segment_fixed_size: 0
    .kernarg_segment_align: 8
    .kernarg_segment_size: 48
    .language:       OpenCL C
    .language_version:
      - 2
      - 0
    .max_flat_workgroup_size: 128
    .name:           _ZN2at6native32elementwise_kernel_manual_unrollILi128ELi4EZNS0_15gpu_kernel_implIZZZNS0_33launch_standard_gamma_grad_kernelERNS_18TensorIteratorBaseEENKUlvE_clEvENKUlvE2_clEvEUlN3c108BFloat16ES8_E_EEvS4_RKT_EUlibE_EEviT1_
    .private_segment_fixed_size: 0
    .sgpr_count:     68
    .sgpr_spill_count: 0
    .symbol:         _ZN2at6native32elementwise_kernel_manual_unrollILi128ELi4EZNS0_15gpu_kernel_implIZZZNS0_33launch_standard_gamma_grad_kernelERNS_18TensorIteratorBaseEENKUlvE_clEvENKUlvE2_clEvEUlN3c108BFloat16ES8_E_EEvS4_RKT_EUlibE_EEviT1_.kd
    .uniform_work_group_size: 1
    .uses_dynamic_stack: false
    .vgpr_count:     39
    .vgpr_spill_count: 0
    .wavefront_size: 64
  - .agpr_count:     0
    .args:
      - .offset:         0
        .size:           4
        .value_kind:     by_value
      - .offset:         8
        .size:           424
        .value_kind:     by_value
    .group_segment_fixed_size: 0
    .kernarg_segment_align: 8
    .kernarg_segment_size: 432
    .language:       OpenCL C
    .language_version:
      - 2
      - 0
    .max_flat_workgroup_size: 128
    .name:           _ZN2at6native32elementwise_kernel_manual_unrollILi128ELi4EZNS0_15gpu_kernel_implIZZZNS0_33launch_standard_gamma_grad_kernelERNS_18TensorIteratorBaseEENKUlvE_clEvENKUlvE2_clEvEUlN3c108BFloat16ES8_E_EEvS4_RKT_EUlibE0_EEviT1_
    .private_segment_fixed_size: 0
    .sgpr_count:     89
    .sgpr_spill_count: 0
    .symbol:         _ZN2at6native32elementwise_kernel_manual_unrollILi128ELi4EZNS0_15gpu_kernel_implIZZZNS0_33launch_standard_gamma_grad_kernelERNS_18TensorIteratorBaseEENKUlvE_clEvENKUlvE2_clEvEUlN3c108BFloat16ES8_E_EEvS4_RKT_EUlibE0_EEviT1_.kd
    .uniform_work_group_size: 1
    .uses_dynamic_stack: false
    .vgpr_count:     44
    .vgpr_spill_count: 0
    .wavefront_size: 64
  - .agpr_count:     0
    .args:
      - .offset:         0
        .size:           4
        .value_kind:     by_value
      - .offset:         4
        .size:           1
        .value_kind:     by_value
      - .offset:         8
        .size:           32
        .value_kind:     by_value
    .group_segment_fixed_size: 0
    .kernarg_segment_align: 8
    .kernarg_segment_size: 40
    .language:       OpenCL C
    .language_version:
      - 2
      - 0
    .max_flat_workgroup_size: 256
    .name:           _ZN2at6native29vectorized_elementwise_kernelILi16EZZZNS0_28launch_dirichlet_grad_kernelERNS_18TensorIteratorBaseEENKUlvE_clEvENKUlvE_clEvEUldddE_St5arrayIPcLm4EEEEviT0_T1_
    .private_segment_fixed_size: 8
    .sgpr_count:     102
    .sgpr_spill_count: 8
    .symbol:         _ZN2at6native29vectorized_elementwise_kernelILi16EZZZNS0_28launch_dirichlet_grad_kernelERNS_18TensorIteratorBaseEENKUlvE_clEvENKUlvE_clEvEUldddE_St5arrayIPcLm4EEEEviT0_T1_.kd
    .uniform_work_group_size: 1
    .uses_dynamic_stack: false
    .vgpr_count:     90
    .vgpr_spill_count: 0
    .wavefront_size: 64
  - .agpr_count:     0
    .args:
      - .offset:         0
        .size:           4
        .value_kind:     by_value
      - .offset:         4
        .size:           1
        .value_kind:     by_value
      - .offset:         8
        .size:           32
        .value_kind:     by_value
    .group_segment_fixed_size: 0
    .kernarg_segment_align: 8
    .kernarg_segment_size: 40
    .language:       OpenCL C
    .language_version:
      - 2
      - 0
    .max_flat_workgroup_size: 256
    .name:           _ZN2at6native29vectorized_elementwise_kernelILi8EZZZNS0_28launch_dirichlet_grad_kernelERNS_18TensorIteratorBaseEENKUlvE_clEvENKUlvE_clEvEUldddE_St5arrayIPcLm4EEEEviT0_T1_
    .private_segment_fixed_size: 8
    .sgpr_count:     102
    .sgpr_spill_count: 8
    .symbol:         _ZN2at6native29vectorized_elementwise_kernelILi8EZZZNS0_28launch_dirichlet_grad_kernelERNS_18TensorIteratorBaseEENKUlvE_clEvENKUlvE_clEvEUldddE_St5arrayIPcLm4EEEEviT0_T1_.kd
    .uniform_work_group_size: 1
    .uses_dynamic_stack: false
    .vgpr_count:     90
    .vgpr_spill_count: 0
    .wavefront_size: 64
  - .agpr_count:     0
    .args:
      - .offset:         0
        .size:           4
        .value_kind:     by_value
      - .offset:         4
        .size:           1
        .value_kind:     by_value
      - .offset:         8
        .size:           32
        .value_kind:     by_value
    .group_segment_fixed_size: 0
    .kernarg_segment_align: 8
    .kernarg_segment_size: 40
    .language:       OpenCL C
    .language_version:
      - 2
      - 0
    .max_flat_workgroup_size: 256
    .name:           _ZN2at6native29vectorized_elementwise_kernelILi4EZZZNS0_28launch_dirichlet_grad_kernelERNS_18TensorIteratorBaseEENKUlvE_clEvENKUlvE_clEvEUldddE_St5arrayIPcLm4EEEEviT0_T1_
    .private_segment_fixed_size: 8
    .sgpr_count:     102
    .sgpr_spill_count: 8
    .symbol:         _ZN2at6native29vectorized_elementwise_kernelILi4EZZZNS0_28launch_dirichlet_grad_kernelERNS_18TensorIteratorBaseEENKUlvE_clEvENKUlvE_clEvEUldddE_St5arrayIPcLm4EEEEviT0_T1_.kd
    .uniform_work_group_size: 1
    .uses_dynamic_stack: false
    .vgpr_count:     90
    .vgpr_spill_count: 0
    .wavefront_size: 64
  - .agpr_count:     0
    .args:
      - .offset:         0
        .size:           4
        .value_kind:     by_value
      - .offset:         4
        .size:           1
        .value_kind:     by_value
      - .offset:         8
        .size:           32
        .value_kind:     by_value
    .group_segment_fixed_size: 0
    .kernarg_segment_align: 8
    .kernarg_segment_size: 40
    .language:       OpenCL C
    .language_version:
      - 2
      - 0
    .max_flat_workgroup_size: 256
    .name:           _ZN2at6native29vectorized_elementwise_kernelILi2EZZZNS0_28launch_dirichlet_grad_kernelERNS_18TensorIteratorBaseEENKUlvE_clEvENKUlvE_clEvEUldddE_St5arrayIPcLm4EEEEviT0_T1_
    .private_segment_fixed_size: 8
    .sgpr_count:     102
    .sgpr_spill_count: 8
    .symbol:         _ZN2at6native29vectorized_elementwise_kernelILi2EZZZNS0_28launch_dirichlet_grad_kernelERNS_18TensorIteratorBaseEENKUlvE_clEvENKUlvE_clEvEUldddE_St5arrayIPcLm4EEEEviT0_T1_.kd
    .uniform_work_group_size: 1
    .uses_dynamic_stack: false
    .vgpr_count:     90
    .vgpr_spill_count: 0
    .wavefront_size: 64
  - .agpr_count:     0
    .args:
      - .offset:         0
        .size:           4
        .value_kind:     by_value
      - .offset:         4
        .size:           1
        .value_kind:     by_value
      - .offset:         8
        .size:           32
        .value_kind:     by_value
      - .offset:         40
        .size:           1
        .value_kind:     by_value
      - .offset:         41
        .size:           1
        .value_kind:     by_value
      - .offset:         42
        .size:           1
        .value_kind:     by_value
      - .offset:         43
        .size:           1
        .value_kind:     by_value
    .group_segment_fixed_size: 0
    .kernarg_segment_align: 8
    .kernarg_segment_size: 44
    .language:       OpenCL C
    .language_version:
      - 2
      - 0
    .max_flat_workgroup_size: 256
    .name:           _ZN2at6native27unrolled_elementwise_kernelIZZZNS0_28launch_dirichlet_grad_kernelERNS_18TensorIteratorBaseEENKUlvE_clEvENKUlvE_clEvEUldddE_St5arrayIPcLm4EELi4E23TrivialOffsetCalculatorILi3EjESA_ILi1EjENS0_6memory15LoadWithoutCastENSD_16StoreWithoutCastEEEviT_T0_T2_T3_T4_T5_
    .private_segment_fixed_size: 8
    .sgpr_count:     106
    .sgpr_spill_count: 2
    .symbol:         _ZN2at6native27unrolled_elementwise_kernelIZZZNS0_28launch_dirichlet_grad_kernelERNS_18TensorIteratorBaseEENKUlvE_clEvENKUlvE_clEvEUldddE_St5arrayIPcLm4EELi4E23TrivialOffsetCalculatorILi3EjESA_ILi1EjENS0_6memory15LoadWithoutCastENSD_16StoreWithoutCastEEEviT_T0_T2_T3_T4_T5_.kd
    .uniform_work_group_size: 1
    .uses_dynamic_stack: false
    .vgpr_count:     90
    .vgpr_spill_count: 0
    .wavefront_size: 64
  - .agpr_count:     0
    .args:
      - .offset:         0
        .size:           4
        .value_kind:     by_value
      - .offset:         8
        .size:           496
        .value_kind:     by_value
    .group_segment_fixed_size: 0
    .kernarg_segment_align: 8
    .kernarg_segment_size: 504
    .language:       OpenCL C
    .language_version:
      - 2
      - 0
    .max_flat_workgroup_size: 128
    .name:           _ZN2at6native32elementwise_kernel_manual_unrollILi128ELi4EZNS0_22gpu_kernel_impl_nocastIZZZNS0_28launch_dirichlet_grad_kernelERNS_18TensorIteratorBaseEENKUlvE_clEvENKUlvE_clEvEUldddE_EEvS4_RKT_EUlibE_EEviT1_
    .private_segment_fixed_size: 8
    .sgpr_count:     106
    .sgpr_spill_count: 11
    .symbol:         _ZN2at6native32elementwise_kernel_manual_unrollILi128ELi4EZNS0_22gpu_kernel_impl_nocastIZZZNS0_28launch_dirichlet_grad_kernelERNS_18TensorIteratorBaseEENKUlvE_clEvENKUlvE_clEvEUldddE_EEvS4_RKT_EUlibE_EEviT1_.kd
    .uniform_work_group_size: 1
    .uses_dynamic_stack: false
    .vgpr_count:     89
    .vgpr_spill_count: 0
    .wavefront_size: 64
  - .agpr_count:     0
    .args:
      - .offset:         0
        .size:           4
        .value_kind:     by_value
      - .offset:         8
        .size:           56
        .value_kind:     by_value
    .group_segment_fixed_size: 0
    .kernarg_segment_align: 8
    .kernarg_segment_size: 64
    .language:       OpenCL C
    .language_version:
      - 2
      - 0
    .max_flat_workgroup_size: 128
    .name:           _ZN2at6native32elementwise_kernel_manual_unrollILi128ELi4EZNS0_15gpu_kernel_implIZZZNS0_28launch_dirichlet_grad_kernelERNS_18TensorIteratorBaseEENKUlvE_clEvENKUlvE_clEvEUldddE_EEvS4_RKT_EUlibE_EEviT1_
    .private_segment_fixed_size: 8
    .sgpr_count:     104
    .sgpr_spill_count: 212
    .symbol:         _ZN2at6native32elementwise_kernel_manual_unrollILi128ELi4EZNS0_15gpu_kernel_implIZZZNS0_28launch_dirichlet_grad_kernelERNS_18TensorIteratorBaseEENKUlvE_clEvENKUlvE_clEvEUldddE_EEvS4_RKT_EUlibE_EEviT1_.kd
    .uniform_work_group_size: 1
    .uses_dynamic_stack: false
    .vgpr_count:     82
    .vgpr_spill_count: 0
    .wavefront_size: 64
  - .agpr_count:     0
    .args:
      - .offset:         0
        .size:           4
        .value_kind:     by_value
      - .offset:         8
        .size:           496
        .value_kind:     by_value
    .group_segment_fixed_size: 0
    .kernarg_segment_align: 8
    .kernarg_segment_size: 504
    .language:       OpenCL C
    .language_version:
      - 2
      - 0
    .max_flat_workgroup_size: 128
    .name:           _ZN2at6native32elementwise_kernel_manual_unrollILi128ELi4EZNS0_15gpu_kernel_implIZZZNS0_28launch_dirichlet_grad_kernelERNS_18TensorIteratorBaseEENKUlvE_clEvENKUlvE_clEvEUldddE_EEvS4_RKT_EUlibE0_EEviT1_
    .private_segment_fixed_size: 8
    .sgpr_count:     104
    .sgpr_spill_count: 347
    .symbol:         _ZN2at6native32elementwise_kernel_manual_unrollILi128ELi4EZNS0_15gpu_kernel_implIZZZNS0_28launch_dirichlet_grad_kernelERNS_18TensorIteratorBaseEENKUlvE_clEvENKUlvE_clEvEUldddE_EEvS4_RKT_EUlibE0_EEviT1_.kd
    .uniform_work_group_size: 1
    .uses_dynamic_stack: false
    .vgpr_count:     88
    .vgpr_spill_count: 0
    .wavefront_size: 64
  - .agpr_count:     0
    .args:
      - .offset:         0
        .size:           4
        .value_kind:     by_value
      - .offset:         4
        .size:           1
        .value_kind:     by_value
      - .offset:         8
        .size:           32
        .value_kind:     by_value
    .group_segment_fixed_size: 0
    .kernarg_segment_align: 8
    .kernarg_segment_size: 40
    .language:       OpenCL C
    .language_version:
      - 2
      - 0
    .max_flat_workgroup_size: 256
    .name:           _ZN2at6native29vectorized_elementwise_kernelILi16EZZZNS0_28launch_dirichlet_grad_kernelERNS_18TensorIteratorBaseEENKUlvE_clEvENKUlvE0_clEvEUlfffE_St5arrayIPcLm4EEEEviT0_T1_
    .private_segment_fixed_size: 0
    .sgpr_count:     52
    .sgpr_spill_count: 0
    .symbol:         _ZN2at6native29vectorized_elementwise_kernelILi16EZZZNS0_28launch_dirichlet_grad_kernelERNS_18TensorIteratorBaseEENKUlvE_clEvENKUlvE0_clEvEUlfffE_St5arrayIPcLm4EEEEviT0_T1_.kd
    .uniform_work_group_size: 1
    .uses_dynamic_stack: false
    .vgpr_count:     55
    .vgpr_spill_count: 0
    .wavefront_size: 64
  - .agpr_count:     0
    .args:
      - .offset:         0
        .size:           4
        .value_kind:     by_value
      - .offset:         4
        .size:           1
        .value_kind:     by_value
      - .offset:         8
        .size:           32
        .value_kind:     by_value
    .group_segment_fixed_size: 0
    .kernarg_segment_align: 8
    .kernarg_segment_size: 40
    .language:       OpenCL C
    .language_version:
      - 2
      - 0
    .max_flat_workgroup_size: 256
    .name:           _ZN2at6native29vectorized_elementwise_kernelILi8EZZZNS0_28launch_dirichlet_grad_kernelERNS_18TensorIteratorBaseEENKUlvE_clEvENKUlvE0_clEvEUlfffE_St5arrayIPcLm4EEEEviT0_T1_
    .private_segment_fixed_size: 0
    .sgpr_count:     52
    .sgpr_spill_count: 0
    .symbol:         _ZN2at6native29vectorized_elementwise_kernelILi8EZZZNS0_28launch_dirichlet_grad_kernelERNS_18TensorIteratorBaseEENKUlvE_clEvENKUlvE0_clEvEUlfffE_St5arrayIPcLm4EEEEviT0_T1_.kd
    .uniform_work_group_size: 1
    .uses_dynamic_stack: false
    .vgpr_count:     55
    .vgpr_spill_count: 0
    .wavefront_size: 64
  - .agpr_count:     0
    .args:
      - .offset:         0
        .size:           4
        .value_kind:     by_value
      - .offset:         4
        .size:           1
        .value_kind:     by_value
      - .offset:         8
        .size:           32
        .value_kind:     by_value
    .group_segment_fixed_size: 0
    .kernarg_segment_align: 8
    .kernarg_segment_size: 40
    .language:       OpenCL C
    .language_version:
      - 2
      - 0
    .max_flat_workgroup_size: 256
    .name:           _ZN2at6native29vectorized_elementwise_kernelILi4EZZZNS0_28launch_dirichlet_grad_kernelERNS_18TensorIteratorBaseEENKUlvE_clEvENKUlvE0_clEvEUlfffE_St5arrayIPcLm4EEEEviT0_T1_
    .private_segment_fixed_size: 0
    .sgpr_count:     52
    .sgpr_spill_count: 0
    .symbol:         _ZN2at6native29vectorized_elementwise_kernelILi4EZZZNS0_28launch_dirichlet_grad_kernelERNS_18TensorIteratorBaseEENKUlvE_clEvENKUlvE0_clEvEUlfffE_St5arrayIPcLm4EEEEviT0_T1_.kd
    .uniform_work_group_size: 1
    .uses_dynamic_stack: false
    .vgpr_count:     55
    .vgpr_spill_count: 0
    .wavefront_size: 64
  - .agpr_count:     0
    .args:
      - .offset:         0
        .size:           4
        .value_kind:     by_value
      - .offset:         4
        .size:           1
        .value_kind:     by_value
      - .offset:         8
        .size:           32
        .value_kind:     by_value
    .group_segment_fixed_size: 0
    .kernarg_segment_align: 8
    .kernarg_segment_size: 40
    .language:       OpenCL C
    .language_version:
      - 2
      - 0
    .max_flat_workgroup_size: 256
    .name:           _ZN2at6native29vectorized_elementwise_kernelILi2EZZZNS0_28launch_dirichlet_grad_kernelERNS_18TensorIteratorBaseEENKUlvE_clEvENKUlvE0_clEvEUlfffE_St5arrayIPcLm4EEEEviT0_T1_
    .private_segment_fixed_size: 0
    .sgpr_count:     52
    .sgpr_spill_count: 0
    .symbol:         _ZN2at6native29vectorized_elementwise_kernelILi2EZZZNS0_28launch_dirichlet_grad_kernelERNS_18TensorIteratorBaseEENKUlvE_clEvENKUlvE0_clEvEUlfffE_St5arrayIPcLm4EEEEviT0_T1_.kd
    .uniform_work_group_size: 1
    .uses_dynamic_stack: false
    .vgpr_count:     55
    .vgpr_spill_count: 0
    .wavefront_size: 64
  - .agpr_count:     0
    .args:
      - .offset:         0
        .size:           4
        .value_kind:     by_value
      - .offset:         4
        .size:           1
        .value_kind:     by_value
      - .offset:         8
        .size:           32
        .value_kind:     by_value
      - .offset:         40
        .size:           1
        .value_kind:     by_value
      - .offset:         41
        .size:           1
        .value_kind:     by_value
      - .offset:         42
        .size:           1
        .value_kind:     by_value
      - .offset:         43
        .size:           1
        .value_kind:     by_value
    .group_segment_fixed_size: 0
    .kernarg_segment_align: 8
    .kernarg_segment_size: 44
    .language:       OpenCL C
    .language_version:
      - 2
      - 0
    .max_flat_workgroup_size: 256
    .name:           _ZN2at6native27unrolled_elementwise_kernelIZZZNS0_28launch_dirichlet_grad_kernelERNS_18TensorIteratorBaseEENKUlvE_clEvENKUlvE0_clEvEUlfffE_St5arrayIPcLm4EELi4E23TrivialOffsetCalculatorILi3EjESA_ILi1EjENS0_6memory15LoadWithoutCastENSD_16StoreWithoutCastEEEviT_T0_T2_T3_T4_T5_
    .private_segment_fixed_size: 0
    .sgpr_count:     51
    .sgpr_spill_count: 0
    .symbol:         _ZN2at6native27unrolled_elementwise_kernelIZZZNS0_28launch_dirichlet_grad_kernelERNS_18TensorIteratorBaseEENKUlvE_clEvENKUlvE0_clEvEUlfffE_St5arrayIPcLm4EELi4E23TrivialOffsetCalculatorILi3EjESA_ILi1EjENS0_6memory15LoadWithoutCastENSD_16StoreWithoutCastEEEviT_T0_T2_T3_T4_T5_.kd
    .uniform_work_group_size: 1
    .uses_dynamic_stack: false
    .vgpr_count:     55
    .vgpr_spill_count: 0
    .wavefront_size: 64
  - .agpr_count:     0
    .args:
      - .offset:         0
        .size:           4
        .value_kind:     by_value
      - .offset:         8
        .size:           496
        .value_kind:     by_value
    .group_segment_fixed_size: 0
    .kernarg_segment_align: 8
    .kernarg_segment_size: 504
    .language:       OpenCL C
    .language_version:
      - 2
      - 0
    .max_flat_workgroup_size: 128
    .name:           _ZN2at6native32elementwise_kernel_manual_unrollILi128ELi4EZNS0_22gpu_kernel_impl_nocastIZZZNS0_28launch_dirichlet_grad_kernelERNS_18TensorIteratorBaseEENKUlvE_clEvENKUlvE0_clEvEUlfffE_EEvS4_RKT_EUlibE_EEviT1_
    .private_segment_fixed_size: 0
    .sgpr_count:     75
    .sgpr_spill_count: 0
    .symbol:         _ZN2at6native32elementwise_kernel_manual_unrollILi128ELi4EZNS0_22gpu_kernel_impl_nocastIZZZNS0_28launch_dirichlet_grad_kernelERNS_18TensorIteratorBaseEENKUlvE_clEvENKUlvE0_clEvEUlfffE_EEvS4_RKT_EUlibE_EEviT1_.kd
    .uniform_work_group_size: 1
    .uses_dynamic_stack: false
    .vgpr_count:     66
    .vgpr_spill_count: 0
    .wavefront_size: 64
  - .agpr_count:     0
    .args:
      - .offset:         0
        .size:           4
        .value_kind:     by_value
      - .offset:         8
        .size:           56
        .value_kind:     by_value
    .group_segment_fixed_size: 0
    .kernarg_segment_align: 8
    .kernarg_segment_size: 64
    .language:       OpenCL C
    .language_version:
      - 2
      - 0
    .max_flat_workgroup_size: 128
    .name:           _ZN2at6native32elementwise_kernel_manual_unrollILi128ELi4EZNS0_15gpu_kernel_implIZZZNS0_28launch_dirichlet_grad_kernelERNS_18TensorIteratorBaseEENKUlvE_clEvENKUlvE0_clEvEUlfffE_EEvS4_RKT_EUlibE_EEviT1_
    .private_segment_fixed_size: 0
    .sgpr_count:     82
    .sgpr_spill_count: 0
    .symbol:         _ZN2at6native32elementwise_kernel_manual_unrollILi128ELi4EZNS0_15gpu_kernel_implIZZZNS0_28launch_dirichlet_grad_kernelERNS_18TensorIteratorBaseEENKUlvE_clEvENKUlvE0_clEvEUlfffE_EEvS4_RKT_EUlibE_EEviT1_.kd
    .uniform_work_group_size: 1
    .uses_dynamic_stack: false
    .vgpr_count:     50
    .vgpr_spill_count: 0
    .wavefront_size: 64
  - .agpr_count:     0
    .args:
      - .offset:         0
        .size:           4
        .value_kind:     by_value
      - .offset:         8
        .size:           496
        .value_kind:     by_value
    .group_segment_fixed_size: 0
    .kernarg_segment_align: 8
    .kernarg_segment_size: 504
    .language:       OpenCL C
    .language_version:
      - 2
      - 0
    .max_flat_workgroup_size: 128
    .name:           _ZN2at6native32elementwise_kernel_manual_unrollILi128ELi4EZNS0_15gpu_kernel_implIZZZNS0_28launch_dirichlet_grad_kernelERNS_18TensorIteratorBaseEENKUlvE_clEvENKUlvE0_clEvEUlfffE_EEvS4_RKT_EUlibE0_EEviT1_
    .private_segment_fixed_size: 0
    .sgpr_count:     104
    .sgpr_spill_count: 0
    .symbol:         _ZN2at6native32elementwise_kernel_manual_unrollILi128ELi4EZNS0_15gpu_kernel_implIZZZNS0_28launch_dirichlet_grad_kernelERNS_18TensorIteratorBaseEENKUlvE_clEvENKUlvE0_clEvEUlfffE_EEvS4_RKT_EUlibE0_EEviT1_.kd
    .uniform_work_group_size: 1
    .uses_dynamic_stack: false
    .vgpr_count:     56
    .vgpr_spill_count: 0
    .wavefront_size: 64
amdhsa.target:   amdgcn-amd-amdhsa--gfx90a
amdhsa.version:
  - 1
  - 2
...

	.end_amdgpu_metadata
